;; amdgpu-corpus repo=ROCm/rocBLAS kind=compiled arch=gfx1250 opt=O3
	.amdgcn_target "amdgcn-amd-amdhsa--gfx1250"
	.amdhsa_code_object_version 6
	.section	.text._ZL34rocblas_gemvn_sm_mn_batched_kernelILi32ELi24EfPKffEviiT2_lPKT1_lilS5_lilS2_lPT3_lili,"axG",@progbits,_ZL34rocblas_gemvn_sm_mn_batched_kernelILi32ELi24EfPKffEviiT2_lPKT1_lilS5_lilS2_lPT3_lili,comdat
	.globl	_ZL34rocblas_gemvn_sm_mn_batched_kernelILi32ELi24EfPKffEviiT2_lPKT1_lilS5_lilS2_lPT3_lili ; -- Begin function _ZL34rocblas_gemvn_sm_mn_batched_kernelILi32ELi24EfPKffEviiT2_lPKT1_lilS5_lilS2_lPT3_lili
	.p2align	8
	.type	_ZL34rocblas_gemvn_sm_mn_batched_kernelILi32ELi24EfPKffEviiT2_lPKT1_lilS5_lilS2_lPT3_lili,@function
_ZL34rocblas_gemvn_sm_mn_batched_kernelILi32ELi24EfPKffEviiT2_lPKT1_lilS5_lilS2_lPT3_lili: ; @_ZL34rocblas_gemvn_sm_mn_batched_kernelILi32ELi24EfPKffEviiT2_lPKT1_lilS5_lilS2_lPT3_lili
; %bb.0:
	s_endpgm
	.section	.rodata,"a",@progbits
	.p2align	6, 0x0
	.amdhsa_kernel _ZL34rocblas_gemvn_sm_mn_batched_kernelILi32ELi24EfPKffEviiT2_lPKT1_lilS5_lilS2_lPT3_lili
		.amdhsa_group_segment_fixed_size 0
		.amdhsa_private_segment_fixed_size 0
		.amdhsa_kernarg_size 140
		.amdhsa_user_sgpr_count 2
		.amdhsa_user_sgpr_dispatch_ptr 0
		.amdhsa_user_sgpr_queue_ptr 0
		.amdhsa_user_sgpr_kernarg_segment_ptr 1
		.amdhsa_user_sgpr_dispatch_id 0
		.amdhsa_user_sgpr_kernarg_preload_length 0
		.amdhsa_user_sgpr_kernarg_preload_offset 0
		.amdhsa_user_sgpr_private_segment_size 0
		.amdhsa_wavefront_size32 1
		.amdhsa_uses_dynamic_stack 0
		.amdhsa_enable_private_segment 0
		.amdhsa_system_sgpr_workgroup_id_x 1
		.amdhsa_system_sgpr_workgroup_id_y 0
		.amdhsa_system_sgpr_workgroup_id_z 0
		.amdhsa_system_sgpr_workgroup_info 0
		.amdhsa_system_vgpr_workitem_id 0
		.amdhsa_next_free_vgpr 1
		.amdhsa_next_free_sgpr 1
		.amdhsa_named_barrier_count 0
		.amdhsa_reserve_vcc 0
		.amdhsa_float_round_mode_32 0
		.amdhsa_float_round_mode_16_64 0
		.amdhsa_float_denorm_mode_32 3
		.amdhsa_float_denorm_mode_16_64 3
		.amdhsa_fp16_overflow 0
		.amdhsa_memory_ordered 1
		.amdhsa_forward_progress 1
		.amdhsa_inst_pref_size 1
		.amdhsa_round_robin_scheduling 0
		.amdhsa_exception_fp_ieee_invalid_op 0
		.amdhsa_exception_fp_denorm_src 0
		.amdhsa_exception_fp_ieee_div_zero 0
		.amdhsa_exception_fp_ieee_overflow 0
		.amdhsa_exception_fp_ieee_underflow 0
		.amdhsa_exception_fp_ieee_inexact 0
		.amdhsa_exception_int_div_zero 0
	.end_amdhsa_kernel
	.section	.text._ZL34rocblas_gemvn_sm_mn_batched_kernelILi32ELi24EfPKffEviiT2_lPKT1_lilS5_lilS2_lPT3_lili,"axG",@progbits,_ZL34rocblas_gemvn_sm_mn_batched_kernelILi32ELi24EfPKffEviiT2_lPKT1_lilS5_lilS2_lPT3_lili,comdat
.Lfunc_end0:
	.size	_ZL34rocblas_gemvn_sm_mn_batched_kernelILi32ELi24EfPKffEviiT2_lPKT1_lilS5_lilS2_lPT3_lili, .Lfunc_end0-_ZL34rocblas_gemvn_sm_mn_batched_kernelILi32ELi24EfPKffEviiT2_lPKT1_lilS5_lilS2_lPT3_lili
                                        ; -- End function
	.set _ZL34rocblas_gemvn_sm_mn_batched_kernelILi32ELi24EfPKffEviiT2_lPKT1_lilS5_lilS2_lPT3_lili.num_vgpr, 0
	.set _ZL34rocblas_gemvn_sm_mn_batched_kernelILi32ELi24EfPKffEviiT2_lPKT1_lilS5_lilS2_lPT3_lili.num_agpr, 0
	.set _ZL34rocblas_gemvn_sm_mn_batched_kernelILi32ELi24EfPKffEviiT2_lPKT1_lilS5_lilS2_lPT3_lili.numbered_sgpr, 0
	.set _ZL34rocblas_gemvn_sm_mn_batched_kernelILi32ELi24EfPKffEviiT2_lPKT1_lilS5_lilS2_lPT3_lili.num_named_barrier, 0
	.set _ZL34rocblas_gemvn_sm_mn_batched_kernelILi32ELi24EfPKffEviiT2_lPKT1_lilS5_lilS2_lPT3_lili.private_seg_size, 0
	.set _ZL34rocblas_gemvn_sm_mn_batched_kernelILi32ELi24EfPKffEviiT2_lPKT1_lilS5_lilS2_lPT3_lili.uses_vcc, 0
	.set _ZL34rocblas_gemvn_sm_mn_batched_kernelILi32ELi24EfPKffEviiT2_lPKT1_lilS5_lilS2_lPT3_lili.uses_flat_scratch, 0
	.set _ZL34rocblas_gemvn_sm_mn_batched_kernelILi32ELi24EfPKffEviiT2_lPKT1_lilS5_lilS2_lPT3_lili.has_dyn_sized_stack, 0
	.set _ZL34rocblas_gemvn_sm_mn_batched_kernelILi32ELi24EfPKffEviiT2_lPKT1_lilS5_lilS2_lPT3_lili.has_recursion, 0
	.set _ZL34rocblas_gemvn_sm_mn_batched_kernelILi32ELi24EfPKffEviiT2_lPKT1_lilS5_lilS2_lPT3_lili.has_indirect_call, 0
	.section	.AMDGPU.csdata,"",@progbits
; Kernel info:
; codeLenInByte = 4
; TotalNumSgprs: 0
; NumVgprs: 0
; ScratchSize: 0
; MemoryBound: 0
; FloatMode: 240
; IeeeMode: 1
; LDSByteSize: 0 bytes/workgroup (compile time only)
; SGPRBlocks: 0
; VGPRBlocks: 0
; NumSGPRsForWavesPerEU: 1
; NumVGPRsForWavesPerEU: 1
; NamedBarCnt: 0
; Occupancy: 16
; WaveLimiterHint : 0
; COMPUTE_PGM_RSRC2:SCRATCH_EN: 0
; COMPUTE_PGM_RSRC2:USER_SGPR: 2
; COMPUTE_PGM_RSRC2:TRAP_HANDLER: 0
; COMPUTE_PGM_RSRC2:TGID_X_EN: 1
; COMPUTE_PGM_RSRC2:TGID_Y_EN: 0
; COMPUTE_PGM_RSRC2:TGID_Z_EN: 0
; COMPUTE_PGM_RSRC2:TIDIG_COMP_CNT: 0
	.section	.text._ZL34rocblas_gemvn_sm_mn_batched_kernelILi32ELi24EfffEviiT2_lPKT1_lilS3_lilS0_lPT3_lili,"axG",@progbits,_ZL34rocblas_gemvn_sm_mn_batched_kernelILi32ELi24EfffEviiT2_lPKT1_lilS3_lilS0_lPT3_lili,comdat
	.globl	_ZL34rocblas_gemvn_sm_mn_batched_kernelILi32ELi24EfffEviiT2_lPKT1_lilS3_lilS0_lPT3_lili ; -- Begin function _ZL34rocblas_gemvn_sm_mn_batched_kernelILi32ELi24EfffEviiT2_lPKT1_lilS3_lilS0_lPT3_lili
	.p2align	8
	.type	_ZL34rocblas_gemvn_sm_mn_batched_kernelILi32ELi24EfffEviiT2_lPKT1_lilS3_lilS0_lPT3_lili,@function
_ZL34rocblas_gemvn_sm_mn_batched_kernelILi32ELi24EfffEviiT2_lPKT1_lilS3_lilS0_lPT3_lili: ; @_ZL34rocblas_gemvn_sm_mn_batched_kernelILi32ELi24EfffEviiT2_lPKT1_lilS3_lilS0_lPT3_lili
; %bb.0:
	s_endpgm
	.section	.rodata,"a",@progbits
	.p2align	6, 0x0
	.amdhsa_kernel _ZL34rocblas_gemvn_sm_mn_batched_kernelILi32ELi24EfffEviiT2_lPKT1_lilS3_lilS0_lPT3_lili
		.amdhsa_group_segment_fixed_size 0
		.amdhsa_private_segment_fixed_size 0
		.amdhsa_kernarg_size 140
		.amdhsa_user_sgpr_count 2
		.amdhsa_user_sgpr_dispatch_ptr 0
		.amdhsa_user_sgpr_queue_ptr 0
		.amdhsa_user_sgpr_kernarg_segment_ptr 1
		.amdhsa_user_sgpr_dispatch_id 0
		.amdhsa_user_sgpr_kernarg_preload_length 0
		.amdhsa_user_sgpr_kernarg_preload_offset 0
		.amdhsa_user_sgpr_private_segment_size 0
		.amdhsa_wavefront_size32 1
		.amdhsa_uses_dynamic_stack 0
		.amdhsa_enable_private_segment 0
		.amdhsa_system_sgpr_workgroup_id_x 1
		.amdhsa_system_sgpr_workgroup_id_y 0
		.amdhsa_system_sgpr_workgroup_id_z 0
		.amdhsa_system_sgpr_workgroup_info 0
		.amdhsa_system_vgpr_workitem_id 0
		.amdhsa_next_free_vgpr 1
		.amdhsa_next_free_sgpr 1
		.amdhsa_named_barrier_count 0
		.amdhsa_reserve_vcc 0
		.amdhsa_float_round_mode_32 0
		.amdhsa_float_round_mode_16_64 0
		.amdhsa_float_denorm_mode_32 3
		.amdhsa_float_denorm_mode_16_64 3
		.amdhsa_fp16_overflow 0
		.amdhsa_memory_ordered 1
		.amdhsa_forward_progress 1
		.amdhsa_inst_pref_size 1
		.amdhsa_round_robin_scheduling 0
		.amdhsa_exception_fp_ieee_invalid_op 0
		.amdhsa_exception_fp_denorm_src 0
		.amdhsa_exception_fp_ieee_div_zero 0
		.amdhsa_exception_fp_ieee_overflow 0
		.amdhsa_exception_fp_ieee_underflow 0
		.amdhsa_exception_fp_ieee_inexact 0
		.amdhsa_exception_int_div_zero 0
	.end_amdhsa_kernel
	.section	.text._ZL34rocblas_gemvn_sm_mn_batched_kernelILi32ELi24EfffEviiT2_lPKT1_lilS3_lilS0_lPT3_lili,"axG",@progbits,_ZL34rocblas_gemvn_sm_mn_batched_kernelILi32ELi24EfffEviiT2_lPKT1_lilS3_lilS0_lPT3_lili,comdat
.Lfunc_end1:
	.size	_ZL34rocblas_gemvn_sm_mn_batched_kernelILi32ELi24EfffEviiT2_lPKT1_lilS3_lilS0_lPT3_lili, .Lfunc_end1-_ZL34rocblas_gemvn_sm_mn_batched_kernelILi32ELi24EfffEviiT2_lPKT1_lilS3_lilS0_lPT3_lili
                                        ; -- End function
	.set _ZL34rocblas_gemvn_sm_mn_batched_kernelILi32ELi24EfffEviiT2_lPKT1_lilS3_lilS0_lPT3_lili.num_vgpr, 0
	.set _ZL34rocblas_gemvn_sm_mn_batched_kernelILi32ELi24EfffEviiT2_lPKT1_lilS3_lilS0_lPT3_lili.num_agpr, 0
	.set _ZL34rocblas_gemvn_sm_mn_batched_kernelILi32ELi24EfffEviiT2_lPKT1_lilS3_lilS0_lPT3_lili.numbered_sgpr, 0
	.set _ZL34rocblas_gemvn_sm_mn_batched_kernelILi32ELi24EfffEviiT2_lPKT1_lilS3_lilS0_lPT3_lili.num_named_barrier, 0
	.set _ZL34rocblas_gemvn_sm_mn_batched_kernelILi32ELi24EfffEviiT2_lPKT1_lilS3_lilS0_lPT3_lili.private_seg_size, 0
	.set _ZL34rocblas_gemvn_sm_mn_batched_kernelILi32ELi24EfffEviiT2_lPKT1_lilS3_lilS0_lPT3_lili.uses_vcc, 0
	.set _ZL34rocblas_gemvn_sm_mn_batched_kernelILi32ELi24EfffEviiT2_lPKT1_lilS3_lilS0_lPT3_lili.uses_flat_scratch, 0
	.set _ZL34rocblas_gemvn_sm_mn_batched_kernelILi32ELi24EfffEviiT2_lPKT1_lilS3_lilS0_lPT3_lili.has_dyn_sized_stack, 0
	.set _ZL34rocblas_gemvn_sm_mn_batched_kernelILi32ELi24EfffEviiT2_lPKT1_lilS3_lilS0_lPT3_lili.has_recursion, 0
	.set _ZL34rocblas_gemvn_sm_mn_batched_kernelILi32ELi24EfffEviiT2_lPKT1_lilS3_lilS0_lPT3_lili.has_indirect_call, 0
	.section	.AMDGPU.csdata,"",@progbits
; Kernel info:
; codeLenInByte = 4
; TotalNumSgprs: 0
; NumVgprs: 0
; ScratchSize: 0
; MemoryBound: 0
; FloatMode: 240
; IeeeMode: 1
; LDSByteSize: 0 bytes/workgroup (compile time only)
; SGPRBlocks: 0
; VGPRBlocks: 0
; NumSGPRsForWavesPerEU: 1
; NumVGPRsForWavesPerEU: 1
; NamedBarCnt: 0
; Occupancy: 16
; WaveLimiterHint : 0
; COMPUTE_PGM_RSRC2:SCRATCH_EN: 0
; COMPUTE_PGM_RSRC2:USER_SGPR: 2
; COMPUTE_PGM_RSRC2:TRAP_HANDLER: 0
; COMPUTE_PGM_RSRC2:TGID_X_EN: 1
; COMPUTE_PGM_RSRC2:TGID_Y_EN: 0
; COMPUTE_PGM_RSRC2:TGID_Z_EN: 0
; COMPUTE_PGM_RSRC2:TIDIG_COMP_CNT: 0
	.section	.text._ZL20rocblas_gemvn_kernelILi64ELi4EifPKffEviiT3_lPKT2_lT1_lS5_lS6_lS2_lPT4_lS6_li,"axG",@progbits,_ZL20rocblas_gemvn_kernelILi64ELi4EifPKffEviiT3_lPKT2_lT1_lS5_lS6_lS2_lPT4_lS6_li,comdat
	.globl	_ZL20rocblas_gemvn_kernelILi64ELi4EifPKffEviiT3_lPKT2_lT1_lS5_lS6_lS2_lPT4_lS6_li ; -- Begin function _ZL20rocblas_gemvn_kernelILi64ELi4EifPKffEviiT3_lPKT2_lT1_lS5_lS6_lS2_lPT4_lS6_li
	.p2align	8
	.type	_ZL20rocblas_gemvn_kernelILi64ELi4EifPKffEviiT3_lPKT2_lT1_lS5_lS6_lS2_lPT4_lS6_li,@function
_ZL20rocblas_gemvn_kernelILi64ELi4EifPKffEviiT3_lPKT2_lT1_lS5_lS6_lS2_lPT4_lS6_li: ; @_ZL20rocblas_gemvn_kernelILi64ELi4EifPKffEviiT3_lPKT2_lT1_lS5_lS6_lS2_lPT4_lS6_li
; %bb.0:
	s_load_b64 s[2:3], s[0:1], 0x9c
	s_wait_kmcnt 0x0
	s_lshr_b32 s4, s2, 16
	s_and_b32 s2, s2, 0xffff
	s_and_b32 s3, s3, 0xffff
	s_mul_i32 s2, s4, s2
	s_delay_alu instid0(SALU_CYCLE_1) | instskip(NEXT) | instid1(SALU_CYCLE_1)
	s_mul_i32 s2, s2, s3
	s_cmp_lg_u32 s2, 0x100
	s_cbranch_scc1 .LBB2_53
; %bb.1:
	s_load_b32 s31, s[0:1], 0x88
	s_bfe_u32 s2, ttmp6, 0x40014
	s_lshr_b32 s3, ttmp7, 16
	s_add_co_i32 s2, s2, 1
	s_bfe_u32 s5, ttmp6, 0x40008
	s_mul_i32 s4, s3, s2
	s_getreg_b32 s2, hwreg(HW_REG_IB_STS2, 6, 4)
	s_add_co_i32 s5, s5, s4
	s_cmp_eq_u32 s2, 0
	s_mov_b32 s35, 0
	s_cselect_b32 s34, s3, s5
	s_wait_kmcnt 0x0
	s_cmp_ge_u32 s34, s31
	s_cbranch_scc1 .LBB2_53
; %bb.2:
	s_clause 0x7
	s_load_b256 s[8:15], s[0:1], 0x8
	s_load_b96 s[28:30], s[0:1], 0x40
	s_load_b96 s[4:6], s[0:1], 0x70
	s_load_b64 s[36:37], s[0:1], 0x0
	s_load_b32 s33, s[0:1], 0x28
	s_load_b128 s[24:27], s[0:1], 0x30
	s_load_b256 s[16:23], s[0:1], 0x50
	s_load_b64 s[38:39], s[0:1], 0x80
	s_wait_xcnt 0x0
	s_bfe_u32 s0, ttmp6, 0x4000c
	v_and_b32_e32 v6, 0x3ff, v0
	s_add_co_i32 s0, s0, 1
	v_bfe_u32 v5, v0, 10, 10
	s_and_b32 s1, ttmp6, 15
	s_mul_i32 s0, ttmp9, s0
	s_delay_alu instid0(SALU_CYCLE_1) | instskip(NEXT) | instid1(VALU_DEP_1)
	s_add_co_i32 s7, s1, s0
	v_lshl_add_u32 v4, v5, 6, v6
	s_wait_kmcnt 0x0
	s_lshl_b64 s[0:1], s[14:15], 2
	s_lshl_b64 s[14:15], s[28:29], 2
	;; [unrolled: 1-line block ×3, first 2 shown]
	s_ashr_i32 s3, s6, 31
	s_cmp_eq_u32 s2, 0
	s_mov_b32 s2, s6
	s_cselect_b32 s7, ttmp9, s7
	s_mov_b32 s28, s36
	s_lshl_b32 s42, s7, 8
	s_delay_alu instid0(SALU_CYCLE_1)
	v_dual_mov_b32 v1, 0 :: v_dual_add_nc_u32 v0, s42, v4
	v_or_b32_e32 v30, s42, v6
	s_ashr_i32 s29, s36, 31
	s_add_nc_u64 s[12:13], s[12:13], s[0:1]
	s_ashr_i32 s0, s37, 31
	v_mul_u64_e32 v[2:3], s[2:3], v[0:1]
	v_cmp_gt_i64_e32 vcc_lo, s[28:29], v[0:1]
	v_dual_lshlrev_b32 v0, 2, v5 :: v_dual_add_nc_u32 v7, 64, v30
	v_or_b32_e32 v9, s42, v4
	s_lshr_b32 s0, s0, 28
	v_mul_lo_u32 v13, v5, s30
	s_add_co_i32 s0, s37, s0
	v_add_nc_u32_e32 v8, 0x80, v30
	v_cmp_gt_i32_e64 s2, s36, v7
	v_add_nc_u32_e32 v7, 0xc0, v30
	s_and_b32 s43, s0, -16
	s_add_nc_u64 s[22:23], s[22:23], s[4:5]
	s_sub_co_i32 s4, s37, s43
	v_cmp_gt_i32_e64 s3, s36, v8
	v_lshlrev_b32_e32 v8, 2, v6
	s_cmp_gt_i32 s4, 0
	v_cmp_gt_i32_e64 s4, s36, v7
	v_cmp_gt_u32_e64 s5, 0x100, v4
	v_mul_lo_u32 v4, s6, v9
	v_or_b32_e32 v7, 2, v0
	v_dual_lshlrev_b32 v40, 2, v13 :: v_dual_bitop2_b32 v10, 3, v0 bitop3:0x54
	v_mul_lo_u32 v11, s33, v0
	v_mul_lo_u32 v12, v5, s33
	s_delay_alu instid0(VALU_DEP_4) | instskip(NEXT) | instid1(VALU_DEP_4)
	v_mad_u32 v32, s33, v7, v6
	v_mad_u32 v33, s33, v10, v6
	v_mul_lo_u32 v34, s30, v7
	v_mad_u32 v35, s30, v0, s30
	v_mul_lo_u32 v36, s30, v10
	v_cmp_gt_i32_e64 s0, s43, v0
	v_cmp_gt_i32_e64 s1, s36, v30
	v_lshl_add_u32 v31, v5, 10, v8
	v_lshl_add_u32 v37, v5, 8, v8
	v_cmp_gt_i32_e64 s6, s36, v9
	v_ashrrev_i32_e32 v5, 31, v4
	v_add3_u32 v38, v11, s33, v6
	v_lshl_add_u32 v39, v12, 2, v6
	s_add_nc_u64 s[14:15], s[26:27], s[14:15]
	s_cselect_b32 s44, -1, 0
	s_and_b32 s36, s5, vcc_lo
	s_lshl_b32 s45, s33, 4
	s_lshl_b32 s46, s30, 4
	s_branch .LBB2_5
.LBB2_3:                                ;   in Loop: Header=BB2_5 Depth=1
	s_wait_xcnt 0x0
	s_or_b32 exec_lo, exec_lo, s7
.LBB2_4:                                ;   in Loop: Header=BB2_5 Depth=1
	s_add_co_i32 s34, s34, 0x10000
	s_delay_alu instid0(SALU_CYCLE_1)
	s_cmp_lt_u32 s34, s31
	s_cbranch_scc0 .LBB2_53
.LBB2_5:                                ; =>This Loop Header: Depth=1
                                        ;     Child Loop BB2_21 Depth 2
	s_wait_xcnt 0x1
	s_mul_u64 s[26:27], s[10:11], s[34:35]
	s_wait_xcnt 0x0
	s_mul_u64 s[28:29], s[20:21], s[34:35]
	s_lshl_b64 s[26:27], s[26:27], 2
	s_lshl_b64 s[28:29], s[28:29], 2
	s_add_nc_u64 s[26:27], s[8:9], s[26:27]
	s_add_nc_u64 s[28:29], s[18:19], s[28:29]
	s_clause 0x1
	global_load_b32 v41, v1, s[26:27]
	global_load_b32 v6, v1, s[28:29]
	s_wait_loadcnt 0x1
	v_cmp_eq_f32_e32 vcc_lo, 0, v41
	s_wait_loadcnt 0x0
	v_cmp_eq_f32_e64 s7, 1.0, v6
	v_readfirstlane_b32 s48, v6
	s_and_b32 s7, vcc_lo, s7
	s_delay_alu instid0(SALU_CYCLE_1)
	s_and_b32 vcc_lo, exec_lo, s7
	s_cbranch_vccnz .LBB2_4
; %bb.6:                                ;   in Loop: Header=BB2_5 Depth=1
	v_cmp_neq_f32_e32 vcc_lo, 0, v41
	s_wait_xcnt 0x1
	s_mul_u64 s[26:27], s[38:39], s[34:35]
	s_delay_alu instid0(SALU_CYCLE_1) | instskip(NEXT) | instid1(SALU_CYCLE_1)
	s_lshl_b64 s[26:27], s[26:27], 2
	s_add_nc_u64 s[26:27], s[22:23], s[26:27]
	s_cbranch_vccnz .LBB2_10
; %bb.7:                                ;   in Loop: Header=BB2_5 Depth=1
	s_mov_b32 s7, 0
	s_mov_b32 s47, 0
                                        ; implicit-def: $vgpr8
	s_wait_xcnt 0x0
	s_and_saveexec_b32 s28, s36
	s_cbranch_execz .LBB2_11
; %bb.8:                                ;   in Loop: Header=BB2_5 Depth=1
	s_cmp_eq_f32 s48, 0
	s_cbranch_scc1 .LBB2_13
; %bb.9:                                ;   in Loop: Header=BB2_5 Depth=1
	v_lshl_add_u64 v[6:7], v[2:3], 2, s[26:27]
	global_load_b32 v6, v[6:7], off
	s_wait_loadcnt 0x0
	v_mul_f32_e32 v8, s48, v6
	s_branch .LBB2_14
.LBB2_10:                               ;   in Loop: Header=BB2_5 Depth=1
	s_mov_b32 s47, 0
                                        ; implicit-def: $vgpr8
	s_cbranch_execz .LBB2_12
	s_branch .LBB2_15
.LBB2_11:                               ;   in Loop: Header=BB2_5 Depth=1
	s_or_b32 exec_lo, exec_lo, s28
	s_delay_alu instid0(SALU_CYCLE_1)
	s_and_b32 vcc_lo, exec_lo, s7
	s_cbranch_vccnz .LBB2_15
.LBB2_12:                               ;   in Loop: Header=BB2_5 Depth=1
	v_mov_b64_e32 v[6:7], v[2:3]
	s_wait_xcnt 0x0
	s_and_saveexec_b32 s7, s47
	s_cbranch_execz .LBB2_3
	s_branch .LBB2_52
.LBB2_13:                               ;   in Loop: Header=BB2_5 Depth=1
	v_mov_b32_e32 v8, 0
.LBB2_14:                               ;   in Loop: Header=BB2_5 Depth=1
	s_mov_b32 s47, exec_lo
	s_wait_xcnt 0x0
	s_or_b32 exec_lo, exec_lo, s28
	s_delay_alu instid0(SALU_CYCLE_1)
	s_and_b32 vcc_lo, exec_lo, s7
	s_cbranch_vccz .LBB2_12
.LBB2_15:                               ;   in Loop: Header=BB2_5 Depth=1
	s_wait_xcnt 0x0
	s_mul_u64 s[28:29], s[24:25], s[34:35]
	s_mul_u64 s[40:41], s[16:17], s[34:35]
	v_dual_mov_b32 v42, 0 :: v_dual_mov_b32 v46, v0
	v_dual_mov_b32 v43, 0 :: v_dual_mov_b32 v44, 0
	v_mov_b32_e32 v45, 0
	s_lshl_b64 s[28:29], s[28:29], 2
	s_lshl_b64 s[40:41], s[40:41], 2
	s_add_nc_u64 s[28:29], s[12:13], s[28:29]
	s_add_nc_u64 s[40:41], s[14:15], s[40:41]
	s_and_saveexec_b32 s7, s0
	s_cbranch_execz .LBB2_27
; %bb.16:                               ;   in Loop: Header=BB2_5 Depth=1
	v_dual_mov_b32 v42, 0 :: v_dual_mov_b32 v47, v39
	v_dual_mov_b32 v48, v33 :: v_dual_mov_b32 v49, v32
	;; [unrolled: 1-line block ×4, first 2 shown]
	v_mov_b32_e32 v45, 0
	s_mov_b32 s49, 0
	s_mov_b32 s50, 0
	s_branch .LBB2_21
.LBB2_17:                               ;   in Loop: Header=BB2_21 Depth=2
	s_or_b32 exec_lo, exec_lo, s54
	s_wait_loadcnt 0x2
	v_pk_mul_f32 v[20:21], v[10:11], v[22:23]
	s_wait_loadcnt 0x0
	v_pk_mul_f32 v[18:19], v[6:7], v[18:19]
	s_delay_alu instid0(VALU_DEP_2) | instskip(NEXT) | instid1(VALU_DEP_1)
	v_add_f32_e32 v20, v44, v20
	v_add_f32_e32 v20, v20, v21
	s_delay_alu instid0(VALU_DEP_1) | instskip(NEXT) | instid1(VALU_DEP_1)
	v_add_f32_e32 v18, v20, v18
	v_add_f32_e32 v44, v18, v19
.LBB2_18:                               ;   in Loop: Header=BB2_21 Depth=2
	s_or_b32 exec_lo, exec_lo, s53
	s_wait_loadcnt 0x2
	v_pk_mul_f32 v[16:17], v[10:11], v[16:17]
	s_wait_loadcnt 0x0
	v_pk_mul_f32 v[14:15], v[6:7], v[14:15]
	s_delay_alu instid0(VALU_DEP_2) | instskip(NEXT) | instid1(VALU_DEP_1)
	v_add_f32_e32 v16, v43, v16
	v_add_f32_e32 v16, v16, v17
	s_delay_alu instid0(VALU_DEP_1) | instskip(NEXT) | instid1(VALU_DEP_1)
	v_add_f32_e32 v14, v16, v14
	v_add_f32_e32 v43, v14, v15
.LBB2_19:                               ;   in Loop: Header=BB2_21 Depth=2
	s_or_b32 exec_lo, exec_lo, s52
	s_wait_loadcnt 0x2
	v_pk_mul_f32 v[10:11], v[10:11], v[12:13]
	s_wait_loadcnt 0x0
	v_pk_mul_f32 v[6:7], v[6:7], v[8:9]
	s_delay_alu instid0(VALU_DEP_2) | instskip(NEXT) | instid1(VALU_DEP_1)
	v_add_f32_e32 v10, v42, v10
	v_add_f32_e32 v10, v10, v11
	s_delay_alu instid0(VALU_DEP_1) | instskip(NEXT) | instid1(VALU_DEP_1)
	v_add_f32_e32 v6, v10, v6
	v_add_f32_e32 v42, v6, v7
.LBB2_20:                               ;   in Loop: Header=BB2_21 Depth=2
	s_or_b32 exec_lo, exec_lo, s51
	v_dual_add_nc_u32 v46, 16, v46 :: v_dual_add_nc_u32 v49, s45, v49
	v_dual_add_nc_u32 v50, s45, v50 :: v_dual_add_nc_u32 v48, s45, v48
	v_add_nc_u32_e32 v47, s45, v47
	s_delay_alu instid0(VALU_DEP_3) | instskip(SKIP_2) | instid1(SALU_CYCLE_1)
	v_cmp_le_i32_e32 vcc_lo, s43, v46
	s_add_co_i32 s50, s50, s46
	s_or_b32 s49, vcc_lo, s49
	s_and_not1_b32 exec_lo, exec_lo, s49
	s_cbranch_execz .LBB2_26
.LBB2_21:                               ;   Parent Loop BB2_5 Depth=1
                                        ; =>  This Inner Loop Header: Depth=2
	s_and_saveexec_b32 s51, s1
	s_cbranch_execz .LBB2_20
; %bb.22:                               ;   in Loop: Header=BB2_21 Depth=2
	v_dual_add_nc_u32 v15, s50, v36 :: v_dual_add_nc_u32 v17, s50, v34
	v_dual_add_nc_u32 v19, s50, v35 :: v_dual_add_nc_u32 v21, s50, v40
	;; [unrolled: 1-line block ×4, first 2 shown]
	s_clause 0x3
	global_load_b32 v7, v15, s[40:41] scale_offset
	global_load_b32 v6, v17, s[40:41] scale_offset
	;; [unrolled: 1-line block ×4, first 2 shown]
	s_clause 0x3
	global_load_b32 v12, v14, s[28:29] scale_offset
	global_load_b32 v13, v16, s[28:29] scale_offset
	global_load_b32 v8, v20, s[28:29] scale_offset
	global_load_b32 v9, v18, s[28:29] scale_offset
	s_wait_xcnt 0x0
	s_and_saveexec_b32 s52, s2
	s_cbranch_execz .LBB2_19
; %bb.23:                               ;   in Loop: Header=BB2_21 Depth=2
	v_dual_ashrrev_i32 v15, 31, v14 :: v_dual_ashrrev_i32 v17, 31, v16
	v_dual_ashrrev_i32 v21, 31, v20 :: v_dual_ashrrev_i32 v19, 31, v18
	s_delay_alu instid0(VALU_DEP_2) | instskip(NEXT) | instid1(VALU_DEP_3)
	v_lshl_add_u64 v[26:27], v[14:15], 2, s[28:29]
	v_lshl_add_u64 v[28:29], v[16:17], 2, s[28:29]
	s_delay_alu instid0(VALU_DEP_3) | instskip(NEXT) | instid1(VALU_DEP_4)
	v_lshl_add_u64 v[20:21], v[20:21], 2, s[28:29]
	v_lshl_add_u64 v[24:25], v[18:19], 2, s[28:29]
	s_clause 0x3
	global_load_b32 v16, v[26:27], off offset:256
	global_load_b32 v17, v[28:29], off offset:256
	;; [unrolled: 1-line block ×4, first 2 shown]
	s_wait_xcnt 0x0
	s_and_saveexec_b32 s53, s3
	s_cbranch_execz .LBB2_18
; %bb.24:                               ;   in Loop: Header=BB2_21 Depth=2
	s_clause 0x3
	global_load_b32 v22, v[26:27], off offset:512
	global_load_b32 v23, v[28:29], off offset:512
	;; [unrolled: 1-line block ×4, first 2 shown]
	s_wait_xcnt 0x0
	s_and_saveexec_b32 s54, s4
	s_cbranch_execz .LBB2_17
; %bb.25:                               ;   in Loop: Header=BB2_21 Depth=2
	s_clause 0x3
	global_load_b32 v26, v[26:27], off offset:768
	global_load_b32 v27, v[28:29], off offset:768
	;; [unrolled: 1-line block ×4, first 2 shown]
	s_wait_loadcnt 0x2
	s_wait_xcnt 0x0
	v_pk_mul_f32 v[24:25], v[10:11], v[26:27]
	s_wait_loadcnt 0x0
	v_pk_mul_f32 v[20:21], v[6:7], v[20:21]
	s_delay_alu instid0(VALU_DEP_2) | instskip(NEXT) | instid1(VALU_DEP_1)
	v_add_f32_e32 v24, v45, v24
	v_add_f32_e32 v24, v24, v25
	s_delay_alu instid0(VALU_DEP_1) | instskip(NEXT) | instid1(VALU_DEP_1)
	v_add_f32_e32 v20, v24, v20
	v_add_f32_e32 v45, v20, v21
	s_branch .LBB2_17
.LBB2_26:                               ;   in Loop: Header=BB2_5 Depth=1
	s_or_b32 exec_lo, exec_lo, s49
.LBB2_27:                               ;   in Loop: Header=BB2_5 Depth=1
	s_delay_alu instid0(SALU_CYCLE_1) | instskip(NEXT) | instid1(SALU_CYCLE_1)
	s_or_b32 exec_lo, exec_lo, s7
	s_and_not1_b32 vcc_lo, exec_lo, s44
	s_cbranch_vccnz .LBB2_45
; %bb.28:                               ;   in Loop: Header=BB2_5 Depth=1
	v_dual_mov_b32 v8, 0 :: v_dual_bitop2_b32 v10, 1, v46 bitop3:0x54
	v_cmp_gt_i32_e32 vcc_lo, s37, v46
	s_delay_alu instid0(VALU_DEP_2)
	v_dual_mov_b32 v9, v8 :: v_dual_mov_b32 v6, v8
	v_mov_b32_e32 v7, v8
	s_and_saveexec_b32 s49, vcc_lo
	s_cbranch_execz .LBB2_36
; %bb.29:                               ;   in Loop: Header=BB2_5 Depth=1
	v_mul_lo_u32 v6, v46, s30
	v_dual_mov_b32 v7, 0 :: v_dual_mov_b32 v9, 0
	v_mov_b32_e32 v8, 0
	s_mov_b32 s50, exec_lo
	global_load_b32 v6, v6, s[40:41] scale_offset
	s_wait_xcnt 0x0
	v_cmpx_gt_i32_e64 s37, v10
	s_cbranch_execz .LBB2_35
; %bb.30:                               ;   in Loop: Header=BB2_5 Depth=1
	v_mul_lo_u32 v7, v10, s30
	v_dual_mov_b32 v9, 0 :: v_dual_bitop2_b32 v11, 2, v46 bitop3:0x54
	v_mov_b32_e32 v8, 0
	s_mov_b32 s51, exec_lo
	global_load_b32 v7, v7, s[40:41] scale_offset
	s_wait_xcnt 0x0
	v_cmpx_gt_i32_e64 s37, v11
	s_cbranch_execz .LBB2_34
; %bb.31:                               ;   in Loop: Header=BB2_5 Depth=1
	v_mul_lo_u32 v8, v11, s30
	v_dual_mov_b32 v9, 0 :: v_dual_bitop2_b32 v11, 3, v46 bitop3:0x54
	s_mov_b32 s52, exec_lo
	global_load_b32 v8, v8, s[40:41] scale_offset
	s_wait_xcnt 0x0
	v_cmpx_gt_i32_e64 s37, v11
	s_cbranch_execz .LBB2_33
; %bb.32:                               ;   in Loop: Header=BB2_5 Depth=1
	v_mul_lo_u32 v9, v11, s30
	global_load_b32 v9, v9, s[40:41] scale_offset
.LBB2_33:                               ;   in Loop: Header=BB2_5 Depth=1
	s_wait_xcnt 0x0
	s_or_b32 exec_lo, exec_lo, s52
.LBB2_34:                               ;   in Loop: Header=BB2_5 Depth=1
	s_delay_alu instid0(SALU_CYCLE_1)
	s_or_b32 exec_lo, exec_lo, s51
.LBB2_35:                               ;   in Loop: Header=BB2_5 Depth=1
	s_delay_alu instid0(SALU_CYCLE_1)
	s_or_b32 exec_lo, exec_lo, s50
.LBB2_36:                               ;   in Loop: Header=BB2_5 Depth=1
	s_delay_alu instid0(SALU_CYCLE_1)
	s_or_b32 exec_lo, exec_lo, s49
	s_and_saveexec_b32 s7, s1
	s_cbranch_execz .LBB2_44
; %bb.37:                               ;   in Loop: Header=BB2_5 Depth=1
	v_mul_lo_u32 v12, v46, s33
	v_or_b32_e32 v11, 2, v46
	v_mul_lo_u32 v14, v10, s33
	s_delay_alu instid0(VALU_DEP_3) | instskip(NEXT) | instid1(VALU_DEP_3)
	v_cndmask_b32_e32 v12, 0, v12, vcc_lo
	v_mul_lo_u32 v15, v11, s33
	v_cmp_gt_i32_e32 vcc_lo, s37, v10
	s_delay_alu instid0(VALU_DEP_4) | instskip(SKIP_1) | instid1(VALU_DEP_4)
	v_cndmask_b32_e32 v10, 0, v14, vcc_lo
	v_cmp_gt_i32_e32 vcc_lo, s37, v11
	v_dual_cndmask_b32 v11, 0, v15, vcc_lo :: v_dual_bitop2_b32 v13, 3, v46 bitop3:0x54
	s_delay_alu instid0(VALU_DEP_1) | instskip(SKIP_1) | instid1(VALU_DEP_2)
	v_mul_lo_u32 v16, v13, s33
	v_cmp_gt_i32_e32 vcc_lo, s37, v13
	v_dual_cndmask_b32 v13, 0, v16 :: v_dual_add_nc_u32 v16, v12, v30
	s_delay_alu instid0(VALU_DEP_4) | instskip(NEXT) | instid1(VALU_DEP_2)
	v_dual_add_nc_u32 v20, v10, v30 :: v_dual_add_nc_u32 v24, v11, v30
	v_add_nc_u32_e32 v14, v13, v30
	s_clause 0x3
	global_load_b32 v12, v16, s[28:29] scale_offset
	global_load_b32 v13, v20, s[28:29] scale_offset
	;; [unrolled: 1-line block ×4, first 2 shown]
	s_wait_xcnt 0x0
	s_and_saveexec_b32 s40, s2
	s_cbranch_execz .LBB2_43
; %bb.38:                               ;   in Loop: Header=BB2_5 Depth=1
	v_dual_ashrrev_i32 v17, 31, v16 :: v_dual_ashrrev_i32 v15, 31, v14
	v_ashrrev_i32_e32 v21, 31, v20
	v_ashrrev_i32_e32 v25, 31, v24
	s_delay_alu instid0(VALU_DEP_3) | instskip(NEXT) | instid1(VALU_DEP_4)
	v_lshl_add_u64 v[18:19], v[16:17], 2, s[28:29]
	v_lshl_add_u64 v[28:29], v[14:15], 2, s[28:29]
	s_delay_alu instid0(VALU_DEP_4) | instskip(NEXT) | instid1(VALU_DEP_4)
	v_lshl_add_u64 v[22:23], v[20:21], 2, s[28:29]
	v_lshl_add_u64 v[24:25], v[24:25], 2, s[28:29]
	s_clause 0x3
	global_load_b32 v16, v[18:19], off offset:256
	global_load_b32 v17, v[22:23], off offset:256
	;; [unrolled: 1-line block ×4, first 2 shown]
	s_wait_xcnt 0x0
	s_and_saveexec_b32 s28, s3
	s_cbranch_execz .LBB2_42
; %bb.39:                               ;   in Loop: Header=BB2_5 Depth=1
	s_clause 0x3
	global_load_b32 v26, v[18:19], off offset:512
	global_load_b32 v27, v[22:23], off offset:512
	;; [unrolled: 1-line block ×4, first 2 shown]
	s_wait_xcnt 0x0
	s_and_saveexec_b32 s29, s4
	s_cbranch_execz .LBB2_41
; %bb.40:                               ;   in Loop: Header=BB2_5 Depth=1
	s_clause 0x3
	global_load_b32 v46, v[18:19], off offset:768
	global_load_b32 v47, v[22:23], off offset:768
	;; [unrolled: 1-line block ×4, first 2 shown]
	s_wait_loadcnt 0x2
	s_wait_xcnt 0x3
	v_pk_mul_f32 v[18:19], v[6:7], v[46:47]
	s_delay_alu instid0(VALU_DEP_1) | instskip(SKIP_1) | instid1(VALU_DEP_1)
	v_add_f32_e32 v18, v45, v18
	s_wait_xcnt 0x2
	v_add_f32_e32 v22, v18, v19
	s_wait_loadcnt 0x0
	v_pk_mul_f32 v[18:19], v[8:9], v[48:49]
	s_delay_alu instid0(VALU_DEP_1) | instskip(NEXT) | instid1(VALU_DEP_1)
	v_add_f32_e32 v18, v22, v18
	v_add_f32_e32 v45, v18, v19
.LBB2_41:                               ;   in Loop: Header=BB2_5 Depth=1
	s_wait_xcnt 0x0
	s_or_b32 exec_lo, exec_lo, s29
	s_wait_loadcnt 0x2
	v_pk_mul_f32 v[18:19], v[6:7], v[26:27]
	s_delay_alu instid0(VALU_DEP_1) | instskip(NEXT) | instid1(VALU_DEP_1)
	v_add_f32_e32 v18, v44, v18
	v_add_f32_e32 v22, v18, v19
	s_wait_loadcnt 0x0
	v_pk_mul_f32 v[18:19], v[8:9], v[20:21]
	s_delay_alu instid0(VALU_DEP_1) | instskip(NEXT) | instid1(VALU_DEP_1)
	v_add_f32_e32 v18, v22, v18
	v_add_f32_e32 v44, v18, v19
.LBB2_42:                               ;   in Loop: Header=BB2_5 Depth=1
	s_or_b32 exec_lo, exec_lo, s28
	s_wait_loadcnt 0x2
	v_pk_mul_f32 v[16:17], v[6:7], v[16:17]
	s_wait_loadcnt 0x0
	v_pk_mul_f32 v[14:15], v[8:9], v[14:15]
	s_delay_alu instid0(VALU_DEP_2) | instskip(NEXT) | instid1(VALU_DEP_1)
	v_add_f32_e32 v16, v43, v16
	v_add_f32_e32 v16, v16, v17
	s_delay_alu instid0(VALU_DEP_1) | instskip(NEXT) | instid1(VALU_DEP_1)
	v_add_f32_e32 v14, v16, v14
	v_add_f32_e32 v43, v14, v15
.LBB2_43:                               ;   in Loop: Header=BB2_5 Depth=1
	s_or_b32 exec_lo, exec_lo, s40
	s_wait_loadcnt 0x2
	v_pk_mul_f32 v[6:7], v[6:7], v[12:13]
	s_delay_alu instid0(VALU_DEP_1) | instskip(NEXT) | instid1(VALU_DEP_1)
	v_add_f32_e32 v6, v42, v6
	v_add_f32_e32 v12, v6, v7
	s_wait_loadcnt 0x0
	v_pk_mul_f32 v[6:7], v[8:9], v[10:11]
	s_delay_alu instid0(VALU_DEP_1) | instskip(NEXT) | instid1(VALU_DEP_1)
	v_add_f32_e32 v6, v12, v6
	v_add_f32_e32 v42, v6, v7
.LBB2_44:                               ;   in Loop: Header=BB2_5 Depth=1
	s_or_b32 exec_lo, exec_lo, s7
.LBB2_45:                               ;   in Loop: Header=BB2_5 Depth=1
	ds_store_2addr_stride64_b32 v31, v42, v43 offset1:1
	ds_store_2addr_stride64_b32 v31, v44, v45 offset0:2 offset1:3
	s_wait_loadcnt_dscnt 0x0
	s_barrier_signal -1
	s_barrier_wait -1
                                        ; implicit-def: $vgpr8
	s_and_saveexec_b32 s7, s5
	s_cbranch_execz .LBB2_51
; %bb.46:                               ;   in Loop: Header=BB2_5 Depth=1
	ds_load_2addr_stride64_b32 v[6:7], v37 offset1:4
	ds_load_2addr_stride64_b32 v[8:9], v37 offset0:8 offset1:12
	s_mov_b32 s29, s47
	s_wait_dscnt 0x1
	v_add_f32_e32 v6, v6, v7
	s_wait_dscnt 0x0
	s_delay_alu instid0(VALU_DEP_1) | instskip(NEXT) | instid1(VALU_DEP_1)
	v_add_f32_e32 v6, v8, v6
                                        ; implicit-def: $vgpr8
	v_add_f32_e32 v6, v9, v6
	ds_store_b32 v37, v6
	s_and_saveexec_b32 s28, s6
	s_cbranch_execz .LBB2_50
; %bb.47:                               ;   in Loop: Header=BB2_5 Depth=1
	v_mul_f32_e32 v8, v41, v6
	s_cmp_eq_f32 s48, 0
	s_cbranch_scc1 .LBB2_49
; %bb.48:                               ;   in Loop: Header=BB2_5 Depth=1
	v_lshl_add_u64 v[6:7], v[4:5], 2, s[26:27]
	global_load_b32 v6, v[6:7], off
	s_wait_loadcnt 0x0
	v_fmac_f32_e32 v8, s48, v6
.LBB2_49:                               ;   in Loop: Header=BB2_5 Depth=1
	s_or_b32 s29, s47, exec_lo
.LBB2_50:                               ;   in Loop: Header=BB2_5 Depth=1
	s_wait_xcnt 0x0
	s_or_b32 exec_lo, exec_lo, s28
	s_delay_alu instid0(SALU_CYCLE_1) | instskip(SKIP_1) | instid1(SALU_CYCLE_1)
	s_and_not1_b32 s28, s47, exec_lo
	s_and_b32 s29, s29, exec_lo
	s_or_b32 s47, s28, s29
.LBB2_51:                               ;   in Loop: Header=BB2_5 Depth=1
	s_or_b32 exec_lo, exec_lo, s7
	v_mov_b64_e32 v[6:7], v[4:5]
	s_and_saveexec_b32 s7, s47
	s_cbranch_execz .LBB2_3
.LBB2_52:                               ;   in Loop: Header=BB2_5 Depth=1
	s_delay_alu instid0(VALU_DEP_1)
	v_lshl_add_u64 v[6:7], v[6:7], 2, s[26:27]
	global_store_b32 v[6:7], v8, off
	s_branch .LBB2_3
.LBB2_53:
	s_endpgm
	.section	.rodata,"a",@progbits
	.p2align	6, 0x0
	.amdhsa_kernel _ZL20rocblas_gemvn_kernelILi64ELi4EifPKffEviiT3_lPKT2_lT1_lS5_lS6_lS2_lPT4_lS6_li
		.amdhsa_group_segment_fixed_size 4096
		.amdhsa_private_segment_fixed_size 0
		.amdhsa_kernarg_size 400
		.amdhsa_user_sgpr_count 2
		.amdhsa_user_sgpr_dispatch_ptr 0
		.amdhsa_user_sgpr_queue_ptr 0
		.amdhsa_user_sgpr_kernarg_segment_ptr 1
		.amdhsa_user_sgpr_dispatch_id 0
		.amdhsa_user_sgpr_kernarg_preload_length 0
		.amdhsa_user_sgpr_kernarg_preload_offset 0
		.amdhsa_user_sgpr_private_segment_size 0
		.amdhsa_wavefront_size32 1
		.amdhsa_uses_dynamic_stack 0
		.amdhsa_enable_private_segment 0
		.amdhsa_system_sgpr_workgroup_id_x 1
		.amdhsa_system_sgpr_workgroup_id_y 0
		.amdhsa_system_sgpr_workgroup_id_z 1
		.amdhsa_system_sgpr_workgroup_info 0
		.amdhsa_system_vgpr_workitem_id 1
		.amdhsa_next_free_vgpr 51
		.amdhsa_next_free_sgpr 55
		.amdhsa_named_barrier_count 0
		.amdhsa_reserve_vcc 1
		.amdhsa_float_round_mode_32 0
		.amdhsa_float_round_mode_16_64 0
		.amdhsa_float_denorm_mode_32 3
		.amdhsa_float_denorm_mode_16_64 3
		.amdhsa_fp16_overflow 0
		.amdhsa_memory_ordered 1
		.amdhsa_forward_progress 1
		.amdhsa_inst_pref_size 22
		.amdhsa_round_robin_scheduling 0
		.amdhsa_exception_fp_ieee_invalid_op 0
		.amdhsa_exception_fp_denorm_src 0
		.amdhsa_exception_fp_ieee_div_zero 0
		.amdhsa_exception_fp_ieee_overflow 0
		.amdhsa_exception_fp_ieee_underflow 0
		.amdhsa_exception_fp_ieee_inexact 0
		.amdhsa_exception_int_div_zero 0
	.end_amdhsa_kernel
	.section	.text._ZL20rocblas_gemvn_kernelILi64ELi4EifPKffEviiT3_lPKT2_lT1_lS5_lS6_lS2_lPT4_lS6_li,"axG",@progbits,_ZL20rocblas_gemvn_kernelILi64ELi4EifPKffEviiT3_lPKT2_lT1_lS5_lS6_lS2_lPT4_lS6_li,comdat
.Lfunc_end2:
	.size	_ZL20rocblas_gemvn_kernelILi64ELi4EifPKffEviiT3_lPKT2_lT1_lS5_lS6_lS2_lPT4_lS6_li, .Lfunc_end2-_ZL20rocblas_gemvn_kernelILi64ELi4EifPKffEviiT3_lPKT2_lT1_lS5_lS6_lS2_lPT4_lS6_li
                                        ; -- End function
	.set _ZL20rocblas_gemvn_kernelILi64ELi4EifPKffEviiT3_lPKT2_lT1_lS5_lS6_lS2_lPT4_lS6_li.num_vgpr, 51
	.set _ZL20rocblas_gemvn_kernelILi64ELi4EifPKffEviiT3_lPKT2_lT1_lS5_lS6_lS2_lPT4_lS6_li.num_agpr, 0
	.set _ZL20rocblas_gemvn_kernelILi64ELi4EifPKffEviiT3_lPKT2_lT1_lS5_lS6_lS2_lPT4_lS6_li.numbered_sgpr, 55
	.set _ZL20rocblas_gemvn_kernelILi64ELi4EifPKffEviiT3_lPKT2_lT1_lS5_lS6_lS2_lPT4_lS6_li.num_named_barrier, 0
	.set _ZL20rocblas_gemvn_kernelILi64ELi4EifPKffEviiT3_lPKT2_lT1_lS5_lS6_lS2_lPT4_lS6_li.private_seg_size, 0
	.set _ZL20rocblas_gemvn_kernelILi64ELi4EifPKffEviiT3_lPKT2_lT1_lS5_lS6_lS2_lPT4_lS6_li.uses_vcc, 1
	.set _ZL20rocblas_gemvn_kernelILi64ELi4EifPKffEviiT3_lPKT2_lT1_lS5_lS6_lS2_lPT4_lS6_li.uses_flat_scratch, 0
	.set _ZL20rocblas_gemvn_kernelILi64ELi4EifPKffEviiT3_lPKT2_lT1_lS5_lS6_lS2_lPT4_lS6_li.has_dyn_sized_stack, 0
	.set _ZL20rocblas_gemvn_kernelILi64ELi4EifPKffEviiT3_lPKT2_lT1_lS5_lS6_lS2_lPT4_lS6_li.has_recursion, 0
	.set _ZL20rocblas_gemvn_kernelILi64ELi4EifPKffEviiT3_lPKT2_lT1_lS5_lS6_lS2_lPT4_lS6_li.has_indirect_call, 0
	.section	.AMDGPU.csdata,"",@progbits
; Kernel info:
; codeLenInByte = 2812
; TotalNumSgprs: 57
; NumVgprs: 51
; ScratchSize: 0
; MemoryBound: 0
; FloatMode: 240
; IeeeMode: 1
; LDSByteSize: 4096 bytes/workgroup (compile time only)
; SGPRBlocks: 0
; VGPRBlocks: 3
; NumSGPRsForWavesPerEU: 57
; NumVGPRsForWavesPerEU: 51
; NamedBarCnt: 0
; Occupancy: 16
; WaveLimiterHint : 1
; COMPUTE_PGM_RSRC2:SCRATCH_EN: 0
; COMPUTE_PGM_RSRC2:USER_SGPR: 2
; COMPUTE_PGM_RSRC2:TRAP_HANDLER: 0
; COMPUTE_PGM_RSRC2:TGID_X_EN: 1
; COMPUTE_PGM_RSRC2:TGID_Y_EN: 0
; COMPUTE_PGM_RSRC2:TGID_Z_EN: 1
; COMPUTE_PGM_RSRC2:TIDIG_COMP_CNT: 1
	.section	.text._ZL20rocblas_gemvn_kernelILi64ELi4ElfPKffEviiT3_lPKT2_lT1_lS5_lS6_lS2_lPT4_lS6_li,"axG",@progbits,_ZL20rocblas_gemvn_kernelILi64ELi4ElfPKffEviiT3_lPKT2_lT1_lS5_lS6_lS2_lPT4_lS6_li,comdat
	.globl	_ZL20rocblas_gemvn_kernelILi64ELi4ElfPKffEviiT3_lPKT2_lT1_lS5_lS6_lS2_lPT4_lS6_li ; -- Begin function _ZL20rocblas_gemvn_kernelILi64ELi4ElfPKffEviiT3_lPKT2_lT1_lS5_lS6_lS2_lPT4_lS6_li
	.p2align	8
	.type	_ZL20rocblas_gemvn_kernelILi64ELi4ElfPKffEviiT3_lPKT2_lT1_lS5_lS6_lS2_lPT4_lS6_li,@function
_ZL20rocblas_gemvn_kernelILi64ELi4ElfPKffEviiT3_lPKT2_lT1_lS5_lS6_lS2_lPT4_lS6_li: ; @_ZL20rocblas_gemvn_kernelILi64ELi4ElfPKffEviiT3_lPKT2_lT1_lS5_lS6_lS2_lPT4_lS6_li
; %bb.0:
	s_load_b64 s[2:3], s[0:1], 0x9c
	s_wait_kmcnt 0x0
	s_lshr_b32 s4, s2, 16
	s_and_b32 s2, s2, 0xffff
	s_and_b32 s3, s3, 0xffff
	s_mul_i32 s2, s4, s2
	s_delay_alu instid0(SALU_CYCLE_1) | instskip(NEXT) | instid1(SALU_CYCLE_1)
	s_mul_i32 s2, s2, s3
	s_cmp_lg_u32 s2, 0x100
	s_cbranch_scc1 .LBB3_53
; %bb.1:
	s_load_b32 s33, s[0:1], 0x88
	s_bfe_u32 s2, ttmp6, 0x40014
	s_lshr_b32 s3, ttmp7, 16
	s_add_co_i32 s2, s2, 1
	s_bfe_u32 s5, ttmp6, 0x40008
	s_mul_i32 s4, s3, s2
	s_getreg_b32 s2, hwreg(HW_REG_IB_STS2, 6, 4)
	s_add_co_i32 s5, s5, s4
	s_cmp_eq_u32 s2, 0
	s_mov_b32 s11, 0
	s_cselect_b32 s10, s3, s5
	s_wait_kmcnt 0x0
	s_cmp_ge_u32 s10, s33
	s_cbranch_scc1 .LBB3_53
; %bb.2:
	s_clause 0x2
	s_load_b512 s[12:27], s[0:1], 0x8
	s_load_b512 s[36:51], s[0:1], 0x48
	s_load_b64 s[28:29], s[0:1], 0x0
	s_wait_xcnt 0x0
	s_bfe_u32 s0, ttmp6, 0x4000c
	v_and_b32_e32 v24, 0x3ff, v0
	s_add_co_i32 s0, s0, 1
	v_bfe_u32 v4, v0, 10, 10
	s_and_b32 s1, ttmp6, 15
	s_mul_i32 s0, ttmp9, s0
	v_dual_mov_b32 v1, 0 :: v_dual_lshlrev_b32 v2, 2, v24
	s_add_co_i32 s1, s1, s0
	v_lshl_add_u32 v6, v4, 6, v24
	s_delay_alu instid0(VALU_DEP_2) | instskip(NEXT) | instid1(VALU_DEP_3)
	v_dual_mov_b32 v5, v1 :: v_dual_lshlrev_b32 v64, 2, v4
	v_lshl_add_u32 v65, v4, 10, v2
	v_lshl_add_u32 v66, v4, 8, v2
	s_wait_kmcnt 0x0
	s_lshl_b64 s[4:5], s[18:19], 2
	s_lshl_b64 s[18:19], s[26:27], 2
	;; [unrolled: 1-line block ×3, first 2 shown]
	s_cmp_eq_u32 s2, 0
	s_mov_b32 s2, s28
	s_cselect_b32 s0, ttmp9, s1
	s_ashr_i32 s3, s28, 31
	s_lshl_b32 s1, s0, 8
	v_cmp_gt_u32_e64 s0, 0x100, v6
	v_dual_add_nc_u32 v0, s1, v6 :: v_dual_bitop2_b32 v6, s1, v6 bitop3:0x54
	v_mul_u64_e32 v[10:11], s[36:37], v[4:5]
	v_mul_u64_e32 v[12:13], s[20:21], v[4:5]
	v_mad_nc_u64_u32 v[8:9], s36, v64, s[36:37]
	s_delay_alu instid0(VALU_DEP_4)
	v_cmp_gt_i64_e32 vcc_lo, s[2:3], v[0:1]
	v_mul_u64_e32 v[2:3], s[48:49], v[0:1]
	v_dual_ashrrev_i32 v7, 31, v6 :: v_dual_bitop2_b32 v0, 3, v64 bitop3:0x54
	v_mad_nc_u64_u32 v[22:23], s20, v64, s[20:21]
	s_ashr_i32 s2, s29, 31
	v_or_b32_e32 v24, s1, v24
	s_delay_alu instid0(VALU_DEP_3)
	v_mul_u64_e32 v[14:15], s[20:21], v[0:1]
	v_mul_u64_e32 v[16:17], s[36:37], v[0:1]
	v_or_b32_e32 v0, 2, v64
	v_mul_u64_e32 v[4:5], s[48:49], v[6:7]
	v_mad_u32 v9, s37, v64, v9
	s_lshr_b32 s2, s2, 28
	v_ashrrev_i32_e32 v25, 31, v24
	v_mul_u64_e32 v[18:19], s[20:21], v[0:1]
	v_mul_u64_e32 v[20:21], s[36:37], v[0:1]
	v_mad_u32 v23, s21, v64, v23
	s_add_co_i32 s2, s29, s2
	v_add_nc_u32_e32 v7, 0x80, v24
	s_and_b32 s52, s2, -16
	v_add_nc_u32_e32 v0, 64, v24
	v_add_nc_u32_e32 v26, 0xc0, v24
	s_sub_co_i32 s3, s29, s52
	s_add_nc_u64 s[16:17], s[16:17], s[4:5]
	s_cmp_gt_i32 s3, 0
	v_cmp_gt_i32_e64 s3, s28, v6
	v_cmp_gt_i32_e64 s5, s28, v7
	v_lshlrev_b64_e32 v[6:7], 2, v[24:25]
	s_add_nc_u64 s[30:31], s[44:45], s[6:7]
	v_cmp_gt_i32_e64 s1, s52, v64
	v_cmp_gt_i32_e64 s2, s28, v24
	;; [unrolled: 1-line block ×4, first 2 shown]
	v_lshl_add_u64 v[8:9], v[8:9], 2, s[24:25]
	v_lshl_add_u64 v[10:11], v[10:11], 4, s[24:25]
	;; [unrolled: 1-line block ×4, first 2 shown]
	s_add_nc_u64 s[26:27], s[24:25], s[18:19]
	s_cselect_b32 s53, -1, 0
	v_lshl_add_u64 v[14:15], v[14:15], 2, s[16:17]
	v_lshl_add_u64 v[16:17], v[16:17], 2, s[24:25]
	s_lshl_b64 s[34:35], s[38:39], 2
	s_and_b32 s28, s0, vcc_lo
	s_lshl_b64 s[44:45], s[22:23], 2
	s_lshl_b64 s[46:47], s[20:21], 6
	v_lshl_add_u64 v[18:19], v[18:19], 2, s[16:17]
	v_lshl_add_u64 v[20:21], v[20:21], 2, s[24:25]
	s_lshl_b64 s[24:25], s[36:37], 6
	s_branch .LBB3_5
.LBB3_3:                                ;   in Loop: Header=BB3_5 Depth=1
	s_wait_xcnt 0x0
	s_or_b32 exec_lo, exec_lo, s7
.LBB3_4:                                ;   in Loop: Header=BB3_5 Depth=1
	s_add_co_i32 s10, s10, 0x10000
	s_delay_alu instid0(SALU_CYCLE_1)
	s_cmp_lt_u32 s10, s33
	s_cbranch_scc0 .LBB3_53
.LBB3_5:                                ; =>This Loop Header: Depth=1
                                        ;     Child Loop BB3_21 Depth 2
	s_wait_xcnt 0x1
	s_mul_u64 s[8:9], s[14:15], s[10:11]
	s_wait_xcnt 0x0
	s_mul_u64 s[48:49], s[42:43], s[10:11]
	s_lshl_b64 s[8:9], s[8:9], 2
	s_lshl_b64 s[48:49], s[48:49], 2
	s_add_nc_u64 s[8:9], s[12:13], s[8:9]
	s_add_nc_u64 s[48:49], s[40:41], s[48:49]
	s_clause 0x1
	global_load_b32 v67, v1, s[8:9]
	global_load_b32 v0, v1, s[48:49]
	s_wait_loadcnt 0x1
	v_cmp_eq_f32_e32 vcc_lo, 0, v67
	s_wait_loadcnt 0x0
	v_cmp_eq_f32_e64 s7, 1.0, v0
	v_readfirstlane_b32 s55, v0
	s_and_b32 s7, vcc_lo, s7
	s_delay_alu instid0(SALU_CYCLE_1)
	s_and_b32 vcc_lo, exec_lo, s7
	s_cbranch_vccnz .LBB3_4
; %bb.6:                                ;   in Loop: Header=BB3_5 Depth=1
	v_cmp_neq_f32_e32 vcc_lo, 0, v67
	s_wait_xcnt 0x1
	s_mul_u64 s[8:9], s[50:51], s[10:11]
	s_delay_alu instid0(SALU_CYCLE_1)
	s_lshl_b64 s[8:9], s[8:9], 2
	s_wait_xcnt 0x0
	s_add_nc_u64 s[48:49], s[30:31], s[8:9]
	s_cbranch_vccnz .LBB3_10
; %bb.7:                                ;   in Loop: Header=BB3_5 Depth=1
	s_mov_b32 s7, 0
	s_mov_b32 s54, 0
                                        ; implicit-def: $vgpr0
	s_and_saveexec_b32 s8, s28
	s_cbranch_execz .LBB3_11
; %bb.8:                                ;   in Loop: Header=BB3_5 Depth=1
	s_cmp_eq_f32 s55, 0
	s_cbranch_scc1 .LBB3_13
; %bb.9:                                ;   in Loop: Header=BB3_5 Depth=1
	v_lshl_add_u64 v[24:25], v[2:3], 2, s[48:49]
	global_load_b32 v0, v[24:25], off
	s_wait_loadcnt 0x0
	v_mul_f32_e32 v0, s55, v0
	s_branch .LBB3_14
.LBB3_10:                               ;   in Loop: Header=BB3_5 Depth=1
	s_mov_b32 s54, 0
                                        ; implicit-def: $vgpr0
	s_cbranch_execz .LBB3_12
	s_branch .LBB3_15
.LBB3_11:                               ;   in Loop: Header=BB3_5 Depth=1
	s_or_b32 exec_lo, exec_lo, s8
	s_delay_alu instid0(SALU_CYCLE_1)
	s_and_b32 vcc_lo, exec_lo, s7
	s_cbranch_vccnz .LBB3_15
.LBB3_12:                               ;   in Loop: Header=BB3_5 Depth=1
	v_mov_b64_e32 v[24:25], v[2:3]
	s_and_saveexec_b32 s7, s54
	s_cbranch_execz .LBB3_3
	s_branch .LBB3_52
.LBB3_13:                               ;   in Loop: Header=BB3_5 Depth=1
	v_mov_b32_e32 v0, 0
.LBB3_14:                               ;   in Loop: Header=BB3_5 Depth=1
	s_mov_b32 s54, exec_lo
	s_wait_xcnt 0x0
	s_or_b32 exec_lo, exec_lo, s8
	s_delay_alu instid0(SALU_CYCLE_1)
	s_and_b32 vcc_lo, exec_lo, s7
	s_cbranch_vccz .LBB3_12
.LBB3_15:                               ;   in Loop: Header=BB3_5 Depth=1
	v_dual_mov_b32 v68, 0 :: v_dual_mov_b32 v0, v64
	v_dual_mov_b32 v69, 0 :: v_dual_mov_b32 v70, 0
	v_mov_b32_e32 v71, 0
	s_and_saveexec_b32 s7, s1
	s_cbranch_execz .LBB3_27
; %bb.16:                               ;   in Loop: Header=BB3_5 Depth=1
	s_mul_u64 s[8:9], s[34:35], s[10:11]
	s_mul_u64 s[56:57], s[44:45], s[10:11]
	v_add_nc_u64_e32 v[24:25], s[8:9], v[10:11]
	v_add_nc_u64_e32 v[26:27], s[56:57], v[14:15]
	;; [unrolled: 1-line block ×8, first 2 shown]
	v_dual_mov_b32 v68, 0 :: v_dual_mov_b32 v0, v64
	v_dual_mov_b32 v69, 0 :: v_dual_mov_b32 v70, 0
	v_mov_b32_e32 v71, 0
	s_mov_b32 s8, 0
	s_branch .LBB3_21
.LBB3_17:                               ;   in Loop: Header=BB3_21 Depth=2
	s_wait_xcnt 0x0
	s_or_b32 exec_lo, exec_lo, s58
	s_wait_loadcnt 0x2
	v_pk_mul_f32 v[52:53], v[44:45], v[62:63]
	s_delay_alu instid0(VALU_DEP_1) | instskip(NEXT) | instid1(VALU_DEP_1)
	v_add_f32_e32 v52, v70, v52
	v_add_f32_e32 v54, v52, v53
	s_wait_loadcnt 0x0
	v_pk_mul_f32 v[52:53], v[40:41], v[60:61]
	s_delay_alu instid0(VALU_DEP_1) | instskip(NEXT) | instid1(VALU_DEP_1)
	v_add_f32_e32 v52, v54, v52
	v_add_f32_e32 v70, v52, v53
.LBB3_18:                               ;   in Loop: Header=BB3_21 Depth=2
	s_or_b32 exec_lo, exec_lo, s57
	s_wait_loadcnt 0x2
	v_pk_mul_f32 v[50:51], v[44:45], v[50:51]
	s_wait_loadcnt 0x0
	v_pk_mul_f32 v[48:49], v[40:41], v[48:49]
	s_delay_alu instid0(VALU_DEP_2) | instskip(NEXT) | instid1(VALU_DEP_1)
	v_add_f32_e32 v50, v69, v50
	v_add_f32_e32 v50, v50, v51
	s_delay_alu instid0(VALU_DEP_1) | instskip(NEXT) | instid1(VALU_DEP_1)
	v_add_f32_e32 v48, v50, v48
	v_add_f32_e32 v69, v48, v49
.LBB3_19:                               ;   in Loop: Header=BB3_21 Depth=2
	s_or_b32 exec_lo, exec_lo, s56
	s_wait_loadcnt 0x2
	v_pk_mul_f32 v[44:45], v[44:45], v[46:47]
	s_wait_loadcnt 0x0
	v_pk_mul_f32 v[40:41], v[40:41], v[42:43]
	s_delay_alu instid0(VALU_DEP_2) | instskip(NEXT) | instid1(VALU_DEP_1)
	v_add_f32_e32 v44, v68, v44
	v_add_f32_e32 v44, v44, v45
	s_delay_alu instid0(VALU_DEP_1) | instskip(NEXT) | instid1(VALU_DEP_1)
	v_add_f32_e32 v40, v44, v40
	v_add_f32_e32 v68, v40, v41
.LBB3_20:                               ;   in Loop: Header=BB3_21 Depth=2
	s_or_b32 exec_lo, exec_lo, s9
	v_add_nc_u32_e32 v0, 16, v0
	v_add_nc_u64_e32 v[24:25], s[24:25], v[24:25]
	v_add_nc_u64_e32 v[26:27], s[46:47], v[26:27]
	;; [unrolled: 1-line block ×7, first 2 shown]
	v_cmp_le_i32_e32 vcc_lo, s52, v0
	v_add_nc_u64_e32 v[38:39], s[46:47], v[38:39]
	s_or_b32 s8, vcc_lo, s8
	s_delay_alu instid0(SALU_CYCLE_1)
	s_and_not1_b32 exec_lo, exec_lo, s8
	s_cbranch_execz .LBB3_26
.LBB3_21:                               ;   Parent Loop BB3_5 Depth=1
                                        ; =>  This Inner Loop Header: Depth=2
	s_and_saveexec_b32 s9, s2
	s_cbranch_execz .LBB3_20
; %bb.22:                               ;   in Loop: Header=BB3_21 Depth=2
	v_add_nc_u64_e32 v[40:41], s[18:19], v[28:29]
	v_add_nc_u64_e32 v[42:43], s[18:19], v[34:35]
	;; [unrolled: 1-line block ×8, first 2 shown]
	global_load_b32 v41, v[40:41], off
	global_load_b32 v40, v[42:43], off
	;; [unrolled: 1-line block ×8, first 2 shown]
	s_wait_xcnt 0x0
	s_and_saveexec_b32 s56, s4
	s_cbranch_execz .LBB3_19
; %bb.23:                               ;   in Loop: Header=BB3_21 Depth=2
	global_load_b32 v50, v[54:55], off offset:256
	global_load_b32 v51, v[56:57], off offset:256
	global_load_b32 v48, v[52:53], off offset:256
	global_load_b32 v49, v[58:59], off offset:256
	s_wait_xcnt 0x0
	s_and_saveexec_b32 s57, s5
	s_cbranch_execz .LBB3_18
; %bb.24:                               ;   in Loop: Header=BB3_21 Depth=2
	global_load_b32 v62, v[54:55], off offset:512
	global_load_b32 v63, v[56:57], off offset:512
	global_load_b32 v60, v[52:53], off offset:512
	global_load_b32 v61, v[58:59], off offset:512
	;; [unrolled: 8-line block ×3, first 2 shown]
	s_wait_loadcnt 0x2
	v_pk_mul_f32 v[54:55], v[44:45], v[54:55]
	s_wait_loadcnt 0x0
	v_pk_mul_f32 v[52:53], v[40:41], v[52:53]
	s_delay_alu instid0(VALU_DEP_2) | instskip(NEXT) | instid1(VALU_DEP_1)
	v_add_f32_e32 v54, v71, v54
	v_add_f32_e32 v54, v54, v55
	s_delay_alu instid0(VALU_DEP_1) | instskip(NEXT) | instid1(VALU_DEP_1)
	v_add_f32_e32 v52, v54, v52
	v_add_f32_e32 v71, v52, v53
	s_branch .LBB3_17
.LBB3_26:                               ;   in Loop: Header=BB3_5 Depth=1
	s_or_b32 exec_lo, exec_lo, s8
.LBB3_27:                               ;   in Loop: Header=BB3_5 Depth=1
	s_delay_alu instid0(SALU_CYCLE_1) | instskip(NEXT) | instid1(SALU_CYCLE_1)
	s_or_b32 exec_lo, exec_lo, s7
	s_and_not1_b32 vcc_lo, exec_lo, s53
	s_cbranch_vccnz .LBB3_45
; %bb.28:                               ;   in Loop: Header=BB3_5 Depth=1
	v_dual_mov_b32 v26, 0 :: v_dual_bitop2_b32 v28, 1, v0 bitop3:0x54
	v_cmp_gt_i32_e32 vcc_lo, s29, v0
	s_delay_alu instid0(VALU_DEP_2)
	v_dual_mov_b32 v27, v26 :: v_dual_mov_b32 v24, v26
	v_mov_b32_e32 v25, v26
	s_and_saveexec_b32 s56, vcc_lo
	s_cbranch_execz .LBB3_36
; %bb.29:                               ;   in Loop: Header=BB3_5 Depth=1
	v_mul_u64_e32 v[24:25], s[36:37], v[0:1]
	s_mul_u64 s[8:9], s[38:39], s[10:11]
	v_mov_b32_e32 v26, 0
	s_lshl_b64 s[8:9], s[8:9], 2
	s_mov_b32 s57, exec_lo
	s_add_nc_u64 s[8:9], s[26:27], s[8:9]
	v_mov_b32_e32 v27, 0
	s_delay_alu instid0(VALU_DEP_3)
	v_lshl_add_u64 v[24:25], v[24:25], 2, s[8:9]
	global_load_b32 v24, v[24:25], off
	s_wait_xcnt 0x0
	v_mov_b32_e32 v25, 0
	v_cmpx_gt_i32_e64 s29, v28
	s_cbranch_execz .LBB3_35
; %bb.30:                               ;   in Loop: Header=BB3_5 Depth=1
	v_dual_mov_b32 v29, v1 :: v_dual_bitop2_b32 v30, 2, v0 bitop3:0x54
	s_mov_b32 s58, exec_lo
	s_delay_alu instid0(VALU_DEP_1) | instskip(NEXT) | instid1(VALU_DEP_1)
	v_mul_u64_e32 v[26:27], s[36:37], v[28:29]
	v_lshl_add_u64 v[26:27], v[26:27], 2, s[8:9]
	global_load_b32 v25, v[26:27], off
	s_wait_xcnt 0x0
	v_dual_mov_b32 v27, 0 :: v_dual_mov_b32 v26, 0
	v_cmpx_gt_i32_e64 s29, v30
	s_cbranch_execz .LBB3_34
; %bb.31:                               ;   in Loop: Header=BB3_5 Depth=1
	v_mov_b32_e32 v31, v1
	s_mov_b32 s59, exec_lo
	s_delay_alu instid0(VALU_DEP_1) | instskip(SKIP_1) | instid1(VALU_DEP_2)
	v_mul_u64_e32 v[26:27], s[36:37], v[30:31]
	v_or_b32_e32 v30, 3, v0
	v_lshl_add_u64 v[26:27], v[26:27], 2, s[8:9]
	global_load_b32 v26, v[26:27], off
	s_wait_xcnt 0x0
	v_mov_b32_e32 v27, 0
	v_cmpx_gt_i32_e64 s29, v30
	s_cbranch_execz .LBB3_33
; %bb.32:                               ;   in Loop: Header=BB3_5 Depth=1
	v_mov_b32_e32 v31, v1
	s_delay_alu instid0(VALU_DEP_1) | instskip(NEXT) | instid1(VALU_DEP_1)
	v_mul_u64_e32 v[30:31], s[36:37], v[30:31]
	v_lshl_add_u64 v[30:31], v[30:31], 2, s[8:9]
	global_load_b32 v27, v[30:31], off
.LBB3_33:                               ;   in Loop: Header=BB3_5 Depth=1
	s_wait_xcnt 0x0
	s_or_b32 exec_lo, exec_lo, s59
.LBB3_34:                               ;   in Loop: Header=BB3_5 Depth=1
	s_delay_alu instid0(SALU_CYCLE_1)
	s_or_b32 exec_lo, exec_lo, s58
.LBB3_35:                               ;   in Loop: Header=BB3_5 Depth=1
	s_delay_alu instid0(SALU_CYCLE_1)
	s_or_b32 exec_lo, exec_lo, s57
.LBB3_36:                               ;   in Loop: Header=BB3_5 Depth=1
	s_delay_alu instid0(SALU_CYCLE_1)
	s_or_b32 exec_lo, exec_lo, s56
	s_and_saveexec_b32 s56, s2
	s_cbranch_execz .LBB3_44
; %bb.37:                               ;   in Loop: Header=BB3_5 Depth=1
	v_dual_mov_b32 v29, v1 :: v_dual_bitop2_b32 v30, 2, v0 bitop3:0x54
	v_mov_b32_e32 v31, v1
	v_mul_u64_e32 v[32:33], s[20:21], v[0:1]
	v_or_b32_e32 v0, 3, v0
	s_delay_alu instid0(VALU_DEP_4)
	v_mul_u64_e32 v[34:35], s[20:21], v[28:29]
	s_mul_u64 s[8:9], s[22:23], s[10:11]
	v_mul_u64_e32 v[36:37], s[20:21], v[30:31]
	v_cmp_gt_i32_e64 s7, s29, v28
	v_mul_u64_e32 v[38:39], s[20:21], v[0:1]
	s_lshl_b64 s[58:59], s[8:9], 2
	v_cmp_gt_i32_e64 s8, s29, v30
	v_cmp_gt_i32_e64 s9, s29, v0
	v_dual_cndmask_b32 v29, 0, v33 :: v_dual_cndmask_b32 v28, 0, v32
	v_dual_cndmask_b32 v31, 0, v35, s7 :: v_dual_cndmask_b32 v30, 0, v34, s7
	s_delay_alu instid0(VALU_DEP_4) | instskip(NEXT) | instid1(VALU_DEP_4)
	v_dual_cndmask_b32 v33, 0, v37, s8 :: v_dual_cndmask_b32 v32, 0, v36, s8
	v_dual_cndmask_b32 v35, 0, v39, s9 :: v_dual_cndmask_b32 v34, 0, v38, s9
	s_add_nc_u64 s[8:9], s[16:17], s[58:59]
	s_delay_alu instid0(SALU_CYCLE_1) | instskip(SKIP_3) | instid1(VALU_DEP_4)
	v_lshl_add_u64 v[28:29], v[28:29], 2, s[8:9]
	v_lshl_add_u64 v[30:31], v[30:31], 2, s[8:9]
	;; [unrolled: 1-line block ×4, first 2 shown]
	v_add_nc_u64_e32 v[40:41], v[28:29], v[6:7]
	s_delay_alu instid0(VALU_DEP_4) | instskip(NEXT) | instid1(VALU_DEP_4)
	v_add_nc_u64_e32 v[42:43], v[30:31], v[6:7]
	v_add_nc_u64_e32 v[36:37], v[32:33], v[6:7]
	s_delay_alu instid0(VALU_DEP_4)
	v_add_nc_u64_e32 v[38:39], v[34:35], v[6:7]
	s_clause 0x3
	global_load_b32 v30, v[40:41], off
	global_load_b32 v31, v[42:43], off
	;; [unrolled: 1-line block ×4, first 2 shown]
	s_wait_xcnt 0x0
	s_and_saveexec_b32 s7, s4
	s_cbranch_execz .LBB3_43
; %bb.38:                               ;   in Loop: Header=BB3_5 Depth=1
	s_clause 0x3
	global_load_b32 v34, v[40:41], off offset:256
	global_load_b32 v35, v[42:43], off offset:256
	global_load_b32 v32, v[36:37], off offset:256
	global_load_b32 v33, v[38:39], off offset:256
	s_wait_xcnt 0x0
	s_and_saveexec_b32 s8, s5
	s_cbranch_execz .LBB3_42
; %bb.39:                               ;   in Loop: Header=BB3_5 Depth=1
	s_clause 0x3
	global_load_b32 v46, v[40:41], off offset:512
	global_load_b32 v47, v[42:43], off offset:512
	global_load_b32 v44, v[36:37], off offset:512
	global_load_b32 v45, v[38:39], off offset:512
	;; [unrolled: 9-line block ×3, first 2 shown]
	s_wait_loadcnt 0x2
	s_wait_xcnt 0x0
	v_pk_mul_f32 v[38:39], v[24:25], v[40:41]
	s_wait_loadcnt 0x0
	v_pk_mul_f32 v[36:37], v[26:27], v[36:37]
	s_delay_alu instid0(VALU_DEP_2) | instskip(NEXT) | instid1(VALU_DEP_1)
	v_add_f32_e32 v0, v71, v38
	v_add_f32_e32 v0, v0, v39
	s_delay_alu instid0(VALU_DEP_1) | instskip(NEXT) | instid1(VALU_DEP_1)
	v_add_f32_e32 v0, v0, v36
	v_add_f32_e32 v71, v0, v37
.LBB3_41:                               ;   in Loop: Header=BB3_5 Depth=1
	s_or_b32 exec_lo, exec_lo, s9
	s_wait_loadcnt 0x2
	v_pk_mul_f32 v[36:37], v[24:25], v[46:47]
	s_delay_alu instid0(VALU_DEP_1) | instskip(NEXT) | instid1(VALU_DEP_1)
	v_add_f32_e32 v0, v70, v36
	v_add_f32_e32 v0, v0, v37
	s_wait_loadcnt 0x0
	v_pk_mul_f32 v[36:37], v[26:27], v[44:45]
	s_delay_alu instid0(VALU_DEP_1) | instskip(NEXT) | instid1(VALU_DEP_1)
	v_add_f32_e32 v0, v0, v36
	v_add_f32_e32 v70, v0, v37
.LBB3_42:                               ;   in Loop: Header=BB3_5 Depth=1
	s_or_b32 exec_lo, exec_lo, s8
	s_wait_loadcnt 0x2
	v_pk_mul_f32 v[34:35], v[24:25], v[34:35]
	s_wait_loadcnt 0x0
	v_pk_mul_f32 v[32:33], v[26:27], v[32:33]
	s_delay_alu instid0(VALU_DEP_2) | instskip(NEXT) | instid1(VALU_DEP_1)
	v_add_f32_e32 v0, v69, v34
	v_add_f32_e32 v0, v0, v35
	s_delay_alu instid0(VALU_DEP_1) | instskip(NEXT) | instid1(VALU_DEP_1)
	v_add_f32_e32 v0, v0, v32
	v_add_f32_e32 v69, v0, v33
.LBB3_43:                               ;   in Loop: Header=BB3_5 Depth=1
	s_or_b32 exec_lo, exec_lo, s7
	s_wait_loadcnt 0x2
	v_pk_mul_f32 v[24:25], v[24:25], v[30:31]
	s_delay_alu instid0(VALU_DEP_1) | instskip(NEXT) | instid1(VALU_DEP_1)
	v_add_f32_e32 v0, v68, v24
	v_add_f32_e32 v0, v0, v25
	s_wait_loadcnt 0x0
	v_pk_mul_f32 v[24:25], v[26:27], v[28:29]
	s_delay_alu instid0(VALU_DEP_1) | instskip(NEXT) | instid1(VALU_DEP_1)
	v_add_f32_e32 v0, v0, v24
	v_add_f32_e32 v68, v0, v25
.LBB3_44:                               ;   in Loop: Header=BB3_5 Depth=1
	s_or_b32 exec_lo, exec_lo, s56
.LBB3_45:                               ;   in Loop: Header=BB3_5 Depth=1
	ds_store_2addr_stride64_b32 v65, v68, v69 offset1:1
	ds_store_2addr_stride64_b32 v65, v70, v71 offset0:2 offset1:3
	s_wait_loadcnt_dscnt 0x0
	s_barrier_signal -1
	s_barrier_wait -1
                                        ; implicit-def: $vgpr0
	s_and_saveexec_b32 s7, s0
	s_cbranch_execz .LBB3_51
; %bb.46:                               ;   in Loop: Header=BB3_5 Depth=1
	ds_load_2addr_stride64_b32 v[24:25], v66 offset1:4
	ds_load_2addr_stride64_b32 v[26:27], v66 offset0:8 offset1:12
	s_mov_b32 s9, s54
	s_wait_dscnt 0x1
	v_add_f32_e32 v0, v24, v25
	s_wait_dscnt 0x0
	s_delay_alu instid0(VALU_DEP_1) | instskip(NEXT) | instid1(VALU_DEP_1)
	v_add_f32_e32 v0, v26, v0
	v_add_f32_e32 v24, v27, v0
                                        ; implicit-def: $vgpr0
	ds_store_b32 v66, v24
	s_and_saveexec_b32 s8, s3
	s_cbranch_execz .LBB3_50
; %bb.47:                               ;   in Loop: Header=BB3_5 Depth=1
	v_mul_f32_e32 v0, v67, v24
	s_cmp_eq_f32 s55, 0
	s_cbranch_scc1 .LBB3_49
; %bb.48:                               ;   in Loop: Header=BB3_5 Depth=1
	v_lshl_add_u64 v[24:25], v[4:5], 2, s[48:49]
	global_load_b32 v24, v[24:25], off
	s_wait_loadcnt 0x0
	v_fmac_f32_e32 v0, s55, v24
.LBB3_49:                               ;   in Loop: Header=BB3_5 Depth=1
	s_or_b32 s9, s54, exec_lo
.LBB3_50:                               ;   in Loop: Header=BB3_5 Depth=1
	s_wait_xcnt 0x0
	s_or_b32 exec_lo, exec_lo, s8
	s_delay_alu instid0(SALU_CYCLE_1) | instskip(SKIP_1) | instid1(SALU_CYCLE_1)
	s_and_not1_b32 s8, s54, exec_lo
	s_and_b32 s9, s9, exec_lo
	s_or_b32 s54, s8, s9
.LBB3_51:                               ;   in Loop: Header=BB3_5 Depth=1
	s_or_b32 exec_lo, exec_lo, s7
	v_mov_b64_e32 v[24:25], v[4:5]
	s_and_saveexec_b32 s7, s54
	s_cbranch_execz .LBB3_3
.LBB3_52:                               ;   in Loop: Header=BB3_5 Depth=1
	s_delay_alu instid0(VALU_DEP_1)
	v_lshl_add_u64 v[24:25], v[24:25], 2, s[48:49]
	global_store_b32 v[24:25], v0, off
	s_branch .LBB3_3
.LBB3_53:
	s_sendmsg sendmsg(MSG_DEALLOC_VGPRS)
	s_endpgm
	.section	.rodata,"a",@progbits
	.p2align	6, 0x0
	.amdhsa_kernel _ZL20rocblas_gemvn_kernelILi64ELi4ElfPKffEviiT3_lPKT2_lT1_lS5_lS6_lS2_lPT4_lS6_li
		.amdhsa_group_segment_fixed_size 4096
		.amdhsa_private_segment_fixed_size 0
		.amdhsa_kernarg_size 400
		.amdhsa_user_sgpr_count 2
		.amdhsa_user_sgpr_dispatch_ptr 0
		.amdhsa_user_sgpr_queue_ptr 0
		.amdhsa_user_sgpr_kernarg_segment_ptr 1
		.amdhsa_user_sgpr_dispatch_id 0
		.amdhsa_user_sgpr_kernarg_preload_length 0
		.amdhsa_user_sgpr_kernarg_preload_offset 0
		.amdhsa_user_sgpr_private_segment_size 0
		.amdhsa_wavefront_size32 1
		.amdhsa_uses_dynamic_stack 0
		.amdhsa_enable_private_segment 0
		.amdhsa_system_sgpr_workgroup_id_x 1
		.amdhsa_system_sgpr_workgroup_id_y 0
		.amdhsa_system_sgpr_workgroup_id_z 1
		.amdhsa_system_sgpr_workgroup_info 0
		.amdhsa_system_vgpr_workitem_id 1
		.amdhsa_next_free_vgpr 72
		.amdhsa_next_free_sgpr 60
		.amdhsa_named_barrier_count 0
		.amdhsa_reserve_vcc 1
		.amdhsa_float_round_mode_32 0
		.amdhsa_float_round_mode_16_64 0
		.amdhsa_float_denorm_mode_32 3
		.amdhsa_float_denorm_mode_16_64 3
		.amdhsa_fp16_overflow 0
		.amdhsa_memory_ordered 1
		.amdhsa_forward_progress 1
		.amdhsa_inst_pref_size 22
		.amdhsa_round_robin_scheduling 0
		.amdhsa_exception_fp_ieee_invalid_op 0
		.amdhsa_exception_fp_denorm_src 0
		.amdhsa_exception_fp_ieee_div_zero 0
		.amdhsa_exception_fp_ieee_overflow 0
		.amdhsa_exception_fp_ieee_underflow 0
		.amdhsa_exception_fp_ieee_inexact 0
		.amdhsa_exception_int_div_zero 0
	.end_amdhsa_kernel
	.section	.text._ZL20rocblas_gemvn_kernelILi64ELi4ElfPKffEviiT3_lPKT2_lT1_lS5_lS6_lS2_lPT4_lS6_li,"axG",@progbits,_ZL20rocblas_gemvn_kernelILi64ELi4ElfPKffEviiT3_lPKT2_lT1_lS5_lS6_lS2_lPT4_lS6_li,comdat
.Lfunc_end3:
	.size	_ZL20rocblas_gemvn_kernelILi64ELi4ElfPKffEviiT3_lPKT2_lT1_lS5_lS6_lS2_lPT4_lS6_li, .Lfunc_end3-_ZL20rocblas_gemvn_kernelILi64ELi4ElfPKffEviiT3_lPKT2_lT1_lS5_lS6_lS2_lPT4_lS6_li
                                        ; -- End function
	.set _ZL20rocblas_gemvn_kernelILi64ELi4ElfPKffEviiT3_lPKT2_lT1_lS5_lS6_lS2_lPT4_lS6_li.num_vgpr, 72
	.set _ZL20rocblas_gemvn_kernelILi64ELi4ElfPKffEviiT3_lPKT2_lT1_lS5_lS6_lS2_lPT4_lS6_li.num_agpr, 0
	.set _ZL20rocblas_gemvn_kernelILi64ELi4ElfPKffEviiT3_lPKT2_lT1_lS5_lS6_lS2_lPT4_lS6_li.numbered_sgpr, 60
	.set _ZL20rocblas_gemvn_kernelILi64ELi4ElfPKffEviiT3_lPKT2_lT1_lS5_lS6_lS2_lPT4_lS6_li.num_named_barrier, 0
	.set _ZL20rocblas_gemvn_kernelILi64ELi4ElfPKffEviiT3_lPKT2_lT1_lS5_lS6_lS2_lPT4_lS6_li.private_seg_size, 0
	.set _ZL20rocblas_gemvn_kernelILi64ELi4ElfPKffEviiT3_lPKT2_lT1_lS5_lS6_lS2_lPT4_lS6_li.uses_vcc, 1
	.set _ZL20rocblas_gemvn_kernelILi64ELi4ElfPKffEviiT3_lPKT2_lT1_lS5_lS6_lS2_lPT4_lS6_li.uses_flat_scratch, 0
	.set _ZL20rocblas_gemvn_kernelILi64ELi4ElfPKffEviiT3_lPKT2_lT1_lS5_lS6_lS2_lPT4_lS6_li.has_dyn_sized_stack, 0
	.set _ZL20rocblas_gemvn_kernelILi64ELi4ElfPKffEviiT3_lPKT2_lT1_lS5_lS6_lS2_lPT4_lS6_li.has_recursion, 0
	.set _ZL20rocblas_gemvn_kernelILi64ELi4ElfPKffEviiT3_lPKT2_lT1_lS5_lS6_lS2_lPT4_lS6_li.has_indirect_call, 0
	.section	.AMDGPU.csdata,"",@progbits
; Kernel info:
; codeLenInByte = 2768
; TotalNumSgprs: 62
; NumVgprs: 72
; ScratchSize: 0
; MemoryBound: 0
; FloatMode: 240
; IeeeMode: 1
; LDSByteSize: 4096 bytes/workgroup (compile time only)
; SGPRBlocks: 0
; VGPRBlocks: 4
; NumSGPRsForWavesPerEU: 62
; NumVGPRsForWavesPerEU: 72
; NamedBarCnt: 0
; Occupancy: 12
; WaveLimiterHint : 1
; COMPUTE_PGM_RSRC2:SCRATCH_EN: 0
; COMPUTE_PGM_RSRC2:USER_SGPR: 2
; COMPUTE_PGM_RSRC2:TRAP_HANDLER: 0
; COMPUTE_PGM_RSRC2:TGID_X_EN: 1
; COMPUTE_PGM_RSRC2:TGID_Y_EN: 0
; COMPUTE_PGM_RSRC2:TGID_Z_EN: 1
; COMPUTE_PGM_RSRC2:TIDIG_COMP_CNT: 1
	.section	.text._ZL20rocblas_gemvn_kernelILi64ELi4EifffEviiT3_lPKT2_lT1_lS3_lS4_lS0_lPT4_lS4_li,"axG",@progbits,_ZL20rocblas_gemvn_kernelILi64ELi4EifffEviiT3_lPKT2_lT1_lS3_lS4_lS0_lPT4_lS4_li,comdat
	.globl	_ZL20rocblas_gemvn_kernelILi64ELi4EifffEviiT3_lPKT2_lT1_lS3_lS4_lS0_lPT4_lS4_li ; -- Begin function _ZL20rocblas_gemvn_kernelILi64ELi4EifffEviiT3_lPKT2_lT1_lS3_lS4_lS0_lPT4_lS4_li
	.p2align	8
	.type	_ZL20rocblas_gemvn_kernelILi64ELi4EifffEviiT3_lPKT2_lT1_lS3_lS4_lS0_lPT4_lS4_li,@function
_ZL20rocblas_gemvn_kernelILi64ELi4EifffEviiT3_lPKT2_lT1_lS3_lS4_lS0_lPT4_lS4_li: ; @_ZL20rocblas_gemvn_kernelILi64ELi4EifffEviiT3_lPKT2_lT1_lS3_lS4_lS0_lPT4_lS4_li
; %bb.0:
	s_load_b64 s[2:3], s[0:1], 0x9c
	s_wait_kmcnt 0x0
	s_lshr_b32 s4, s2, 16
	s_and_b32 s2, s2, 0xffff
	s_and_b32 s3, s3, 0xffff
	s_mul_i32 s2, s4, s2
	s_delay_alu instid0(SALU_CYCLE_1) | instskip(NEXT) | instid1(SALU_CYCLE_1)
	s_mul_i32 s2, s2, s3
	s_cmp_lg_u32 s2, 0x100
	s_cbranch_scc1 .LBB4_53
; %bb.1:
	s_load_b32 s19, s[0:1], 0x88
	s_bfe_u32 s2, ttmp6, 0x40014
	s_lshr_b32 s3, ttmp7, 16
	s_add_co_i32 s2, s2, 1
	s_bfe_u32 s5, ttmp6, 0x40008
	s_mul_i32 s4, s3, s2
	s_getreg_b32 s2, hwreg(HW_REG_IB_STS2, 6, 4)
	s_add_co_i32 s5, s5, s4
	s_cmp_eq_u32 s2, 0
	s_mov_b32 s29, 0
	s_cselect_b32 s28, s3, s5
	s_wait_kmcnt 0x0
	s_cmp_ge_u32 s28, s19
	s_cbranch_scc1 .LBB4_53
; %bb.2:
	s_clause 0x7
	s_load_b128 s[4:7], s[0:1], 0x18
	s_load_b96 s[16:18], s[0:1], 0x40
	s_load_b128 s[12:15], s[0:1], 0x68
	s_load_b32 s30, s[0:1], 0x78
	s_load_b96 s[20:22], s[0:1], 0x0
	s_load_b96 s[24:26], s[0:1], 0x50
	s_load_b32 s23, s[0:1], 0x28
	s_load_b128 s[8:11], s[0:1], 0x30
	v_bfe_u32 v3, v0, 10, 10
	v_and_b32_e32 v4, 0x3ff, v0
	s_delay_alu instid0(VALU_DEP_2) | instskip(NEXT) | instid1(VALU_DEP_2)
	v_dual_mov_b32 v1, 0 :: v_dual_lshlrev_b32 v28, 2, v3
	v_lshl_add_u32 v5, v3, 6, v4
	s_wait_kmcnt 0x0
	s_lshl_b64 s[6:7], s[6:7], 2
	s_lshl_b64 s[34:35], s[16:17], 2
	;; [unrolled: 1-line block ×3, first 2 shown]
	s_ashr_i32 s31, s30, 31
	s_cmp_eq_f32 s22, 0
	s_load_b64 s[14:15], s[0:1], 0x80
	s_add_nc_u64 s[16:17], s[4:5], s[6:7]
	v_mul_lo_u32 v11, v3, s18
	s_cselect_b32 s27, -1, 0
	s_cmp_neq_f32 s22, 0
	s_wait_xcnt 0x0
	s_mov_b32 s0, s20
	v_mad_u32 v35, s18, v28, s18
	s_add_nc_u64 s[10:11], s[10:11], s[34:35]
	s_cselect_b32 s1, -1, 0
	s_cmp_neq_f32 s26, 1.0
	s_add_nc_u64 s[12:13], s[12:13], s[36:37]
	s_cselect_b32 s3, -1, 0
	s_bfe_u32 s4, ttmp6, 0x4000c
	s_and_b32 s5, ttmp6, 15
	s_add_co_i32 s4, s4, 1
	s_or_b32 s33, s1, s3
	s_mul_i32 s4, ttmp9, s4
	v_lshlrev_b32_e32 v39, 2, v11
	s_add_co_i32 s5, s5, s4
	s_cmp_eq_u32 s2, 0
	s_cselect_b32 s2, ttmp9, s5
	s_ashr_i32 s1, s20, 31
	s_lshl_b32 s38, s2, 8
	s_delay_alu instid0(SALU_CYCLE_1) | instskip(SKIP_3) | instid1(VALU_DEP_3)
	v_dual_lshlrev_b32 v6, 2, v4 :: v_dual_add_nc_u32 v0, s38, v5
	v_or_b32_e32 v7, s38, v5
	s_cmp_neq_f32 s26, 0
	v_cmp_gt_u32_e64 s5, 0x100, v5
	v_lshl_add_u32 v30, v3, 10, v6
	v_cmp_gt_i64_e32 vcc_lo, s[0:1], v[0:1]
	v_mul_u64_e32 v[0:1], s[30:31], v[0:1]
	v_mul_lo_u32 v2, s30, v7
	v_or_b32_e32 v29, s38, v4
	s_cselect_b32 s39, -1, 0
	s_ashr_i32 s2, s21, 31
	v_lshl_add_u32 v31, v3, 8, v6
	s_lshr_b32 s1, s2, 28
	v_add_nc_u32_e32 v10, 0xc0, v29
	s_add_co_i32 s1, s21, s1
	v_mul_lo_u32 v5, s23, v28
	s_and_b32 s40, s1, -16
	v_cmp_gt_i32_e64 s6, s20, v7
	v_cmp_gt_i32_e64 s3, s20, v10
	v_mul_lo_u32 v10, v3, s23
	v_dual_ashrrev_i32 v3, 31, v2 :: v_dual_add_nc_u32 v8, 64, v29
	v_add_nc_u32_e32 v9, 0x80, v29
	s_sub_co_i32 s4, s21, s40
	v_cmp_gt_i32_e64 s0, s20, v29
	s_cmp_gt_i32 s4, 0
	v_cmp_gt_i32_e64 s4, s40, v28
	v_cmp_gt_i32_e64 s2, s20, v9
	v_or_b32_e32 v9, 3, v28
	v_cmp_gt_i32_e64 s1, s20, v8
	v_or_b32_e32 v8, 2, v28
	v_add3_u32 v37, v5, s23, v4
	v_lshl_add_u32 v38, v10, 2, v4
	v_mad_u32 v33, s23, v9, v4
	v_mul_lo_u32 v36, s18, v9
	v_mad_u32 v32, s23, v8, v4
	v_mul_lo_u32 v34, s18, v8
	s_cselect_b32 s41, -1, 0
	s_and_b32 s20, s5, vcc_lo
	s_lshl_b32 s42, s23, 4
	s_lshl_b32 s43, s18, 4
	s_branch .LBB4_5
.LBB4_3:                                ;   in Loop: Header=BB4_5 Depth=1
	s_wait_xcnt 0x0
	s_or_b32 exec_lo, exec_lo, s7
.LBB4_4:                                ;   in Loop: Header=BB4_5 Depth=1
	s_add_co_i32 s28, s28, 0x10000
	s_delay_alu instid0(SALU_CYCLE_1)
	s_cmp_lt_u32 s28, s19
	s_cbranch_scc0 .LBB4_53
.LBB4_5:                                ; =>This Loop Header: Depth=1
                                        ;     Child Loop BB4_21 Depth 2
	s_and_not1_b32 vcc_lo, exec_lo, s33
	s_cbranch_vccnz .LBB4_4
; %bb.6:                                ;   in Loop: Header=BB4_5 Depth=1
	s_wait_kmcnt 0x0
	s_mul_u64 s[30:31], s[14:15], s[28:29]
	s_and_not1_b32 vcc_lo, exec_lo, s27
	s_lshl_b64 s[30:31], s[30:31], 2
	s_delay_alu instid0(SALU_CYCLE_1)
	s_add_nc_u64 s[30:31], s[12:13], s[30:31]
	s_cbranch_vccnz .LBB4_10
; %bb.7:                                ;   in Loop: Header=BB4_5 Depth=1
	s_mov_b32 s7, 0
	s_mov_b32 s44, 0
                                        ; implicit-def: $vgpr6
	s_and_saveexec_b32 s34, s20
	s_cbranch_execz .LBB4_11
; %bb.8:                                ;   in Loop: Header=BB4_5 Depth=1
	s_and_not1_b32 vcc_lo, exec_lo, s39
	s_cbranch_vccnz .LBB4_13
; %bb.9:                                ;   in Loop: Header=BB4_5 Depth=1
	v_lshl_add_u64 v[4:5], v[0:1], 2, s[30:31]
	global_load_b32 v4, v[4:5], off
	s_wait_loadcnt 0x0
	v_mul_f32_e32 v6, s26, v4
	s_branch .LBB4_14
.LBB4_10:                               ;   in Loop: Header=BB4_5 Depth=1
	s_mov_b32 s44, 0
                                        ; implicit-def: $vgpr6
	s_cbranch_execz .LBB4_12
	s_branch .LBB4_15
.LBB4_11:                               ;   in Loop: Header=BB4_5 Depth=1
	s_or_b32 exec_lo, exec_lo, s34
	s_delay_alu instid0(SALU_CYCLE_1)
	s_and_b32 vcc_lo, exec_lo, s7
	s_cbranch_vccnz .LBB4_15
.LBB4_12:                               ;   in Loop: Header=BB4_5 Depth=1
	v_mov_b64_e32 v[4:5], v[0:1]
	s_and_saveexec_b32 s7, s44
	s_cbranch_execz .LBB4_3
	s_branch .LBB4_52
.LBB4_13:                               ;   in Loop: Header=BB4_5 Depth=1
	v_mov_b32_e32 v6, 0
.LBB4_14:                               ;   in Loop: Header=BB4_5 Depth=1
	s_mov_b32 s44, exec_lo
	s_wait_xcnt 0x0
	s_or_b32 exec_lo, exec_lo, s34
	s_delay_alu instid0(SALU_CYCLE_1)
	s_and_b32 vcc_lo, exec_lo, s7
	s_cbranch_vccz .LBB4_12
.LBB4_15:                               ;   in Loop: Header=BB4_5 Depth=1
	s_mul_u64 s[34:35], s[8:9], s[28:29]
	s_mul_u64 s[36:37], s[24:25], s[28:29]
	v_dual_mov_b32 v40, 0 :: v_dual_mov_b32 v44, v28
	v_dual_mov_b32 v41, 0 :: v_dual_mov_b32 v42, 0
	v_mov_b32_e32 v43, 0
	s_lshl_b64 s[34:35], s[34:35], 2
	s_lshl_b64 s[36:37], s[36:37], 2
	s_add_nc_u64 s[34:35], s[16:17], s[34:35]
	s_add_nc_u64 s[36:37], s[10:11], s[36:37]
	s_and_saveexec_b32 s7, s4
	s_cbranch_execz .LBB4_27
; %bb.16:                               ;   in Loop: Header=BB4_5 Depth=1
	v_dual_mov_b32 v40, 0 :: v_dual_mov_b32 v45, v38
	v_dual_mov_b32 v46, v33 :: v_dual_mov_b32 v47, v32
	;; [unrolled: 1-line block ×4, first 2 shown]
	v_mov_b32_e32 v43, 0
	s_mov_b32 s45, 0
	s_mov_b32 s46, 0
	s_branch .LBB4_21
.LBB4_17:                               ;   in Loop: Header=BB4_21 Depth=2
	s_wait_xcnt 0x0
	s_or_b32 exec_lo, exec_lo, s50
	s_wait_loadcnt 0x2
	v_pk_mul_f32 v[18:19], v[8:9], v[18:19]
	s_wait_loadcnt 0x0
	v_pk_mul_f32 v[16:17], v[4:5], v[16:17]
	s_delay_alu instid0(VALU_DEP_2) | instskip(NEXT) | instid1(VALU_DEP_1)
	v_add_f32_e32 v18, v42, v18
	v_add_f32_e32 v18, v18, v19
	s_delay_alu instid0(VALU_DEP_1) | instskip(NEXT) | instid1(VALU_DEP_1)
	v_add_f32_e32 v16, v18, v16
	v_add_f32_e32 v42, v16, v17
.LBB4_18:                               ;   in Loop: Header=BB4_21 Depth=2
	s_or_b32 exec_lo, exec_lo, s49
	s_wait_loadcnt 0x2
	v_pk_mul_f32 v[14:15], v[8:9], v[14:15]
	s_wait_loadcnt 0x0
	v_pk_mul_f32 v[12:13], v[4:5], v[12:13]
	s_delay_alu instid0(VALU_DEP_2) | instskip(NEXT) | instid1(VALU_DEP_1)
	v_add_f32_e32 v14, v41, v14
	v_add_f32_e32 v14, v14, v15
	s_delay_alu instid0(VALU_DEP_1) | instskip(NEXT) | instid1(VALU_DEP_1)
	v_add_f32_e32 v12, v14, v12
	v_add_f32_e32 v41, v12, v13
.LBB4_19:                               ;   in Loop: Header=BB4_21 Depth=2
	s_or_b32 exec_lo, exec_lo, s48
	s_wait_loadcnt 0x2
	v_pk_mul_f32 v[8:9], v[8:9], v[10:11]
	s_wait_loadcnt 0x0
	v_pk_mul_f32 v[4:5], v[4:5], v[6:7]
	s_delay_alu instid0(VALU_DEP_2) | instskip(NEXT) | instid1(VALU_DEP_1)
	v_add_f32_e32 v8, v40, v8
	v_add_f32_e32 v8, v8, v9
	s_delay_alu instid0(VALU_DEP_1) | instskip(NEXT) | instid1(VALU_DEP_1)
	v_add_f32_e32 v4, v8, v4
	v_add_f32_e32 v40, v4, v5
.LBB4_20:                               ;   in Loop: Header=BB4_21 Depth=2
	s_or_b32 exec_lo, exec_lo, s47
	v_dual_add_nc_u32 v44, 16, v44 :: v_dual_add_nc_u32 v47, s42, v47
	v_dual_add_nc_u32 v48, s42, v48 :: v_dual_add_nc_u32 v46, s42, v46
	v_add_nc_u32_e32 v45, s42, v45
	s_delay_alu instid0(VALU_DEP_3) | instskip(SKIP_2) | instid1(SALU_CYCLE_1)
	v_cmp_le_i32_e32 vcc_lo, s40, v44
	s_add_co_i32 s46, s46, s43
	s_or_b32 s45, vcc_lo, s45
	s_and_not1_b32 exec_lo, exec_lo, s45
	s_cbranch_execz .LBB4_26
.LBB4_21:                               ;   Parent Loop BB4_5 Depth=1
                                        ; =>  This Inner Loop Header: Depth=2
	s_and_saveexec_b32 s47, s0
	s_cbranch_execz .LBB4_20
; %bb.22:                               ;   in Loop: Header=BB4_21 Depth=2
	v_dual_add_nc_u32 v13, s46, v36 :: v_dual_add_nc_u32 v15, s46, v34
	v_dual_add_nc_u32 v17, s46, v35 :: v_dual_add_nc_u32 v12, s38, v45
	;; [unrolled: 1-line block ×4, first 2 shown]
	s_clause 0x3
	global_load_b32 v5, v13, s[36:37] scale_offset
	global_load_b32 v4, v15, s[36:37] scale_offset
	;; [unrolled: 1-line block ×4, first 2 shown]
	s_clause 0x3
	global_load_b32 v10, v12, s[34:35] scale_offset
	global_load_b32 v11, v14, s[34:35] scale_offset
	;; [unrolled: 1-line block ×4, first 2 shown]
	s_wait_xcnt 0x0
	s_and_saveexec_b32 s48, s1
	s_cbranch_execz .LBB4_19
; %bb.23:                               ;   in Loop: Header=BB4_21 Depth=2
	v_dual_ashrrev_i32 v13, 31, v12 :: v_dual_ashrrev_i32 v15, 31, v14
	v_dual_ashrrev_i32 v19, 31, v18 :: v_dual_ashrrev_i32 v17, 31, v16
	s_delay_alu instid0(VALU_DEP_2) | instskip(NEXT) | instid1(VALU_DEP_3)
	v_lshl_add_u64 v[22:23], v[12:13], 2, s[34:35]
	v_lshl_add_u64 v[20:21], v[14:15], 2, s[34:35]
	s_delay_alu instid0(VALU_DEP_3) | instskip(NEXT) | instid1(VALU_DEP_4)
	v_lshl_add_u64 v[24:25], v[18:19], 2, s[34:35]
	v_lshl_add_u64 v[26:27], v[16:17], 2, s[34:35]
	s_clause 0x3
	global_load_b32 v14, v[22:23], off offset:256
	global_load_b32 v15, v[20:21], off offset:256
	;; [unrolled: 1-line block ×4, first 2 shown]
	s_wait_xcnt 0x0
	s_and_saveexec_b32 s49, s2
	s_cbranch_execz .LBB4_18
; %bb.24:                               ;   in Loop: Header=BB4_21 Depth=2
	s_clause 0x3
	global_load_b32 v18, v[22:23], off offset:512
	global_load_b32 v19, v[20:21], off offset:512
	global_load_b32 v16, v[24:25], off offset:512
	global_load_b32 v17, v[26:27], off offset:512
	s_wait_xcnt 0x0
	s_and_saveexec_b32 s50, s3
	s_cbranch_execz .LBB4_17
; %bb.25:                               ;   in Loop: Header=BB4_21 Depth=2
	s_clause 0x3
	global_load_b32 v50, v[22:23], off offset:768
	global_load_b32 v51, v[20:21], off offset:768
	;; [unrolled: 1-line block ×4, first 2 shown]
	s_wait_loadcnt 0x2
	s_wait_xcnt 0x2
	v_pk_mul_f32 v[20:21], v[8:9], v[50:51]
	s_delay_alu instid0(VALU_DEP_1) | instskip(NEXT) | instid1(VALU_DEP_1)
	v_add_f32_e32 v20, v43, v20
	v_add_f32_e32 v22, v20, v21
	s_wait_loadcnt 0x0
	v_pk_mul_f32 v[20:21], v[4:5], v[52:53]
	s_delay_alu instid0(VALU_DEP_1) | instskip(NEXT) | instid1(VALU_DEP_1)
	v_add_f32_e32 v20, v22, v20
	v_add_f32_e32 v43, v20, v21
	s_branch .LBB4_17
.LBB4_26:                               ;   in Loop: Header=BB4_5 Depth=1
	s_or_b32 exec_lo, exec_lo, s45
.LBB4_27:                               ;   in Loop: Header=BB4_5 Depth=1
	s_delay_alu instid0(SALU_CYCLE_1) | instskip(NEXT) | instid1(SALU_CYCLE_1)
	s_or_b32 exec_lo, exec_lo, s7
	s_and_not1_b32 vcc_lo, exec_lo, s41
	s_cbranch_vccnz .LBB4_45
; %bb.28:                               ;   in Loop: Header=BB4_5 Depth=1
	v_dual_mov_b32 v6, 0 :: v_dual_bitop2_b32 v8, 1, v44 bitop3:0x54
	v_cmp_gt_i32_e32 vcc_lo, s21, v44
	s_delay_alu instid0(VALU_DEP_2)
	v_dual_mov_b32 v7, v6 :: v_dual_mov_b32 v4, v6
	v_mov_b32_e32 v5, v6
	s_and_saveexec_b32 s45, vcc_lo
	s_cbranch_execz .LBB4_36
; %bb.29:                               ;   in Loop: Header=BB4_5 Depth=1
	v_mul_lo_u32 v4, v44, s18
	v_dual_mov_b32 v5, 0 :: v_dual_mov_b32 v7, 0
	v_mov_b32_e32 v6, 0
	s_mov_b32 s46, exec_lo
	global_load_b32 v4, v4, s[36:37] scale_offset
	s_wait_xcnt 0x0
	v_cmpx_gt_i32_e64 s21, v8
	s_cbranch_execz .LBB4_35
; %bb.30:                               ;   in Loop: Header=BB4_5 Depth=1
	v_mul_lo_u32 v5, v8, s18
	v_dual_mov_b32 v7, 0 :: v_dual_bitop2_b32 v9, 2, v44 bitop3:0x54
	v_mov_b32_e32 v6, 0
	s_mov_b32 s47, exec_lo
	global_load_b32 v5, v5, s[36:37] scale_offset
	s_wait_xcnt 0x0
	v_cmpx_gt_i32_e64 s21, v9
	s_cbranch_execz .LBB4_34
; %bb.31:                               ;   in Loop: Header=BB4_5 Depth=1
	v_mul_lo_u32 v6, v9, s18
	v_dual_mov_b32 v7, 0 :: v_dual_bitop2_b32 v9, 3, v44 bitop3:0x54
	s_mov_b32 s48, exec_lo
	global_load_b32 v6, v6, s[36:37] scale_offset
	s_wait_xcnt 0x0
	v_cmpx_gt_i32_e64 s21, v9
	s_cbranch_execz .LBB4_33
; %bb.32:                               ;   in Loop: Header=BB4_5 Depth=1
	v_mul_lo_u32 v7, v9, s18
	global_load_b32 v7, v7, s[36:37] scale_offset
.LBB4_33:                               ;   in Loop: Header=BB4_5 Depth=1
	s_wait_xcnt 0x0
	s_or_b32 exec_lo, exec_lo, s48
.LBB4_34:                               ;   in Loop: Header=BB4_5 Depth=1
	s_delay_alu instid0(SALU_CYCLE_1)
	s_or_b32 exec_lo, exec_lo, s47
.LBB4_35:                               ;   in Loop: Header=BB4_5 Depth=1
	s_delay_alu instid0(SALU_CYCLE_1)
	s_or_b32 exec_lo, exec_lo, s46
.LBB4_36:                               ;   in Loop: Header=BB4_5 Depth=1
	s_delay_alu instid0(SALU_CYCLE_1)
	s_or_b32 exec_lo, exec_lo, s45
	s_and_saveexec_b32 s7, s0
	s_cbranch_execz .LBB4_44
; %bb.37:                               ;   in Loop: Header=BB4_5 Depth=1
	v_mul_lo_u32 v10, v44, s23
	v_or_b32_e32 v9, 2, v44
	v_mul_lo_u32 v12, v8, s23
	s_delay_alu instid0(VALU_DEP_3) | instskip(NEXT) | instid1(VALU_DEP_3)
	v_cndmask_b32_e32 v10, 0, v10, vcc_lo
	v_mul_lo_u32 v13, v9, s23
	v_cmp_gt_i32_e32 vcc_lo, s21, v8
	s_delay_alu instid0(VALU_DEP_4) | instskip(SKIP_1) | instid1(VALU_DEP_4)
	v_cndmask_b32_e32 v8, 0, v12, vcc_lo
	v_cmp_gt_i32_e32 vcc_lo, s21, v9
	v_dual_cndmask_b32 v9, 0, v13, vcc_lo :: v_dual_bitop2_b32 v11, 3, v44 bitop3:0x54
	s_delay_alu instid0(VALU_DEP_1) | instskip(SKIP_1) | instid1(VALU_DEP_2)
	v_mul_lo_u32 v14, v11, s23
	v_cmp_gt_i32_e32 vcc_lo, s21, v11
	v_dual_cndmask_b32 v11, 0, v14 :: v_dual_add_nc_u32 v14, v10, v29
	s_delay_alu instid0(VALU_DEP_4) | instskip(NEXT) | instid1(VALU_DEP_2)
	v_dual_add_nc_u32 v16, v8, v29 :: v_dual_add_nc_u32 v22, v9, v29
	v_add_nc_u32_e32 v12, v11, v29
	s_clause 0x3
	global_load_b32 v10, v14, s[34:35] scale_offset
	global_load_b32 v11, v16, s[34:35] scale_offset
	global_load_b32 v8, v22, s[34:35] scale_offset
	global_load_b32 v9, v12, s[34:35] scale_offset
	s_wait_xcnt 0x0
	s_and_saveexec_b32 s36, s1
	s_cbranch_execz .LBB4_43
; %bb.38:                               ;   in Loop: Header=BB4_5 Depth=1
	v_dual_ashrrev_i32 v15, 31, v14 :: v_dual_ashrrev_i32 v17, 31, v16
	v_dual_ashrrev_i32 v23, 31, v22 :: v_dual_ashrrev_i32 v13, 31, v12
	s_delay_alu instid0(VALU_DEP_2) | instskip(NEXT) | instid1(VALU_DEP_3)
	v_lshl_add_u64 v[20:21], v[14:15], 2, s[34:35]
	v_lshl_add_u64 v[18:19], v[16:17], 2, s[34:35]
	s_delay_alu instid0(VALU_DEP_3) | instskip(NEXT) | instid1(VALU_DEP_4)
	v_lshl_add_u64 v[24:25], v[22:23], 2, s[34:35]
	v_lshl_add_u64 v[26:27], v[12:13], 2, s[34:35]
	s_clause 0x3
	global_load_b32 v14, v[20:21], off offset:256
	global_load_b32 v15, v[18:19], off offset:256
	global_load_b32 v12, v[24:25], off offset:256
	global_load_b32 v13, v[26:27], off offset:256
	s_wait_xcnt 0x0
	s_and_saveexec_b32 s34, s2
	s_cbranch_execz .LBB4_42
; %bb.39:                               ;   in Loop: Header=BB4_5 Depth=1
	s_clause 0x3
	global_load_b32 v22, v[20:21], off offset:512
	global_load_b32 v23, v[18:19], off offset:512
	;; [unrolled: 1-line block ×4, first 2 shown]
	s_wait_xcnt 0x0
	s_and_saveexec_b32 s35, s3
	s_cbranch_execz .LBB4_41
; %bb.40:                               ;   in Loop: Header=BB4_5 Depth=1
	s_clause 0x3
	global_load_b32 v44, v[20:21], off offset:768
	global_load_b32 v45, v[18:19], off offset:768
	;; [unrolled: 1-line block ×4, first 2 shown]
	s_wait_loadcnt 0x2
	s_wait_xcnt 0x2
	v_pk_mul_f32 v[18:19], v[4:5], v[44:45]
	s_delay_alu instid0(VALU_DEP_1) | instskip(NEXT) | instid1(VALU_DEP_1)
	v_add_f32_e32 v18, v43, v18
	v_add_f32_e32 v20, v18, v19
	s_wait_loadcnt 0x0
	v_pk_mul_f32 v[18:19], v[6:7], v[46:47]
	s_delay_alu instid0(VALU_DEP_1) | instskip(NEXT) | instid1(VALU_DEP_1)
	v_add_f32_e32 v18, v20, v18
	v_add_f32_e32 v43, v18, v19
.LBB4_41:                               ;   in Loop: Header=BB4_5 Depth=1
	s_wait_xcnt 0x0
	s_or_b32 exec_lo, exec_lo, s35
	s_wait_loadcnt 0x2
	v_pk_mul_f32 v[18:19], v[4:5], v[22:23]
	s_wait_loadcnt 0x0
	v_pk_mul_f32 v[16:17], v[6:7], v[16:17]
	s_delay_alu instid0(VALU_DEP_2) | instskip(NEXT) | instid1(VALU_DEP_1)
	v_add_f32_e32 v18, v42, v18
	v_add_f32_e32 v18, v18, v19
	s_delay_alu instid0(VALU_DEP_1) | instskip(NEXT) | instid1(VALU_DEP_1)
	v_add_f32_e32 v16, v18, v16
	v_add_f32_e32 v42, v16, v17
.LBB4_42:                               ;   in Loop: Header=BB4_5 Depth=1
	s_or_b32 exec_lo, exec_lo, s34
	s_wait_loadcnt 0x2
	v_pk_mul_f32 v[14:15], v[4:5], v[14:15]
	s_wait_loadcnt 0x0
	v_pk_mul_f32 v[12:13], v[6:7], v[12:13]
	s_delay_alu instid0(VALU_DEP_2) | instskip(NEXT) | instid1(VALU_DEP_1)
	v_add_f32_e32 v14, v41, v14
	v_add_f32_e32 v14, v14, v15
	s_delay_alu instid0(VALU_DEP_1) | instskip(NEXT) | instid1(VALU_DEP_1)
	v_add_f32_e32 v12, v14, v12
	v_add_f32_e32 v41, v12, v13
.LBB4_43:                               ;   in Loop: Header=BB4_5 Depth=1
	s_or_b32 exec_lo, exec_lo, s36
	s_wait_loadcnt 0x2
	v_pk_mul_f32 v[4:5], v[4:5], v[10:11]
	s_delay_alu instid0(VALU_DEP_1) | instskip(NEXT) | instid1(VALU_DEP_1)
	v_add_f32_e32 v4, v40, v4
	v_add_f32_e32 v10, v4, v5
	s_wait_loadcnt 0x0
	v_pk_mul_f32 v[4:5], v[6:7], v[8:9]
	s_delay_alu instid0(VALU_DEP_1) | instskip(NEXT) | instid1(VALU_DEP_1)
	v_add_f32_e32 v4, v10, v4
	v_add_f32_e32 v40, v4, v5
.LBB4_44:                               ;   in Loop: Header=BB4_5 Depth=1
	s_or_b32 exec_lo, exec_lo, s7
.LBB4_45:                               ;   in Loop: Header=BB4_5 Depth=1
	ds_store_2addr_stride64_b32 v30, v40, v41 offset1:1
	ds_store_2addr_stride64_b32 v30, v42, v43 offset0:2 offset1:3
	s_wait_loadcnt_dscnt 0x0
	s_barrier_signal -1
	s_barrier_wait -1
                                        ; implicit-def: $vgpr6
	s_and_saveexec_b32 s7, s5
	s_cbranch_execz .LBB4_51
; %bb.46:                               ;   in Loop: Header=BB4_5 Depth=1
	ds_load_2addr_stride64_b32 v[4:5], v31 offset1:4
	ds_load_2addr_stride64_b32 v[6:7], v31 offset0:8 offset1:12
	s_mov_b32 s35, s44
	s_wait_dscnt 0x1
	v_add_f32_e32 v4, v4, v5
	s_wait_dscnt 0x0
	s_delay_alu instid0(VALU_DEP_1) | instskip(NEXT) | instid1(VALU_DEP_1)
	v_add_f32_e32 v4, v6, v4
                                        ; implicit-def: $vgpr6
	v_add_f32_e32 v4, v7, v4
	ds_store_b32 v31, v4
	s_and_saveexec_b32 s34, s6
	s_cbranch_execz .LBB4_50
; %bb.47:                               ;   in Loop: Header=BB4_5 Depth=1
	v_mul_f32_e32 v6, s22, v4
	s_and_not1_b32 vcc_lo, exec_lo, s39
	s_cbranch_vccnz .LBB4_49
; %bb.48:                               ;   in Loop: Header=BB4_5 Depth=1
	v_lshl_add_u64 v[4:5], v[2:3], 2, s[30:31]
	global_load_b32 v4, v[4:5], off
	s_wait_loadcnt 0x0
	v_fmac_f32_e32 v6, s26, v4
.LBB4_49:                               ;   in Loop: Header=BB4_5 Depth=1
	s_or_b32 s35, s44, exec_lo
.LBB4_50:                               ;   in Loop: Header=BB4_5 Depth=1
	s_wait_xcnt 0x0
	s_or_b32 exec_lo, exec_lo, s34
	s_delay_alu instid0(SALU_CYCLE_1) | instskip(SKIP_1) | instid1(SALU_CYCLE_1)
	s_and_not1_b32 s34, s44, exec_lo
	s_and_b32 s35, s35, exec_lo
	s_or_b32 s44, s34, s35
.LBB4_51:                               ;   in Loop: Header=BB4_5 Depth=1
	s_or_b32 exec_lo, exec_lo, s7
	v_mov_b64_e32 v[4:5], v[2:3]
	s_and_saveexec_b32 s7, s44
	s_cbranch_execz .LBB4_3
.LBB4_52:                               ;   in Loop: Header=BB4_5 Depth=1
	s_delay_alu instid0(VALU_DEP_1)
	v_lshl_add_u64 v[4:5], v[4:5], 2, s[30:31]
	global_store_b32 v[4:5], v6, off
	s_branch .LBB4_3
.LBB4_53:
	s_endpgm
	.section	.rodata,"a",@progbits
	.p2align	6, 0x0
	.amdhsa_kernel _ZL20rocblas_gemvn_kernelILi64ELi4EifffEviiT3_lPKT2_lT1_lS3_lS4_lS0_lPT4_lS4_li
		.amdhsa_group_segment_fixed_size 4096
		.amdhsa_private_segment_fixed_size 0
		.amdhsa_kernarg_size 400
		.amdhsa_user_sgpr_count 2
		.amdhsa_user_sgpr_dispatch_ptr 0
		.amdhsa_user_sgpr_queue_ptr 0
		.amdhsa_user_sgpr_kernarg_segment_ptr 1
		.amdhsa_user_sgpr_dispatch_id 0
		.amdhsa_user_sgpr_kernarg_preload_length 0
		.amdhsa_user_sgpr_kernarg_preload_offset 0
		.amdhsa_user_sgpr_private_segment_size 0
		.amdhsa_wavefront_size32 1
		.amdhsa_uses_dynamic_stack 0
		.amdhsa_enable_private_segment 0
		.amdhsa_system_sgpr_workgroup_id_x 1
		.amdhsa_system_sgpr_workgroup_id_y 0
		.amdhsa_system_sgpr_workgroup_id_z 1
		.amdhsa_system_sgpr_workgroup_info 0
		.amdhsa_system_vgpr_workitem_id 1
		.amdhsa_next_free_vgpr 54
		.amdhsa_next_free_sgpr 51
		.amdhsa_named_barrier_count 0
		.amdhsa_reserve_vcc 1
		.amdhsa_float_round_mode_32 0
		.amdhsa_float_round_mode_16_64 0
		.amdhsa_float_denorm_mode_32 3
		.amdhsa_float_denorm_mode_16_64 3
		.amdhsa_fp16_overflow 0
		.amdhsa_memory_ordered 1
		.amdhsa_forward_progress 1
		.amdhsa_inst_pref_size 22
		.amdhsa_round_robin_scheduling 0
		.amdhsa_exception_fp_ieee_invalid_op 0
		.amdhsa_exception_fp_denorm_src 0
		.amdhsa_exception_fp_ieee_div_zero 0
		.amdhsa_exception_fp_ieee_overflow 0
		.amdhsa_exception_fp_ieee_underflow 0
		.amdhsa_exception_fp_ieee_inexact 0
		.amdhsa_exception_int_div_zero 0
	.end_amdhsa_kernel
	.section	.text._ZL20rocblas_gemvn_kernelILi64ELi4EifffEviiT3_lPKT2_lT1_lS3_lS4_lS0_lPT4_lS4_li,"axG",@progbits,_ZL20rocblas_gemvn_kernelILi64ELi4EifffEviiT3_lPKT2_lT1_lS3_lS4_lS0_lPT4_lS4_li,comdat
.Lfunc_end4:
	.size	_ZL20rocblas_gemvn_kernelILi64ELi4EifffEviiT3_lPKT2_lT1_lS3_lS4_lS0_lPT4_lS4_li, .Lfunc_end4-_ZL20rocblas_gemvn_kernelILi64ELi4EifffEviiT3_lPKT2_lT1_lS3_lS4_lS0_lPT4_lS4_li
                                        ; -- End function
	.set _ZL20rocblas_gemvn_kernelILi64ELi4EifffEviiT3_lPKT2_lT1_lS3_lS4_lS0_lPT4_lS4_li.num_vgpr, 54
	.set _ZL20rocblas_gemvn_kernelILi64ELi4EifffEviiT3_lPKT2_lT1_lS3_lS4_lS0_lPT4_lS4_li.num_agpr, 0
	.set _ZL20rocblas_gemvn_kernelILi64ELi4EifffEviiT3_lPKT2_lT1_lS3_lS4_lS0_lPT4_lS4_li.numbered_sgpr, 51
	.set _ZL20rocblas_gemvn_kernelILi64ELi4EifffEviiT3_lPKT2_lT1_lS3_lS4_lS0_lPT4_lS4_li.num_named_barrier, 0
	.set _ZL20rocblas_gemvn_kernelILi64ELi4EifffEviiT3_lPKT2_lT1_lS3_lS4_lS0_lPT4_lS4_li.private_seg_size, 0
	.set _ZL20rocblas_gemvn_kernelILi64ELi4EifffEviiT3_lPKT2_lT1_lS3_lS4_lS0_lPT4_lS4_li.uses_vcc, 1
	.set _ZL20rocblas_gemvn_kernelILi64ELi4EifffEviiT3_lPKT2_lT1_lS3_lS4_lS0_lPT4_lS4_li.uses_flat_scratch, 0
	.set _ZL20rocblas_gemvn_kernelILi64ELi4EifffEviiT3_lPKT2_lT1_lS3_lS4_lS0_lPT4_lS4_li.has_dyn_sized_stack, 0
	.set _ZL20rocblas_gemvn_kernelILi64ELi4EifffEviiT3_lPKT2_lT1_lS3_lS4_lS0_lPT4_lS4_li.has_recursion, 0
	.set _ZL20rocblas_gemvn_kernelILi64ELi4EifffEviiT3_lPKT2_lT1_lS3_lS4_lS0_lPT4_lS4_li.has_indirect_call, 0
	.section	.AMDGPU.csdata,"",@progbits
; Kernel info:
; codeLenInByte = 2748
; TotalNumSgprs: 53
; NumVgprs: 54
; ScratchSize: 0
; MemoryBound: 0
; FloatMode: 240
; IeeeMode: 1
; LDSByteSize: 4096 bytes/workgroup (compile time only)
; SGPRBlocks: 0
; VGPRBlocks: 3
; NumSGPRsForWavesPerEU: 53
; NumVGPRsForWavesPerEU: 54
; NamedBarCnt: 0
; Occupancy: 16
; WaveLimiterHint : 1
; COMPUTE_PGM_RSRC2:SCRATCH_EN: 0
; COMPUTE_PGM_RSRC2:USER_SGPR: 2
; COMPUTE_PGM_RSRC2:TRAP_HANDLER: 0
; COMPUTE_PGM_RSRC2:TGID_X_EN: 1
; COMPUTE_PGM_RSRC2:TGID_Y_EN: 0
; COMPUTE_PGM_RSRC2:TGID_Z_EN: 1
; COMPUTE_PGM_RSRC2:TIDIG_COMP_CNT: 1
	.section	.text._ZL20rocblas_gemvn_kernelILi64ELi4ElfffEviiT3_lPKT2_lT1_lS3_lS4_lS0_lPT4_lS4_li,"axG",@progbits,_ZL20rocblas_gemvn_kernelILi64ELi4ElfffEviiT3_lPKT2_lT1_lS3_lS4_lS0_lPT4_lS4_li,comdat
	.globl	_ZL20rocblas_gemvn_kernelILi64ELi4ElfffEviiT3_lPKT2_lT1_lS3_lS4_lS0_lPT4_lS4_li ; -- Begin function _ZL20rocblas_gemvn_kernelILi64ELi4ElfffEviiT3_lPKT2_lT1_lS3_lS4_lS0_lPT4_lS4_li
	.p2align	8
	.type	_ZL20rocblas_gemvn_kernelILi64ELi4ElfffEviiT3_lPKT2_lT1_lS3_lS4_lS0_lPT4_lS4_li,@function
_ZL20rocblas_gemvn_kernelILi64ELi4ElfffEviiT3_lPKT2_lT1_lS3_lS4_lS0_lPT4_lS4_li: ; @_ZL20rocblas_gemvn_kernelILi64ELi4ElfffEviiT3_lPKT2_lT1_lS3_lS4_lS0_lPT4_lS4_li
; %bb.0:
	s_load_b64 s[2:3], s[0:1], 0x9c
	s_wait_kmcnt 0x0
	s_lshr_b32 s4, s2, 16
	s_and_b32 s2, s2, 0xffff
	s_and_b32 s3, s3, 0xffff
	s_mul_i32 s2, s4, s2
	s_delay_alu instid0(SALU_CYCLE_1) | instskip(NEXT) | instid1(SALU_CYCLE_1)
	s_mul_i32 s2, s2, s3
	s_cmp_lg_u32 s2, 0x100
	s_cbranch_scc1 .LBB5_53
; %bb.1:
	s_load_b32 s33, s[0:1], 0x88
	s_bfe_u32 s2, ttmp6, 0x40014
	s_lshr_b32 s3, ttmp7, 16
	s_add_co_i32 s2, s2, 1
	s_bfe_u32 s4, ttmp6, 0x40008
	s_mul_i32 s2, s3, s2
	s_getreg_b32 s6, hwreg(HW_REG_IB_STS2, 6, 4)
	s_add_co_i32 s4, s4, s2
	s_cmp_eq_u32 s6, 0
	s_mov_b32 s35, 0
	s_cselect_b32 s34, s3, s4
	s_wait_kmcnt 0x0
	s_cmp_ge_u32 s34, s33
	s_cbranch_scc1 .LBB5_53
; %bb.2:
	s_clause 0x3
	s_load_b512 s[8:23], s[0:1], 0x18
	s_load_b256 s[24:31], s[0:1], 0x68
	s_load_b96 s[36:38], s[0:1], 0x0
	s_load_b32 s39, s[0:1], 0x58
	v_and_b32_e32 v6, 0x3ff, v0
	v_bfe_u32 v2, v0, 10, 10
	s_delay_alu instid0(VALU_DEP_2) | instskip(NEXT) | instid1(VALU_DEP_2)
	v_dual_mov_b32 v1, 0 :: v_dual_lshlrev_b32 v0, 2, v6
	v_lshl_add_u32 v7, v2, 6, v6
	s_delay_alu instid0(VALU_DEP_2) | instskip(NEXT) | instid1(VALU_DEP_3)
	v_dual_mov_b32 v3, v1 :: v_dual_lshlrev_b32 v64, 2, v2
	v_lshl_add_u32 v65, v2, 10, v0
	v_lshl_add_u32 v66, v2, 8, v0
	s_wait_xcnt 0x0
	v_cmp_gt_u32_e64 s0, 0x100, v7
	s_wait_kmcnt 0x0
	s_lshl_b64 s[4:5], s[10:11], 2
	s_lshl_b64 s[10:11], s[18:19], 2
	;; [unrolled: 1-line block ×3, first 2 shown]
	s_cmp_eq_f32 s38, 0
	v_mul_u64_e32 v[10:11], s[20:21], v[2:3]
	v_mul_u64_e32 v[12:13], s[12:13], v[2:3]
	v_mad_nc_u64_u32 v[4:5], s20, v64, s[20:21]
	s_cselect_b32 s46, -1, 0
	s_cmp_neq_f32 s38, 0
	v_mad_nc_u64_u32 v[8:9], s12, v64, s[12:13]
	s_add_nc_u64 s[24:25], s[24:25], s[2:3]
	s_add_nc_u64 s[26:27], s[16:17], s[10:11]
	s_cselect_b32 s1, -1, 0
	s_cmp_neq_f32 s39, 1.0
	s_cselect_b32 s7, -1, 0
	s_bfe_u32 s18, ttmp6, 0x4000c
	s_and_b32 s19, ttmp6, 15
	s_add_co_i32 s18, s18, 1
	s_or_b32 s47, s1, s7
	s_mul_i32 s18, ttmp9, s18
	v_mad_u32 v5, s21, v64, v5
	s_add_co_i32 s19, s19, s18
	s_cmp_eq_u32 s6, 0
	s_mov_b32 s6, s36
	s_cselect_b32 s1, ttmp9, s19
	s_ashr_i32 s7, s36, 31
	s_lshl_b32 s1, s1, 8
	s_cmp_neq_f32 s39, 0
	v_dual_add_nc_u32 v0, s1, v7 :: v_dual_bitop2_b32 v14, s1, v7 bitop3:0x54
	v_or_b32_e32 v24, s1, v6
	v_mad_u32 v9, s13, v64, v9
	s_cselect_b32 s48, -1, 0
	s_delay_alu instid0(VALU_DEP_3)
	v_cmp_gt_i64_e32 vcc_lo, s[6:7], v[0:1]
	v_mul_u64_e32 v[2:3], s[28:29], v[0:1]
	v_dual_ashrrev_i32 v15, 31, v14 :: v_dual_bitop2_b32 v0, 3, v64 bitop3:0x54
	s_ashr_i32 s1, s37, 31
	v_ashrrev_i32_e32 v25, 31, v24
	s_lshr_b32 s3, s1, 28
	s_delay_alu instid0(VALU_DEP_2)
	v_mul_u64_e32 v[16:17], s[12:13], v[0:1]
	v_mul_u64_e32 v[18:19], s[20:21], v[0:1]
	v_or_b32_e32 v0, 2, v64
	v_mul_u64_e32 v[6:7], s[28:29], v[14:15]
	v_add_nc_u32_e32 v15, 0x80, v24
	s_add_co_i32 s3, s37, s3
	v_add_nc_u32_e32 v26, 0xc0, v24
	v_mul_u64_e32 v[20:21], s[12:13], v[0:1]
	v_mul_u64_e32 v[22:23], s[20:21], v[0:1]
	v_add_nc_u32_e32 v0, 64, v24
	s_and_b32 s49, s3, -16
	s_add_nc_u64 s[18:19], s[8:9], s[4:5]
	v_cmp_gt_i32_e64 s2, s36, v14
	v_cmp_gt_i32_e64 s4, s36, v15
	s_sub_co_i32 s6, s37, s49
	v_lshlrev_b64_e32 v[14:15], 2, v[24:25]
	v_lshl_add_u64 v[4:5], v[4:5], 2, s[16:17]
	v_lshl_add_u64 v[8:9], v[8:9], 2, s[18:19]
	v_cmp_gt_i32_e64 s1, s36, v24
	v_lshl_add_u64 v[10:11], v[10:11], 4, s[16:17]
	v_lshl_add_u64 v[12:13], v[12:13], 4, s[18:19]
	v_cmp_gt_i32_e64 s3, s36, v0
	v_cmp_gt_i32_e64 s5, s36, v26
	s_cmp_gt_i32 s6, 0
	v_cmp_gt_i32_e64 s6, s49, v64
	s_cselect_b32 s36, -1, 0
	s_and_b32 s50, s0, vcc_lo
	s_lshl_b64 s[28:29], s[22:23], 2
	s_lshl_b64 s[40:41], s[14:15], 2
	;; [unrolled: 1-line block ×3, first 2 shown]
	v_lshl_add_u64 v[16:17], v[16:17], 2, s[18:19]
	v_lshl_add_u64 v[18:19], v[18:19], 2, s[16:17]
	;; [unrolled: 1-line block ×4, first 2 shown]
	s_lshl_b64 s[16:17], s[20:21], 6
	s_branch .LBB5_5
.LBB5_3:                                ;   in Loop: Header=BB5_5 Depth=1
	s_wait_xcnt 0x0
	s_or_b32 exec_lo, exec_lo, s7
.LBB5_4:                                ;   in Loop: Header=BB5_5 Depth=1
	s_add_co_i32 s34, s34, 0x10000
	s_delay_alu instid0(SALU_CYCLE_1)
	s_cmp_lt_u32 s34, s33
	s_cbranch_scc0 .LBB5_53
.LBB5_5:                                ; =>This Loop Header: Depth=1
                                        ;     Child Loop BB5_21 Depth 2
	s_and_not1_b32 vcc_lo, exec_lo, s47
	s_cbranch_vccnz .LBB5_4
; %bb.6:                                ;   in Loop: Header=BB5_5 Depth=1
	s_mul_u64 s[8:9], s[30:31], s[34:35]
	s_and_not1_b32 vcc_lo, exec_lo, s46
	s_lshl_b64 s[8:9], s[8:9], 2
	s_delay_alu instid0(SALU_CYCLE_1)
	s_add_nc_u64 s[44:45], s[24:25], s[8:9]
	s_cbranch_vccnz .LBB5_10
; %bb.7:                                ;   in Loop: Header=BB5_5 Depth=1
	s_mov_b32 s7, 0
	s_mov_b32 s51, 0
                                        ; implicit-def: $vgpr0
	s_and_saveexec_b32 s8, s50
	s_cbranch_execz .LBB5_11
; %bb.8:                                ;   in Loop: Header=BB5_5 Depth=1
	s_and_not1_b32 vcc_lo, exec_lo, s48
	s_cbranch_vccnz .LBB5_13
; %bb.9:                                ;   in Loop: Header=BB5_5 Depth=1
	v_lshl_add_u64 v[24:25], v[2:3], 2, s[44:45]
	global_load_b32 v0, v[24:25], off
	s_wait_loadcnt 0x0
	v_mul_f32_e32 v0, s39, v0
	s_branch .LBB5_14
.LBB5_10:                               ;   in Loop: Header=BB5_5 Depth=1
	s_mov_b32 s51, 0
                                        ; implicit-def: $vgpr0
	s_cbranch_execz .LBB5_12
	s_branch .LBB5_15
.LBB5_11:                               ;   in Loop: Header=BB5_5 Depth=1
	s_or_b32 exec_lo, exec_lo, s8
	s_delay_alu instid0(SALU_CYCLE_1)
	s_and_b32 vcc_lo, exec_lo, s7
	s_cbranch_vccnz .LBB5_15
.LBB5_12:                               ;   in Loop: Header=BB5_5 Depth=1
	v_mov_b64_e32 v[24:25], v[2:3]
	s_and_saveexec_b32 s7, s51
	s_cbranch_execz .LBB5_3
	s_branch .LBB5_52
.LBB5_13:                               ;   in Loop: Header=BB5_5 Depth=1
	v_mov_b32_e32 v0, 0
.LBB5_14:                               ;   in Loop: Header=BB5_5 Depth=1
	s_mov_b32 s51, exec_lo
	s_wait_xcnt 0x0
	s_or_b32 exec_lo, exec_lo, s8
	s_delay_alu instid0(SALU_CYCLE_1)
	s_and_b32 vcc_lo, exec_lo, s7
	s_cbranch_vccz .LBB5_12
.LBB5_15:                               ;   in Loop: Header=BB5_5 Depth=1
	v_dual_mov_b32 v67, 0 :: v_dual_mov_b32 v0, v64
	v_dual_mov_b32 v68, 0 :: v_dual_mov_b32 v69, 0
	v_mov_b32_e32 v70, 0
	s_and_saveexec_b32 s7, s6
	s_cbranch_execz .LBB5_27
; %bb.16:                               ;   in Loop: Header=BB5_5 Depth=1
	s_mul_u64 s[8:9], s[28:29], s[34:35]
	s_mul_u64 s[52:53], s[40:41], s[34:35]
	v_add_nc_u64_e32 v[24:25], s[8:9], v[10:11]
	v_add_nc_u64_e32 v[26:27], s[52:53], v[16:17]
	;; [unrolled: 1-line block ×8, first 2 shown]
	v_dual_mov_b32 v67, 0 :: v_dual_mov_b32 v0, v64
	v_dual_mov_b32 v68, 0 :: v_dual_mov_b32 v69, 0
	v_mov_b32_e32 v70, 0
	s_mov_b32 s8, 0
	s_branch .LBB5_21
.LBB5_17:                               ;   in Loop: Header=BB5_21 Depth=2
	s_wait_xcnt 0x0
	s_or_b32 exec_lo, exec_lo, s54
	s_wait_loadcnt 0x2
	v_pk_mul_f32 v[52:53], v[44:45], v[62:63]
	s_delay_alu instid0(VALU_DEP_1) | instskip(NEXT) | instid1(VALU_DEP_1)
	v_add_f32_e32 v52, v69, v52
	v_add_f32_e32 v54, v52, v53
	s_wait_loadcnt 0x0
	v_pk_mul_f32 v[52:53], v[40:41], v[60:61]
	s_delay_alu instid0(VALU_DEP_1) | instskip(NEXT) | instid1(VALU_DEP_1)
	v_add_f32_e32 v52, v54, v52
	v_add_f32_e32 v69, v52, v53
.LBB5_18:                               ;   in Loop: Header=BB5_21 Depth=2
	s_or_b32 exec_lo, exec_lo, s53
	s_wait_loadcnt 0x2
	v_pk_mul_f32 v[50:51], v[44:45], v[50:51]
	s_wait_loadcnt 0x0
	v_pk_mul_f32 v[48:49], v[40:41], v[48:49]
	s_delay_alu instid0(VALU_DEP_2) | instskip(NEXT) | instid1(VALU_DEP_1)
	v_add_f32_e32 v50, v68, v50
	v_add_f32_e32 v50, v50, v51
	s_delay_alu instid0(VALU_DEP_1) | instskip(NEXT) | instid1(VALU_DEP_1)
	v_add_f32_e32 v48, v50, v48
	v_add_f32_e32 v68, v48, v49
.LBB5_19:                               ;   in Loop: Header=BB5_21 Depth=2
	s_or_b32 exec_lo, exec_lo, s52
	s_wait_loadcnt 0x2
	v_pk_mul_f32 v[44:45], v[44:45], v[46:47]
	s_wait_loadcnt 0x0
	v_pk_mul_f32 v[40:41], v[40:41], v[42:43]
	s_delay_alu instid0(VALU_DEP_2) | instskip(NEXT) | instid1(VALU_DEP_1)
	v_add_f32_e32 v44, v67, v44
	v_add_f32_e32 v44, v44, v45
	s_delay_alu instid0(VALU_DEP_1) | instskip(NEXT) | instid1(VALU_DEP_1)
	v_add_f32_e32 v40, v44, v40
	v_add_f32_e32 v67, v40, v41
.LBB5_20:                               ;   in Loop: Header=BB5_21 Depth=2
	s_or_b32 exec_lo, exec_lo, s9
	v_add_nc_u32_e32 v0, 16, v0
	v_add_nc_u64_e32 v[24:25], s[16:17], v[24:25]
	v_add_nc_u64_e32 v[26:27], s[42:43], v[26:27]
	;; [unrolled: 1-line block ×7, first 2 shown]
	v_cmp_le_i32_e32 vcc_lo, s49, v0
	v_add_nc_u64_e32 v[38:39], s[42:43], v[38:39]
	s_or_b32 s8, vcc_lo, s8
	s_delay_alu instid0(SALU_CYCLE_1)
	s_and_not1_b32 exec_lo, exec_lo, s8
	s_cbranch_execz .LBB5_26
.LBB5_21:                               ;   Parent Loop BB5_5 Depth=1
                                        ; =>  This Inner Loop Header: Depth=2
	s_and_saveexec_b32 s9, s1
	s_cbranch_execz .LBB5_20
; %bb.22:                               ;   in Loop: Header=BB5_21 Depth=2
	v_add_nc_u64_e32 v[40:41], s[10:11], v[28:29]
	v_add_nc_u64_e32 v[48:49], s[10:11], v[34:35]
	;; [unrolled: 1-line block ×8, first 2 shown]
	global_load_b32 v41, v[40:41], off
	global_load_b32 v40, v[48:49], off
	;; [unrolled: 1-line block ×8, first 2 shown]
	s_wait_xcnt 0x0
	s_and_saveexec_b32 s52, s3
	s_cbranch_execz .LBB5_19
; %bb.23:                               ;   in Loop: Header=BB5_21 Depth=2
	global_load_b32 v50, v[54:55], off offset:256
	global_load_b32 v51, v[56:57], off offset:256
	global_load_b32 v48, v[52:53], off offset:256
	global_load_b32 v49, v[58:59], off offset:256
	s_wait_xcnt 0x0
	s_and_saveexec_b32 s53, s4
	s_cbranch_execz .LBB5_18
; %bb.24:                               ;   in Loop: Header=BB5_21 Depth=2
	global_load_b32 v62, v[54:55], off offset:512
	global_load_b32 v63, v[56:57], off offset:512
	global_load_b32 v60, v[52:53], off offset:512
	global_load_b32 v61, v[58:59], off offset:512
	;; [unrolled: 8-line block ×3, first 2 shown]
	s_wait_loadcnt 0x2
	v_pk_mul_f32 v[54:55], v[44:45], v[54:55]
	s_wait_loadcnt 0x0
	v_pk_mul_f32 v[52:53], v[40:41], v[52:53]
	s_delay_alu instid0(VALU_DEP_2) | instskip(NEXT) | instid1(VALU_DEP_1)
	v_add_f32_e32 v54, v70, v54
	v_add_f32_e32 v54, v54, v55
	s_delay_alu instid0(VALU_DEP_1) | instskip(NEXT) | instid1(VALU_DEP_1)
	v_add_f32_e32 v52, v54, v52
	v_add_f32_e32 v70, v52, v53
	s_branch .LBB5_17
.LBB5_26:                               ;   in Loop: Header=BB5_5 Depth=1
	s_or_b32 exec_lo, exec_lo, s8
.LBB5_27:                               ;   in Loop: Header=BB5_5 Depth=1
	s_delay_alu instid0(SALU_CYCLE_1) | instskip(NEXT) | instid1(SALU_CYCLE_1)
	s_or_b32 exec_lo, exec_lo, s7
	s_and_not1_b32 vcc_lo, exec_lo, s36
	s_cbranch_vccnz .LBB5_45
; %bb.28:                               ;   in Loop: Header=BB5_5 Depth=1
	v_dual_mov_b32 v26, 0 :: v_dual_bitop2_b32 v28, 1, v0 bitop3:0x54
	v_cmp_gt_i32_e32 vcc_lo, s37, v0
	s_delay_alu instid0(VALU_DEP_2)
	v_dual_mov_b32 v27, v26 :: v_dual_mov_b32 v24, v26
	v_mov_b32_e32 v25, v26
	s_and_saveexec_b32 s52, vcc_lo
	s_cbranch_execz .LBB5_36
; %bb.29:                               ;   in Loop: Header=BB5_5 Depth=1
	v_mul_u64_e32 v[24:25], s[20:21], v[0:1]
	s_mul_u64 s[8:9], s[22:23], s[34:35]
	v_mov_b32_e32 v26, 0
	s_lshl_b64 s[8:9], s[8:9], 2
	s_mov_b32 s53, exec_lo
	s_add_nc_u64 s[8:9], s[26:27], s[8:9]
	v_mov_b32_e32 v27, 0
	s_delay_alu instid0(VALU_DEP_3)
	v_lshl_add_u64 v[24:25], v[24:25], 2, s[8:9]
	global_load_b32 v24, v[24:25], off
	s_wait_xcnt 0x0
	v_mov_b32_e32 v25, 0
	v_cmpx_gt_i32_e64 s37, v28
	s_cbranch_execz .LBB5_35
; %bb.30:                               ;   in Loop: Header=BB5_5 Depth=1
	v_dual_mov_b32 v29, v1 :: v_dual_bitop2_b32 v30, 2, v0 bitop3:0x54
	s_mov_b32 s54, exec_lo
	s_delay_alu instid0(VALU_DEP_1) | instskip(NEXT) | instid1(VALU_DEP_1)
	v_mul_u64_e32 v[26:27], s[20:21], v[28:29]
	v_lshl_add_u64 v[26:27], v[26:27], 2, s[8:9]
	global_load_b32 v25, v[26:27], off
	s_wait_xcnt 0x0
	v_dual_mov_b32 v27, 0 :: v_dual_mov_b32 v26, 0
	v_cmpx_gt_i32_e64 s37, v30
	s_cbranch_execz .LBB5_34
; %bb.31:                               ;   in Loop: Header=BB5_5 Depth=1
	v_mov_b32_e32 v31, v1
	s_mov_b32 s55, exec_lo
	s_delay_alu instid0(VALU_DEP_1) | instskip(SKIP_1) | instid1(VALU_DEP_2)
	v_mul_u64_e32 v[26:27], s[20:21], v[30:31]
	v_or_b32_e32 v30, 3, v0
	v_lshl_add_u64 v[26:27], v[26:27], 2, s[8:9]
	global_load_b32 v26, v[26:27], off
	s_wait_xcnt 0x0
	v_mov_b32_e32 v27, 0
	v_cmpx_gt_i32_e64 s37, v30
	s_cbranch_execz .LBB5_33
; %bb.32:                               ;   in Loop: Header=BB5_5 Depth=1
	v_mov_b32_e32 v31, v1
	s_delay_alu instid0(VALU_DEP_1) | instskip(NEXT) | instid1(VALU_DEP_1)
	v_mul_u64_e32 v[30:31], s[20:21], v[30:31]
	v_lshl_add_u64 v[30:31], v[30:31], 2, s[8:9]
	global_load_b32 v27, v[30:31], off
.LBB5_33:                               ;   in Loop: Header=BB5_5 Depth=1
	s_wait_xcnt 0x0
	s_or_b32 exec_lo, exec_lo, s55
.LBB5_34:                               ;   in Loop: Header=BB5_5 Depth=1
	s_delay_alu instid0(SALU_CYCLE_1)
	s_or_b32 exec_lo, exec_lo, s54
.LBB5_35:                               ;   in Loop: Header=BB5_5 Depth=1
	s_delay_alu instid0(SALU_CYCLE_1)
	s_or_b32 exec_lo, exec_lo, s53
.LBB5_36:                               ;   in Loop: Header=BB5_5 Depth=1
	s_delay_alu instid0(SALU_CYCLE_1)
	s_or_b32 exec_lo, exec_lo, s52
	s_and_saveexec_b32 s52, s1
	s_cbranch_execz .LBB5_44
; %bb.37:                               ;   in Loop: Header=BB5_5 Depth=1
	v_dual_mov_b32 v29, v1 :: v_dual_bitop2_b32 v30, 2, v0 bitop3:0x54
	v_mov_b32_e32 v31, v1
	v_mul_u64_e32 v[32:33], s[12:13], v[0:1]
	v_or_b32_e32 v0, 3, v0
	s_delay_alu instid0(VALU_DEP_4)
	v_mul_u64_e32 v[34:35], s[12:13], v[28:29]
	s_mul_u64 s[8:9], s[14:15], s[34:35]
	v_mul_u64_e32 v[36:37], s[12:13], v[30:31]
	v_cmp_gt_i32_e64 s7, s37, v28
	v_mul_u64_e32 v[38:39], s[12:13], v[0:1]
	s_lshl_b64 s[54:55], s[8:9], 2
	v_cmp_gt_i32_e64 s8, s37, v30
	v_cmp_gt_i32_e64 s9, s37, v0
	v_dual_cndmask_b32 v29, 0, v33 :: v_dual_cndmask_b32 v28, 0, v32
	v_dual_cndmask_b32 v31, 0, v35, s7 :: v_dual_cndmask_b32 v30, 0, v34, s7
	s_delay_alu instid0(VALU_DEP_4) | instskip(NEXT) | instid1(VALU_DEP_4)
	v_dual_cndmask_b32 v33, 0, v37, s8 :: v_dual_cndmask_b32 v32, 0, v36, s8
	v_dual_cndmask_b32 v35, 0, v39, s9 :: v_dual_cndmask_b32 v34, 0, v38, s9
	s_add_nc_u64 s[8:9], s[18:19], s[54:55]
	s_delay_alu instid0(SALU_CYCLE_1) | instskip(SKIP_3) | instid1(VALU_DEP_4)
	v_lshl_add_u64 v[28:29], v[28:29], 2, s[8:9]
	v_lshl_add_u64 v[30:31], v[30:31], 2, s[8:9]
	;; [unrolled: 1-line block ×4, first 2 shown]
	v_add_nc_u64_e32 v[40:41], v[28:29], v[14:15]
	s_delay_alu instid0(VALU_DEP_4) | instskip(NEXT) | instid1(VALU_DEP_4)
	v_add_nc_u64_e32 v[36:37], v[30:31], v[14:15]
	v_add_nc_u64_e32 v[38:39], v[32:33], v[14:15]
	s_delay_alu instid0(VALU_DEP_4)
	v_add_nc_u64_e32 v[42:43], v[34:35], v[14:15]
	s_clause 0x3
	global_load_b32 v30, v[40:41], off
	global_load_b32 v31, v[36:37], off
	;; [unrolled: 1-line block ×4, first 2 shown]
	s_wait_xcnt 0x0
	s_and_saveexec_b32 s7, s3
	s_cbranch_execz .LBB5_43
; %bb.38:                               ;   in Loop: Header=BB5_5 Depth=1
	s_clause 0x3
	global_load_b32 v34, v[40:41], off offset:256
	global_load_b32 v35, v[36:37], off offset:256
	global_load_b32 v32, v[38:39], off offset:256
	global_load_b32 v33, v[42:43], off offset:256
	s_wait_xcnt 0x0
	s_and_saveexec_b32 s8, s4
	s_cbranch_execz .LBB5_42
; %bb.39:                               ;   in Loop: Header=BB5_5 Depth=1
	s_clause 0x3
	global_load_b32 v46, v[40:41], off offset:512
	global_load_b32 v47, v[36:37], off offset:512
	global_load_b32 v44, v[38:39], off offset:512
	global_load_b32 v45, v[42:43], off offset:512
	;; [unrolled: 9-line block ×3, first 2 shown]
	s_wait_loadcnt 0x2
	s_wait_xcnt 0x2
	v_pk_mul_f32 v[36:37], v[24:25], v[48:49]
	s_delay_alu instid0(VALU_DEP_1) | instskip(NEXT) | instid1(VALU_DEP_1)
	v_add_f32_e32 v0, v70, v36
	v_add_f32_e32 v0, v0, v37
	s_wait_loadcnt 0x0
	v_pk_mul_f32 v[36:37], v[26:27], v[50:51]
	s_delay_alu instid0(VALU_DEP_1) | instskip(NEXT) | instid1(VALU_DEP_1)
	v_add_f32_e32 v0, v0, v36
	v_add_f32_e32 v70, v0, v37
.LBB5_41:                               ;   in Loop: Header=BB5_5 Depth=1
	s_wait_xcnt 0x0
	s_or_b32 exec_lo, exec_lo, s9
	s_wait_loadcnt 0x2
	v_pk_mul_f32 v[36:37], v[24:25], v[46:47]
	s_delay_alu instid0(VALU_DEP_1) | instskip(NEXT) | instid1(VALU_DEP_1)
	v_add_f32_e32 v0, v69, v36
	v_add_f32_e32 v0, v0, v37
	s_wait_loadcnt 0x0
	v_pk_mul_f32 v[36:37], v[26:27], v[44:45]
	s_delay_alu instid0(VALU_DEP_1) | instskip(NEXT) | instid1(VALU_DEP_1)
	v_add_f32_e32 v0, v0, v36
	v_add_f32_e32 v69, v0, v37
.LBB5_42:                               ;   in Loop: Header=BB5_5 Depth=1
	s_or_b32 exec_lo, exec_lo, s8
	s_wait_loadcnt 0x2
	v_pk_mul_f32 v[34:35], v[24:25], v[34:35]
	s_wait_loadcnt 0x0
	v_pk_mul_f32 v[32:33], v[26:27], v[32:33]
	s_delay_alu instid0(VALU_DEP_2) | instskip(NEXT) | instid1(VALU_DEP_1)
	v_add_f32_e32 v0, v68, v34
	v_add_f32_e32 v0, v0, v35
	s_delay_alu instid0(VALU_DEP_1) | instskip(NEXT) | instid1(VALU_DEP_1)
	v_add_f32_e32 v0, v0, v32
	v_add_f32_e32 v68, v0, v33
.LBB5_43:                               ;   in Loop: Header=BB5_5 Depth=1
	s_or_b32 exec_lo, exec_lo, s7
	s_wait_loadcnt 0x2
	v_pk_mul_f32 v[24:25], v[24:25], v[30:31]
	s_delay_alu instid0(VALU_DEP_1) | instskip(NEXT) | instid1(VALU_DEP_1)
	v_add_f32_e32 v0, v67, v24
	v_add_f32_e32 v0, v0, v25
	s_wait_loadcnt 0x0
	v_pk_mul_f32 v[24:25], v[26:27], v[28:29]
	s_delay_alu instid0(VALU_DEP_1) | instskip(NEXT) | instid1(VALU_DEP_1)
	v_add_f32_e32 v0, v0, v24
	v_add_f32_e32 v67, v0, v25
.LBB5_44:                               ;   in Loop: Header=BB5_5 Depth=1
	s_or_b32 exec_lo, exec_lo, s52
.LBB5_45:                               ;   in Loop: Header=BB5_5 Depth=1
	ds_store_2addr_stride64_b32 v65, v67, v68 offset1:1
	ds_store_2addr_stride64_b32 v65, v69, v70 offset0:2 offset1:3
	s_wait_loadcnt_dscnt 0x0
	s_barrier_signal -1
	s_barrier_wait -1
                                        ; implicit-def: $vgpr0
	s_and_saveexec_b32 s7, s0
	s_cbranch_execz .LBB5_51
; %bb.46:                               ;   in Loop: Header=BB5_5 Depth=1
	ds_load_2addr_stride64_b32 v[24:25], v66 offset1:4
	ds_load_2addr_stride64_b32 v[26:27], v66 offset0:8 offset1:12
	s_mov_b32 s9, s51
	s_wait_dscnt 0x1
	v_add_f32_e32 v0, v24, v25
	s_wait_dscnt 0x0
	s_delay_alu instid0(VALU_DEP_1) | instskip(NEXT) | instid1(VALU_DEP_1)
	v_add_f32_e32 v0, v26, v0
	v_add_f32_e32 v24, v27, v0
                                        ; implicit-def: $vgpr0
	ds_store_b32 v66, v24
	s_and_saveexec_b32 s8, s2
	s_cbranch_execz .LBB5_50
; %bb.47:                               ;   in Loop: Header=BB5_5 Depth=1
	v_mul_f32_e32 v0, s38, v24
	s_and_not1_b32 vcc_lo, exec_lo, s48
	s_cbranch_vccnz .LBB5_49
; %bb.48:                               ;   in Loop: Header=BB5_5 Depth=1
	v_lshl_add_u64 v[24:25], v[6:7], 2, s[44:45]
	global_load_b32 v24, v[24:25], off
	s_wait_loadcnt 0x0
	v_fmac_f32_e32 v0, s39, v24
.LBB5_49:                               ;   in Loop: Header=BB5_5 Depth=1
	s_or_b32 s9, s51, exec_lo
.LBB5_50:                               ;   in Loop: Header=BB5_5 Depth=1
	s_wait_xcnt 0x0
	s_or_b32 exec_lo, exec_lo, s8
	s_delay_alu instid0(SALU_CYCLE_1) | instskip(SKIP_1) | instid1(SALU_CYCLE_1)
	s_and_not1_b32 s8, s51, exec_lo
	s_and_b32 s9, s9, exec_lo
	s_or_b32 s51, s8, s9
.LBB5_51:                               ;   in Loop: Header=BB5_5 Depth=1
	s_or_b32 exec_lo, exec_lo, s7
	v_mov_b64_e32 v[24:25], v[6:7]
	s_and_saveexec_b32 s7, s51
	s_cbranch_execz .LBB5_3
.LBB5_52:                               ;   in Loop: Header=BB5_5 Depth=1
	s_delay_alu instid0(VALU_DEP_1)
	v_lshl_add_u64 v[24:25], v[24:25], 2, s[44:45]
	global_store_b32 v[24:25], v0, off
	s_branch .LBB5_3
.LBB5_53:
	s_sendmsg sendmsg(MSG_DEALLOC_VGPRS)
	s_endpgm
	.section	.rodata,"a",@progbits
	.p2align	6, 0x0
	.amdhsa_kernel _ZL20rocblas_gemvn_kernelILi64ELi4ElfffEviiT3_lPKT2_lT1_lS3_lS4_lS0_lPT4_lS4_li
		.amdhsa_group_segment_fixed_size 4096
		.amdhsa_private_segment_fixed_size 0
		.amdhsa_kernarg_size 400
		.amdhsa_user_sgpr_count 2
		.amdhsa_user_sgpr_dispatch_ptr 0
		.amdhsa_user_sgpr_queue_ptr 0
		.amdhsa_user_sgpr_kernarg_segment_ptr 1
		.amdhsa_user_sgpr_dispatch_id 0
		.amdhsa_user_sgpr_kernarg_preload_length 0
		.amdhsa_user_sgpr_kernarg_preload_offset 0
		.amdhsa_user_sgpr_private_segment_size 0
		.amdhsa_wavefront_size32 1
		.amdhsa_uses_dynamic_stack 0
		.amdhsa_enable_private_segment 0
		.amdhsa_system_sgpr_workgroup_id_x 1
		.amdhsa_system_sgpr_workgroup_id_y 0
		.amdhsa_system_sgpr_workgroup_id_z 1
		.amdhsa_system_sgpr_workgroup_info 0
		.amdhsa_system_vgpr_workitem_id 1
		.amdhsa_next_free_vgpr 71
		.amdhsa_next_free_sgpr 56
		.amdhsa_named_barrier_count 0
		.amdhsa_reserve_vcc 1
		.amdhsa_float_round_mode_32 0
		.amdhsa_float_round_mode_16_64 0
		.amdhsa_float_denorm_mode_32 3
		.amdhsa_float_denorm_mode_16_64 3
		.amdhsa_fp16_overflow 0
		.amdhsa_memory_ordered 1
		.amdhsa_forward_progress 1
		.amdhsa_inst_pref_size 22
		.amdhsa_round_robin_scheduling 0
		.amdhsa_exception_fp_ieee_invalid_op 0
		.amdhsa_exception_fp_denorm_src 0
		.amdhsa_exception_fp_ieee_div_zero 0
		.amdhsa_exception_fp_ieee_overflow 0
		.amdhsa_exception_fp_ieee_underflow 0
		.amdhsa_exception_fp_ieee_inexact 0
		.amdhsa_exception_int_div_zero 0
	.end_amdhsa_kernel
	.section	.text._ZL20rocblas_gemvn_kernelILi64ELi4ElfffEviiT3_lPKT2_lT1_lS3_lS4_lS0_lPT4_lS4_li,"axG",@progbits,_ZL20rocblas_gemvn_kernelILi64ELi4ElfffEviiT3_lPKT2_lT1_lS3_lS4_lS0_lPT4_lS4_li,comdat
.Lfunc_end5:
	.size	_ZL20rocblas_gemvn_kernelILi64ELi4ElfffEviiT3_lPKT2_lT1_lS3_lS4_lS0_lPT4_lS4_li, .Lfunc_end5-_ZL20rocblas_gemvn_kernelILi64ELi4ElfffEviiT3_lPKT2_lT1_lS3_lS4_lS0_lPT4_lS4_li
                                        ; -- End function
	.set _ZL20rocblas_gemvn_kernelILi64ELi4ElfffEviiT3_lPKT2_lT1_lS3_lS4_lS0_lPT4_lS4_li.num_vgpr, 71
	.set _ZL20rocblas_gemvn_kernelILi64ELi4ElfffEviiT3_lPKT2_lT1_lS3_lS4_lS0_lPT4_lS4_li.num_agpr, 0
	.set _ZL20rocblas_gemvn_kernelILi64ELi4ElfffEviiT3_lPKT2_lT1_lS3_lS4_lS0_lPT4_lS4_li.numbered_sgpr, 56
	.set _ZL20rocblas_gemvn_kernelILi64ELi4ElfffEviiT3_lPKT2_lT1_lS3_lS4_lS0_lPT4_lS4_li.num_named_barrier, 0
	.set _ZL20rocblas_gemvn_kernelILi64ELi4ElfffEviiT3_lPKT2_lT1_lS3_lS4_lS0_lPT4_lS4_li.private_seg_size, 0
	.set _ZL20rocblas_gemvn_kernelILi64ELi4ElfffEviiT3_lPKT2_lT1_lS3_lS4_lS0_lPT4_lS4_li.uses_vcc, 1
	.set _ZL20rocblas_gemvn_kernelILi64ELi4ElfffEviiT3_lPKT2_lT1_lS3_lS4_lS0_lPT4_lS4_li.uses_flat_scratch, 0
	.set _ZL20rocblas_gemvn_kernelILi64ELi4ElfffEviiT3_lPKT2_lT1_lS3_lS4_lS0_lPT4_lS4_li.has_dyn_sized_stack, 0
	.set _ZL20rocblas_gemvn_kernelILi64ELi4ElfffEviiT3_lPKT2_lT1_lS3_lS4_lS0_lPT4_lS4_li.has_recursion, 0
	.set _ZL20rocblas_gemvn_kernelILi64ELi4ElfffEviiT3_lPKT2_lT1_lS3_lS4_lS0_lPT4_lS4_li.has_indirect_call, 0
	.section	.AMDGPU.csdata,"",@progbits
; Kernel info:
; codeLenInByte = 2712
; TotalNumSgprs: 58
; NumVgprs: 71
; ScratchSize: 0
; MemoryBound: 0
; FloatMode: 240
; IeeeMode: 1
; LDSByteSize: 4096 bytes/workgroup (compile time only)
; SGPRBlocks: 0
; VGPRBlocks: 4
; NumSGPRsForWavesPerEU: 58
; NumVGPRsForWavesPerEU: 71
; NamedBarCnt: 0
; Occupancy: 12
; WaveLimiterHint : 1
; COMPUTE_PGM_RSRC2:SCRATCH_EN: 0
; COMPUTE_PGM_RSRC2:USER_SGPR: 2
; COMPUTE_PGM_RSRC2:TRAP_HANDLER: 0
; COMPUTE_PGM_RSRC2:TGID_X_EN: 1
; COMPUTE_PGM_RSRC2:TGID_Y_EN: 0
; COMPUTE_PGM_RSRC2:TGID_Z_EN: 1
; COMPUTE_PGM_RSRC2:TIDIG_COMP_CNT: 1
	.section	.text._ZL24rocblas_gemv_scal_kernelILi256EPKfPfEviT0_lT1_lili,"axG",@progbits,_ZL24rocblas_gemv_scal_kernelILi256EPKfPfEviT0_lT1_lili,comdat
	.globl	_ZL24rocblas_gemv_scal_kernelILi256EPKfPfEviT0_lT1_lili ; -- Begin function _ZL24rocblas_gemv_scal_kernelILi256EPKfPfEviT0_lT1_lili
	.p2align	8
	.type	_ZL24rocblas_gemv_scal_kernelILi256EPKfPfEviT0_lT1_lili,@function
_ZL24rocblas_gemv_scal_kernelILi256EPKfPfEviT0_lT1_lili: ; @_ZL24rocblas_gemv_scal_kernelILi256EPKfPfEviT0_lT1_lili
; %bb.0:
	s_load_b32 s18, s[0:1], 0x38
	s_bfe_u32 s2, ttmp6, 0x40014
	s_lshr_b32 s3, ttmp7, 16
	s_add_co_i32 s2, s2, 1
	s_bfe_u32 s4, ttmp6, 0x40008
	s_mul_i32 s2, s3, s2
	s_getreg_b32 s19, hwreg(HW_REG_IB_STS2, 6, 4)
	s_add_co_i32 s4, s4, s2
	s_cmp_eq_u32 s19, 0
	s_cselect_b32 s2, s3, s4
	s_mov_b32 s3, 0
	s_wait_kmcnt 0x0
	s_cmp_ge_u32 s2, s18
	s_cbranch_scc1 .LBB6_10
; %bb.1:
	s_clause 0x3
	s_load_b32 s12, s[0:1], 0x0
	s_load_b32 s14, s[0:1], 0x28
	s_load_b256 s[4:11], s[0:1], 0x8
	s_load_b64 s[16:17], s[0:1], 0x30
	s_bfe_u32 s13, ttmp6, 0x4000c
	s_and_b32 s15, ttmp6, 15
	s_add_co_i32 s13, s13, 1
	v_mov_b32_e32 v3, 0
	s_mul_i32 s13, ttmp9, s13
	s_wait_xcnt 0x0
	s_add_nc_u64 s[0:1], s[0:1], 64
	s_add_co_i32 s20, s15, s13
	s_wait_kmcnt 0x0
	s_ashr_i32 s13, s12, 31
	s_ashr_i32 s15, s14, 31
	s_lshl_b64 s[10:11], s[10:11], 2
	s_cmp_eq_u32 s19, 0
	s_add_nc_u64 s[8:9], s[8:9], s[10:11]
	s_cselect_b32 s10, ttmp9, s20
	s_branch .LBB6_6
.LBB6_2:                                ;   in Loop: Header=BB6_6 Depth=1
	global_load_b32 v2, v[4:5], off
	s_wait_loadcnt 0x0
	v_mul_f32_e32 v1, v1, v2
.LBB6_3:                                ;   in Loop: Header=BB6_6 Depth=1
	global_store_b32 v[4:5], v1, off
.LBB6_4:                                ;   in Loop: Header=BB6_6 Depth=1
	s_wait_xcnt 0x0
	s_or_b32 exec_lo, exec_lo, s11
.LBB6_5:                                ;   in Loop: Header=BB6_6 Depth=1
	s_add_co_i32 s2, s2, 0x10000
	s_delay_alu instid0(SALU_CYCLE_1)
	s_cmp_lt_u32 s2, s18
	s_cbranch_scc0 .LBB6_10
.LBB6_6:                                ; =>This Inner Loop Header: Depth=1
	s_wait_xcnt 0x0
	s_mul_u64 s[20:21], s[6:7], s[2:3]
	s_delay_alu instid0(SALU_CYCLE_1) | instskip(NEXT) | instid1(SALU_CYCLE_1)
	s_lshl_b64 s[20:21], s[20:21], 2
	s_add_nc_u64 s[20:21], s[4:5], s[20:21]
	global_load_b32 v1, v3, s[20:21]
	s_wait_loadcnt 0x0
	v_cmp_eq_f32_e32 vcc_lo, 1.0, v1
	s_cbranch_vccnz .LBB6_5
; %bb.7:                                ;   in Loop: Header=BB6_6 Depth=1
	s_load_b32 s11, s[0:1], 0xc
	s_wait_kmcnt 0x0
	s_and_b32 s11, s11, 0xffff
	s_delay_alu instid0(SALU_CYCLE_1) | instskip(SKIP_1) | instid1(VALU_DEP_1)
	v_mad_u32 v2, s10, s11, v0
	s_mov_b32 s11, exec_lo
	v_cmpx_gt_i64_e64 s[12:13], v[2:3]
	s_cbranch_execz .LBB6_4
; %bb.8:                                ;   in Loop: Header=BB6_6 Depth=1
	v_mul_u64_e32 v[4:5], s[14:15], v[2:3]
	s_mul_u64 s[20:21], s[16:17], s[2:3]
	v_cmp_eq_f32_e32 vcc_lo, 0, v1
	s_lshl_b64 s[20:21], s[20:21], 2
	s_delay_alu instid0(SALU_CYCLE_1)
	s_add_nc_u64 s[20:21], s[8:9], s[20:21]
	s_delay_alu instid0(VALU_DEP_2) | instid1(SALU_CYCLE_1)
	v_lshl_add_u64 v[4:5], v[4:5], 2, s[20:21]
	s_cbranch_vccz .LBB6_2
; %bb.9:                                ;   in Loop: Header=BB6_6 Depth=1
	v_mov_b32_e32 v1, 0
	s_branch .LBB6_3
.LBB6_10:
	s_endpgm
	.section	.rodata,"a",@progbits
	.p2align	6, 0x0
	.amdhsa_kernel _ZL24rocblas_gemv_scal_kernelILi256EPKfPfEviT0_lT1_lili
		.amdhsa_group_segment_fixed_size 0
		.amdhsa_private_segment_fixed_size 0
		.amdhsa_kernarg_size 320
		.amdhsa_user_sgpr_count 2
		.amdhsa_user_sgpr_dispatch_ptr 0
		.amdhsa_user_sgpr_queue_ptr 0
		.amdhsa_user_sgpr_kernarg_segment_ptr 1
		.amdhsa_user_sgpr_dispatch_id 0
		.amdhsa_user_sgpr_kernarg_preload_length 0
		.amdhsa_user_sgpr_kernarg_preload_offset 0
		.amdhsa_user_sgpr_private_segment_size 0
		.amdhsa_wavefront_size32 1
		.amdhsa_uses_dynamic_stack 0
		.amdhsa_enable_private_segment 0
		.amdhsa_system_sgpr_workgroup_id_x 1
		.amdhsa_system_sgpr_workgroup_id_y 0
		.amdhsa_system_sgpr_workgroup_id_z 1
		.amdhsa_system_sgpr_workgroup_info 0
		.amdhsa_system_vgpr_workitem_id 0
		.amdhsa_next_free_vgpr 6
		.amdhsa_next_free_sgpr 22
		.amdhsa_named_barrier_count 0
		.amdhsa_reserve_vcc 1
		.amdhsa_float_round_mode_32 0
		.amdhsa_float_round_mode_16_64 0
		.amdhsa_float_denorm_mode_32 3
		.amdhsa_float_denorm_mode_16_64 3
		.amdhsa_fp16_overflow 0
		.amdhsa_memory_ordered 1
		.amdhsa_forward_progress 1
		.amdhsa_inst_pref_size 3
		.amdhsa_round_robin_scheduling 0
		.amdhsa_exception_fp_ieee_invalid_op 0
		.amdhsa_exception_fp_denorm_src 0
		.amdhsa_exception_fp_ieee_div_zero 0
		.amdhsa_exception_fp_ieee_overflow 0
		.amdhsa_exception_fp_ieee_underflow 0
		.amdhsa_exception_fp_ieee_inexact 0
		.amdhsa_exception_int_div_zero 0
	.end_amdhsa_kernel
	.section	.text._ZL24rocblas_gemv_scal_kernelILi256EPKfPfEviT0_lT1_lili,"axG",@progbits,_ZL24rocblas_gemv_scal_kernelILi256EPKfPfEviT0_lT1_lili,comdat
.Lfunc_end6:
	.size	_ZL24rocblas_gemv_scal_kernelILi256EPKfPfEviT0_lT1_lili, .Lfunc_end6-_ZL24rocblas_gemv_scal_kernelILi256EPKfPfEviT0_lT1_lili
                                        ; -- End function
	.set _ZL24rocblas_gemv_scal_kernelILi256EPKfPfEviT0_lT1_lili.num_vgpr, 6
	.set _ZL24rocblas_gemv_scal_kernelILi256EPKfPfEviT0_lT1_lili.num_agpr, 0
	.set _ZL24rocblas_gemv_scal_kernelILi256EPKfPfEviT0_lT1_lili.numbered_sgpr, 22
	.set _ZL24rocblas_gemv_scal_kernelILi256EPKfPfEviT0_lT1_lili.num_named_barrier, 0
	.set _ZL24rocblas_gemv_scal_kernelILi256EPKfPfEviT0_lT1_lili.private_seg_size, 0
	.set _ZL24rocblas_gemv_scal_kernelILi256EPKfPfEviT0_lT1_lili.uses_vcc, 1
	.set _ZL24rocblas_gemv_scal_kernelILi256EPKfPfEviT0_lT1_lili.uses_flat_scratch, 0
	.set _ZL24rocblas_gemv_scal_kernelILi256EPKfPfEviT0_lT1_lili.has_dyn_sized_stack, 0
	.set _ZL24rocblas_gemv_scal_kernelILi256EPKfPfEviT0_lT1_lili.has_recursion, 0
	.set _ZL24rocblas_gemv_scal_kernelILi256EPKfPfEviT0_lT1_lili.has_indirect_call, 0
	.section	.AMDGPU.csdata,"",@progbits
; Kernel info:
; codeLenInByte = 376
; TotalNumSgprs: 24
; NumVgprs: 6
; ScratchSize: 0
; MemoryBound: 0
; FloatMode: 240
; IeeeMode: 1
; LDSByteSize: 0 bytes/workgroup (compile time only)
; SGPRBlocks: 0
; VGPRBlocks: 0
; NumSGPRsForWavesPerEU: 24
; NumVGPRsForWavesPerEU: 6
; NamedBarCnt: 0
; Occupancy: 16
; WaveLimiterHint : 0
; COMPUTE_PGM_RSRC2:SCRATCH_EN: 0
; COMPUTE_PGM_RSRC2:USER_SGPR: 2
; COMPUTE_PGM_RSRC2:TRAP_HANDLER: 0
; COMPUTE_PGM_RSRC2:TGID_X_EN: 1
; COMPUTE_PGM_RSRC2:TGID_Y_EN: 0
; COMPUTE_PGM_RSRC2:TGID_Z_EN: 1
; COMPUTE_PGM_RSRC2:TIDIG_COMP_CNT: 0
	.section	.text._ZL24rocblas_gemv_scal_kernelILi256EfPfEviT0_lT1_lili,"axG",@progbits,_ZL24rocblas_gemv_scal_kernelILi256EfPfEviT0_lT1_lili,comdat
	.globl	_ZL24rocblas_gemv_scal_kernelILi256EfPfEviT0_lT1_lili ; -- Begin function _ZL24rocblas_gemv_scal_kernelILi256EfPfEviT0_lT1_lili
	.p2align	8
	.type	_ZL24rocblas_gemv_scal_kernelILi256EfPfEviT0_lT1_lili,@function
_ZL24rocblas_gemv_scal_kernelILi256EfPfEviT0_lT1_lili: ; @_ZL24rocblas_gemv_scal_kernelILi256EfPfEviT0_lT1_lili
; %bb.0:
	s_load_b32 s14, s[0:1], 0x30
	s_bfe_u32 s2, ttmp6, 0x40014
	s_lshr_b32 s3, ttmp7, 16
	s_add_co_i32 s2, s2, 1
	s_bfe_u32 s4, ttmp6, 0x40008
	s_mul_i32 s2, s3, s2
	s_getreg_b32 s10, hwreg(HW_REG_IB_STS2, 6, 4)
	s_add_co_i32 s4, s4, s2
	s_cmp_eq_u32 s10, 0
	s_cselect_b32 s2, s3, s4
	s_mov_b32 s3, 0
	s_wait_kmcnt 0x0
	s_cmp_ge_u32 s2, s14
	s_cbranch_scc1 .LBB7_10
; %bb.1:
	s_clause 0x3
	s_load_b32 s4, s[0:1], 0x20
	s_load_b128 s[20:23], s[0:1], 0x10
	s_load_b64 s[6:7], s[0:1], 0x0
	s_load_b64 s[8:9], s[0:1], 0x28
	v_mov_b32_e32 v3, 0
	s_wait_xcnt 0x0
	s_add_nc_u64 s[0:1], s[0:1], 56
	s_wait_kmcnt 0x0
	s_ashr_i32 s5, s4, 31
	s_lshl_b64 s[12:13], s[22:23], 2
	s_cmp_neq_f32 s7, 1.0
	s_add_nc_u64 s[12:13], s[20:21], s[12:13]
	s_cselect_b32 s15, -1, 0
	s_bfe_u32 s11, ttmp6, 0x4000c
	s_and_b32 s16, ttmp6, 15
	s_add_co_i32 s11, s11, 1
	s_delay_alu instid0(SALU_CYCLE_1) | instskip(NEXT) | instid1(SALU_CYCLE_1)
	s_mul_i32 s11, ttmp9, s11
	s_add_co_i32 s16, s16, s11
	s_cmp_eq_u32 s10, 0
	s_mov_b32 s10, s6
	s_cselect_b32 s16, ttmp9, s16
	s_ashr_i32 s11, s6, 31
	s_cmp_neq_f32 s7, 0
	s_cselect_b32 s17, -1, 0
	s_branch .LBB7_6
.LBB7_2:                                ;   in Loop: Header=BB7_6 Depth=1
	global_load_b32 v1, v[4:5], off
	s_wait_loadcnt 0x0
	v_mul_f32_e32 v1, s7, v1
.LBB7_3:                                ;   in Loop: Header=BB7_6 Depth=1
	global_store_b32 v[4:5], v1, off
.LBB7_4:                                ;   in Loop: Header=BB7_6 Depth=1
	s_wait_xcnt 0x0
	s_or_b32 exec_lo, exec_lo, s6
.LBB7_5:                                ;   in Loop: Header=BB7_6 Depth=1
	s_add_co_i32 s2, s2, 0x10000
	s_delay_alu instid0(SALU_CYCLE_1)
	s_cmp_lt_u32 s2, s14
	s_cbranch_scc0 .LBB7_10
.LBB7_6:                                ; =>This Inner Loop Header: Depth=1
	s_and_not1_b32 vcc_lo, exec_lo, s15
	s_cbranch_vccnz .LBB7_5
; %bb.7:                                ;   in Loop: Header=BB7_6 Depth=1
	s_load_b32 s6, s[0:1], 0xc
	s_wait_kmcnt 0x0
	s_and_b32 s6, s6, 0xffff
	s_delay_alu instid0(SALU_CYCLE_1) | instskip(SKIP_1) | instid1(VALU_DEP_1)
	v_mad_u32 v2, s16, s6, v0
	s_mov_b32 s6, exec_lo
	v_cmpx_gt_i64_e64 s[10:11], v[2:3]
	s_cbranch_execz .LBB7_4
; %bb.8:                                ;   in Loop: Header=BB7_6 Depth=1
	v_mul_u64_e32 v[4:5], s[4:5], v[2:3]
	s_mul_u64 s[18:19], s[8:9], s[2:3]
	s_and_not1_b32 vcc_lo, exec_lo, s17
	s_lshl_b64 s[18:19], s[18:19], 2
	s_delay_alu instid0(SALU_CYCLE_1)
	s_add_nc_u64 s[18:19], s[12:13], s[18:19]
	s_delay_alu instid0(VALU_DEP_1) | instid1(SALU_CYCLE_1)
	v_lshl_add_u64 v[4:5], v[4:5], 2, s[18:19]
	s_cbranch_vccz .LBB7_2
; %bb.9:                                ;   in Loop: Header=BB7_6 Depth=1
	v_mov_b32_e32 v1, 0
	s_branch .LBB7_3
.LBB7_10:
	s_endpgm
	.section	.rodata,"a",@progbits
	.p2align	6, 0x0
	.amdhsa_kernel _ZL24rocblas_gemv_scal_kernelILi256EfPfEviT0_lT1_lili
		.amdhsa_group_segment_fixed_size 0
		.amdhsa_private_segment_fixed_size 0
		.amdhsa_kernarg_size 312
		.amdhsa_user_sgpr_count 2
		.amdhsa_user_sgpr_dispatch_ptr 0
		.amdhsa_user_sgpr_queue_ptr 0
		.amdhsa_user_sgpr_kernarg_segment_ptr 1
		.amdhsa_user_sgpr_dispatch_id 0
		.amdhsa_user_sgpr_kernarg_preload_length 0
		.amdhsa_user_sgpr_kernarg_preload_offset 0
		.amdhsa_user_sgpr_private_segment_size 0
		.amdhsa_wavefront_size32 1
		.amdhsa_uses_dynamic_stack 0
		.amdhsa_enable_private_segment 0
		.amdhsa_system_sgpr_workgroup_id_x 1
		.amdhsa_system_sgpr_workgroup_id_y 0
		.amdhsa_system_sgpr_workgroup_id_z 1
		.amdhsa_system_sgpr_workgroup_info 0
		.amdhsa_system_vgpr_workitem_id 0
		.amdhsa_next_free_vgpr 6
		.amdhsa_next_free_sgpr 24
		.amdhsa_named_barrier_count 0
		.amdhsa_reserve_vcc 1
		.amdhsa_float_round_mode_32 0
		.amdhsa_float_round_mode_16_64 0
		.amdhsa_float_denorm_mode_32 3
		.amdhsa_float_denorm_mode_16_64 3
		.amdhsa_fp16_overflow 0
		.amdhsa_memory_ordered 1
		.amdhsa_forward_progress 1
		.amdhsa_inst_pref_size 3
		.amdhsa_round_robin_scheduling 0
		.amdhsa_exception_fp_ieee_invalid_op 0
		.amdhsa_exception_fp_denorm_src 0
		.amdhsa_exception_fp_ieee_div_zero 0
		.amdhsa_exception_fp_ieee_overflow 0
		.amdhsa_exception_fp_ieee_underflow 0
		.amdhsa_exception_fp_ieee_inexact 0
		.amdhsa_exception_int_div_zero 0
	.end_amdhsa_kernel
	.section	.text._ZL24rocblas_gemv_scal_kernelILi256EfPfEviT0_lT1_lili,"axG",@progbits,_ZL24rocblas_gemv_scal_kernelILi256EfPfEviT0_lT1_lili,comdat
.Lfunc_end7:
	.size	_ZL24rocblas_gemv_scal_kernelILi256EfPfEviT0_lT1_lili, .Lfunc_end7-_ZL24rocblas_gemv_scal_kernelILi256EfPfEviT0_lT1_lili
                                        ; -- End function
	.set _ZL24rocblas_gemv_scal_kernelILi256EfPfEviT0_lT1_lili.num_vgpr, 6
	.set _ZL24rocblas_gemv_scal_kernelILi256EfPfEviT0_lT1_lili.num_agpr, 0
	.set _ZL24rocblas_gemv_scal_kernelILi256EfPfEviT0_lT1_lili.numbered_sgpr, 24
	.set _ZL24rocblas_gemv_scal_kernelILi256EfPfEviT0_lT1_lili.num_named_barrier, 0
	.set _ZL24rocblas_gemv_scal_kernelILi256EfPfEviT0_lT1_lili.private_seg_size, 0
	.set _ZL24rocblas_gemv_scal_kernelILi256EfPfEviT0_lT1_lili.uses_vcc, 1
	.set _ZL24rocblas_gemv_scal_kernelILi256EfPfEviT0_lT1_lili.uses_flat_scratch, 0
	.set _ZL24rocblas_gemv_scal_kernelILi256EfPfEviT0_lT1_lili.has_dyn_sized_stack, 0
	.set _ZL24rocblas_gemv_scal_kernelILi256EfPfEviT0_lT1_lili.has_recursion, 0
	.set _ZL24rocblas_gemv_scal_kernelILi256EfPfEviT0_lT1_lili.has_indirect_call, 0
	.section	.AMDGPU.csdata,"",@progbits
; Kernel info:
; codeLenInByte = 364
; TotalNumSgprs: 26
; NumVgprs: 6
; ScratchSize: 0
; MemoryBound: 0
; FloatMode: 240
; IeeeMode: 1
; LDSByteSize: 0 bytes/workgroup (compile time only)
; SGPRBlocks: 0
; VGPRBlocks: 0
; NumSGPRsForWavesPerEU: 26
; NumVGPRsForWavesPerEU: 6
; NamedBarCnt: 0
; Occupancy: 16
; WaveLimiterHint : 0
; COMPUTE_PGM_RSRC2:SCRATCH_EN: 0
; COMPUTE_PGM_RSRC2:USER_SGPR: 2
; COMPUTE_PGM_RSRC2:TRAP_HANDLER: 0
; COMPUTE_PGM_RSRC2:TGID_X_EN: 1
; COMPUTE_PGM_RSRC2:TGID_Y_EN: 0
; COMPUTE_PGM_RSRC2:TGID_Z_EN: 1
; COMPUTE_PGM_RSRC2:TIDIG_COMP_CNT: 0
	.section	.text._ZL36rocblas_gemvn_double_buffered_kernelILi128ELi8ELi8EfPKffEviiT3_lPKT2_lilS5_lilPT4_lili,"axG",@progbits,_ZL36rocblas_gemvn_double_buffered_kernelILi128ELi8ELi8EfPKffEviiT3_lPKT2_lilS5_lilPT4_lili,comdat
	.globl	_ZL36rocblas_gemvn_double_buffered_kernelILi128ELi8ELi8EfPKffEviiT3_lPKT2_lilS5_lilPT4_lili ; -- Begin function _ZL36rocblas_gemvn_double_buffered_kernelILi128ELi8ELi8EfPKffEviiT3_lPKT2_lilS5_lilPT4_lili
	.p2align	8
	.type	_ZL36rocblas_gemvn_double_buffered_kernelILi128ELi8ELi8EfPKffEviiT3_lPKT2_lilS5_lilPT4_lili,@function
_ZL36rocblas_gemvn_double_buffered_kernelILi128ELi8ELi8EfPKffEviiT3_lPKT2_lilS5_lilPT4_lili: ; @_ZL36rocblas_gemvn_double_buffered_kernelILi128ELi8ELi8EfPKffEviiT3_lPKT2_lilS5_lilPT4_lili
; %bb.0:
	s_load_b32 s33, s[0:1], 0x78
	s_bfe_u32 s2, ttmp6, 0x40014
	s_lshr_b32 s3, ttmp7, 16
	s_add_co_i32 s2, s2, 1
	s_bfe_u32 s4, ttmp6, 0x40008
	s_mul_i32 s2, s3, s2
	s_getreg_b32 s23, hwreg(HW_REG_IB_STS2, 6, 4)
	s_add_co_i32 s4, s4, s2
	s_cmp_eq_u32 s23, 0
	s_cselect_b32 s2, s3, s4
	s_mov_b32 s3, 0
	s_wait_kmcnt 0x0
	s_cmp_ge_u32 s2, s33
	s_cbranch_scc1 .LBB8_15
; %bb.1:
	s_clause 0x7
	s_load_b32 s28, s[0:1], 0x28
	s_load_b96 s[20:22], s[0:1], 0x40
	s_load_b32 s34, s[0:1], 0x4
	s_load_b96 s[24:26], s[0:1], 0x60
	s_load_b256 s[4:11], s[0:1], 0x8
	s_load_b128 s[12:15], s[0:1], 0x30
	s_load_b128 s[16:19], s[0:1], 0x50
	s_load_b64 s[30:31], s[0:1], 0x70
	s_bfe_u32 s29, ttmp6, 0x4000c
	s_bfe_u32 s35, ttmp6, 0x40010
	s_and_b32 s38, ttmp7, 0xffff
	s_add_co_i32 s29, s29, 1
	s_add_co_i32 s35, s35, 1
	s_and_b32 s27, ttmp6, 15
	s_bfe_u32 s39, ttmp6, 0x40004
	s_mul_i32 s29, ttmp9, s29
	s_mul_i32 s40, s38, s35
	s_add_co_i32 s41, s27, s29
	s_add_co_i32 s39, s39, s40
	v_mov_b32_e32 v1, 0
	s_wait_kmcnt 0x0
	s_ashr_i32 s29, s28, 31
	s_ashr_i32 s27, s22, 31
	;; [unrolled: 1-line block ×4, first 2 shown]
	s_lshr_b32 s36, s36, 25
	s_lshl_b64 s[24:25], s[24:25], 2
	s_add_co_i32 s34, s34, s36
	s_lshl_b64 s[36:37], s[10:11], 2
	s_ashr_i32 s10, s34, 7
	s_cmp_eq_u32 s23, 0
	v_and_b32_e32 v6, 0x3ff, v0
	s_cselect_b32 s48, s38, s39
	v_mov_b32_e32 v7, v1
	v_cvt_f64_i32_e32 v[2:3], s48
	s_mov_b32 s34, s26
	s_cselect_b32 s11, ttmp9, s41
	s_add_nc_u64 s[38:39], s[18:19], s[24:25]
	v_mul_u64_e32 v[8:9], s[34:35], v[6:7]
	v_bfe_u32 v7, v0, 10, 10
	v_and_b32_e32 v0, 63, v0
	s_add_nc_u64 s[18:19], s[0:1], 0x80
	s_lshl_b32 s0, s11, 7
	s_add_nc_u64 s[24:25], s[8:9], s[36:37]
	v_lshl_add_u32 v4, v7, 7, v6
	s_ashr_i32 s1, s0, 31
	s_mov_b32 s26, s22
	s_lshl_b64 s[40:41], s[0:1], 2
	s_mul_u64 s[0:1], s[34:35], s[0:1]
	v_lshrrev_b32_e32 v10, 6, v4
	s_lshl_b64 s[0:1], s[0:1], 2
	v_lshlrev_b32_e32 v59, 2, v6
	s_add_nc_u64 s[34:35], s[38:39], s[0:1]
	v_cmp_eq_u32_e64 s0, 0, v7
	v_lshlrev_b32_e32 v4, 3, v10
	s_lshl_b32 s38, s22, 7
	s_add_nc_u64 s[24:25], s[24:25], s[40:41]
	s_ashr_i32 s39, s38, 31
	s_lshl_b64 s[22:23], s[28:29], 9
	s_mov_b32 s11, s3
	s_lshl_b64 s[16:17], s[16:17], 2
	s_lshl_b64 s[38:39], s[38:39], 2
	v_max_num_f64_e32 v[2:3], v[2:3], v[2:3]
	v_lshl_add_u64 v[6:7], v[8:9], 2, s[34:35]
	v_lshlrev_b32_e32 v8, 5, v10
	v_mad_nc_i64_i32 v[4:5], s28, v4, v[0:1]
	v_dual_mov_b32 v9, v1 :: v_dual_lshlrev_b32 v0, 2, v0
	s_add_nc_u64 s[34:35], s[36:37], s[40:41]
	s_lshl_b64 s[40:41], s[20:21], 2
	s_add_nc_u64 s[8:9], s[8:9], s[34:35]
	s_delay_alu instid0(VALU_DEP_1)
	v_lshl_or_b32 v58, v10, 9, v0
	v_add_nc_u64_e32 v[10:11], 0x21c, v[8:9]
	v_add_nc_u64_e32 v[12:13], 0x204, v[8:9]
	s_lshl_b64 s[34:35], s[28:29], 2
	s_add_nc_u64 s[36:37], s[8:9], 0x100
	s_lshl_b64 s[20:21], s[12:13], 2
	s_add_nc_u64 s[14:15], s[14:15], s[40:41]
	s_lshl_b64 s[40:41], s[26:27], 2
	s_branch .LBB8_4
.LBB8_2:                                ;   in Loop: Header=BB8_4 Depth=1
	s_wait_xcnt 0x0
	s_or_b32 exec_lo, exec_lo, s1
.LBB8_3:                                ;   in Loop: Header=BB8_4 Depth=1
	s_add_co_i32 s2, s2, 0x10000
	s_delay_alu instid0(SALU_CYCLE_1)
	s_cmp_lt_u32 s2, s33
	s_cbranch_scc0 .LBB8_15
.LBB8_4:                                ; =>This Loop Header: Depth=1
                                        ;     Child Loop BB8_8 Depth 2
	s_wait_xcnt 0x0
	s_mul_u64 s[42:43], s[6:7], s[2:3]
	s_delay_alu instid0(SALU_CYCLE_1) | instskip(NEXT) | instid1(SALU_CYCLE_1)
	s_lshl_b64 s[42:43], s[42:43], 2
	s_add_nc_u64 s[42:43], s[4:5], s[42:43]
	global_load_b32 v60, v1, s[42:43]
	s_wait_loadcnt 0x0
	v_cmp_eq_f32_e32 vcc_lo, 0, v60
	s_cbranch_vccnz .LBB8_3
; %bb.5:                                ;   in Loop: Header=BB8_4 Depth=1
	s_load_b32 s1, s[18:19], 0x4
	s_wait_kmcnt 0x0
	s_cvt_f32_u32 s42, s1
	s_sub_co_i32 s43, 0, s1
	s_delay_alu instid0(SALU_CYCLE_2) | instskip(SKIP_1) | instid1(TRANS32_DEP_1)
	v_rcp_iflag_f32_e32 v14, s42
	v_nop
	v_readfirstlane_b32 s42, v14
	s_mul_f32 s42, s42, 0x4f7ffffe
	s_delay_alu instid0(SALU_CYCLE_3) | instskip(NEXT) | instid1(SALU_CYCLE_3)
	s_cvt_u32_f32 s42, s42
	s_mul_i32 s43, s43, s42
	s_delay_alu instid0(SALU_CYCLE_1) | instskip(NEXT) | instid1(SALU_CYCLE_1)
	s_mul_hi_u32 s43, s42, s43
	s_add_co_i32 s42, s42, s43
	s_mov_b32 s43, s3
	s_delay_alu instid0(SALU_CYCLE_1) | instskip(NEXT) | instid1(SALU_CYCLE_1)
	s_mul_u64 s[42:43], s[10:11], s[42:43]
	s_mul_i32 s42, s43, s1
	s_add_co_i32 s44, s43, 1
	s_sub_co_i32 s42, s10, s42
	s_delay_alu instid0(SALU_CYCLE_1)
	s_sub_co_i32 s45, s42, s1
	s_cmp_ge_u32 s42, s1
	s_cselect_b32 s43, s44, s43
	s_cselect_b32 s42, s45, s42
	s_add_co_i32 s44, s43, 1
	s_cmp_ge_u32 s42, s1
	s_cselect_b32 s42, s44, s43
	s_delay_alu instid0(SALU_CYCLE_1) | instskip(NEXT) | instid1(SALU_CYCLE_1)
	s_mul_i32 s1, s42, s1
	s_sub_co_i32 s43, s10, s1
	s_delay_alu instid0(SALU_CYCLE_1) | instskip(SKIP_1) | instid1(SALU_CYCLE_1)
	s_cmp_lt_u32 s48, s43
	s_cselect_b32 s1, -1, 0
	s_cmp_lg_u32 s1, 0
	s_add_co_ci_u32 s1, s42, 0
	s_delay_alu instid0(SALU_CYCLE_1)
	s_cmp_eq_u32 s1, 0
	s_cbranch_scc1 .LBB8_3
; %bb.6:                                ;   in Loop: Header=BB8_4 Depth=1
	s_cmp_lt_i32 s1, 1
	s_cbranch_scc1 .LBB8_12
; %bb.7:                                ;   in Loop: Header=BB8_4 Depth=1
	v_cvt_f64_u32_e32 v[14:15], s43
	s_mul_i32 s42, s42, s48
	s_mul_u64 s[44:45], s[12:13], s[2:3]
	v_cvt_f64_u32_e32 v[16:17], s42
	s_lshl_b64 s[44:45], s[44:45], 2
	v_mov_b32_e32 v65, 0
	s_add_nc_u64 s[44:45], s[24:25], s[44:45]
	s_delay_alu instid0(VALU_DEP_3) | instskip(NEXT) | instid1(VALU_DEP_1)
	v_min_num_f64_e32 v[14:15], v[2:3], v[14:15]
	v_add_f64_e32 v[14:15], v[14:15], v[16:17]
	s_delay_alu instid0(VALU_DEP_1) | instskip(NEXT) | instid1(VALU_DEP_1)
	v_cvt_i32_f64_e32 v14, v[14:15]
	v_readfirstlane_b32 s42, v14
	s_lshl_b32 s42, s42, 7
	s_delay_alu instid0(SALU_CYCLE_1) | instskip(NEXT) | instid1(SALU_CYCLE_1)
	s_ashr_i32 s43, s42, 31
	s_mul_u64 s[46:47], s[42:43], s[28:29]
	s_delay_alu instid0(SALU_CYCLE_1) | instskip(NEXT) | instid1(SALU_CYCLE_1)
	s_lshl_b64 s[46:47], s[46:47], 2
	s_add_nc_u64 s[44:45], s[44:45], s[46:47]
	s_lshl_b64 s[46:47], s[42:43], 2
	v_lshl_add_u64 v[20:21], v[4:5], 2, s[44:45]
	v_add_nc_u64_e32 v[40:41], s[46:47], v[8:9]
	v_add_nc_u64_e32 v[54:55], s[46:47], v[10:11]
	;; [unrolled: 1-line block ×3, first 2 shown]
	s_mul_u64 s[44:45], s[20:21], s[2:3]
	v_lshl_add_u64 v[22:23], s[28:29], 2, v[20:21]
	s_mul_u64 s[42:43], s[16:17], s[2:3]
	s_add_nc_u64 s[50:51], s[36:37], s[44:45]
	s_add_nc_u64 s[44:45], s[8:9], s[44:45]
	;; [unrolled: 1-line block ×3, first 2 shown]
	v_add_nc_u64_e32 v[24:25], s[34:35], v[22:23]
	v_mad_nc_u64_u32 v[36:37], s28, v56, s[44:45]
	v_mad_nc_u64_u32 v[38:39], s26, v40, s[42:43]
	s_add_co_i32 s42, s1, -1
	s_mov_b32 s43, 0
	s_delay_alu instid0(VALU_DEP_3) | instskip(NEXT) | instid1(VALU_DEP_3)
	v_add_nc_u64_e32 v[26:27], s[34:35], v[24:25]
	v_mad_u32 v37, s29, v56, v37
	s_delay_alu instid0(VALU_DEP_3) | instskip(NEXT) | instid1(VALU_DEP_3)
	v_mad_u32 v39, s27, v40, v39
	v_add_nc_u64_e32 v[28:29], s[34:35], v[26:27]
	s_delay_alu instid0(VALU_DEP_1) | instskip(NEXT) | instid1(VALU_DEP_4)
	v_add_nc_u64_e32 v[30:31], s[34:35], v[28:29]
	v_mad_u32 v37, s28, v57, v37
	s_delay_alu instid0(VALU_DEP_4) | instskip(NEXT) | instid1(VALU_DEP_3)
	v_mad_u32 v39, s26, v41, v39
	v_add_nc_u64_e32 v[32:33], s[34:35], v[30:31]
	s_delay_alu instid0(VALU_DEP_1)
	v_add_nc_u64_e32 v[34:35], s[34:35], v[32:33]
	global_load_b32 v61, v[34:35], off
	s_clause 0x5
	global_load_b32 v62, v[20:21], off
	global_load_b32 v18, v[22:23], off
	;; [unrolled: 1-line block ×7, first 2 shown]
	s_wait_xcnt 0x6
	v_add_nc_u64_e32 v[20:21], 0x200, v[8:9]
	s_wait_xcnt 0x5
	v_add_nc_u64_e32 v[22:23], 0x208, v[8:9]
	;; [unrolled: 2-line block ×6, first 2 shown]
	v_mad_nc_u64_u32 v[34:35], s28, v54, s[44:45]
	v_add_nc_u64_e32 v[42:43], s[46:47], v[20:21]
	v_add_nc_u64_e32 v[44:45], s[46:47], v[22:23]
	;; [unrolled: 1-line block ×6, first 2 shown]
	v_mad_nc_u64_u32 v[22:23], s28, v40, s[50:51]
	v_mad_nc_u64_u32 v[20:21], s28, v42, s[44:45]
	;; [unrolled: 1-line block ×6, first 2 shown]
	s_wait_xcnt 0x0
	v_mad_nc_u64_u32 v[32:33], s28, v52, s[44:45]
	v_mad_u32 v35, s29, v54, v35
	v_mad_u32 v23, s29, v40, v23
	;; [unrolled: 1-line block ×9, first 2 shown]
	v_mov_b32_e32 v40, 0
	v_mad_u32 v23, s28, v41, v23
	v_mad_u32 v21, s28, v43, v21
	;; [unrolled: 1-line block ×7, first 2 shown]
	s_wait_loadcnt 0x6
	v_dual_mov_b32 v64, v61 :: v_dual_mov_b32 v63, v62
.LBB8_8:                                ;   Parent Loop BB8_4 Depth=1
                                        ; =>  This Inner Loop Header: Depth=2
	v_add_nc_u64_e32 v[42:43], v[22:23], v[0:1]
	v_add_nc_u64_e32 v[46:47], s[40:41], v[38:39]
	s_cmp_eq_u32 s42, s43
	s_delay_alu instid0(VALU_DEP_2) | instskip(NEXT) | instid1(VALU_DEP_2)
	v_add_nc_u64_e32 v[44:45], s[34:35], v[42:43]
	v_add_nc_u64_e32 v[50:51], s[40:41], v[46:47]
	s_delay_alu instid0(VALU_DEP_2) | instskip(NEXT) | instid1(VALU_DEP_2)
	v_add_nc_u64_e32 v[48:49], s[34:35], v[44:45]
	v_add_nc_u64_e32 v[66:67], s[40:41], v[50:51]
	;; [unrolled: 3-line block ×4, first 2 shown]
	s_wait_xcnt 0x4
	s_delay_alu instid0(VALU_DEP_2) | instskip(SKIP_1) | instid1(VALU_DEP_2)
	v_add_nc_u64_e32 v[72:73], s[34:35], v[56:57]
	s_wait_xcnt 0x1
	v_add_nc_u64_e32 v[74:75], s[40:41], v[70:71]
	s_delay_alu instid0(VALU_DEP_2) | instskip(SKIP_1) | instid1(VALU_DEP_2)
	v_add_nc_u64_e32 v[76:77], s[34:35], v[72:73]
	s_wait_xcnt 0x0
	v_add_nc_u64_e32 v[78:79], s[40:41], v[74:75]
	s_delay_alu instid0(VALU_DEP_2)
	v_add_nc_u64_e32 v[80:81], s[34:35], v[76:77]
	s_clause 0x7
	global_load_b32 v52, v[42:43], off
	global_load_b32 v53, v[44:45], off
	;; [unrolled: 1-line block ×8, first 2 shown]
	s_clause 0x7
	global_load_b32 v56, v[38:39], off
	global_load_b32 v54, v[46:47], off
	;; [unrolled: 1-line block ×8, first 2 shown]
	s_wait_loadcnt 0x14
	s_wait_xcnt 0x4
	v_dual_mov_b32 v66, v18 :: v_dual_mov_b32 v67, v19
	s_wait_loadcnt 0x12
	s_wait_xcnt 0x3
	v_dual_mov_b32 v68, v16 :: v_dual_mov_b32 v69, v17
	;; [unrolled: 3-line block ×3, first 2 shown]
	s_cbranch_scc1 .LBB8_10
; %bb.9:                                ;   in Loop: Header=BB8_8 Depth=2
	v_add_nc_u64_e32 v[66:67], v[20:21], v[0:1]
	v_add_nc_u64_e32 v[68:69], v[36:37], v[0:1]
	v_add_nc_u64_e32 v[70:71], v[24:25], v[0:1]
	v_add_nc_u64_e32 v[72:73], v[26:27], v[0:1]
	s_wait_xcnt 0x1
	v_add_nc_u64_e32 v[74:75], v[28:29], v[0:1]
	v_add_nc_u64_e32 v[76:77], v[30:31], v[0:1]
	s_wait_xcnt 0x0
	v_add_nc_u64_e32 v[78:79], v[32:33], v[0:1]
	v_add_nc_u64_e32 v[80:81], v[34:35], v[0:1]
	global_load_b32 v63, v[66:67], off
	global_load_b32 v66, v[68:69], off
	;; [unrolled: 1-line block ×8, first 2 shown]
.LBB8_10:                               ;   in Loop: Header=BB8_8 Depth=2
	s_wait_loadcnt 0x6
	v_mov_b32_e32 v57, v54
	s_wait_loadcnt 0x5
	v_pk_mul_f32 v[18:19], v[18:19], v[54:55]
	v_mov_b32_e32 v54, v55
	s_wait_loadcnt 0x3
	v_pk_mul_f32 v[16:17], v[16:17], v[50:51]
	s_wait_loadcnt 0x1
	v_pk_mul_f32 v[14:15], v[14:15], v[46:47]
	v_pk_mul_f32 v[52:53], v[52:53], v[56:57]
	v_mov_b32_e32 v55, v50
	v_add_nc_u64_e32 v[22:23], s[22:23], v[22:23]
	v_add_nc_u64_e32 v[20:21], s[22:23], v[20:21]
	;; [unrolled: 1-line block ×3, first 2 shown]
	v_add_f32_e32 v40, v40, v52
	v_fmac_f32_e32 v65, v62, v56
	v_pk_mul_f32 v[48:49], v[48:49], v[54:55]
	v_add_nc_u64_e32 v[26:27], s[22:23], v[26:27]
	v_add_nc_u64_e32 v[28:29], s[22:23], v[28:29]
	s_delay_alu instid0(VALU_DEP_4) | instskip(SKIP_2) | instid1(VALU_DEP_3)
	v_dual_add_f32 v40, v40, v53 :: v_dual_add_f32 v18, v65, v18
	v_dual_mov_b32 v50, v51 :: v_dual_mov_b32 v51, v46
	v_add_nc_u64_e32 v[30:31], s[22:23], v[30:31]
	v_dual_add_f32 v40, v40, v48 :: v_dual_add_f32 v52, v18, v19
	v_add_nc_u64_e32 v[32:33], s[22:23], v[32:33]
	s_delay_alu instid0(VALU_DEP_4) | instskip(SKIP_1) | instid1(VALU_DEP_4)
	v_pk_mul_f32 v[18:19], v[44:45], v[50:51]
	v_add_nc_u64_e32 v[34:35], s[22:23], v[34:35]
	v_add_f32_e32 v44, v40, v49
	v_dual_add_f32 v16, v52, v16 :: v_dual_mov_b32 v40, v47
	v_add_nc_u64_e32 v[36:37], s[22:23], v[36:37]
	v_add_nc_u64_e32 v[38:39], s[38:39], v[38:39]
	s_delay_alu instid0(VALU_DEP_4) | instskip(NEXT) | instid1(VALU_DEP_4)
	v_add_f32_e32 v18, v44, v18
	v_add_f32_e32 v45, v16, v17
	s_wait_loadcnt 0x0
	v_pk_mul_f32 v[16:17], v[42:43], v[40:41]
	s_add_co_i32 s43, s43, 1
	s_delay_alu instid0(SALU_CYCLE_1) | instskip(SKIP_1) | instid1(VALU_DEP_1)
	s_cmp_lt_i32 s43, s1
	v_dual_add_f32 v18, v18, v19 :: v_dual_add_f32 v14, v45, v14
	v_add_f32_e32 v65, v14, v15
	s_delay_alu instid0(VALU_DEP_1) | instskip(NEXT) | instid1(VALU_DEP_1)
	v_dual_add_f32 v14, v18, v16 :: v_dual_fmac_f32 v65, v61, v41
	v_add_f32_e32 v40, v14, v17
	s_cbranch_scc0 .LBB8_13
; %bb.11:                               ;   in Loop: Header=BB8_8 Depth=2
	v_dual_mov_b32 v62, v63 :: v_dual_mov_b32 v18, v66
	v_dual_mov_b32 v19, v67 :: v_dual_mov_b32 v16, v68
	;; [unrolled: 1-line block ×4, first 2 shown]
	s_branch .LBB8_8
.LBB8_12:                               ;   in Loop: Header=BB8_4 Depth=1
	v_dual_mov_b32 v40, 0 :: v_dual_mov_b32 v65, 0
.LBB8_13:                               ;   in Loop: Header=BB8_4 Depth=1
	ds_store_2addr_stride64_b32 v58, v65, v40 offset1:1
	s_wait_dscnt 0x0
	s_barrier_signal -1
	s_barrier_wait -1
	s_wait_xcnt 0x0
	s_and_saveexec_b32 s1, s0
	s_cbranch_execz .LBB8_2
; %bb.14:                               ;   in Loop: Header=BB8_4 Depth=1
	ds_load_2addr_stride64_b32 v[14:15], v59 offset1:2
	ds_load_2addr_stride64_b32 v[16:17], v59 offset0:4 offset1:6
	ds_load_2addr_stride64_b32 v[18:19], v59 offset0:8 offset1:10
	s_mul_u64 s[42:43], s[30:31], s[2:3]
	s_wait_dscnt 0x2
	v_add_f32_e32 v14, 0, v14
	s_delay_alu instid0(VALU_DEP_1) | instskip(SKIP_3) | instid1(VALU_DEP_1)
	v_add_f32_e32 v20, v14, v15
	ds_load_2addr_stride64_b32 v[14:15], v59 offset0:12 offset1:14
	s_wait_dscnt 0x2
	v_add_f32_e32 v16, v20, v16
	v_add_f32_e32 v20, v16, v17
	ds_load_2addr_stride64_b32 v[16:17], v59 offset0:16 offset1:18
	s_wait_dscnt 0x2
	v_add_f32_e32 v18, v20, v18
	s_delay_alu instid0(VALU_DEP_1) | instskip(SKIP_3) | instid1(VALU_DEP_1)
	v_add_f32_e32 v20, v18, v19
	ds_load_2addr_stride64_b32 v[18:19], v59 offset0:20 offset1:22
	s_wait_dscnt 0x2
	v_add_f32_e32 v14, v20, v14
	v_add_f32_e32 v14, v14, v15
	s_wait_dscnt 0x1
	s_delay_alu instid0(VALU_DEP_1) | instskip(SKIP_3) | instid1(VALU_DEP_1)
	v_add_f32_e32 v16, v14, v16
	ds_load_2addr_stride64_b32 v[14:15], v59 offset0:24 offset1:26
	v_add_f32_e32 v16, v16, v17
	s_wait_dscnt 0x1
	v_add_f32_e32 v18, v16, v18
	ds_load_2addr_stride64_b32 v[16:17], v59 offset0:28 offset1:30
	v_add_f32_e32 v18, v18, v19
	s_wait_dscnt 0x1
	s_delay_alu instid0(VALU_DEP_1) | instskip(NEXT) | instid1(VALU_DEP_1)
	v_add_f32_e32 v14, v18, v14
	v_add_f32_e32 v14, v14, v15
	s_wait_dscnt 0x0
	s_delay_alu instid0(VALU_DEP_1) | instskip(NEXT) | instid1(VALU_DEP_1)
	v_add_f32_e32 v14, v14, v16
	v_add_f32_e32 v16, v14, v17
	v_lshl_add_u64 v[14:15], s[42:43], 2, v[6:7]
	s_delay_alu instid0(VALU_DEP_2)
	v_mul_f32_e32 v16, v60, v16
	global_atomic_add_f32 v[14:15], v16, off scope:SCOPE_DEV
	s_branch .LBB8_2
.LBB8_15:
	s_sendmsg sendmsg(MSG_DEALLOC_VGPRS)
	s_endpgm
	.section	.rodata,"a",@progbits
	.p2align	6, 0x0
	.amdhsa_kernel _ZL36rocblas_gemvn_double_buffered_kernelILi128ELi8ELi8EfPKffEviiT3_lPKT2_lilS5_lilPT4_lili
		.amdhsa_group_segment_fixed_size 8192
		.amdhsa_private_segment_fixed_size 0
		.amdhsa_kernarg_size 384
		.amdhsa_user_sgpr_count 2
		.amdhsa_user_sgpr_dispatch_ptr 0
		.amdhsa_user_sgpr_queue_ptr 0
		.amdhsa_user_sgpr_kernarg_segment_ptr 1
		.amdhsa_user_sgpr_dispatch_id 0
		.amdhsa_user_sgpr_kernarg_preload_length 0
		.amdhsa_user_sgpr_kernarg_preload_offset 0
		.amdhsa_user_sgpr_private_segment_size 0
		.amdhsa_wavefront_size32 1
		.amdhsa_uses_dynamic_stack 0
		.amdhsa_enable_private_segment 0
		.amdhsa_system_sgpr_workgroup_id_x 1
		.amdhsa_system_sgpr_workgroup_id_y 1
		.amdhsa_system_sgpr_workgroup_id_z 1
		.amdhsa_system_sgpr_workgroup_info 0
		.amdhsa_system_vgpr_workitem_id 1
		.amdhsa_next_free_vgpr 82
		.amdhsa_next_free_sgpr 52
		.amdhsa_named_barrier_count 0
		.amdhsa_reserve_vcc 1
		.amdhsa_float_round_mode_32 0
		.amdhsa_float_round_mode_16_64 0
		.amdhsa_float_denorm_mode_32 3
		.amdhsa_float_denorm_mode_16_64 3
		.amdhsa_fp16_overflow 0
		.amdhsa_memory_ordered 1
		.amdhsa_forward_progress 1
		.amdhsa_inst_pref_size 19
		.amdhsa_round_robin_scheduling 0
		.amdhsa_exception_fp_ieee_invalid_op 0
		.amdhsa_exception_fp_denorm_src 0
		.amdhsa_exception_fp_ieee_div_zero 0
		.amdhsa_exception_fp_ieee_overflow 0
		.amdhsa_exception_fp_ieee_underflow 0
		.amdhsa_exception_fp_ieee_inexact 0
		.amdhsa_exception_int_div_zero 0
	.end_amdhsa_kernel
	.section	.text._ZL36rocblas_gemvn_double_buffered_kernelILi128ELi8ELi8EfPKffEviiT3_lPKT2_lilS5_lilPT4_lili,"axG",@progbits,_ZL36rocblas_gemvn_double_buffered_kernelILi128ELi8ELi8EfPKffEviiT3_lPKT2_lilS5_lilPT4_lili,comdat
.Lfunc_end8:
	.size	_ZL36rocblas_gemvn_double_buffered_kernelILi128ELi8ELi8EfPKffEviiT3_lPKT2_lilS5_lilPT4_lili, .Lfunc_end8-_ZL36rocblas_gemvn_double_buffered_kernelILi128ELi8ELi8EfPKffEviiT3_lPKT2_lilS5_lilPT4_lili
                                        ; -- End function
	.set _ZL36rocblas_gemvn_double_buffered_kernelILi128ELi8ELi8EfPKffEviiT3_lPKT2_lilS5_lilPT4_lili.num_vgpr, 82
	.set _ZL36rocblas_gemvn_double_buffered_kernelILi128ELi8ELi8EfPKffEviiT3_lPKT2_lilS5_lilPT4_lili.num_agpr, 0
	.set _ZL36rocblas_gemvn_double_buffered_kernelILi128ELi8ELi8EfPKffEviiT3_lPKT2_lilS5_lilPT4_lili.numbered_sgpr, 52
	.set _ZL36rocblas_gemvn_double_buffered_kernelILi128ELi8ELi8EfPKffEviiT3_lPKT2_lilS5_lilPT4_lili.num_named_barrier, 0
	.set _ZL36rocblas_gemvn_double_buffered_kernelILi128ELi8ELi8EfPKffEviiT3_lPKT2_lilS5_lilPT4_lili.private_seg_size, 0
	.set _ZL36rocblas_gemvn_double_buffered_kernelILi128ELi8ELi8EfPKffEviiT3_lPKT2_lilS5_lilPT4_lili.uses_vcc, 1
	.set _ZL36rocblas_gemvn_double_buffered_kernelILi128ELi8ELi8EfPKffEviiT3_lPKT2_lilS5_lilPT4_lili.uses_flat_scratch, 0
	.set _ZL36rocblas_gemvn_double_buffered_kernelILi128ELi8ELi8EfPKffEviiT3_lPKT2_lilS5_lilPT4_lili.has_dyn_sized_stack, 0
	.set _ZL36rocblas_gemvn_double_buffered_kernelILi128ELi8ELi8EfPKffEviiT3_lPKT2_lilS5_lilPT4_lili.has_recursion, 0
	.set _ZL36rocblas_gemvn_double_buffered_kernelILi128ELi8ELi8EfPKffEviiT3_lPKT2_lilS5_lilPT4_lili.has_indirect_call, 0
	.section	.AMDGPU.csdata,"",@progbits
; Kernel info:
; codeLenInByte = 2428
; TotalNumSgprs: 54
; NumVgprs: 82
; ScratchSize: 0
; MemoryBound: 0
; FloatMode: 240
; IeeeMode: 1
; LDSByteSize: 8192 bytes/workgroup (compile time only)
; SGPRBlocks: 0
; VGPRBlocks: 5
; NumSGPRsForWavesPerEU: 54
; NumVGPRsForWavesPerEU: 82
; NamedBarCnt: 0
; Occupancy: 10
; WaveLimiterHint : 0
; COMPUTE_PGM_RSRC2:SCRATCH_EN: 0
; COMPUTE_PGM_RSRC2:USER_SGPR: 2
; COMPUTE_PGM_RSRC2:TRAP_HANDLER: 0
; COMPUTE_PGM_RSRC2:TGID_X_EN: 1
; COMPUTE_PGM_RSRC2:TGID_Y_EN: 1
; COMPUTE_PGM_RSRC2:TGID_Z_EN: 1
; COMPUTE_PGM_RSRC2:TIDIG_COMP_CNT: 1
	.section	.text._ZL36rocblas_gemvn_double_buffered_kernelILi128ELi8ELi8EfffEviiT3_lPKT2_lilS3_lilPT4_lili,"axG",@progbits,_ZL36rocblas_gemvn_double_buffered_kernelILi128ELi8ELi8EfffEviiT3_lPKT2_lilS3_lilPT4_lili,comdat
	.globl	_ZL36rocblas_gemvn_double_buffered_kernelILi128ELi8ELi8EfffEviiT3_lPKT2_lilS3_lilPT4_lili ; -- Begin function _ZL36rocblas_gemvn_double_buffered_kernelILi128ELi8ELi8EfffEviiT3_lPKT2_lilS3_lilPT4_lili
	.p2align	8
	.type	_ZL36rocblas_gemvn_double_buffered_kernelILi128ELi8ELi8EfffEviiT3_lPKT2_lilS3_lilPT4_lili,@function
_ZL36rocblas_gemvn_double_buffered_kernelILi128ELi8ELi8EfffEviiT3_lPKT2_lilS3_lilPT4_lili: ; @_ZL36rocblas_gemvn_double_buffered_kernelILi128ELi8ELi8EfffEviiT3_lPKT2_lilS3_lilPT4_lili
; %bb.0:
	s_load_b32 s33, s[0:1], 0x78
	s_bfe_u32 s2, ttmp6, 0x40014
	s_lshr_b32 s3, ttmp7, 16
	s_add_co_i32 s2, s2, 1
	s_bfe_u32 s4, ttmp6, 0x40008
	s_mul_i32 s2, s3, s2
	s_getreg_b32 s19, hwreg(HW_REG_IB_STS2, 6, 4)
	s_add_co_i32 s4, s4, s2
	s_cmp_eq_u32 s19, 0
	s_cselect_b32 s2, s3, s4
	s_mov_b32 s3, 0
	s_wait_kmcnt 0x0
	s_cmp_ge_u32 s2, s33
	s_cbranch_scc1 .LBB9_15
; %bb.1:
	s_clause 0x7
	s_load_b32 s24, s[0:1], 0x28
	s_load_b96 s[16:18], s[0:1], 0x40
	s_load_b96 s[20:22], s[0:1], 0x60
	s_load_b128 s[12:15], s[0:1], 0x18
	s_load_b64 s[26:27], s[0:1], 0x4
	s_load_b128 s[4:7], s[0:1], 0x30
	s_load_b128 s[8:11], s[0:1], 0x50
	s_load_b64 s[28:29], s[0:1], 0x70
	v_mov_b32_e32 v1, 0
	v_and_b32_e32 v6, 0x3ff, v0
	s_delay_alu instid0(VALU_DEP_1)
	v_dual_mov_b32 v7, v1 :: v_dual_lshlrev_b32 v59, 2, v6
	s_wait_kmcnt 0x0
	s_ashr_i32 s25, s24, 31
	s_ashr_i32 s23, s18, 31
	s_ashr_i32 s35, s22, 31
	s_lshl_b64 s[20:21], s[20:21], 2
	s_lshl_b64 s[30:31], s[14:15], 2
	s_cmp_neq_f32 s27, 0
	s_cselect_b32 s46, -1, 0
	s_ashr_i32 s14, s26, 31
	s_bfe_u32 s34, ttmp6, 0x4000c
	s_bfe_u32 s37, ttmp6, 0x40010
	s_and_b32 s36, ttmp7, 0xffff
	s_lshr_b32 s14, s14, 25
	s_add_co_i32 s34, s34, 1
	s_add_co_i32 s37, s37, 1
	s_and_b32 s15, ttmp6, 15
	s_bfe_u32 s38, ttmp6, 0x40004
	s_add_co_i32 s14, s26, s14
	s_mul_i32 s26, ttmp9, s34
	s_mul_i32 s34, s36, s37
	s_ashr_i32 s14, s14, 7
	s_add_co_i32 s15, s15, s26
	s_add_co_i32 s38, s38, s34
	s_cmp_eq_u32 s19, 0
	s_mov_b32 s34, s22
	s_cselect_b32 s26, s36, s38
	v_mul_u64_e32 v[8:9], s[34:35], v[6:7]
	v_cvt_f64_i32_e32 v[2:3], s26
	v_bfe_u32 v7, v0, 10, 10
	s_cselect_b32 s15, ttmp9, s15
	s_add_nc_u64 s[36:37], s[10:11], s[20:21]
	s_add_nc_u64 s[10:11], s[0:1], 0x80
	s_lshl_b32 s0, s15, 7
	v_lshl_add_u32 v4, v7, 7, v6
	s_ashr_i32 s1, s0, 31
	v_and_b32_e32 v0, 63, v0
	s_lshl_b64 s[38:39], s[0:1], 2
	s_mul_u64 s[0:1], s[34:35], s[0:1]
	v_lshrrev_b32_e32 v10, 6, v4
	s_lshl_b64 s[0:1], s[0:1], 2
	s_add_nc_u64 s[20:21], s[12:13], s[30:31]
	s_add_nc_u64 s[34:35], s[36:37], s[0:1]
	v_cmp_eq_u32_e64 s0, 0, v7
	v_lshlrev_b32_e32 v4, 3, v10
	s_lshl_b32 s40, s18, 7
	s_add_nc_u64 s[30:31], s[30:31], s[38:39]
	s_mov_b32 s22, s18
	s_ashr_i32 s41, s40, 31
	v_mad_nc_i64_i32 v[4:5], s24, v4, v[0:1]
	v_lshlrev_b32_e32 v0, 2, v0
	s_add_nc_u64 s[12:13], s[12:13], s[30:31]
	s_lshl_b64 s[16:17], s[16:17], 2
	s_add_nc_u64 s[20:21], s[20:21], s[38:39]
	s_lshl_b64 s[18:19], s[24:25], 9
	v_lshl_or_b32 v58, v10, 9, v0
	s_mov_b32 s15, s3
	s_lshl_b64 s[30:31], s[24:25], 2
	s_lshl_b64 s[36:37], s[4:5], 2
	v_lshl_add_u64 v[6:7], v[8:9], 2, s[34:35]
	v_dual_max_num_f64 v[2:3], v[2:3], v[2:3] :: v_dual_mov_b32 v9, v1
	v_lshlrev_b32_e32 v8, 5, v10
	s_add_nc_u64 s[34:35], s[12:13], 0x100
	s_add_nc_u64 s[6:7], s[6:7], s[16:17]
	s_lshl_b64 s[8:9], s[8:9], 2
	s_lshl_b64 s[16:17], s[40:41], 2
	v_add_nc_u64_e32 v[10:11], 0x21c, v[8:9]
	v_add_nc_u64_e32 v[12:13], 0x204, v[8:9]
	s_lshl_b64 s[38:39], s[22:23], 2
	s_branch .LBB9_4
.LBB9_2:                                ;   in Loop: Header=BB9_4 Depth=1
	s_wait_xcnt 0x0
	s_or_b32 exec_lo, exec_lo, s1
.LBB9_3:                                ;   in Loop: Header=BB9_4 Depth=1
	s_add_co_i32 s2, s2, 0x10000
	s_delay_alu instid0(SALU_CYCLE_1)
	s_cmp_lt_u32 s2, s33
	s_cbranch_scc0 .LBB9_15
.LBB9_4:                                ; =>This Loop Header: Depth=1
                                        ;     Child Loop BB9_8 Depth 2
	s_and_not1_b32 vcc_lo, exec_lo, s46
	s_cbranch_vccnz .LBB9_3
; %bb.5:                                ;   in Loop: Header=BB9_4 Depth=1
	s_load_b32 s1, s[10:11], 0x4
	s_wait_kmcnt 0x0
	s_cvt_f32_u32 s40, s1
	s_sub_co_i32 s41, 0, s1
	s_delay_alu instid0(SALU_CYCLE_2) | instskip(SKIP_1) | instid1(TRANS32_DEP_1)
	v_rcp_iflag_f32_e32 v14, s40
	v_nop
	v_readfirstlane_b32 s40, v14
	s_mul_f32 s40, s40, 0x4f7ffffe
	s_delay_alu instid0(SALU_CYCLE_3) | instskip(NEXT) | instid1(SALU_CYCLE_3)
	s_cvt_u32_f32 s40, s40
	s_mul_i32 s41, s41, s40
	s_delay_alu instid0(SALU_CYCLE_1) | instskip(NEXT) | instid1(SALU_CYCLE_1)
	s_mul_hi_u32 s41, s40, s41
	s_add_co_i32 s40, s40, s41
	s_mov_b32 s41, s3
	s_delay_alu instid0(SALU_CYCLE_1) | instskip(NEXT) | instid1(SALU_CYCLE_1)
	s_mul_u64 s[40:41], s[14:15], s[40:41]
	s_mul_i32 s40, s41, s1
	s_add_co_i32 s42, s41, 1
	s_sub_co_i32 s40, s14, s40
	s_delay_alu instid0(SALU_CYCLE_1)
	s_sub_co_i32 s43, s40, s1
	s_cmp_ge_u32 s40, s1
	s_cselect_b32 s41, s42, s41
	s_cselect_b32 s40, s43, s40
	s_add_co_i32 s42, s41, 1
	s_cmp_ge_u32 s40, s1
	s_cselect_b32 s40, s42, s41
	s_delay_alu instid0(SALU_CYCLE_1) | instskip(NEXT) | instid1(SALU_CYCLE_1)
	s_mul_i32 s1, s40, s1
	s_sub_co_i32 s41, s14, s1
	s_delay_alu instid0(SALU_CYCLE_1) | instskip(SKIP_1) | instid1(SALU_CYCLE_1)
	s_cmp_lt_u32 s26, s41
	s_cselect_b32 s1, -1, 0
	s_cmp_lg_u32 s1, 0
	s_add_co_ci_u32 s1, s40, 0
	s_delay_alu instid0(SALU_CYCLE_1)
	s_cmp_eq_u32 s1, 0
	s_cbranch_scc1 .LBB9_3
; %bb.6:                                ;   in Loop: Header=BB9_4 Depth=1
	s_cmp_lt_i32 s1, 1
	s_cbranch_scc1 .LBB9_12
; %bb.7:                                ;   in Loop: Header=BB9_4 Depth=1
	v_cvt_f64_u32_e32 v[14:15], s41
	s_mul_i32 s40, s40, s26
	s_mul_u64 s[42:43], s[4:5], s[2:3]
	v_cvt_f64_u32_e32 v[16:17], s40
	s_lshl_b64 s[42:43], s[42:43], 2
	v_mov_b32_e32 v64, 0
	s_add_nc_u64 s[42:43], s[20:21], s[42:43]
	s_delay_alu instid0(VALU_DEP_3) | instskip(NEXT) | instid1(VALU_DEP_1)
	v_min_num_f64_e32 v[14:15], v[2:3], v[14:15]
	v_add_f64_e32 v[14:15], v[14:15], v[16:17]
	s_delay_alu instid0(VALU_DEP_1) | instskip(NEXT) | instid1(VALU_DEP_1)
	v_cvt_i32_f64_e32 v14, v[14:15]
	v_readfirstlane_b32 s40, v14
	s_lshl_b32 s40, s40, 7
	s_delay_alu instid0(SALU_CYCLE_1) | instskip(NEXT) | instid1(SALU_CYCLE_1)
	s_ashr_i32 s41, s40, 31
	s_mul_u64 s[44:45], s[40:41], s[24:25]
	s_delay_alu instid0(SALU_CYCLE_1) | instskip(NEXT) | instid1(SALU_CYCLE_1)
	s_lshl_b64 s[44:45], s[44:45], 2
	s_add_nc_u64 s[42:43], s[42:43], s[44:45]
	s_lshl_b64 s[44:45], s[40:41], 2
	v_lshl_add_u64 v[20:21], v[4:5], 2, s[42:43]
	v_add_nc_u64_e32 v[40:41], s[44:45], v[8:9]
	v_add_nc_u64_e32 v[54:55], s[44:45], v[10:11]
	;; [unrolled: 1-line block ×3, first 2 shown]
	s_mul_u64 s[42:43], s[36:37], s[2:3]
	v_lshl_add_u64 v[22:23], s[24:25], 2, v[20:21]
	s_mul_u64 s[40:41], s[8:9], s[2:3]
	s_add_nc_u64 s[48:49], s[34:35], s[42:43]
	s_add_nc_u64 s[42:43], s[12:13], s[42:43]
	;; [unrolled: 1-line block ×3, first 2 shown]
	v_add_nc_u64_e32 v[24:25], s[30:31], v[22:23]
	v_mad_nc_u64_u32 v[36:37], s24, v56, s[42:43]
	v_mad_nc_u64_u32 v[38:39], s22, v40, s[40:41]
	s_add_co_i32 s40, s1, -1
	s_mov_b32 s41, 0
	s_delay_alu instid0(VALU_DEP_3) | instskip(NEXT) | instid1(VALU_DEP_3)
	v_add_nc_u64_e32 v[26:27], s[30:31], v[24:25]
	v_mad_u32 v37, s25, v56, v37
	s_delay_alu instid0(VALU_DEP_3) | instskip(NEXT) | instid1(VALU_DEP_3)
	v_mad_u32 v39, s23, v40, v39
	v_add_nc_u64_e32 v[28:29], s[30:31], v[26:27]
	s_delay_alu instid0(VALU_DEP_1) | instskip(NEXT) | instid1(VALU_DEP_4)
	v_add_nc_u64_e32 v[30:31], s[30:31], v[28:29]
	v_mad_u32 v37, s24, v57, v37
	s_delay_alu instid0(VALU_DEP_4) | instskip(NEXT) | instid1(VALU_DEP_3)
	v_mad_u32 v39, s22, v41, v39
	v_add_nc_u64_e32 v[32:33], s[30:31], v[30:31]
	s_delay_alu instid0(VALU_DEP_1)
	v_add_nc_u64_e32 v[34:35], s[30:31], v[32:33]
	global_load_b32 v60, v[34:35], off
	s_clause 0x5
	global_load_b32 v61, v[20:21], off
	global_load_b32 v18, v[22:23], off
	;; [unrolled: 1-line block ×7, first 2 shown]
	s_wait_xcnt 0x6
	v_add_nc_u64_e32 v[20:21], 0x200, v[8:9]
	s_wait_xcnt 0x5
	v_add_nc_u64_e32 v[22:23], 0x208, v[8:9]
	;; [unrolled: 2-line block ×6, first 2 shown]
	v_mad_nc_u64_u32 v[34:35], s24, v54, s[42:43]
	v_add_nc_u64_e32 v[42:43], s[44:45], v[20:21]
	v_add_nc_u64_e32 v[44:45], s[44:45], v[22:23]
	;; [unrolled: 1-line block ×6, first 2 shown]
	v_mad_nc_u64_u32 v[22:23], s24, v40, s[48:49]
	v_mad_nc_u64_u32 v[20:21], s24, v42, s[42:43]
	;; [unrolled: 1-line block ×6, first 2 shown]
	s_wait_xcnt 0x0
	v_mad_nc_u64_u32 v[32:33], s24, v52, s[42:43]
	v_mad_u32 v35, s25, v54, v35
	v_mad_u32 v23, s25, v40, v23
	;; [unrolled: 1-line block ×9, first 2 shown]
	v_mov_b32_e32 v40, 0
	v_mad_u32 v23, s24, v41, v23
	v_mad_u32 v21, s24, v43, v21
	;; [unrolled: 1-line block ×7, first 2 shown]
	s_wait_loadcnt 0x6
	v_dual_mov_b32 v63, v60 :: v_dual_mov_b32 v62, v61
.LBB9_8:                                ;   Parent Loop BB9_4 Depth=1
                                        ; =>  This Inner Loop Header: Depth=2
	v_add_nc_u64_e32 v[42:43], v[22:23], v[0:1]
	v_add_nc_u64_e32 v[46:47], s[38:39], v[38:39]
	s_wait_loadcnt 0x5
	v_mov_b32_e32 v65, v18
	s_cmp_eq_u32 s40, s41
	s_delay_alu instid0(VALU_DEP_3) | instskip(NEXT) | instid1(VALU_DEP_3)
	v_add_nc_u64_e32 v[44:45], s[30:31], v[42:43]
	v_add_nc_u64_e32 v[50:51], s[38:39], v[46:47]
	s_delay_alu instid0(VALU_DEP_2) | instskip(NEXT) | instid1(VALU_DEP_2)
	v_add_nc_u64_e32 v[48:49], s[30:31], v[44:45]
	v_add_nc_u64_e32 v[66:67], s[38:39], v[50:51]
	s_delay_alu instid0(VALU_DEP_2) | instskip(NEXT) | instid1(VALU_DEP_2)
	;; [unrolled: 3-line block ×3, first 2 shown]
	v_add_nc_u64_e32 v[56:57], s[30:31], v[54:55]
	v_add_nc_u64_e32 v[70:71], s[38:39], v[68:69]
	s_wait_xcnt 0x3
	s_delay_alu instid0(VALU_DEP_2) | instskip(SKIP_1) | instid1(VALU_DEP_2)
	v_add_nc_u64_e32 v[72:73], s[30:31], v[56:57]
	s_wait_xcnt 0x1
	v_add_nc_u64_e32 v[74:75], s[38:39], v[70:71]
	s_delay_alu instid0(VALU_DEP_2) | instskip(SKIP_1) | instid1(VALU_DEP_2)
	v_add_nc_u64_e32 v[76:77], s[30:31], v[72:73]
	s_wait_xcnt 0x0
	v_add_nc_u64_e32 v[78:79], s[38:39], v[74:75]
	s_delay_alu instid0(VALU_DEP_2)
	v_add_nc_u64_e32 v[80:81], s[30:31], v[76:77]
	s_clause 0x7
	global_load_b32 v52, v[42:43], off
	global_load_b32 v53, v[44:45], off
	;; [unrolled: 1-line block ×8, first 2 shown]
	s_clause 0x7
	global_load_b32 v56, v[38:39], off
	global_load_b32 v54, v[46:47], off
	;; [unrolled: 1-line block ×8, first 2 shown]
	s_wait_loadcnt 0x13
	s_wait_xcnt 0x4
	v_dual_mov_b32 v66, v19 :: v_dual_mov_b32 v67, v16
	s_wait_loadcnt 0x11
	s_wait_xcnt 0x3
	v_dual_mov_b32 v68, v17 :: v_dual_mov_b32 v69, v14
	s_wait_loadcnt 0x10
	s_wait_xcnt 0x2
	v_mov_b32_e32 v70, v15
	s_cbranch_scc1 .LBB9_10
; %bb.9:                                ;   in Loop: Header=BB9_8 Depth=2
	v_add_nc_u64_e32 v[62:63], v[20:21], v[0:1]
	v_add_nc_u64_e32 v[66:67], v[36:37], v[0:1]
	v_add_nc_u64_e32 v[68:69], v[24:25], v[0:1]
	v_add_nc_u64_e32 v[70:71], v[26:27], v[0:1]
	v_add_nc_u64_e32 v[72:73], v[28:29], v[0:1]
	s_wait_xcnt 0x1
	v_add_nc_u64_e32 v[74:75], v[30:31], v[0:1]
	v_add_nc_u64_e32 v[76:77], v[32:33], v[0:1]
	s_wait_xcnt 0x0
	v_add_nc_u64_e32 v[78:79], v[34:35], v[0:1]
	global_load_b32 v62, v[62:63], off
	global_load_b32 v65, v[66:67], off
	;; [unrolled: 1-line block ×8, first 2 shown]
.LBB9_10:                               ;   in Loop: Header=BB9_8 Depth=2
	s_wait_loadcnt 0x6
	v_dual_mov_b32 v57, v54 :: v_dual_fmac_f32 v64, v61, v56
	s_wait_loadcnt 0x5
	v_pk_mul_f32 v[18:19], v[18:19], v[54:55]
	s_wait_loadcnt 0x4
	v_dual_mov_b32 v54, v55 :: v_dual_mov_b32 v55, v50
	v_pk_mul_f32 v[52:53], v[52:53], v[56:57]
	s_wait_loadcnt 0x3
	v_pk_mul_f32 v[16:17], v[16:17], v[50:51]
	v_add_f32_e32 v18, v64, v18
	s_wait_loadcnt 0x1
	v_pk_mul_f32 v[14:15], v[14:15], v[46:47]
	v_pk_mul_f32 v[48:49], v[48:49], v[54:55]
	v_dual_add_f32 v40, v40, v52 :: v_dual_mov_b32 v50, v51
	v_mov_b32_e32 v51, v46
	v_add_nc_u64_e32 v[22:23], s[18:19], v[22:23]
	v_add_nc_u64_e32 v[20:21], s[18:19], v[20:21]
	s_delay_alu instid0(VALU_DEP_4) | instskip(NEXT) | instid1(VALU_DEP_4)
	v_dual_add_f32 v40, v40, v53 :: v_dual_add_f32 v52, v18, v19
	v_pk_mul_f32 v[18:19], v[44:45], v[50:51]
	v_add_nc_u64_e32 v[24:25], s[18:19], v[24:25]
	v_add_nc_u64_e32 v[26:27], s[18:19], v[26:27]
	;; [unrolled: 1-line block ×3, first 2 shown]
	v_add_f32_e32 v16, v52, v16
	v_add_nc_u64_e32 v[30:31], s[18:19], v[30:31]
	v_add_nc_u64_e32 v[32:33], s[18:19], v[32:33]
	;; [unrolled: 1-line block ×4, first 2 shown]
	v_add_f32_e32 v45, v16, v17
	v_add_f32_e32 v40, v40, v48
	v_add_nc_u64_e32 v[38:39], s[16:17], v[38:39]
	s_add_co_i32 s41, s41, 1
	s_delay_alu instid0(VALU_DEP_2) | instskip(SKIP_2) | instid1(VALU_DEP_2)
	v_dual_add_f32 v14, v45, v14 :: v_dual_add_f32 v44, v40, v49
	v_mov_b32_e32 v40, v47
	s_cmp_lt_i32 s41, s1
	v_add_f32_e32 v64, v14, v15
	s_wait_loadcnt 0x0
	s_delay_alu instid0(VALU_DEP_2) | instskip(SKIP_1) | instid1(VALU_DEP_1)
	v_pk_mul_f32 v[16:17], v[42:43], v[40:41]
	v_add_f32_e32 v18, v44, v18
	v_dual_fmac_f32 v64, v60, v41 :: v_dual_add_f32 v18, v18, v19
	s_delay_alu instid0(VALU_DEP_1) | instskip(NEXT) | instid1(VALU_DEP_1)
	v_add_f32_e32 v14, v18, v16
	v_add_f32_e32 v40, v14, v17
	s_cbranch_scc0 .LBB9_13
; %bb.11:                               ;   in Loop: Header=BB9_8 Depth=2
	v_dual_mov_b32 v61, v62 :: v_dual_mov_b32 v18, v65
	v_dual_mov_b32 v19, v66 :: v_dual_mov_b32 v16, v67
	;; [unrolled: 1-line block ×4, first 2 shown]
	s_branch .LBB9_8
.LBB9_12:                               ;   in Loop: Header=BB9_4 Depth=1
	v_dual_mov_b32 v40, 0 :: v_dual_mov_b32 v64, 0
.LBB9_13:                               ;   in Loop: Header=BB9_4 Depth=1
	ds_store_2addr_stride64_b32 v58, v64, v40 offset1:1
	s_wait_dscnt 0x0
	s_barrier_signal -1
	s_barrier_wait -1
	s_wait_xcnt 0x0
	s_and_saveexec_b32 s1, s0
	s_cbranch_execz .LBB9_2
; %bb.14:                               ;   in Loop: Header=BB9_4 Depth=1
	ds_load_2addr_stride64_b32 v[14:15], v59 offset1:2
	ds_load_2addr_stride64_b32 v[16:17], v59 offset0:4 offset1:6
	ds_load_2addr_stride64_b32 v[18:19], v59 offset0:8 offset1:10
	s_mul_u64 s[40:41], s[28:29], s[2:3]
	s_wait_dscnt 0x2
	v_add_f32_e32 v14, 0, v14
	s_delay_alu instid0(VALU_DEP_1) | instskip(SKIP_3) | instid1(VALU_DEP_1)
	v_add_f32_e32 v20, v14, v15
	ds_load_2addr_stride64_b32 v[14:15], v59 offset0:12 offset1:14
	s_wait_dscnt 0x2
	v_add_f32_e32 v16, v20, v16
	v_add_f32_e32 v20, v16, v17
	ds_load_2addr_stride64_b32 v[16:17], v59 offset0:16 offset1:18
	s_wait_dscnt 0x2
	v_add_f32_e32 v18, v20, v18
	s_delay_alu instid0(VALU_DEP_1) | instskip(SKIP_3) | instid1(VALU_DEP_1)
	v_add_f32_e32 v20, v18, v19
	ds_load_2addr_stride64_b32 v[18:19], v59 offset0:20 offset1:22
	s_wait_dscnt 0x2
	v_add_f32_e32 v14, v20, v14
	v_add_f32_e32 v14, v14, v15
	s_wait_dscnt 0x1
	s_delay_alu instid0(VALU_DEP_1) | instskip(SKIP_3) | instid1(VALU_DEP_1)
	v_add_f32_e32 v16, v14, v16
	ds_load_2addr_stride64_b32 v[14:15], v59 offset0:24 offset1:26
	v_add_f32_e32 v16, v16, v17
	s_wait_dscnt 0x1
	v_add_f32_e32 v18, v16, v18
	ds_load_2addr_stride64_b32 v[16:17], v59 offset0:28 offset1:30
	v_add_f32_e32 v18, v18, v19
	s_wait_dscnt 0x1
	s_delay_alu instid0(VALU_DEP_1) | instskip(NEXT) | instid1(VALU_DEP_1)
	v_add_f32_e32 v14, v18, v14
	v_add_f32_e32 v14, v14, v15
	s_wait_dscnt 0x0
	s_delay_alu instid0(VALU_DEP_1) | instskip(NEXT) | instid1(VALU_DEP_1)
	v_add_f32_e32 v14, v14, v16
	v_add_f32_e32 v16, v14, v17
	v_lshl_add_u64 v[14:15], s[40:41], 2, v[6:7]
	s_delay_alu instid0(VALU_DEP_2)
	v_mul_f32_e32 v16, s27, v16
	global_atomic_add_f32 v[14:15], v16, off scope:SCOPE_DEV
	s_branch .LBB9_2
.LBB9_15:
	s_sendmsg sendmsg(MSG_DEALLOC_VGPRS)
	s_endpgm
	.section	.rodata,"a",@progbits
	.p2align	6, 0x0
	.amdhsa_kernel _ZL36rocblas_gemvn_double_buffered_kernelILi128ELi8ELi8EfffEviiT3_lPKT2_lilS3_lilPT4_lili
		.amdhsa_group_segment_fixed_size 8192
		.amdhsa_private_segment_fixed_size 0
		.amdhsa_kernarg_size 384
		.amdhsa_user_sgpr_count 2
		.amdhsa_user_sgpr_dispatch_ptr 0
		.amdhsa_user_sgpr_queue_ptr 0
		.amdhsa_user_sgpr_kernarg_segment_ptr 1
		.amdhsa_user_sgpr_dispatch_id 0
		.amdhsa_user_sgpr_kernarg_preload_length 0
		.amdhsa_user_sgpr_kernarg_preload_offset 0
		.amdhsa_user_sgpr_private_segment_size 0
		.amdhsa_wavefront_size32 1
		.amdhsa_uses_dynamic_stack 0
		.amdhsa_enable_private_segment 0
		.amdhsa_system_sgpr_workgroup_id_x 1
		.amdhsa_system_sgpr_workgroup_id_y 1
		.amdhsa_system_sgpr_workgroup_id_z 1
		.amdhsa_system_sgpr_workgroup_info 0
		.amdhsa_system_vgpr_workitem_id 1
		.amdhsa_next_free_vgpr 82
		.amdhsa_next_free_sgpr 50
		.amdhsa_named_barrier_count 0
		.amdhsa_reserve_vcc 1
		.amdhsa_float_round_mode_32 0
		.amdhsa_float_round_mode_16_64 0
		.amdhsa_float_denorm_mode_32 3
		.amdhsa_float_denorm_mode_16_64 3
		.amdhsa_fp16_overflow 0
		.amdhsa_memory_ordered 1
		.amdhsa_forward_progress 1
		.amdhsa_inst_pref_size 19
		.amdhsa_round_robin_scheduling 0
		.amdhsa_exception_fp_ieee_invalid_op 0
		.amdhsa_exception_fp_denorm_src 0
		.amdhsa_exception_fp_ieee_div_zero 0
		.amdhsa_exception_fp_ieee_overflow 0
		.amdhsa_exception_fp_ieee_underflow 0
		.amdhsa_exception_fp_ieee_inexact 0
		.amdhsa_exception_int_div_zero 0
	.end_amdhsa_kernel
	.section	.text._ZL36rocblas_gemvn_double_buffered_kernelILi128ELi8ELi8EfffEviiT3_lPKT2_lilS3_lilPT4_lili,"axG",@progbits,_ZL36rocblas_gemvn_double_buffered_kernelILi128ELi8ELi8EfffEviiT3_lPKT2_lilS3_lilPT4_lili,comdat
.Lfunc_end9:
	.size	_ZL36rocblas_gemvn_double_buffered_kernelILi128ELi8ELi8EfffEviiT3_lPKT2_lilS3_lilPT4_lili, .Lfunc_end9-_ZL36rocblas_gemvn_double_buffered_kernelILi128ELi8ELi8EfffEviiT3_lPKT2_lilS3_lilPT4_lili
                                        ; -- End function
	.set _ZL36rocblas_gemvn_double_buffered_kernelILi128ELi8ELi8EfffEviiT3_lPKT2_lilS3_lilPT4_lili.num_vgpr, 82
	.set _ZL36rocblas_gemvn_double_buffered_kernelILi128ELi8ELi8EfffEviiT3_lPKT2_lilS3_lilPT4_lili.num_agpr, 0
	.set _ZL36rocblas_gemvn_double_buffered_kernelILi128ELi8ELi8EfffEviiT3_lPKT2_lilS3_lilPT4_lili.numbered_sgpr, 50
	.set _ZL36rocblas_gemvn_double_buffered_kernelILi128ELi8ELi8EfffEviiT3_lPKT2_lilS3_lilPT4_lili.num_named_barrier, 0
	.set _ZL36rocblas_gemvn_double_buffered_kernelILi128ELi8ELi8EfffEviiT3_lPKT2_lilS3_lilPT4_lili.private_seg_size, 0
	.set _ZL36rocblas_gemvn_double_buffered_kernelILi128ELi8ELi8EfffEviiT3_lPKT2_lilS3_lilPT4_lili.uses_vcc, 1
	.set _ZL36rocblas_gemvn_double_buffered_kernelILi128ELi8ELi8EfffEviiT3_lPKT2_lilS3_lilPT4_lili.uses_flat_scratch, 0
	.set _ZL36rocblas_gemvn_double_buffered_kernelILi128ELi8ELi8EfffEviiT3_lPKT2_lilS3_lilPT4_lili.has_dyn_sized_stack, 0
	.set _ZL36rocblas_gemvn_double_buffered_kernelILi128ELi8ELi8EfffEviiT3_lPKT2_lilS3_lilPT4_lili.has_recursion, 0
	.set _ZL36rocblas_gemvn_double_buffered_kernelILi128ELi8ELi8EfffEviiT3_lPKT2_lilS3_lilPT4_lili.has_indirect_call, 0
	.section	.AMDGPU.csdata,"",@progbits
; Kernel info:
; codeLenInByte = 2408
; TotalNumSgprs: 52
; NumVgprs: 82
; ScratchSize: 0
; MemoryBound: 0
; FloatMode: 240
; IeeeMode: 1
; LDSByteSize: 8192 bytes/workgroup (compile time only)
; SGPRBlocks: 0
; VGPRBlocks: 5
; NumSGPRsForWavesPerEU: 52
; NumVGPRsForWavesPerEU: 82
; NamedBarCnt: 0
; Occupancy: 10
; WaveLimiterHint : 0
; COMPUTE_PGM_RSRC2:SCRATCH_EN: 0
; COMPUTE_PGM_RSRC2:USER_SGPR: 2
; COMPUTE_PGM_RSRC2:TRAP_HANDLER: 0
; COMPUTE_PGM_RSRC2:TGID_X_EN: 1
; COMPUTE_PGM_RSRC2:TGID_Y_EN: 1
; COMPUTE_PGM_RSRC2:TGID_Z_EN: 1
; COMPUTE_PGM_RSRC2:TIDIG_COMP_CNT: 1
	.section	.text._ZL20rocblas_gemvn_kernelILi32ELi16EifPKffEviiT3_lPKT2_lT1_lS5_lS6_lS2_lPT4_lS6_li,"axG",@progbits,_ZL20rocblas_gemvn_kernelILi32ELi16EifPKffEviiT3_lPKT2_lT1_lS5_lS6_lS2_lPT4_lS6_li,comdat
	.globl	_ZL20rocblas_gemvn_kernelILi32ELi16EifPKffEviiT3_lPKT2_lT1_lS5_lS6_lS2_lPT4_lS6_li ; -- Begin function _ZL20rocblas_gemvn_kernelILi32ELi16EifPKffEviiT3_lPKT2_lT1_lS5_lS6_lS2_lPT4_lS6_li
	.p2align	8
	.type	_ZL20rocblas_gemvn_kernelILi32ELi16EifPKffEviiT3_lPKT2_lT1_lS5_lS6_lS2_lPT4_lS6_li,@function
_ZL20rocblas_gemvn_kernelILi32ELi16EifPKffEviiT3_lPKT2_lT1_lS5_lS6_lS2_lPT4_lS6_li: ; @_ZL20rocblas_gemvn_kernelILi32ELi16EifPKffEviiT3_lPKT2_lT1_lS5_lS6_lS2_lPT4_lS6_li
; %bb.0:
	s_load_b64 s[2:3], s[0:1], 0x9c
	s_wait_kmcnt 0x0
	s_lshr_b32 s4, s2, 16
	s_and_b32 s2, s2, 0xffff
	s_and_b32 s3, s3, 0xffff
	s_mul_i32 s2, s4, s2
	s_delay_alu instid0(SALU_CYCLE_1) | instskip(NEXT) | instid1(SALU_CYCLE_1)
	s_mul_i32 s2, s2, s3
	s_cmp_lg_u32 s2, 0x200
	s_cbranch_scc1 .LBB10_53
; %bb.1:
	s_load_b32 s31, s[0:1], 0x88
	s_bfe_u32 s2, ttmp6, 0x40014
	s_lshr_b32 s3, ttmp7, 16
	s_add_co_i32 s2, s2, 1
	s_bfe_u32 s5, ttmp6, 0x40008
	s_mul_i32 s4, s3, s2
	s_getreg_b32 s2, hwreg(HW_REG_IB_STS2, 6, 4)
	s_add_co_i32 s5, s5, s4
	s_cmp_eq_u32 s2, 0
	s_mov_b32 s35, 0
	s_cselect_b32 s34, s3, s5
	s_wait_kmcnt 0x0
	s_cmp_ge_u32 s34, s31
	s_cbranch_scc1 .LBB10_53
; %bb.2:
	s_clause 0x7
	s_load_b256 s[8:15], s[0:1], 0x8
	s_load_b96 s[28:30], s[0:1], 0x40
	s_load_b96 s[4:6], s[0:1], 0x70
	s_load_b64 s[36:37], s[0:1], 0x0
	s_load_b32 s33, s[0:1], 0x28
	s_load_b128 s[24:27], s[0:1], 0x30
	s_load_b256 s[16:23], s[0:1], 0x50
	s_load_b64 s[38:39], s[0:1], 0x80
	s_wait_xcnt 0x0
	s_bfe_u32 s0, ttmp6, 0x4000c
	v_and_b32_e32 v6, 0x3ff, v0
	s_add_co_i32 s0, s0, 1
	v_bfe_u32 v5, v0, 10, 10
	s_and_b32 s1, ttmp6, 15
	s_mul_i32 s0, ttmp9, s0
	s_delay_alu instid0(SALU_CYCLE_1) | instskip(NEXT) | instid1(VALU_DEP_1)
	s_add_co_i32 s7, s1, s0
	v_lshl_add_u32 v4, v5, 5, v6
	s_wait_kmcnt 0x0
	s_lshl_b64 s[0:1], s[14:15], 2
	s_lshl_b64 s[14:15], s[28:29], 2
	;; [unrolled: 1-line block ×3, first 2 shown]
	s_ashr_i32 s3, s6, 31
	s_cmp_eq_u32 s2, 0
	s_mov_b32 s2, s6
	s_cselect_b32 s7, ttmp9, s7
	s_mov_b32 s28, s36
	s_lshl_b32 s42, s7, 7
	s_delay_alu instid0(SALU_CYCLE_1)
	v_dual_mov_b32 v1, 0 :: v_dual_add_nc_u32 v0, s42, v4
	v_add_nc_u32_e32 v30, s42, v6
	s_ashr_i32 s29, s36, 31
	s_add_nc_u64 s[12:13], s[12:13], s[0:1]
	s_ashr_i32 s0, s37, 31
	v_mul_u64_e32 v[2:3], s[2:3], v[0:1]
	v_cmp_gt_i64_e32 vcc_lo, s[28:29], v[0:1]
	v_dual_lshlrev_b32 v0, 2, v5 :: v_dual_add_nc_u32 v7, 32, v30
	v_add_nc_u32_e32 v8, 64, v30
	s_lshr_b32 s0, s0, 26
	v_mul_lo_u32 v13, v5, s30
	s_add_co_i32 s43, s37, s0
	v_cmp_gt_i32_e64 s2, s36, v7
	v_add_nc_u32_e32 v7, 0x60, v30
	v_cmp_gt_i32_e64 s3, s36, v8
	v_dual_lshlrev_b32 v8, 2, v6 :: v_dual_bitop2_b32 v9, s42, v4 bitop3:0x54
	s_and_not1_b32 s43, s43, 63
	s_add_nc_u64 s[22:23], s[22:23], s[4:5]
	s_sub_co_i32 s4, s37, s43
	v_cmp_gt_u32_e64 s5, 0x80, v4
	s_cmp_gt_i32 s4, 0
	v_cmp_gt_i32_e64 s4, s36, v7
	v_mul_lo_u32 v4, s6, v9
	v_dual_lshlrev_b32 v40, 2, v13 :: v_dual_bitop2_b32 v7, 2, v0 bitop3:0x54
	v_or_b32_e32 v10, 3, v0
	v_mul_lo_u32 v11, s33, v0
	v_mul_lo_u32 v12, v5, s33
	s_delay_alu instid0(VALU_DEP_4)
	v_mad_u32 v32, s33, v7, v6
	v_mul_lo_u32 v34, s30, v7
	v_mad_u32 v33, s33, v10, v6
	v_mad_u32 v35, s30, v0, s30
	v_mul_lo_u32 v36, s30, v10
	v_cmp_gt_i32_e64 s0, s43, v0
	v_cmp_gt_i32_e64 s1, s36, v30
	v_lshl_add_u32 v31, v5, 9, v8
	v_lshl_add_u32 v37, v5, 7, v8
	v_cmp_gt_i32_e64 s6, s36, v9
	v_ashrrev_i32_e32 v5, 31, v4
	v_add3_u32 v38, v11, s33, v6
	v_lshl_add_u32 v39, v12, 2, v6
	s_add_nc_u64 s[14:15], s[26:27], s[14:15]
	s_cselect_b32 s44, -1, 0
	s_and_b32 s36, s5, vcc_lo
	s_lshl_b32 s45, s33, 6
	s_lshl_b32 s46, s30, 6
	s_branch .LBB10_5
.LBB10_3:                               ;   in Loop: Header=BB10_5 Depth=1
	s_wait_xcnt 0x0
	s_or_b32 exec_lo, exec_lo, s7
.LBB10_4:                               ;   in Loop: Header=BB10_5 Depth=1
	s_add_co_i32 s34, s34, 0x10000
	s_delay_alu instid0(SALU_CYCLE_1)
	s_cmp_lt_u32 s34, s31
	s_cbranch_scc0 .LBB10_53
.LBB10_5:                               ; =>This Loop Header: Depth=1
                                        ;     Child Loop BB10_21 Depth 2
	s_wait_xcnt 0x1
	s_mul_u64 s[26:27], s[10:11], s[34:35]
	s_wait_xcnt 0x0
	s_mul_u64 s[28:29], s[20:21], s[34:35]
	s_lshl_b64 s[26:27], s[26:27], 2
	s_lshl_b64 s[28:29], s[28:29], 2
	s_add_nc_u64 s[26:27], s[8:9], s[26:27]
	s_add_nc_u64 s[28:29], s[18:19], s[28:29]
	s_clause 0x1
	global_load_b32 v41, v1, s[26:27]
	global_load_b32 v6, v1, s[28:29]
	s_wait_loadcnt 0x1
	v_cmp_eq_f32_e32 vcc_lo, 0, v41
	s_wait_loadcnt 0x0
	v_cmp_eq_f32_e64 s7, 1.0, v6
	v_readfirstlane_b32 s48, v6
	s_and_b32 s7, vcc_lo, s7
	s_delay_alu instid0(SALU_CYCLE_1)
	s_and_b32 vcc_lo, exec_lo, s7
	s_cbranch_vccnz .LBB10_4
; %bb.6:                                ;   in Loop: Header=BB10_5 Depth=1
	v_cmp_neq_f32_e32 vcc_lo, 0, v41
	s_wait_xcnt 0x1
	s_mul_u64 s[26:27], s[38:39], s[34:35]
	s_delay_alu instid0(SALU_CYCLE_1) | instskip(NEXT) | instid1(SALU_CYCLE_1)
	s_lshl_b64 s[26:27], s[26:27], 2
	s_add_nc_u64 s[26:27], s[22:23], s[26:27]
	s_cbranch_vccnz .LBB10_10
; %bb.7:                                ;   in Loop: Header=BB10_5 Depth=1
	s_mov_b32 s7, 0
	s_mov_b32 s47, 0
                                        ; implicit-def: $vgpr8
	s_wait_xcnt 0x0
	s_and_saveexec_b32 s28, s36
	s_cbranch_execz .LBB10_11
; %bb.8:                                ;   in Loop: Header=BB10_5 Depth=1
	s_cmp_eq_f32 s48, 0
	s_cbranch_scc1 .LBB10_13
; %bb.9:                                ;   in Loop: Header=BB10_5 Depth=1
	v_lshl_add_u64 v[6:7], v[2:3], 2, s[26:27]
	global_load_b32 v6, v[6:7], off
	s_wait_loadcnt 0x0
	v_mul_f32_e32 v8, s48, v6
	s_branch .LBB10_14
.LBB10_10:                              ;   in Loop: Header=BB10_5 Depth=1
	s_mov_b32 s47, 0
                                        ; implicit-def: $vgpr8
	s_cbranch_execz .LBB10_12
	s_branch .LBB10_15
.LBB10_11:                              ;   in Loop: Header=BB10_5 Depth=1
	s_or_b32 exec_lo, exec_lo, s28
	s_delay_alu instid0(SALU_CYCLE_1)
	s_and_b32 vcc_lo, exec_lo, s7
	s_cbranch_vccnz .LBB10_15
.LBB10_12:                              ;   in Loop: Header=BB10_5 Depth=1
	v_mov_b64_e32 v[6:7], v[2:3]
	s_wait_xcnt 0x0
	s_and_saveexec_b32 s7, s47
	s_cbranch_execz .LBB10_3
	s_branch .LBB10_52
.LBB10_13:                              ;   in Loop: Header=BB10_5 Depth=1
	v_mov_b32_e32 v8, 0
.LBB10_14:                              ;   in Loop: Header=BB10_5 Depth=1
	s_mov_b32 s47, exec_lo
	s_wait_xcnt 0x0
	s_or_b32 exec_lo, exec_lo, s28
	s_delay_alu instid0(SALU_CYCLE_1)
	s_and_b32 vcc_lo, exec_lo, s7
	s_cbranch_vccz .LBB10_12
.LBB10_15:                              ;   in Loop: Header=BB10_5 Depth=1
	s_wait_xcnt 0x0
	s_mul_u64 s[28:29], s[24:25], s[34:35]
	s_mul_u64 s[40:41], s[16:17], s[34:35]
	v_dual_mov_b32 v42, 0 :: v_dual_mov_b32 v46, v0
	v_dual_mov_b32 v43, 0 :: v_dual_mov_b32 v44, 0
	v_mov_b32_e32 v45, 0
	s_lshl_b64 s[28:29], s[28:29], 2
	s_lshl_b64 s[40:41], s[40:41], 2
	s_add_nc_u64 s[28:29], s[12:13], s[28:29]
	s_add_nc_u64 s[40:41], s[14:15], s[40:41]
	s_and_saveexec_b32 s7, s0
	s_cbranch_execz .LBB10_27
; %bb.16:                               ;   in Loop: Header=BB10_5 Depth=1
	v_dual_mov_b32 v42, 0 :: v_dual_mov_b32 v47, v39
	v_dual_mov_b32 v48, v33 :: v_dual_mov_b32 v49, v32
	;; [unrolled: 1-line block ×4, first 2 shown]
	v_mov_b32_e32 v45, 0
	s_mov_b32 s49, 0
	s_mov_b32 s50, 0
	s_branch .LBB10_21
.LBB10_17:                              ;   in Loop: Header=BB10_21 Depth=2
	s_or_b32 exec_lo, exec_lo, s54
	s_wait_loadcnt 0x2
	v_pk_mul_f32 v[20:21], v[10:11], v[22:23]
	s_wait_loadcnt 0x0
	v_pk_mul_f32 v[18:19], v[6:7], v[18:19]
	s_delay_alu instid0(VALU_DEP_2) | instskip(NEXT) | instid1(VALU_DEP_1)
	v_add_f32_e32 v20, v44, v20
	v_add_f32_e32 v20, v20, v21
	s_delay_alu instid0(VALU_DEP_1) | instskip(NEXT) | instid1(VALU_DEP_1)
	v_add_f32_e32 v18, v20, v18
	v_add_f32_e32 v44, v18, v19
.LBB10_18:                              ;   in Loop: Header=BB10_21 Depth=2
	s_or_b32 exec_lo, exec_lo, s53
	s_wait_loadcnt 0x2
	v_pk_mul_f32 v[16:17], v[10:11], v[16:17]
	s_wait_loadcnt 0x0
	v_pk_mul_f32 v[14:15], v[6:7], v[14:15]
	s_delay_alu instid0(VALU_DEP_2) | instskip(NEXT) | instid1(VALU_DEP_1)
	v_add_f32_e32 v16, v43, v16
	v_add_f32_e32 v16, v16, v17
	s_delay_alu instid0(VALU_DEP_1) | instskip(NEXT) | instid1(VALU_DEP_1)
	v_add_f32_e32 v14, v16, v14
	v_add_f32_e32 v43, v14, v15
.LBB10_19:                              ;   in Loop: Header=BB10_21 Depth=2
	s_or_b32 exec_lo, exec_lo, s52
	s_wait_loadcnt 0x2
	v_pk_mul_f32 v[10:11], v[10:11], v[12:13]
	s_wait_loadcnt 0x0
	v_pk_mul_f32 v[6:7], v[6:7], v[8:9]
	s_delay_alu instid0(VALU_DEP_2) | instskip(NEXT) | instid1(VALU_DEP_1)
	v_add_f32_e32 v10, v42, v10
	v_add_f32_e32 v10, v10, v11
	s_delay_alu instid0(VALU_DEP_1) | instskip(NEXT) | instid1(VALU_DEP_1)
	v_add_f32_e32 v6, v10, v6
	v_add_f32_e32 v42, v6, v7
.LBB10_20:                              ;   in Loop: Header=BB10_21 Depth=2
	s_or_b32 exec_lo, exec_lo, s51
	v_dual_add_nc_u32 v46, 64, v46 :: v_dual_add_nc_u32 v49, s45, v49
	v_dual_add_nc_u32 v50, s45, v50 :: v_dual_add_nc_u32 v48, s45, v48
	v_add_nc_u32_e32 v47, s45, v47
	s_delay_alu instid0(VALU_DEP_3) | instskip(SKIP_2) | instid1(SALU_CYCLE_1)
	v_cmp_le_i32_e32 vcc_lo, s43, v46
	s_add_co_i32 s50, s50, s46
	s_or_b32 s49, vcc_lo, s49
	s_and_not1_b32 exec_lo, exec_lo, s49
	s_cbranch_execz .LBB10_26
.LBB10_21:                              ;   Parent Loop BB10_5 Depth=1
                                        ; =>  This Inner Loop Header: Depth=2
	s_and_saveexec_b32 s51, s1
	s_cbranch_execz .LBB10_20
; %bb.22:                               ;   in Loop: Header=BB10_21 Depth=2
	v_dual_add_nc_u32 v15, s50, v36 :: v_dual_add_nc_u32 v17, s50, v34
	v_dual_add_nc_u32 v19, s50, v35 :: v_dual_add_nc_u32 v21, s50, v40
	;; [unrolled: 1-line block ×4, first 2 shown]
	s_clause 0x3
	global_load_b32 v7, v15, s[40:41] scale_offset
	global_load_b32 v6, v17, s[40:41] scale_offset
	global_load_b32 v11, v19, s[40:41] scale_offset
	global_load_b32 v10, v21, s[40:41] scale_offset
	s_clause 0x3
	global_load_b32 v12, v14, s[28:29] scale_offset
	global_load_b32 v13, v16, s[28:29] scale_offset
	;; [unrolled: 1-line block ×4, first 2 shown]
	s_wait_xcnt 0x0
	s_and_saveexec_b32 s52, s2
	s_cbranch_execz .LBB10_19
; %bb.23:                               ;   in Loop: Header=BB10_21 Depth=2
	v_dual_ashrrev_i32 v15, 31, v14 :: v_dual_ashrrev_i32 v17, 31, v16
	v_dual_ashrrev_i32 v21, 31, v20 :: v_dual_ashrrev_i32 v19, 31, v18
	s_delay_alu instid0(VALU_DEP_2) | instskip(NEXT) | instid1(VALU_DEP_3)
	v_lshl_add_u64 v[26:27], v[14:15], 2, s[28:29]
	v_lshl_add_u64 v[28:29], v[16:17], 2, s[28:29]
	s_delay_alu instid0(VALU_DEP_3) | instskip(NEXT) | instid1(VALU_DEP_4)
	v_lshl_add_u64 v[20:21], v[20:21], 2, s[28:29]
	v_lshl_add_u64 v[24:25], v[18:19], 2, s[28:29]
	s_clause 0x3
	global_load_b32 v16, v[26:27], off offset:128
	global_load_b32 v17, v[28:29], off offset:128
	;; [unrolled: 1-line block ×4, first 2 shown]
	s_wait_xcnt 0x0
	s_and_saveexec_b32 s53, s3
	s_cbranch_execz .LBB10_18
; %bb.24:                               ;   in Loop: Header=BB10_21 Depth=2
	s_clause 0x3
	global_load_b32 v22, v[26:27], off offset:256
	global_load_b32 v23, v[28:29], off offset:256
	;; [unrolled: 1-line block ×4, first 2 shown]
	s_wait_xcnt 0x0
	s_and_saveexec_b32 s54, s4
	s_cbranch_execz .LBB10_17
; %bb.25:                               ;   in Loop: Header=BB10_21 Depth=2
	s_clause 0x3
	global_load_b32 v26, v[26:27], off offset:384
	global_load_b32 v27, v[28:29], off offset:384
	;; [unrolled: 1-line block ×4, first 2 shown]
	s_wait_loadcnt 0x2
	s_wait_xcnt 0x0
	v_pk_mul_f32 v[24:25], v[10:11], v[26:27]
	s_wait_loadcnt 0x0
	v_pk_mul_f32 v[20:21], v[6:7], v[20:21]
	s_delay_alu instid0(VALU_DEP_2) | instskip(NEXT) | instid1(VALU_DEP_1)
	v_add_f32_e32 v24, v45, v24
	v_add_f32_e32 v24, v24, v25
	s_delay_alu instid0(VALU_DEP_1) | instskip(NEXT) | instid1(VALU_DEP_1)
	v_add_f32_e32 v20, v24, v20
	v_add_f32_e32 v45, v20, v21
	s_branch .LBB10_17
.LBB10_26:                              ;   in Loop: Header=BB10_5 Depth=1
	s_or_b32 exec_lo, exec_lo, s49
.LBB10_27:                              ;   in Loop: Header=BB10_5 Depth=1
	s_delay_alu instid0(SALU_CYCLE_1) | instskip(NEXT) | instid1(SALU_CYCLE_1)
	s_or_b32 exec_lo, exec_lo, s7
	s_and_not1_b32 vcc_lo, exec_lo, s44
	s_cbranch_vccnz .LBB10_45
; %bb.28:                               ;   in Loop: Header=BB10_5 Depth=1
	v_dual_mov_b32 v8, 0 :: v_dual_bitop2_b32 v10, 1, v46 bitop3:0x54
	v_cmp_gt_i32_e32 vcc_lo, s37, v46
	s_delay_alu instid0(VALU_DEP_2)
	v_dual_mov_b32 v9, v8 :: v_dual_mov_b32 v6, v8
	v_mov_b32_e32 v7, v8
	s_and_saveexec_b32 s49, vcc_lo
	s_cbranch_execz .LBB10_36
; %bb.29:                               ;   in Loop: Header=BB10_5 Depth=1
	v_mul_lo_u32 v6, v46, s30
	v_dual_mov_b32 v7, 0 :: v_dual_mov_b32 v9, 0
	v_mov_b32_e32 v8, 0
	s_mov_b32 s50, exec_lo
	global_load_b32 v6, v6, s[40:41] scale_offset
	s_wait_xcnt 0x0
	v_cmpx_gt_i32_e64 s37, v10
	s_cbranch_execz .LBB10_35
; %bb.30:                               ;   in Loop: Header=BB10_5 Depth=1
	v_mul_lo_u32 v7, v10, s30
	v_dual_mov_b32 v9, 0 :: v_dual_bitop2_b32 v11, 2, v46 bitop3:0x54
	v_mov_b32_e32 v8, 0
	s_mov_b32 s51, exec_lo
	global_load_b32 v7, v7, s[40:41] scale_offset
	s_wait_xcnt 0x0
	v_cmpx_gt_i32_e64 s37, v11
	s_cbranch_execz .LBB10_34
; %bb.31:                               ;   in Loop: Header=BB10_5 Depth=1
	v_mul_lo_u32 v8, v11, s30
	v_dual_mov_b32 v9, 0 :: v_dual_bitop2_b32 v11, 3, v46 bitop3:0x54
	s_mov_b32 s52, exec_lo
	global_load_b32 v8, v8, s[40:41] scale_offset
	s_wait_xcnt 0x0
	v_cmpx_gt_i32_e64 s37, v11
	s_cbranch_execz .LBB10_33
; %bb.32:                               ;   in Loop: Header=BB10_5 Depth=1
	v_mul_lo_u32 v9, v11, s30
	global_load_b32 v9, v9, s[40:41] scale_offset
.LBB10_33:                              ;   in Loop: Header=BB10_5 Depth=1
	s_wait_xcnt 0x0
	s_or_b32 exec_lo, exec_lo, s52
.LBB10_34:                              ;   in Loop: Header=BB10_5 Depth=1
	s_delay_alu instid0(SALU_CYCLE_1)
	s_or_b32 exec_lo, exec_lo, s51
.LBB10_35:                              ;   in Loop: Header=BB10_5 Depth=1
	s_delay_alu instid0(SALU_CYCLE_1)
	s_or_b32 exec_lo, exec_lo, s50
.LBB10_36:                              ;   in Loop: Header=BB10_5 Depth=1
	s_delay_alu instid0(SALU_CYCLE_1)
	s_or_b32 exec_lo, exec_lo, s49
	s_and_saveexec_b32 s7, s1
	s_cbranch_execz .LBB10_44
; %bb.37:                               ;   in Loop: Header=BB10_5 Depth=1
	v_mul_lo_u32 v12, v46, s33
	v_or_b32_e32 v11, 2, v46
	v_mul_lo_u32 v14, v10, s33
	s_delay_alu instid0(VALU_DEP_3) | instskip(NEXT) | instid1(VALU_DEP_3)
	v_cndmask_b32_e32 v12, 0, v12, vcc_lo
	v_mul_lo_u32 v15, v11, s33
	v_cmp_gt_i32_e32 vcc_lo, s37, v10
	s_delay_alu instid0(VALU_DEP_4) | instskip(SKIP_1) | instid1(VALU_DEP_4)
	v_cndmask_b32_e32 v10, 0, v14, vcc_lo
	v_cmp_gt_i32_e32 vcc_lo, s37, v11
	v_dual_cndmask_b32 v11, 0, v15, vcc_lo :: v_dual_bitop2_b32 v13, 3, v46 bitop3:0x54
	s_delay_alu instid0(VALU_DEP_1) | instskip(SKIP_1) | instid1(VALU_DEP_2)
	v_mul_lo_u32 v16, v13, s33
	v_cmp_gt_i32_e32 vcc_lo, s37, v13
	v_dual_cndmask_b32 v13, 0, v16 :: v_dual_add_nc_u32 v16, v12, v30
	s_delay_alu instid0(VALU_DEP_4) | instskip(NEXT) | instid1(VALU_DEP_2)
	v_dual_add_nc_u32 v20, v10, v30 :: v_dual_add_nc_u32 v24, v11, v30
	v_add_nc_u32_e32 v14, v13, v30
	s_clause 0x3
	global_load_b32 v12, v16, s[28:29] scale_offset
	global_load_b32 v13, v20, s[28:29] scale_offset
	global_load_b32 v10, v24, s[28:29] scale_offset
	global_load_b32 v11, v14, s[28:29] scale_offset
	s_wait_xcnt 0x0
	s_and_saveexec_b32 s40, s2
	s_cbranch_execz .LBB10_43
; %bb.38:                               ;   in Loop: Header=BB10_5 Depth=1
	v_dual_ashrrev_i32 v17, 31, v16 :: v_dual_ashrrev_i32 v15, 31, v14
	v_ashrrev_i32_e32 v21, 31, v20
	v_ashrrev_i32_e32 v25, 31, v24
	s_delay_alu instid0(VALU_DEP_3) | instskip(NEXT) | instid1(VALU_DEP_4)
	v_lshl_add_u64 v[18:19], v[16:17], 2, s[28:29]
	v_lshl_add_u64 v[28:29], v[14:15], 2, s[28:29]
	s_delay_alu instid0(VALU_DEP_4) | instskip(NEXT) | instid1(VALU_DEP_4)
	v_lshl_add_u64 v[22:23], v[20:21], 2, s[28:29]
	v_lshl_add_u64 v[24:25], v[24:25], 2, s[28:29]
	s_clause 0x3
	global_load_b32 v16, v[18:19], off offset:128
	global_load_b32 v17, v[22:23], off offset:128
	;; [unrolled: 1-line block ×4, first 2 shown]
	s_wait_xcnt 0x0
	s_and_saveexec_b32 s28, s3
	s_cbranch_execz .LBB10_42
; %bb.39:                               ;   in Loop: Header=BB10_5 Depth=1
	s_clause 0x3
	global_load_b32 v26, v[18:19], off offset:256
	global_load_b32 v27, v[22:23], off offset:256
	;; [unrolled: 1-line block ×4, first 2 shown]
	s_wait_xcnt 0x0
	s_and_saveexec_b32 s29, s4
	s_cbranch_execz .LBB10_41
; %bb.40:                               ;   in Loop: Header=BB10_5 Depth=1
	s_clause 0x3
	global_load_b32 v46, v[18:19], off offset:384
	global_load_b32 v47, v[22:23], off offset:384
	;; [unrolled: 1-line block ×4, first 2 shown]
	s_wait_loadcnt 0x2
	s_wait_xcnt 0x3
	v_pk_mul_f32 v[18:19], v[6:7], v[46:47]
	s_delay_alu instid0(VALU_DEP_1) | instskip(SKIP_1) | instid1(VALU_DEP_1)
	v_add_f32_e32 v18, v45, v18
	s_wait_xcnt 0x2
	v_add_f32_e32 v22, v18, v19
	s_wait_loadcnt 0x0
	v_pk_mul_f32 v[18:19], v[8:9], v[48:49]
	s_delay_alu instid0(VALU_DEP_1) | instskip(NEXT) | instid1(VALU_DEP_1)
	v_add_f32_e32 v18, v22, v18
	v_add_f32_e32 v45, v18, v19
.LBB10_41:                              ;   in Loop: Header=BB10_5 Depth=1
	s_wait_xcnt 0x0
	s_or_b32 exec_lo, exec_lo, s29
	s_wait_loadcnt 0x2
	v_pk_mul_f32 v[18:19], v[6:7], v[26:27]
	s_delay_alu instid0(VALU_DEP_1) | instskip(NEXT) | instid1(VALU_DEP_1)
	v_add_f32_e32 v18, v44, v18
	v_add_f32_e32 v22, v18, v19
	s_wait_loadcnt 0x0
	v_pk_mul_f32 v[18:19], v[8:9], v[20:21]
	s_delay_alu instid0(VALU_DEP_1) | instskip(NEXT) | instid1(VALU_DEP_1)
	v_add_f32_e32 v18, v22, v18
	v_add_f32_e32 v44, v18, v19
.LBB10_42:                              ;   in Loop: Header=BB10_5 Depth=1
	s_or_b32 exec_lo, exec_lo, s28
	s_wait_loadcnt 0x2
	v_pk_mul_f32 v[16:17], v[6:7], v[16:17]
	s_wait_loadcnt 0x0
	v_pk_mul_f32 v[14:15], v[8:9], v[14:15]
	s_delay_alu instid0(VALU_DEP_2) | instskip(NEXT) | instid1(VALU_DEP_1)
	v_add_f32_e32 v16, v43, v16
	v_add_f32_e32 v16, v16, v17
	s_delay_alu instid0(VALU_DEP_1) | instskip(NEXT) | instid1(VALU_DEP_1)
	v_add_f32_e32 v14, v16, v14
	v_add_f32_e32 v43, v14, v15
.LBB10_43:                              ;   in Loop: Header=BB10_5 Depth=1
	s_or_b32 exec_lo, exec_lo, s40
	s_wait_loadcnt 0x2
	v_pk_mul_f32 v[6:7], v[6:7], v[12:13]
	s_delay_alu instid0(VALU_DEP_1) | instskip(NEXT) | instid1(VALU_DEP_1)
	v_add_f32_e32 v6, v42, v6
	v_add_f32_e32 v12, v6, v7
	s_wait_loadcnt 0x0
	v_pk_mul_f32 v[6:7], v[8:9], v[10:11]
	s_delay_alu instid0(VALU_DEP_1) | instskip(NEXT) | instid1(VALU_DEP_1)
	v_add_f32_e32 v6, v12, v6
	v_add_f32_e32 v42, v6, v7
.LBB10_44:                              ;   in Loop: Header=BB10_5 Depth=1
	s_or_b32 exec_lo, exec_lo, s7
.LBB10_45:                              ;   in Loop: Header=BB10_5 Depth=1
	ds_store_2addr_b32 v31, v42, v43 offset1:32
	ds_store_2addr_b32 v31, v44, v45 offset0:64 offset1:96
	s_wait_loadcnt_dscnt 0x0
	s_barrier_signal -1
	s_barrier_wait -1
                                        ; implicit-def: $vgpr8
	s_and_saveexec_b32 s7, s5
	s_cbranch_execz .LBB10_51
; %bb.46:                               ;   in Loop: Header=BB10_5 Depth=1
	ds_load_2addr_stride64_b32 v[6:7], v37 offset1:2
	ds_load_2addr_stride64_b32 v[8:9], v37 offset0:4 offset1:6
	ds_load_2addr_stride64_b32 v[10:11], v37 offset0:8 offset1:10
	s_mov_b32 s29, s47
	s_wait_dscnt 0x2
	v_add_f32_e32 v12, v6, v7
	ds_load_2addr_stride64_b32 v[6:7], v37 offset0:12 offset1:14
	s_wait_dscnt 0x2
	v_add_f32_e32 v8, v8, v12
	s_delay_alu instid0(VALU_DEP_1) | instskip(SKIP_3) | instid1(VALU_DEP_1)
	v_add_f32_e32 v12, v9, v8
	ds_load_2addr_stride64_b32 v[8:9], v37 offset0:16 offset1:18
	s_wait_dscnt 0x2
	v_add_f32_e32 v10, v10, v12
	v_add_f32_e32 v12, v11, v10
	ds_load_2addr_stride64_b32 v[10:11], v37 offset0:20 offset1:22
	s_wait_dscnt 0x2
	v_add_f32_e32 v6, v6, v12
	s_delay_alu instid0(VALU_DEP_1) | instskip(SKIP_1) | instid1(VALU_DEP_1)
	v_add_f32_e32 v6, v7, v6
	s_wait_dscnt 0x1
	v_add_f32_e32 v8, v8, v6
	ds_load_2addr_stride64_b32 v[6:7], v37 offset0:24 offset1:26
	v_add_f32_e32 v8, v9, v8
	s_wait_dscnt 0x1
	s_delay_alu instid0(VALU_DEP_1) | instskip(SKIP_3) | instid1(VALU_DEP_1)
	v_add_f32_e32 v10, v10, v8
	ds_load_2addr_stride64_b32 v[8:9], v37 offset0:28 offset1:30
	v_add_f32_e32 v10, v11, v10
	s_wait_dscnt 0x1
	v_add_f32_e32 v6, v6, v10
	s_delay_alu instid0(VALU_DEP_1) | instskip(SKIP_1) | instid1(VALU_DEP_1)
	v_add_f32_e32 v6, v7, v6
	s_wait_dscnt 0x0
	v_add_f32_e32 v6, v8, v6
                                        ; implicit-def: $vgpr8
	s_delay_alu instid0(VALU_DEP_1)
	v_add_f32_e32 v6, v9, v6
	ds_store_b32 v37, v6
	s_and_saveexec_b32 s28, s6
	s_cbranch_execz .LBB10_50
; %bb.47:                               ;   in Loop: Header=BB10_5 Depth=1
	v_mul_f32_e32 v8, v41, v6
	s_cmp_eq_f32 s48, 0
	s_cbranch_scc1 .LBB10_49
; %bb.48:                               ;   in Loop: Header=BB10_5 Depth=1
	v_lshl_add_u64 v[6:7], v[4:5], 2, s[26:27]
	global_load_b32 v6, v[6:7], off
	s_wait_loadcnt 0x0
	v_fmac_f32_e32 v8, s48, v6
.LBB10_49:                              ;   in Loop: Header=BB10_5 Depth=1
	s_or_b32 s29, s47, exec_lo
.LBB10_50:                              ;   in Loop: Header=BB10_5 Depth=1
	s_wait_xcnt 0x0
	s_or_b32 exec_lo, exec_lo, s28
	s_delay_alu instid0(SALU_CYCLE_1) | instskip(SKIP_1) | instid1(SALU_CYCLE_1)
	s_and_not1_b32 s28, s47, exec_lo
	s_and_b32 s29, s29, exec_lo
	s_or_b32 s47, s28, s29
.LBB10_51:                              ;   in Loop: Header=BB10_5 Depth=1
	s_or_b32 exec_lo, exec_lo, s7
	v_mov_b64_e32 v[6:7], v[4:5]
	s_and_saveexec_b32 s7, s47
	s_cbranch_execz .LBB10_3
.LBB10_52:                              ;   in Loop: Header=BB10_5 Depth=1
	s_delay_alu instid0(VALU_DEP_1)
	v_lshl_add_u64 v[6:7], v[6:7], 2, s[26:27]
	global_store_b32 v[6:7], v8, off
	s_branch .LBB10_3
.LBB10_53:
	s_endpgm
	.section	.rodata,"a",@progbits
	.p2align	6, 0x0
	.amdhsa_kernel _ZL20rocblas_gemvn_kernelILi32ELi16EifPKffEviiT3_lPKT2_lT1_lS5_lS6_lS2_lPT4_lS6_li
		.amdhsa_group_segment_fixed_size 8192
		.amdhsa_private_segment_fixed_size 0
		.amdhsa_kernarg_size 400
		.amdhsa_user_sgpr_count 2
		.amdhsa_user_sgpr_dispatch_ptr 0
		.amdhsa_user_sgpr_queue_ptr 0
		.amdhsa_user_sgpr_kernarg_segment_ptr 1
		.amdhsa_user_sgpr_dispatch_id 0
		.amdhsa_user_sgpr_kernarg_preload_length 0
		.amdhsa_user_sgpr_kernarg_preload_offset 0
		.amdhsa_user_sgpr_private_segment_size 0
		.amdhsa_wavefront_size32 1
		.amdhsa_uses_dynamic_stack 0
		.amdhsa_enable_private_segment 0
		.amdhsa_system_sgpr_workgroup_id_x 1
		.amdhsa_system_sgpr_workgroup_id_y 0
		.amdhsa_system_sgpr_workgroup_id_z 1
		.amdhsa_system_sgpr_workgroup_info 0
		.amdhsa_system_vgpr_workitem_id 1
		.amdhsa_next_free_vgpr 51
		.amdhsa_next_free_sgpr 55
		.amdhsa_named_barrier_count 0
		.amdhsa_reserve_vcc 1
		.amdhsa_float_round_mode_32 0
		.amdhsa_float_round_mode_16_64 0
		.amdhsa_float_denorm_mode_32 3
		.amdhsa_float_denorm_mode_16_64 3
		.amdhsa_fp16_overflow 0
		.amdhsa_memory_ordered 1
		.amdhsa_forward_progress 1
		.amdhsa_inst_pref_size 24
		.amdhsa_round_robin_scheduling 0
		.amdhsa_exception_fp_ieee_invalid_op 0
		.amdhsa_exception_fp_denorm_src 0
		.amdhsa_exception_fp_ieee_div_zero 0
		.amdhsa_exception_fp_ieee_overflow 0
		.amdhsa_exception_fp_ieee_underflow 0
		.amdhsa_exception_fp_ieee_inexact 0
		.amdhsa_exception_int_div_zero 0
	.end_amdhsa_kernel
	.section	.text._ZL20rocblas_gemvn_kernelILi32ELi16EifPKffEviiT3_lPKT2_lT1_lS5_lS6_lS2_lPT4_lS6_li,"axG",@progbits,_ZL20rocblas_gemvn_kernelILi32ELi16EifPKffEviiT3_lPKT2_lT1_lS5_lS6_lS2_lPT4_lS6_li,comdat
.Lfunc_end10:
	.size	_ZL20rocblas_gemvn_kernelILi32ELi16EifPKffEviiT3_lPKT2_lT1_lS5_lS6_lS2_lPT4_lS6_li, .Lfunc_end10-_ZL20rocblas_gemvn_kernelILi32ELi16EifPKffEviiT3_lPKT2_lT1_lS5_lS6_lS2_lPT4_lS6_li
                                        ; -- End function
	.set _ZL20rocblas_gemvn_kernelILi32ELi16EifPKffEviiT3_lPKT2_lT1_lS5_lS6_lS2_lPT4_lS6_li.num_vgpr, 51
	.set _ZL20rocblas_gemvn_kernelILi32ELi16EifPKffEviiT3_lPKT2_lT1_lS5_lS6_lS2_lPT4_lS6_li.num_agpr, 0
	.set _ZL20rocblas_gemvn_kernelILi32ELi16EifPKffEviiT3_lPKT2_lT1_lS5_lS6_lS2_lPT4_lS6_li.numbered_sgpr, 55
	.set _ZL20rocblas_gemvn_kernelILi32ELi16EifPKffEviiT3_lPKT2_lT1_lS5_lS6_lS2_lPT4_lS6_li.num_named_barrier, 0
	.set _ZL20rocblas_gemvn_kernelILi32ELi16EifPKffEviiT3_lPKT2_lT1_lS5_lS6_lS2_lPT4_lS6_li.private_seg_size, 0
	.set _ZL20rocblas_gemvn_kernelILi32ELi16EifPKffEviiT3_lPKT2_lT1_lS5_lS6_lS2_lPT4_lS6_li.uses_vcc, 1
	.set _ZL20rocblas_gemvn_kernelILi32ELi16EifPKffEviiT3_lPKT2_lT1_lS5_lS6_lS2_lPT4_lS6_li.uses_flat_scratch, 0
	.set _ZL20rocblas_gemvn_kernelILi32ELi16EifPKffEviiT3_lPKT2_lT1_lS5_lS6_lS2_lPT4_lS6_li.has_dyn_sized_stack, 0
	.set _ZL20rocblas_gemvn_kernelILi32ELi16EifPKffEviiT3_lPKT2_lT1_lS5_lS6_lS2_lPT4_lS6_li.has_recursion, 0
	.set _ZL20rocblas_gemvn_kernelILi32ELi16EifPKffEviiT3_lPKT2_lT1_lS5_lS6_lS2_lPT4_lS6_li.has_indirect_call, 0
	.section	.AMDGPU.csdata,"",@progbits
; Kernel info:
; codeLenInByte = 2948
; TotalNumSgprs: 57
; NumVgprs: 51
; ScratchSize: 0
; MemoryBound: 0
; FloatMode: 240
; IeeeMode: 1
; LDSByteSize: 8192 bytes/workgroup (compile time only)
; SGPRBlocks: 0
; VGPRBlocks: 3
; NumSGPRsForWavesPerEU: 57
; NumVGPRsForWavesPerEU: 51
; NamedBarCnt: 0
; Occupancy: 16
; WaveLimiterHint : 1
; COMPUTE_PGM_RSRC2:SCRATCH_EN: 0
; COMPUTE_PGM_RSRC2:USER_SGPR: 2
; COMPUTE_PGM_RSRC2:TRAP_HANDLER: 0
; COMPUTE_PGM_RSRC2:TGID_X_EN: 1
; COMPUTE_PGM_RSRC2:TGID_Y_EN: 0
; COMPUTE_PGM_RSRC2:TGID_Z_EN: 1
; COMPUTE_PGM_RSRC2:TIDIG_COMP_CNT: 1
	.section	.text._ZL20rocblas_gemvn_kernelILi32ELi16ElfPKffEviiT3_lPKT2_lT1_lS5_lS6_lS2_lPT4_lS6_li,"axG",@progbits,_ZL20rocblas_gemvn_kernelILi32ELi16ElfPKffEviiT3_lPKT2_lT1_lS5_lS6_lS2_lPT4_lS6_li,comdat
	.globl	_ZL20rocblas_gemvn_kernelILi32ELi16ElfPKffEviiT3_lPKT2_lT1_lS5_lS6_lS2_lPT4_lS6_li ; -- Begin function _ZL20rocblas_gemvn_kernelILi32ELi16ElfPKffEviiT3_lPKT2_lT1_lS5_lS6_lS2_lPT4_lS6_li
	.p2align	8
	.type	_ZL20rocblas_gemvn_kernelILi32ELi16ElfPKffEviiT3_lPKT2_lT1_lS5_lS6_lS2_lPT4_lS6_li,@function
_ZL20rocblas_gemvn_kernelILi32ELi16ElfPKffEviiT3_lPKT2_lT1_lS5_lS6_lS2_lPT4_lS6_li: ; @_ZL20rocblas_gemvn_kernelILi32ELi16ElfPKffEviiT3_lPKT2_lT1_lS5_lS6_lS2_lPT4_lS6_li
; %bb.0:
	s_load_b64 s[2:3], s[0:1], 0x9c
	s_wait_kmcnt 0x0
	s_lshr_b32 s4, s2, 16
	s_and_b32 s2, s2, 0xffff
	s_and_b32 s3, s3, 0xffff
	s_mul_i32 s2, s4, s2
	s_delay_alu instid0(SALU_CYCLE_1) | instskip(NEXT) | instid1(SALU_CYCLE_1)
	s_mul_i32 s2, s2, s3
	s_cmp_lg_u32 s2, 0x200
	s_cbranch_scc1 .LBB11_53
; %bb.1:
	s_load_b32 s33, s[0:1], 0x88
	s_bfe_u32 s2, ttmp6, 0x40014
	s_lshr_b32 s3, ttmp7, 16
	s_add_co_i32 s2, s2, 1
	s_bfe_u32 s5, ttmp6, 0x40008
	s_mul_i32 s4, s3, s2
	s_getreg_b32 s2, hwreg(HW_REG_IB_STS2, 6, 4)
	s_add_co_i32 s5, s5, s4
	s_cmp_eq_u32 s2, 0
	s_mov_b32 s11, 0
	s_cselect_b32 s10, s3, s5
	s_wait_kmcnt 0x0
	s_cmp_ge_u32 s10, s33
	s_cbranch_scc1 .LBB11_53
; %bb.2:
	s_clause 0x2
	s_load_b512 s[12:27], s[0:1], 0x8
	s_load_b512 s[36:51], s[0:1], 0x48
	s_load_b64 s[28:29], s[0:1], 0x0
	s_wait_xcnt 0x0
	s_bfe_u32 s0, ttmp6, 0x4000c
	v_and_b32_e32 v24, 0x3ff, v0
	s_add_co_i32 s0, s0, 1
	v_bfe_u32 v4, v0, 10, 10
	s_and_b32 s1, ttmp6, 15
	s_mul_i32 s0, ttmp9, s0
	v_dual_mov_b32 v1, 0 :: v_dual_lshlrev_b32 v2, 2, v24
	s_add_co_i32 s1, s1, s0
	v_lshl_add_u32 v6, v4, 5, v24
	s_delay_alu instid0(VALU_DEP_2) | instskip(NEXT) | instid1(VALU_DEP_3)
	v_dual_mov_b32 v5, v1 :: v_dual_lshlrev_b32 v64, 2, v4
	v_lshl_add_u32 v65, v4, 9, v2
	v_lshl_add_u32 v66, v4, 7, v2
	s_wait_kmcnt 0x0
	s_lshl_b64 s[4:5], s[18:19], 2
	s_lshl_b64 s[18:19], s[26:27], 2
	s_lshl_b64 s[6:7], s[46:47], 2
	s_cmp_eq_u32 s2, 0
	s_mov_b32 s2, s28
	s_cselect_b32 s0, ttmp9, s1
	s_ashr_i32 s3, s28, 31
	s_lshl_b32 s1, s0, 7
	v_cmp_gt_u32_e64 s0, 0x80, v6
	v_dual_add_nc_u32 v0, s1, v6 :: v_dual_bitop2_b32 v6, s1, v6 bitop3:0x54
	v_mul_u64_e32 v[10:11], s[36:37], v[4:5]
	v_mul_u64_e32 v[12:13], s[20:21], v[4:5]
	v_mad_nc_u64_u32 v[8:9], s36, v64, s[36:37]
	s_delay_alu instid0(VALU_DEP_4)
	v_cmp_gt_i64_e32 vcc_lo, s[2:3], v[0:1]
	v_mul_u64_e32 v[2:3], s[48:49], v[0:1]
	v_dual_ashrrev_i32 v7, 31, v6 :: v_dual_bitop2_b32 v0, 3, v64 bitop3:0x54
	v_mad_nc_u64_u32 v[22:23], s20, v64, s[20:21]
	s_ashr_i32 s2, s29, 31
	v_add_nc_u32_e32 v24, s1, v24
	s_delay_alu instid0(VALU_DEP_3)
	v_mul_u64_e32 v[14:15], s[20:21], v[0:1]
	v_mul_u64_e32 v[16:17], s[36:37], v[0:1]
	v_or_b32_e32 v0, 2, v64
	v_mul_u64_e32 v[4:5], s[48:49], v[6:7]
	v_mad_u32 v9, s37, v64, v9
	s_lshr_b32 s2, s2, 26
	v_ashrrev_i32_e32 v25, 31, v24
	v_mul_u64_e32 v[18:19], s[20:21], v[0:1]
	v_mul_u64_e32 v[20:21], s[36:37], v[0:1]
	v_mad_u32 v23, s21, v64, v23
	s_add_co_i32 s52, s29, s2
	v_add_nc_u32_e32 v7, 64, v24
	s_and_not1_b32 s52, s52, 63
	v_add_nc_u32_e32 v0, 32, v24
	v_add_nc_u32_e32 v26, 0x60, v24
	s_sub_co_i32 s3, s29, s52
	s_add_nc_u64 s[16:17], s[16:17], s[4:5]
	s_cmp_gt_i32 s3, 0
	v_cmp_gt_i32_e64 s3, s28, v6
	v_cmp_gt_i32_e64 s5, s28, v7
	v_lshlrev_b64_e32 v[6:7], 2, v[24:25]
	s_add_nc_u64 s[30:31], s[44:45], s[6:7]
	v_cmp_gt_i32_e64 s1, s52, v64
	v_cmp_gt_i32_e64 s2, s28, v24
	;; [unrolled: 1-line block ×4, first 2 shown]
	v_lshl_add_u64 v[8:9], v[8:9], 2, s[24:25]
	v_lshl_add_u64 v[10:11], v[10:11], 4, s[24:25]
	v_lshl_add_u64 v[12:13], v[12:13], 4, s[16:17]
	v_lshl_add_u64 v[22:23], v[22:23], 2, s[16:17]
	s_add_nc_u64 s[26:27], s[24:25], s[18:19]
	s_cselect_b32 s53, -1, 0
	v_lshl_add_u64 v[14:15], v[14:15], 2, s[16:17]
	v_lshl_add_u64 v[16:17], v[16:17], 2, s[24:25]
	s_lshl_b64 s[34:35], s[38:39], 2
	s_and_b32 s28, s0, vcc_lo
	s_lshl_b64 s[44:45], s[22:23], 2
	s_lshl_b64 s[46:47], s[20:21], 8
	v_lshl_add_u64 v[18:19], v[18:19], 2, s[16:17]
	v_lshl_add_u64 v[20:21], v[20:21], 2, s[24:25]
	s_lshl_b64 s[24:25], s[36:37], 8
	s_branch .LBB11_5
.LBB11_3:                               ;   in Loop: Header=BB11_5 Depth=1
	s_wait_xcnt 0x0
	s_or_b32 exec_lo, exec_lo, s7
.LBB11_4:                               ;   in Loop: Header=BB11_5 Depth=1
	s_add_co_i32 s10, s10, 0x10000
	s_delay_alu instid0(SALU_CYCLE_1)
	s_cmp_lt_u32 s10, s33
	s_cbranch_scc0 .LBB11_53
.LBB11_5:                               ; =>This Loop Header: Depth=1
                                        ;     Child Loop BB11_21 Depth 2
	s_wait_xcnt 0x1
	s_mul_u64 s[8:9], s[14:15], s[10:11]
	s_wait_xcnt 0x0
	s_mul_u64 s[48:49], s[42:43], s[10:11]
	s_lshl_b64 s[8:9], s[8:9], 2
	s_lshl_b64 s[48:49], s[48:49], 2
	s_add_nc_u64 s[8:9], s[12:13], s[8:9]
	s_add_nc_u64 s[48:49], s[40:41], s[48:49]
	s_clause 0x1
	global_load_b32 v67, v1, s[8:9]
	global_load_b32 v0, v1, s[48:49]
	s_wait_loadcnt 0x1
	v_cmp_eq_f32_e32 vcc_lo, 0, v67
	s_wait_loadcnt 0x0
	v_cmp_eq_f32_e64 s7, 1.0, v0
	v_readfirstlane_b32 s55, v0
	s_and_b32 s7, vcc_lo, s7
	s_delay_alu instid0(SALU_CYCLE_1)
	s_and_b32 vcc_lo, exec_lo, s7
	s_cbranch_vccnz .LBB11_4
; %bb.6:                                ;   in Loop: Header=BB11_5 Depth=1
	v_cmp_neq_f32_e32 vcc_lo, 0, v67
	s_wait_xcnt 0x1
	s_mul_u64 s[8:9], s[50:51], s[10:11]
	s_delay_alu instid0(SALU_CYCLE_1)
	s_lshl_b64 s[8:9], s[8:9], 2
	s_wait_xcnt 0x0
	s_add_nc_u64 s[48:49], s[30:31], s[8:9]
	s_cbranch_vccnz .LBB11_10
; %bb.7:                                ;   in Loop: Header=BB11_5 Depth=1
	s_mov_b32 s7, 0
	s_mov_b32 s54, 0
                                        ; implicit-def: $vgpr0
	s_and_saveexec_b32 s8, s28
	s_cbranch_execz .LBB11_11
; %bb.8:                                ;   in Loop: Header=BB11_5 Depth=1
	s_cmp_eq_f32 s55, 0
	s_cbranch_scc1 .LBB11_13
; %bb.9:                                ;   in Loop: Header=BB11_5 Depth=1
	v_lshl_add_u64 v[24:25], v[2:3], 2, s[48:49]
	global_load_b32 v0, v[24:25], off
	s_wait_loadcnt 0x0
	v_mul_f32_e32 v0, s55, v0
	s_branch .LBB11_14
.LBB11_10:                              ;   in Loop: Header=BB11_5 Depth=1
	s_mov_b32 s54, 0
                                        ; implicit-def: $vgpr0
	s_cbranch_execz .LBB11_12
	s_branch .LBB11_15
.LBB11_11:                              ;   in Loop: Header=BB11_5 Depth=1
	s_or_b32 exec_lo, exec_lo, s8
	s_delay_alu instid0(SALU_CYCLE_1)
	s_and_b32 vcc_lo, exec_lo, s7
	s_cbranch_vccnz .LBB11_15
.LBB11_12:                              ;   in Loop: Header=BB11_5 Depth=1
	v_mov_b64_e32 v[24:25], v[2:3]
	s_and_saveexec_b32 s7, s54
	s_cbranch_execz .LBB11_3
	s_branch .LBB11_52
.LBB11_13:                              ;   in Loop: Header=BB11_5 Depth=1
	v_mov_b32_e32 v0, 0
.LBB11_14:                              ;   in Loop: Header=BB11_5 Depth=1
	s_mov_b32 s54, exec_lo
	s_wait_xcnt 0x0
	s_or_b32 exec_lo, exec_lo, s8
	s_delay_alu instid0(SALU_CYCLE_1)
	s_and_b32 vcc_lo, exec_lo, s7
	s_cbranch_vccz .LBB11_12
.LBB11_15:                              ;   in Loop: Header=BB11_5 Depth=1
	v_dual_mov_b32 v68, 0 :: v_dual_mov_b32 v0, v64
	v_dual_mov_b32 v69, 0 :: v_dual_mov_b32 v70, 0
	v_mov_b32_e32 v71, 0
	s_and_saveexec_b32 s7, s1
	s_cbranch_execz .LBB11_27
; %bb.16:                               ;   in Loop: Header=BB11_5 Depth=1
	s_mul_u64 s[8:9], s[34:35], s[10:11]
	s_mul_u64 s[56:57], s[44:45], s[10:11]
	v_add_nc_u64_e32 v[24:25], s[8:9], v[10:11]
	v_add_nc_u64_e32 v[26:27], s[56:57], v[14:15]
	;; [unrolled: 1-line block ×8, first 2 shown]
	v_dual_mov_b32 v68, 0 :: v_dual_mov_b32 v0, v64
	v_dual_mov_b32 v69, 0 :: v_dual_mov_b32 v70, 0
	v_mov_b32_e32 v71, 0
	s_mov_b32 s8, 0
	s_branch .LBB11_21
.LBB11_17:                              ;   in Loop: Header=BB11_21 Depth=2
	s_wait_xcnt 0x0
	s_or_b32 exec_lo, exec_lo, s58
	s_wait_loadcnt 0x2
	v_pk_mul_f32 v[52:53], v[44:45], v[62:63]
	s_delay_alu instid0(VALU_DEP_1) | instskip(NEXT) | instid1(VALU_DEP_1)
	v_add_f32_e32 v52, v70, v52
	v_add_f32_e32 v54, v52, v53
	s_wait_loadcnt 0x0
	v_pk_mul_f32 v[52:53], v[40:41], v[60:61]
	s_delay_alu instid0(VALU_DEP_1) | instskip(NEXT) | instid1(VALU_DEP_1)
	v_add_f32_e32 v52, v54, v52
	v_add_f32_e32 v70, v52, v53
.LBB11_18:                              ;   in Loop: Header=BB11_21 Depth=2
	s_or_b32 exec_lo, exec_lo, s57
	s_wait_loadcnt 0x2
	v_pk_mul_f32 v[50:51], v[44:45], v[50:51]
	s_wait_loadcnt 0x0
	v_pk_mul_f32 v[48:49], v[40:41], v[48:49]
	s_delay_alu instid0(VALU_DEP_2) | instskip(NEXT) | instid1(VALU_DEP_1)
	v_add_f32_e32 v50, v69, v50
	v_add_f32_e32 v50, v50, v51
	s_delay_alu instid0(VALU_DEP_1) | instskip(NEXT) | instid1(VALU_DEP_1)
	v_add_f32_e32 v48, v50, v48
	v_add_f32_e32 v69, v48, v49
.LBB11_19:                              ;   in Loop: Header=BB11_21 Depth=2
	s_or_b32 exec_lo, exec_lo, s56
	s_wait_loadcnt 0x2
	v_pk_mul_f32 v[44:45], v[44:45], v[46:47]
	s_wait_loadcnt 0x0
	v_pk_mul_f32 v[40:41], v[40:41], v[42:43]
	s_delay_alu instid0(VALU_DEP_2) | instskip(NEXT) | instid1(VALU_DEP_1)
	v_add_f32_e32 v44, v68, v44
	v_add_f32_e32 v44, v44, v45
	s_delay_alu instid0(VALU_DEP_1) | instskip(NEXT) | instid1(VALU_DEP_1)
	v_add_f32_e32 v40, v44, v40
	v_add_f32_e32 v68, v40, v41
.LBB11_20:                              ;   in Loop: Header=BB11_21 Depth=2
	s_or_b32 exec_lo, exec_lo, s9
	v_add_nc_u32_e32 v0, 64, v0
	v_add_nc_u64_e32 v[24:25], s[24:25], v[24:25]
	v_add_nc_u64_e32 v[26:27], s[46:47], v[26:27]
	;; [unrolled: 1-line block ×7, first 2 shown]
	v_cmp_le_i32_e32 vcc_lo, s52, v0
	v_add_nc_u64_e32 v[38:39], s[46:47], v[38:39]
	s_or_b32 s8, vcc_lo, s8
	s_delay_alu instid0(SALU_CYCLE_1)
	s_and_not1_b32 exec_lo, exec_lo, s8
	s_cbranch_execz .LBB11_26
.LBB11_21:                              ;   Parent Loop BB11_5 Depth=1
                                        ; =>  This Inner Loop Header: Depth=2
	s_and_saveexec_b32 s9, s2
	s_cbranch_execz .LBB11_20
; %bb.22:                               ;   in Loop: Header=BB11_21 Depth=2
	v_add_nc_u64_e32 v[40:41], s[18:19], v[28:29]
	v_add_nc_u64_e32 v[42:43], s[18:19], v[34:35]
	;; [unrolled: 1-line block ×8, first 2 shown]
	global_load_b32 v41, v[40:41], off
	global_load_b32 v40, v[42:43], off
	;; [unrolled: 1-line block ×8, first 2 shown]
	s_wait_xcnt 0x0
	s_and_saveexec_b32 s56, s4
	s_cbranch_execz .LBB11_19
; %bb.23:                               ;   in Loop: Header=BB11_21 Depth=2
	global_load_b32 v50, v[54:55], off offset:128
	global_load_b32 v51, v[56:57], off offset:128
	global_load_b32 v48, v[52:53], off offset:128
	global_load_b32 v49, v[58:59], off offset:128
	s_wait_xcnt 0x0
	s_and_saveexec_b32 s57, s5
	s_cbranch_execz .LBB11_18
; %bb.24:                               ;   in Loop: Header=BB11_21 Depth=2
	global_load_b32 v62, v[54:55], off offset:256
	global_load_b32 v63, v[56:57], off offset:256
	global_load_b32 v60, v[52:53], off offset:256
	global_load_b32 v61, v[58:59], off offset:256
	s_wait_xcnt 0x0
	s_and_saveexec_b32 s58, s6
	s_cbranch_execz .LBB11_17
; %bb.25:                               ;   in Loop: Header=BB11_21 Depth=2
	global_load_b32 v54, v[54:55], off offset:384
	global_load_b32 v55, v[56:57], off offset:384
	global_load_b32 v52, v[52:53], off offset:384
	global_load_b32 v53, v[58:59], off offset:384
	s_wait_loadcnt 0x2
	v_pk_mul_f32 v[54:55], v[44:45], v[54:55]
	s_wait_loadcnt 0x0
	v_pk_mul_f32 v[52:53], v[40:41], v[52:53]
	s_delay_alu instid0(VALU_DEP_2) | instskip(NEXT) | instid1(VALU_DEP_1)
	v_add_f32_e32 v54, v71, v54
	v_add_f32_e32 v54, v54, v55
	s_delay_alu instid0(VALU_DEP_1) | instskip(NEXT) | instid1(VALU_DEP_1)
	v_add_f32_e32 v52, v54, v52
	v_add_f32_e32 v71, v52, v53
	s_branch .LBB11_17
.LBB11_26:                              ;   in Loop: Header=BB11_5 Depth=1
	s_or_b32 exec_lo, exec_lo, s8
.LBB11_27:                              ;   in Loop: Header=BB11_5 Depth=1
	s_delay_alu instid0(SALU_CYCLE_1) | instskip(NEXT) | instid1(SALU_CYCLE_1)
	s_or_b32 exec_lo, exec_lo, s7
	s_and_not1_b32 vcc_lo, exec_lo, s53
	s_cbranch_vccnz .LBB11_45
; %bb.28:                               ;   in Loop: Header=BB11_5 Depth=1
	v_dual_mov_b32 v26, 0 :: v_dual_bitop2_b32 v28, 1, v0 bitop3:0x54
	v_cmp_gt_i32_e32 vcc_lo, s29, v0
	s_delay_alu instid0(VALU_DEP_2)
	v_dual_mov_b32 v27, v26 :: v_dual_mov_b32 v24, v26
	v_mov_b32_e32 v25, v26
	s_and_saveexec_b32 s56, vcc_lo
	s_cbranch_execz .LBB11_36
; %bb.29:                               ;   in Loop: Header=BB11_5 Depth=1
	v_mul_u64_e32 v[24:25], s[36:37], v[0:1]
	s_mul_u64 s[8:9], s[38:39], s[10:11]
	v_mov_b32_e32 v26, 0
	s_lshl_b64 s[8:9], s[8:9], 2
	s_mov_b32 s57, exec_lo
	s_add_nc_u64 s[8:9], s[26:27], s[8:9]
	v_mov_b32_e32 v27, 0
	s_delay_alu instid0(VALU_DEP_3)
	v_lshl_add_u64 v[24:25], v[24:25], 2, s[8:9]
	global_load_b32 v24, v[24:25], off
	s_wait_xcnt 0x0
	v_mov_b32_e32 v25, 0
	v_cmpx_gt_i32_e64 s29, v28
	s_cbranch_execz .LBB11_35
; %bb.30:                               ;   in Loop: Header=BB11_5 Depth=1
	v_dual_mov_b32 v29, v1 :: v_dual_bitop2_b32 v30, 2, v0 bitop3:0x54
	s_mov_b32 s58, exec_lo
	s_delay_alu instid0(VALU_DEP_1) | instskip(NEXT) | instid1(VALU_DEP_1)
	v_mul_u64_e32 v[26:27], s[36:37], v[28:29]
	v_lshl_add_u64 v[26:27], v[26:27], 2, s[8:9]
	global_load_b32 v25, v[26:27], off
	s_wait_xcnt 0x0
	v_dual_mov_b32 v27, 0 :: v_dual_mov_b32 v26, 0
	v_cmpx_gt_i32_e64 s29, v30
	s_cbranch_execz .LBB11_34
; %bb.31:                               ;   in Loop: Header=BB11_5 Depth=1
	v_mov_b32_e32 v31, v1
	s_mov_b32 s59, exec_lo
	s_delay_alu instid0(VALU_DEP_1) | instskip(SKIP_1) | instid1(VALU_DEP_2)
	v_mul_u64_e32 v[26:27], s[36:37], v[30:31]
	v_or_b32_e32 v30, 3, v0
	v_lshl_add_u64 v[26:27], v[26:27], 2, s[8:9]
	global_load_b32 v26, v[26:27], off
	s_wait_xcnt 0x0
	v_mov_b32_e32 v27, 0
	v_cmpx_gt_i32_e64 s29, v30
	s_cbranch_execz .LBB11_33
; %bb.32:                               ;   in Loop: Header=BB11_5 Depth=1
	v_mov_b32_e32 v31, v1
	s_delay_alu instid0(VALU_DEP_1) | instskip(NEXT) | instid1(VALU_DEP_1)
	v_mul_u64_e32 v[30:31], s[36:37], v[30:31]
	v_lshl_add_u64 v[30:31], v[30:31], 2, s[8:9]
	global_load_b32 v27, v[30:31], off
.LBB11_33:                              ;   in Loop: Header=BB11_5 Depth=1
	s_wait_xcnt 0x0
	s_or_b32 exec_lo, exec_lo, s59
.LBB11_34:                              ;   in Loop: Header=BB11_5 Depth=1
	s_delay_alu instid0(SALU_CYCLE_1)
	s_or_b32 exec_lo, exec_lo, s58
.LBB11_35:                              ;   in Loop: Header=BB11_5 Depth=1
	s_delay_alu instid0(SALU_CYCLE_1)
	s_or_b32 exec_lo, exec_lo, s57
.LBB11_36:                              ;   in Loop: Header=BB11_5 Depth=1
	s_delay_alu instid0(SALU_CYCLE_1)
	s_or_b32 exec_lo, exec_lo, s56
	s_and_saveexec_b32 s56, s2
	s_cbranch_execz .LBB11_44
; %bb.37:                               ;   in Loop: Header=BB11_5 Depth=1
	v_dual_mov_b32 v29, v1 :: v_dual_bitop2_b32 v30, 2, v0 bitop3:0x54
	v_mov_b32_e32 v31, v1
	v_mul_u64_e32 v[32:33], s[20:21], v[0:1]
	v_or_b32_e32 v0, 3, v0
	s_delay_alu instid0(VALU_DEP_4)
	v_mul_u64_e32 v[34:35], s[20:21], v[28:29]
	s_mul_u64 s[8:9], s[22:23], s[10:11]
	v_mul_u64_e32 v[36:37], s[20:21], v[30:31]
	v_cmp_gt_i32_e64 s7, s29, v28
	v_mul_u64_e32 v[38:39], s[20:21], v[0:1]
	s_lshl_b64 s[58:59], s[8:9], 2
	v_cmp_gt_i32_e64 s8, s29, v30
	v_cmp_gt_i32_e64 s9, s29, v0
	v_dual_cndmask_b32 v29, 0, v33 :: v_dual_cndmask_b32 v28, 0, v32
	v_dual_cndmask_b32 v31, 0, v35, s7 :: v_dual_cndmask_b32 v30, 0, v34, s7
	s_delay_alu instid0(VALU_DEP_4) | instskip(NEXT) | instid1(VALU_DEP_4)
	v_dual_cndmask_b32 v33, 0, v37, s8 :: v_dual_cndmask_b32 v32, 0, v36, s8
	v_dual_cndmask_b32 v35, 0, v39, s9 :: v_dual_cndmask_b32 v34, 0, v38, s9
	s_add_nc_u64 s[8:9], s[16:17], s[58:59]
	s_delay_alu instid0(SALU_CYCLE_1) | instskip(SKIP_3) | instid1(VALU_DEP_4)
	v_lshl_add_u64 v[28:29], v[28:29], 2, s[8:9]
	v_lshl_add_u64 v[30:31], v[30:31], 2, s[8:9]
	;; [unrolled: 1-line block ×4, first 2 shown]
	v_add_nc_u64_e32 v[40:41], v[28:29], v[6:7]
	s_delay_alu instid0(VALU_DEP_4) | instskip(NEXT) | instid1(VALU_DEP_4)
	v_add_nc_u64_e32 v[42:43], v[30:31], v[6:7]
	v_add_nc_u64_e32 v[36:37], v[32:33], v[6:7]
	s_delay_alu instid0(VALU_DEP_4)
	v_add_nc_u64_e32 v[38:39], v[34:35], v[6:7]
	s_clause 0x3
	global_load_b32 v30, v[40:41], off
	global_load_b32 v31, v[42:43], off
	;; [unrolled: 1-line block ×4, first 2 shown]
	s_wait_xcnt 0x0
	s_and_saveexec_b32 s7, s4
	s_cbranch_execz .LBB11_43
; %bb.38:                               ;   in Loop: Header=BB11_5 Depth=1
	s_clause 0x3
	global_load_b32 v34, v[40:41], off offset:128
	global_load_b32 v35, v[42:43], off offset:128
	global_load_b32 v32, v[36:37], off offset:128
	global_load_b32 v33, v[38:39], off offset:128
	s_wait_xcnt 0x0
	s_and_saveexec_b32 s8, s5
	s_cbranch_execz .LBB11_42
; %bb.39:                               ;   in Loop: Header=BB11_5 Depth=1
	s_clause 0x3
	global_load_b32 v46, v[40:41], off offset:256
	global_load_b32 v47, v[42:43], off offset:256
	global_load_b32 v44, v[36:37], off offset:256
	global_load_b32 v45, v[38:39], off offset:256
	;; [unrolled: 9-line block ×3, first 2 shown]
	s_wait_loadcnt 0x2
	s_wait_xcnt 0x0
	v_pk_mul_f32 v[38:39], v[24:25], v[40:41]
	s_wait_loadcnt 0x0
	v_pk_mul_f32 v[36:37], v[26:27], v[36:37]
	s_delay_alu instid0(VALU_DEP_2) | instskip(NEXT) | instid1(VALU_DEP_1)
	v_add_f32_e32 v0, v71, v38
	v_add_f32_e32 v0, v0, v39
	s_delay_alu instid0(VALU_DEP_1) | instskip(NEXT) | instid1(VALU_DEP_1)
	v_add_f32_e32 v0, v0, v36
	v_add_f32_e32 v71, v0, v37
.LBB11_41:                              ;   in Loop: Header=BB11_5 Depth=1
	s_or_b32 exec_lo, exec_lo, s9
	s_wait_loadcnt 0x2
	v_pk_mul_f32 v[36:37], v[24:25], v[46:47]
	s_delay_alu instid0(VALU_DEP_1) | instskip(NEXT) | instid1(VALU_DEP_1)
	v_add_f32_e32 v0, v70, v36
	v_add_f32_e32 v0, v0, v37
	s_wait_loadcnt 0x0
	v_pk_mul_f32 v[36:37], v[26:27], v[44:45]
	s_delay_alu instid0(VALU_DEP_1) | instskip(NEXT) | instid1(VALU_DEP_1)
	v_add_f32_e32 v0, v0, v36
	v_add_f32_e32 v70, v0, v37
.LBB11_42:                              ;   in Loop: Header=BB11_5 Depth=1
	s_or_b32 exec_lo, exec_lo, s8
	s_wait_loadcnt 0x2
	v_pk_mul_f32 v[34:35], v[24:25], v[34:35]
	s_wait_loadcnt 0x0
	v_pk_mul_f32 v[32:33], v[26:27], v[32:33]
	s_delay_alu instid0(VALU_DEP_2) | instskip(NEXT) | instid1(VALU_DEP_1)
	v_add_f32_e32 v0, v69, v34
	v_add_f32_e32 v0, v0, v35
	s_delay_alu instid0(VALU_DEP_1) | instskip(NEXT) | instid1(VALU_DEP_1)
	v_add_f32_e32 v0, v0, v32
	v_add_f32_e32 v69, v0, v33
.LBB11_43:                              ;   in Loop: Header=BB11_5 Depth=1
	s_or_b32 exec_lo, exec_lo, s7
	s_wait_loadcnt 0x2
	v_pk_mul_f32 v[24:25], v[24:25], v[30:31]
	s_delay_alu instid0(VALU_DEP_1) | instskip(NEXT) | instid1(VALU_DEP_1)
	v_add_f32_e32 v0, v68, v24
	v_add_f32_e32 v0, v0, v25
	s_wait_loadcnt 0x0
	v_pk_mul_f32 v[24:25], v[26:27], v[28:29]
	s_delay_alu instid0(VALU_DEP_1) | instskip(NEXT) | instid1(VALU_DEP_1)
	v_add_f32_e32 v0, v0, v24
	v_add_f32_e32 v68, v0, v25
.LBB11_44:                              ;   in Loop: Header=BB11_5 Depth=1
	s_or_b32 exec_lo, exec_lo, s56
.LBB11_45:                              ;   in Loop: Header=BB11_5 Depth=1
	ds_store_2addr_b32 v65, v68, v69 offset1:32
	ds_store_2addr_b32 v65, v70, v71 offset0:64 offset1:96
	s_wait_loadcnt_dscnt 0x0
	s_barrier_signal -1
	s_barrier_wait -1
                                        ; implicit-def: $vgpr0
	s_and_saveexec_b32 s7, s0
	s_cbranch_execz .LBB11_51
; %bb.46:                               ;   in Loop: Header=BB11_5 Depth=1
	ds_load_2addr_stride64_b32 v[24:25], v66 offset1:2
	ds_load_2addr_stride64_b32 v[26:27], v66 offset0:4 offset1:6
	ds_load_2addr_stride64_b32 v[28:29], v66 offset0:8 offset1:10
	s_mov_b32 s9, s54
	s_wait_dscnt 0x2
	v_add_f32_e32 v0, v24, v25
	ds_load_2addr_stride64_b32 v[24:25], v66 offset0:12 offset1:14
	s_wait_dscnt 0x2
	v_add_f32_e32 v0, v26, v0
	s_delay_alu instid0(VALU_DEP_1) | instskip(SKIP_3) | instid1(VALU_DEP_1)
	v_add_f32_e32 v0, v27, v0
	ds_load_2addr_stride64_b32 v[26:27], v66 offset0:16 offset1:18
	s_wait_dscnt 0x2
	v_add_f32_e32 v0, v28, v0
	v_add_f32_e32 v0, v29, v0
	ds_load_2addr_stride64_b32 v[28:29], v66 offset0:20 offset1:22
	s_wait_dscnt 0x2
	v_add_f32_e32 v0, v24, v0
	s_delay_alu instid0(VALU_DEP_1) | instskip(SKIP_3) | instid1(VALU_DEP_1)
	v_add_f32_e32 v0, v25, v0
	ds_load_2addr_stride64_b32 v[24:25], v66 offset0:24 offset1:26
	s_wait_dscnt 0x2
	v_add_f32_e32 v0, v26, v0
	v_add_f32_e32 v0, v27, v0
	ds_load_2addr_stride64_b32 v[26:27], v66 offset0:28 offset1:30
	s_wait_dscnt 0x2
	v_add_f32_e32 v0, v28, v0
	s_delay_alu instid0(VALU_DEP_1) | instskip(SKIP_1) | instid1(VALU_DEP_1)
	v_add_f32_e32 v0, v29, v0
	s_wait_dscnt 0x1
	v_add_f32_e32 v0, v24, v0
	s_delay_alu instid0(VALU_DEP_1) | instskip(SKIP_1) | instid1(VALU_DEP_1)
	v_add_f32_e32 v0, v25, v0
	s_wait_dscnt 0x0
	v_add_f32_e32 v0, v26, v0
	s_delay_alu instid0(VALU_DEP_1)
	v_add_f32_e32 v24, v27, v0
                                        ; implicit-def: $vgpr0
	ds_store_b32 v66, v24
	s_and_saveexec_b32 s8, s3
	s_cbranch_execz .LBB11_50
; %bb.47:                               ;   in Loop: Header=BB11_5 Depth=1
	v_mul_f32_e32 v0, v67, v24
	s_cmp_eq_f32 s55, 0
	s_cbranch_scc1 .LBB11_49
; %bb.48:                               ;   in Loop: Header=BB11_5 Depth=1
	v_lshl_add_u64 v[24:25], v[4:5], 2, s[48:49]
	global_load_b32 v24, v[24:25], off
	s_wait_loadcnt 0x0
	v_fmac_f32_e32 v0, s55, v24
.LBB11_49:                              ;   in Loop: Header=BB11_5 Depth=1
	s_or_b32 s9, s54, exec_lo
.LBB11_50:                              ;   in Loop: Header=BB11_5 Depth=1
	s_wait_xcnt 0x0
	s_or_b32 exec_lo, exec_lo, s8
	s_delay_alu instid0(SALU_CYCLE_1) | instskip(SKIP_1) | instid1(SALU_CYCLE_1)
	s_and_not1_b32 s8, s54, exec_lo
	s_and_b32 s9, s9, exec_lo
	s_or_b32 s54, s8, s9
.LBB11_51:                              ;   in Loop: Header=BB11_5 Depth=1
	s_or_b32 exec_lo, exec_lo, s7
	v_mov_b64_e32 v[24:25], v[4:5]
	s_and_saveexec_b32 s7, s54
	s_cbranch_execz .LBB11_3
.LBB11_52:                              ;   in Loop: Header=BB11_5 Depth=1
	s_delay_alu instid0(VALU_DEP_1)
	v_lshl_add_u64 v[24:25], v[24:25], 2, s[48:49]
	global_store_b32 v[24:25], v0, off
	s_branch .LBB11_3
.LBB11_53:
	s_sendmsg sendmsg(MSG_DEALLOC_VGPRS)
	s_endpgm
	.section	.rodata,"a",@progbits
	.p2align	6, 0x0
	.amdhsa_kernel _ZL20rocblas_gemvn_kernelILi32ELi16ElfPKffEviiT3_lPKT2_lT1_lS5_lS6_lS2_lPT4_lS6_li
		.amdhsa_group_segment_fixed_size 8192
		.amdhsa_private_segment_fixed_size 0
		.amdhsa_kernarg_size 400
		.amdhsa_user_sgpr_count 2
		.amdhsa_user_sgpr_dispatch_ptr 0
		.amdhsa_user_sgpr_queue_ptr 0
		.amdhsa_user_sgpr_kernarg_segment_ptr 1
		.amdhsa_user_sgpr_dispatch_id 0
		.amdhsa_user_sgpr_kernarg_preload_length 0
		.amdhsa_user_sgpr_kernarg_preload_offset 0
		.amdhsa_user_sgpr_private_segment_size 0
		.amdhsa_wavefront_size32 1
		.amdhsa_uses_dynamic_stack 0
		.amdhsa_enable_private_segment 0
		.amdhsa_system_sgpr_workgroup_id_x 1
		.amdhsa_system_sgpr_workgroup_id_y 0
		.amdhsa_system_sgpr_workgroup_id_z 1
		.amdhsa_system_sgpr_workgroup_info 0
		.amdhsa_system_vgpr_workitem_id 1
		.amdhsa_next_free_vgpr 72
		.amdhsa_next_free_sgpr 60
		.amdhsa_named_barrier_count 0
		.amdhsa_reserve_vcc 1
		.amdhsa_float_round_mode_32 0
		.amdhsa_float_round_mode_16_64 0
		.amdhsa_float_denorm_mode_32 3
		.amdhsa_float_denorm_mode_16_64 3
		.amdhsa_fp16_overflow 0
		.amdhsa_memory_ordered 1
		.amdhsa_forward_progress 1
		.amdhsa_inst_pref_size 23
		.amdhsa_round_robin_scheduling 0
		.amdhsa_exception_fp_ieee_invalid_op 0
		.amdhsa_exception_fp_denorm_src 0
		.amdhsa_exception_fp_ieee_div_zero 0
		.amdhsa_exception_fp_ieee_overflow 0
		.amdhsa_exception_fp_ieee_underflow 0
		.amdhsa_exception_fp_ieee_inexact 0
		.amdhsa_exception_int_div_zero 0
	.end_amdhsa_kernel
	.section	.text._ZL20rocblas_gemvn_kernelILi32ELi16ElfPKffEviiT3_lPKT2_lT1_lS5_lS6_lS2_lPT4_lS6_li,"axG",@progbits,_ZL20rocblas_gemvn_kernelILi32ELi16ElfPKffEviiT3_lPKT2_lT1_lS5_lS6_lS2_lPT4_lS6_li,comdat
.Lfunc_end11:
	.size	_ZL20rocblas_gemvn_kernelILi32ELi16ElfPKffEviiT3_lPKT2_lT1_lS5_lS6_lS2_lPT4_lS6_li, .Lfunc_end11-_ZL20rocblas_gemvn_kernelILi32ELi16ElfPKffEviiT3_lPKT2_lT1_lS5_lS6_lS2_lPT4_lS6_li
                                        ; -- End function
	.set _ZL20rocblas_gemvn_kernelILi32ELi16ElfPKffEviiT3_lPKT2_lT1_lS5_lS6_lS2_lPT4_lS6_li.num_vgpr, 72
	.set _ZL20rocblas_gemvn_kernelILi32ELi16ElfPKffEviiT3_lPKT2_lT1_lS5_lS6_lS2_lPT4_lS6_li.num_agpr, 0
	.set _ZL20rocblas_gemvn_kernelILi32ELi16ElfPKffEviiT3_lPKT2_lT1_lS5_lS6_lS2_lPT4_lS6_li.numbered_sgpr, 60
	.set _ZL20rocblas_gemvn_kernelILi32ELi16ElfPKffEviiT3_lPKT2_lT1_lS5_lS6_lS2_lPT4_lS6_li.num_named_barrier, 0
	.set _ZL20rocblas_gemvn_kernelILi32ELi16ElfPKffEviiT3_lPKT2_lT1_lS5_lS6_lS2_lPT4_lS6_li.private_seg_size, 0
	.set _ZL20rocblas_gemvn_kernelILi32ELi16ElfPKffEviiT3_lPKT2_lT1_lS5_lS6_lS2_lPT4_lS6_li.uses_vcc, 1
	.set _ZL20rocblas_gemvn_kernelILi32ELi16ElfPKffEviiT3_lPKT2_lT1_lS5_lS6_lS2_lPT4_lS6_li.uses_flat_scratch, 0
	.set _ZL20rocblas_gemvn_kernelILi32ELi16ElfPKffEviiT3_lPKT2_lT1_lS5_lS6_lS2_lPT4_lS6_li.has_dyn_sized_stack, 0
	.set _ZL20rocblas_gemvn_kernelILi32ELi16ElfPKffEviiT3_lPKT2_lT1_lS5_lS6_lS2_lPT4_lS6_li.has_recursion, 0
	.set _ZL20rocblas_gemvn_kernelILi32ELi16ElfPKffEviiT3_lPKT2_lT1_lS5_lS6_lS2_lPT4_lS6_li.has_indirect_call, 0
	.section	.AMDGPU.csdata,"",@progbits
; Kernel info:
; codeLenInByte = 2900
; TotalNumSgprs: 62
; NumVgprs: 72
; ScratchSize: 0
; MemoryBound: 0
; FloatMode: 240
; IeeeMode: 1
; LDSByteSize: 8192 bytes/workgroup (compile time only)
; SGPRBlocks: 0
; VGPRBlocks: 4
; NumSGPRsForWavesPerEU: 62
; NumVGPRsForWavesPerEU: 72
; NamedBarCnt: 0
; Occupancy: 12
; WaveLimiterHint : 1
; COMPUTE_PGM_RSRC2:SCRATCH_EN: 0
; COMPUTE_PGM_RSRC2:USER_SGPR: 2
; COMPUTE_PGM_RSRC2:TRAP_HANDLER: 0
; COMPUTE_PGM_RSRC2:TGID_X_EN: 1
; COMPUTE_PGM_RSRC2:TGID_Y_EN: 0
; COMPUTE_PGM_RSRC2:TGID_Z_EN: 1
; COMPUTE_PGM_RSRC2:TIDIG_COMP_CNT: 1
	.section	.text._ZL20rocblas_gemvn_kernelILi32ELi16EifffEviiT3_lPKT2_lT1_lS3_lS4_lS0_lPT4_lS4_li,"axG",@progbits,_ZL20rocblas_gemvn_kernelILi32ELi16EifffEviiT3_lPKT2_lT1_lS3_lS4_lS0_lPT4_lS4_li,comdat
	.globl	_ZL20rocblas_gemvn_kernelILi32ELi16EifffEviiT3_lPKT2_lT1_lS3_lS4_lS0_lPT4_lS4_li ; -- Begin function _ZL20rocblas_gemvn_kernelILi32ELi16EifffEviiT3_lPKT2_lT1_lS3_lS4_lS0_lPT4_lS4_li
	.p2align	8
	.type	_ZL20rocblas_gemvn_kernelILi32ELi16EifffEviiT3_lPKT2_lT1_lS3_lS4_lS0_lPT4_lS4_li,@function
_ZL20rocblas_gemvn_kernelILi32ELi16EifffEviiT3_lPKT2_lT1_lS3_lS4_lS0_lPT4_lS4_li: ; @_ZL20rocblas_gemvn_kernelILi32ELi16EifffEviiT3_lPKT2_lT1_lS3_lS4_lS0_lPT4_lS4_li
; %bb.0:
	s_load_b64 s[2:3], s[0:1], 0x9c
	s_wait_kmcnt 0x0
	s_lshr_b32 s4, s2, 16
	s_and_b32 s2, s2, 0xffff
	s_and_b32 s3, s3, 0xffff
	s_mul_i32 s2, s4, s2
	s_delay_alu instid0(SALU_CYCLE_1) | instskip(NEXT) | instid1(SALU_CYCLE_1)
	s_mul_i32 s2, s2, s3
	s_cmp_lg_u32 s2, 0x200
	s_cbranch_scc1 .LBB12_53
; %bb.1:
	s_load_b32 s19, s[0:1], 0x88
	s_bfe_u32 s2, ttmp6, 0x40014
	s_lshr_b32 s3, ttmp7, 16
	s_add_co_i32 s2, s2, 1
	s_bfe_u32 s5, ttmp6, 0x40008
	s_mul_i32 s4, s3, s2
	s_getreg_b32 s2, hwreg(HW_REG_IB_STS2, 6, 4)
	s_add_co_i32 s5, s5, s4
	s_cmp_eq_u32 s2, 0
	s_mov_b32 s29, 0
	s_cselect_b32 s28, s3, s5
	s_wait_kmcnt 0x0
	s_cmp_ge_u32 s28, s19
	s_cbranch_scc1 .LBB12_53
; %bb.2:
	s_clause 0x7
	s_load_b128 s[4:7], s[0:1], 0x18
	s_load_b96 s[16:18], s[0:1], 0x40
	s_load_b128 s[12:15], s[0:1], 0x68
	s_load_b32 s30, s[0:1], 0x78
	s_load_b96 s[20:22], s[0:1], 0x0
	s_load_b96 s[24:26], s[0:1], 0x50
	s_load_b32 s23, s[0:1], 0x28
	s_load_b128 s[8:11], s[0:1], 0x30
	v_and_b32_e32 v4, 0x3ff, v0
	v_bfe_u32 v3, v0, 10, 10
	s_delay_alu instid0(VALU_DEP_1) | instskip(NEXT) | instid1(VALU_DEP_3)
	v_dual_mov_b32 v1, 0 :: v_dual_lshlrev_b32 v28, 2, v3
	v_lshl_add_u32 v5, v3, 5, v4
	s_wait_kmcnt 0x0
	s_lshl_b64 s[6:7], s[6:7], 2
	s_lshl_b64 s[34:35], s[16:17], 2
	;; [unrolled: 1-line block ×3, first 2 shown]
	s_ashr_i32 s31, s30, 31
	s_cmp_eq_f32 s22, 0
	s_load_b64 s[14:15], s[0:1], 0x80
	s_add_nc_u64 s[16:17], s[4:5], s[6:7]
	s_wait_xcnt 0x0
	s_mov_b32 s0, s20
	s_cselect_b32 s27, -1, 0
	s_cmp_neq_f32 s22, 0
	v_mul_lo_u32 v11, v3, s18
	v_mad_u32 v35, s18, v28, s18
	s_add_nc_u64 s[10:11], s[10:11], s[34:35]
	s_cselect_b32 s1, -1, 0
	s_cmp_neq_f32 s26, 1.0
	s_add_nc_u64 s[12:13], s[12:13], s[36:37]
	s_cselect_b32 s3, -1, 0
	s_bfe_u32 s4, ttmp6, 0x4000c
	s_and_b32 s5, ttmp6, 15
	s_add_co_i32 s4, s4, 1
	s_or_b32 s33, s1, s3
	s_mul_i32 s4, ttmp9, s4
	v_lshlrev_b32_e32 v39, 2, v11
	s_add_co_i32 s5, s5, s4
	s_cmp_eq_u32 s2, 0
	s_cselect_b32 s2, ttmp9, s5
	s_ashr_i32 s1, s20, 31
	s_lshl_b32 s38, s2, 7
	s_delay_alu instid0(SALU_CYCLE_1) | instskip(SKIP_3) | instid1(VALU_DEP_3)
	v_dual_lshlrev_b32 v6, 2, v4 :: v_dual_add_nc_u32 v0, s38, v5
	v_dual_add_nc_u32 v29, s38, v4 :: v_dual_bitop2_b32 v7, s38, v5 bitop3:0x54
	s_cmp_neq_f32 s26, 0
	v_cmp_gt_u32_e64 s5, 0x80, v5
	v_cmp_gt_i64_e32 vcc_lo, s[0:1], v[0:1]
	v_mul_u64_e32 v[0:1], s[30:31], v[0:1]
	v_mul_lo_u32 v2, s30, v7
	v_dual_add_nc_u32 v8, 32, v29 :: v_dual_add_nc_u32 v9, 64, v29
	v_add_nc_u32_e32 v10, 0x60, v29
	s_cselect_b32 s39, -1, 0
	s_ashr_i32 s2, s21, 31
	v_mul_lo_u32 v5, s23, v28
	s_lshr_b32 s1, s2, 26
	v_cmp_gt_i32_e64 s2, s20, v9
	s_add_co_i32 s40, s21, s1
	v_cmp_gt_i32_e64 s1, s20, v8
	v_cmp_gt_i32_e64 s3, s20, v10
	v_or_b32_e32 v8, 2, v28
	v_or_b32_e32 v9, 3, v28
	v_mul_lo_u32 v10, v3, s23
	v_lshl_add_u32 v30, v3, 9, v6
	v_lshl_add_u32 v31, v3, 7, v6
	v_ashrrev_i32_e32 v3, 31, v2
	v_mad_u32 v32, s23, v8, v4
	v_mad_u32 v33, s23, v9, v4
	v_mul_lo_u32 v34, s18, v8
	v_mul_lo_u32 v36, s18, v9
	s_and_not1_b32 s40, s40, 63
	v_cmp_gt_i32_e64 s0, s20, v29
	s_sub_co_i32 s4, s21, s40
	v_cmp_gt_i32_e64 s6, s20, v7
	s_cmp_gt_i32 s4, 0
	v_cmp_gt_i32_e64 s4, s40, v28
	v_add3_u32 v37, v5, s23, v4
	v_lshl_add_u32 v38, v10, 2, v4
	s_cselect_b32 s41, -1, 0
	s_and_b32 s20, s5, vcc_lo
	s_lshl_b32 s42, s23, 6
	s_lshl_b32 s43, s18, 6
	s_branch .LBB12_5
.LBB12_3:                               ;   in Loop: Header=BB12_5 Depth=1
	s_wait_xcnt 0x0
	s_or_b32 exec_lo, exec_lo, s7
.LBB12_4:                               ;   in Loop: Header=BB12_5 Depth=1
	s_add_co_i32 s28, s28, 0x10000
	s_delay_alu instid0(SALU_CYCLE_1)
	s_cmp_lt_u32 s28, s19
	s_cbranch_scc0 .LBB12_53
.LBB12_5:                               ; =>This Loop Header: Depth=1
                                        ;     Child Loop BB12_21 Depth 2
	s_and_not1_b32 vcc_lo, exec_lo, s33
	s_cbranch_vccnz .LBB12_4
; %bb.6:                                ;   in Loop: Header=BB12_5 Depth=1
	s_wait_kmcnt 0x0
	s_mul_u64 s[30:31], s[14:15], s[28:29]
	s_and_not1_b32 vcc_lo, exec_lo, s27
	s_lshl_b64 s[30:31], s[30:31], 2
	s_delay_alu instid0(SALU_CYCLE_1)
	s_add_nc_u64 s[30:31], s[12:13], s[30:31]
	s_cbranch_vccnz .LBB12_10
; %bb.7:                                ;   in Loop: Header=BB12_5 Depth=1
	s_mov_b32 s7, 0
	s_mov_b32 s44, 0
                                        ; implicit-def: $vgpr6
	s_and_saveexec_b32 s34, s20
	s_cbranch_execz .LBB12_11
; %bb.8:                                ;   in Loop: Header=BB12_5 Depth=1
	s_and_not1_b32 vcc_lo, exec_lo, s39
	s_cbranch_vccnz .LBB12_13
; %bb.9:                                ;   in Loop: Header=BB12_5 Depth=1
	v_lshl_add_u64 v[4:5], v[0:1], 2, s[30:31]
	global_load_b32 v4, v[4:5], off
	s_wait_loadcnt 0x0
	v_mul_f32_e32 v6, s26, v4
	s_branch .LBB12_14
.LBB12_10:                              ;   in Loop: Header=BB12_5 Depth=1
	s_mov_b32 s44, 0
                                        ; implicit-def: $vgpr6
	s_cbranch_execz .LBB12_12
	s_branch .LBB12_15
.LBB12_11:                              ;   in Loop: Header=BB12_5 Depth=1
	s_or_b32 exec_lo, exec_lo, s34
	s_delay_alu instid0(SALU_CYCLE_1)
	s_and_b32 vcc_lo, exec_lo, s7
	s_cbranch_vccnz .LBB12_15
.LBB12_12:                              ;   in Loop: Header=BB12_5 Depth=1
	v_mov_b64_e32 v[4:5], v[0:1]
	s_and_saveexec_b32 s7, s44
	s_cbranch_execz .LBB12_3
	s_branch .LBB12_52
.LBB12_13:                              ;   in Loop: Header=BB12_5 Depth=1
	v_mov_b32_e32 v6, 0
.LBB12_14:                              ;   in Loop: Header=BB12_5 Depth=1
	s_mov_b32 s44, exec_lo
	s_wait_xcnt 0x0
	s_or_b32 exec_lo, exec_lo, s34
	s_delay_alu instid0(SALU_CYCLE_1)
	s_and_b32 vcc_lo, exec_lo, s7
	s_cbranch_vccz .LBB12_12
.LBB12_15:                              ;   in Loop: Header=BB12_5 Depth=1
	s_mul_u64 s[34:35], s[8:9], s[28:29]
	s_mul_u64 s[36:37], s[24:25], s[28:29]
	v_dual_mov_b32 v40, 0 :: v_dual_mov_b32 v44, v28
	v_dual_mov_b32 v41, 0 :: v_dual_mov_b32 v42, 0
	v_mov_b32_e32 v43, 0
	s_lshl_b64 s[34:35], s[34:35], 2
	s_lshl_b64 s[36:37], s[36:37], 2
	s_add_nc_u64 s[34:35], s[16:17], s[34:35]
	s_add_nc_u64 s[36:37], s[10:11], s[36:37]
	s_and_saveexec_b32 s7, s4
	s_cbranch_execz .LBB12_27
; %bb.16:                               ;   in Loop: Header=BB12_5 Depth=1
	v_dual_mov_b32 v40, 0 :: v_dual_mov_b32 v45, v38
	v_dual_mov_b32 v46, v33 :: v_dual_mov_b32 v47, v32
	;; [unrolled: 1-line block ×4, first 2 shown]
	v_mov_b32_e32 v43, 0
	s_mov_b32 s45, 0
	s_mov_b32 s46, 0
	s_branch .LBB12_21
.LBB12_17:                              ;   in Loop: Header=BB12_21 Depth=2
	s_wait_xcnt 0x0
	s_or_b32 exec_lo, exec_lo, s50
	s_wait_loadcnt 0x2
	v_pk_mul_f32 v[18:19], v[8:9], v[18:19]
	s_wait_loadcnt 0x0
	v_pk_mul_f32 v[16:17], v[4:5], v[16:17]
	s_delay_alu instid0(VALU_DEP_2) | instskip(NEXT) | instid1(VALU_DEP_1)
	v_add_f32_e32 v18, v42, v18
	v_add_f32_e32 v18, v18, v19
	s_delay_alu instid0(VALU_DEP_1) | instskip(NEXT) | instid1(VALU_DEP_1)
	v_add_f32_e32 v16, v18, v16
	v_add_f32_e32 v42, v16, v17
.LBB12_18:                              ;   in Loop: Header=BB12_21 Depth=2
	s_or_b32 exec_lo, exec_lo, s49
	s_wait_loadcnt 0x2
	v_pk_mul_f32 v[14:15], v[8:9], v[14:15]
	s_wait_loadcnt 0x0
	v_pk_mul_f32 v[12:13], v[4:5], v[12:13]
	s_delay_alu instid0(VALU_DEP_2) | instskip(NEXT) | instid1(VALU_DEP_1)
	v_add_f32_e32 v14, v41, v14
	v_add_f32_e32 v14, v14, v15
	s_delay_alu instid0(VALU_DEP_1) | instskip(NEXT) | instid1(VALU_DEP_1)
	v_add_f32_e32 v12, v14, v12
	v_add_f32_e32 v41, v12, v13
.LBB12_19:                              ;   in Loop: Header=BB12_21 Depth=2
	s_or_b32 exec_lo, exec_lo, s48
	s_wait_loadcnt 0x2
	v_pk_mul_f32 v[8:9], v[8:9], v[10:11]
	s_wait_loadcnt 0x0
	v_pk_mul_f32 v[4:5], v[4:5], v[6:7]
	s_delay_alu instid0(VALU_DEP_2) | instskip(NEXT) | instid1(VALU_DEP_1)
	v_add_f32_e32 v8, v40, v8
	v_add_f32_e32 v8, v8, v9
	s_delay_alu instid0(VALU_DEP_1) | instskip(NEXT) | instid1(VALU_DEP_1)
	v_add_f32_e32 v4, v8, v4
	v_add_f32_e32 v40, v4, v5
.LBB12_20:                              ;   in Loop: Header=BB12_21 Depth=2
	s_or_b32 exec_lo, exec_lo, s47
	v_dual_add_nc_u32 v44, 64, v44 :: v_dual_add_nc_u32 v47, s42, v47
	v_dual_add_nc_u32 v48, s42, v48 :: v_dual_add_nc_u32 v46, s42, v46
	v_add_nc_u32_e32 v45, s42, v45
	s_delay_alu instid0(VALU_DEP_3) | instskip(SKIP_2) | instid1(SALU_CYCLE_1)
	v_cmp_le_i32_e32 vcc_lo, s40, v44
	s_add_co_i32 s46, s46, s43
	s_or_b32 s45, vcc_lo, s45
	s_and_not1_b32 exec_lo, exec_lo, s45
	s_cbranch_execz .LBB12_26
.LBB12_21:                              ;   Parent Loop BB12_5 Depth=1
                                        ; =>  This Inner Loop Header: Depth=2
	s_and_saveexec_b32 s47, s0
	s_cbranch_execz .LBB12_20
; %bb.22:                               ;   in Loop: Header=BB12_21 Depth=2
	v_dual_add_nc_u32 v13, s46, v36 :: v_dual_add_nc_u32 v15, s46, v34
	v_dual_add_nc_u32 v17, s46, v35 :: v_dual_add_nc_u32 v12, s38, v45
	;; [unrolled: 1-line block ×4, first 2 shown]
	s_clause 0x3
	global_load_b32 v5, v13, s[36:37] scale_offset
	global_load_b32 v4, v15, s[36:37] scale_offset
	;; [unrolled: 1-line block ×4, first 2 shown]
	s_clause 0x3
	global_load_b32 v10, v12, s[34:35] scale_offset
	global_load_b32 v11, v14, s[34:35] scale_offset
	;; [unrolled: 1-line block ×4, first 2 shown]
	s_wait_xcnt 0x0
	s_and_saveexec_b32 s48, s1
	s_cbranch_execz .LBB12_19
; %bb.23:                               ;   in Loop: Header=BB12_21 Depth=2
	v_dual_ashrrev_i32 v13, 31, v12 :: v_dual_ashrrev_i32 v15, 31, v14
	v_dual_ashrrev_i32 v19, 31, v18 :: v_dual_ashrrev_i32 v17, 31, v16
	s_delay_alu instid0(VALU_DEP_2) | instskip(NEXT) | instid1(VALU_DEP_3)
	v_lshl_add_u64 v[22:23], v[12:13], 2, s[34:35]
	v_lshl_add_u64 v[20:21], v[14:15], 2, s[34:35]
	s_delay_alu instid0(VALU_DEP_3) | instskip(NEXT) | instid1(VALU_DEP_4)
	v_lshl_add_u64 v[24:25], v[18:19], 2, s[34:35]
	v_lshl_add_u64 v[26:27], v[16:17], 2, s[34:35]
	s_clause 0x3
	global_load_b32 v14, v[22:23], off offset:128
	global_load_b32 v15, v[20:21], off offset:128
	;; [unrolled: 1-line block ×4, first 2 shown]
	s_wait_xcnt 0x0
	s_and_saveexec_b32 s49, s2
	s_cbranch_execz .LBB12_18
; %bb.24:                               ;   in Loop: Header=BB12_21 Depth=2
	s_clause 0x3
	global_load_b32 v18, v[22:23], off offset:256
	global_load_b32 v19, v[20:21], off offset:256
	;; [unrolled: 1-line block ×4, first 2 shown]
	s_wait_xcnt 0x0
	s_and_saveexec_b32 s50, s3
	s_cbranch_execz .LBB12_17
; %bb.25:                               ;   in Loop: Header=BB12_21 Depth=2
	s_clause 0x3
	global_load_b32 v50, v[22:23], off offset:384
	global_load_b32 v51, v[20:21], off offset:384
	global_load_b32 v52, v[24:25], off offset:384
	global_load_b32 v53, v[26:27], off offset:384
	s_wait_loadcnt 0x2
	s_wait_xcnt 0x2
	v_pk_mul_f32 v[20:21], v[8:9], v[50:51]
	s_delay_alu instid0(VALU_DEP_1) | instskip(NEXT) | instid1(VALU_DEP_1)
	v_add_f32_e32 v20, v43, v20
	v_add_f32_e32 v22, v20, v21
	s_wait_loadcnt 0x0
	v_pk_mul_f32 v[20:21], v[4:5], v[52:53]
	s_delay_alu instid0(VALU_DEP_1) | instskip(NEXT) | instid1(VALU_DEP_1)
	v_add_f32_e32 v20, v22, v20
	v_add_f32_e32 v43, v20, v21
	s_branch .LBB12_17
.LBB12_26:                              ;   in Loop: Header=BB12_5 Depth=1
	s_or_b32 exec_lo, exec_lo, s45
.LBB12_27:                              ;   in Loop: Header=BB12_5 Depth=1
	s_delay_alu instid0(SALU_CYCLE_1) | instskip(NEXT) | instid1(SALU_CYCLE_1)
	s_or_b32 exec_lo, exec_lo, s7
	s_and_not1_b32 vcc_lo, exec_lo, s41
	s_cbranch_vccnz .LBB12_45
; %bb.28:                               ;   in Loop: Header=BB12_5 Depth=1
	v_dual_mov_b32 v6, 0 :: v_dual_bitop2_b32 v8, 1, v44 bitop3:0x54
	v_cmp_gt_i32_e32 vcc_lo, s21, v44
	s_delay_alu instid0(VALU_DEP_2)
	v_dual_mov_b32 v7, v6 :: v_dual_mov_b32 v4, v6
	v_mov_b32_e32 v5, v6
	s_and_saveexec_b32 s45, vcc_lo
	s_cbranch_execz .LBB12_36
; %bb.29:                               ;   in Loop: Header=BB12_5 Depth=1
	v_mul_lo_u32 v4, v44, s18
	v_dual_mov_b32 v5, 0 :: v_dual_mov_b32 v7, 0
	v_mov_b32_e32 v6, 0
	s_mov_b32 s46, exec_lo
	global_load_b32 v4, v4, s[36:37] scale_offset
	s_wait_xcnt 0x0
	v_cmpx_gt_i32_e64 s21, v8
	s_cbranch_execz .LBB12_35
; %bb.30:                               ;   in Loop: Header=BB12_5 Depth=1
	v_mul_lo_u32 v5, v8, s18
	v_dual_mov_b32 v7, 0 :: v_dual_bitop2_b32 v9, 2, v44 bitop3:0x54
	v_mov_b32_e32 v6, 0
	s_mov_b32 s47, exec_lo
	global_load_b32 v5, v5, s[36:37] scale_offset
	s_wait_xcnt 0x0
	v_cmpx_gt_i32_e64 s21, v9
	s_cbranch_execz .LBB12_34
; %bb.31:                               ;   in Loop: Header=BB12_5 Depth=1
	v_mul_lo_u32 v6, v9, s18
	v_dual_mov_b32 v7, 0 :: v_dual_bitop2_b32 v9, 3, v44 bitop3:0x54
	s_mov_b32 s48, exec_lo
	global_load_b32 v6, v6, s[36:37] scale_offset
	s_wait_xcnt 0x0
	v_cmpx_gt_i32_e64 s21, v9
	s_cbranch_execz .LBB12_33
; %bb.32:                               ;   in Loop: Header=BB12_5 Depth=1
	v_mul_lo_u32 v7, v9, s18
	global_load_b32 v7, v7, s[36:37] scale_offset
.LBB12_33:                              ;   in Loop: Header=BB12_5 Depth=1
	s_wait_xcnt 0x0
	s_or_b32 exec_lo, exec_lo, s48
.LBB12_34:                              ;   in Loop: Header=BB12_5 Depth=1
	s_delay_alu instid0(SALU_CYCLE_1)
	s_or_b32 exec_lo, exec_lo, s47
.LBB12_35:                              ;   in Loop: Header=BB12_5 Depth=1
	s_delay_alu instid0(SALU_CYCLE_1)
	s_or_b32 exec_lo, exec_lo, s46
.LBB12_36:                              ;   in Loop: Header=BB12_5 Depth=1
	s_delay_alu instid0(SALU_CYCLE_1)
	s_or_b32 exec_lo, exec_lo, s45
	s_and_saveexec_b32 s7, s0
	s_cbranch_execz .LBB12_44
; %bb.37:                               ;   in Loop: Header=BB12_5 Depth=1
	v_mul_lo_u32 v10, v44, s23
	v_or_b32_e32 v9, 2, v44
	v_mul_lo_u32 v12, v8, s23
	s_delay_alu instid0(VALU_DEP_3) | instskip(NEXT) | instid1(VALU_DEP_3)
	v_cndmask_b32_e32 v10, 0, v10, vcc_lo
	v_mul_lo_u32 v13, v9, s23
	v_cmp_gt_i32_e32 vcc_lo, s21, v8
	s_delay_alu instid0(VALU_DEP_4) | instskip(SKIP_1) | instid1(VALU_DEP_4)
	v_cndmask_b32_e32 v8, 0, v12, vcc_lo
	v_cmp_gt_i32_e32 vcc_lo, s21, v9
	v_dual_cndmask_b32 v9, 0, v13, vcc_lo :: v_dual_bitop2_b32 v11, 3, v44 bitop3:0x54
	s_delay_alu instid0(VALU_DEP_1) | instskip(SKIP_1) | instid1(VALU_DEP_2)
	v_mul_lo_u32 v14, v11, s23
	v_cmp_gt_i32_e32 vcc_lo, s21, v11
	v_dual_cndmask_b32 v11, 0, v14 :: v_dual_add_nc_u32 v14, v10, v29
	s_delay_alu instid0(VALU_DEP_4) | instskip(NEXT) | instid1(VALU_DEP_2)
	v_dual_add_nc_u32 v16, v8, v29 :: v_dual_add_nc_u32 v22, v9, v29
	v_add_nc_u32_e32 v12, v11, v29
	s_clause 0x3
	global_load_b32 v10, v14, s[34:35] scale_offset
	global_load_b32 v11, v16, s[34:35] scale_offset
	;; [unrolled: 1-line block ×4, first 2 shown]
	s_wait_xcnt 0x0
	s_and_saveexec_b32 s36, s1
	s_cbranch_execz .LBB12_43
; %bb.38:                               ;   in Loop: Header=BB12_5 Depth=1
	v_dual_ashrrev_i32 v15, 31, v14 :: v_dual_ashrrev_i32 v17, 31, v16
	v_dual_ashrrev_i32 v23, 31, v22 :: v_dual_ashrrev_i32 v13, 31, v12
	s_delay_alu instid0(VALU_DEP_2) | instskip(NEXT) | instid1(VALU_DEP_3)
	v_lshl_add_u64 v[20:21], v[14:15], 2, s[34:35]
	v_lshl_add_u64 v[18:19], v[16:17], 2, s[34:35]
	s_delay_alu instid0(VALU_DEP_3) | instskip(NEXT) | instid1(VALU_DEP_4)
	v_lshl_add_u64 v[24:25], v[22:23], 2, s[34:35]
	v_lshl_add_u64 v[26:27], v[12:13], 2, s[34:35]
	s_clause 0x3
	global_load_b32 v14, v[20:21], off offset:128
	global_load_b32 v15, v[18:19], off offset:128
	;; [unrolled: 1-line block ×4, first 2 shown]
	s_wait_xcnt 0x0
	s_and_saveexec_b32 s34, s2
	s_cbranch_execz .LBB12_42
; %bb.39:                               ;   in Loop: Header=BB12_5 Depth=1
	s_clause 0x3
	global_load_b32 v22, v[20:21], off offset:256
	global_load_b32 v23, v[18:19], off offset:256
	;; [unrolled: 1-line block ×4, first 2 shown]
	s_wait_xcnt 0x0
	s_and_saveexec_b32 s35, s3
	s_cbranch_execz .LBB12_41
; %bb.40:                               ;   in Loop: Header=BB12_5 Depth=1
	s_clause 0x3
	global_load_b32 v44, v[20:21], off offset:384
	global_load_b32 v45, v[18:19], off offset:384
	;; [unrolled: 1-line block ×4, first 2 shown]
	s_wait_loadcnt 0x2
	s_wait_xcnt 0x2
	v_pk_mul_f32 v[18:19], v[4:5], v[44:45]
	s_delay_alu instid0(VALU_DEP_1) | instskip(NEXT) | instid1(VALU_DEP_1)
	v_add_f32_e32 v18, v43, v18
	v_add_f32_e32 v20, v18, v19
	s_wait_loadcnt 0x0
	v_pk_mul_f32 v[18:19], v[6:7], v[46:47]
	s_delay_alu instid0(VALU_DEP_1) | instskip(NEXT) | instid1(VALU_DEP_1)
	v_add_f32_e32 v18, v20, v18
	v_add_f32_e32 v43, v18, v19
.LBB12_41:                              ;   in Loop: Header=BB12_5 Depth=1
	s_wait_xcnt 0x0
	s_or_b32 exec_lo, exec_lo, s35
	s_wait_loadcnt 0x2
	v_pk_mul_f32 v[18:19], v[4:5], v[22:23]
	s_wait_loadcnt 0x0
	v_pk_mul_f32 v[16:17], v[6:7], v[16:17]
	s_delay_alu instid0(VALU_DEP_2) | instskip(NEXT) | instid1(VALU_DEP_1)
	v_add_f32_e32 v18, v42, v18
	v_add_f32_e32 v18, v18, v19
	s_delay_alu instid0(VALU_DEP_1) | instskip(NEXT) | instid1(VALU_DEP_1)
	v_add_f32_e32 v16, v18, v16
	v_add_f32_e32 v42, v16, v17
.LBB12_42:                              ;   in Loop: Header=BB12_5 Depth=1
	s_or_b32 exec_lo, exec_lo, s34
	s_wait_loadcnt 0x2
	v_pk_mul_f32 v[14:15], v[4:5], v[14:15]
	s_wait_loadcnt 0x0
	v_pk_mul_f32 v[12:13], v[6:7], v[12:13]
	s_delay_alu instid0(VALU_DEP_2) | instskip(NEXT) | instid1(VALU_DEP_1)
	v_add_f32_e32 v14, v41, v14
	v_add_f32_e32 v14, v14, v15
	s_delay_alu instid0(VALU_DEP_1) | instskip(NEXT) | instid1(VALU_DEP_1)
	v_add_f32_e32 v12, v14, v12
	v_add_f32_e32 v41, v12, v13
.LBB12_43:                              ;   in Loop: Header=BB12_5 Depth=1
	s_or_b32 exec_lo, exec_lo, s36
	s_wait_loadcnt 0x2
	v_pk_mul_f32 v[4:5], v[4:5], v[10:11]
	s_delay_alu instid0(VALU_DEP_1) | instskip(NEXT) | instid1(VALU_DEP_1)
	v_add_f32_e32 v4, v40, v4
	v_add_f32_e32 v10, v4, v5
	s_wait_loadcnt 0x0
	v_pk_mul_f32 v[4:5], v[6:7], v[8:9]
	s_delay_alu instid0(VALU_DEP_1) | instskip(NEXT) | instid1(VALU_DEP_1)
	v_add_f32_e32 v4, v10, v4
	v_add_f32_e32 v40, v4, v5
.LBB12_44:                              ;   in Loop: Header=BB12_5 Depth=1
	s_or_b32 exec_lo, exec_lo, s7
.LBB12_45:                              ;   in Loop: Header=BB12_5 Depth=1
	ds_store_2addr_b32 v30, v40, v41 offset1:32
	ds_store_2addr_b32 v30, v42, v43 offset0:64 offset1:96
	s_wait_loadcnt_dscnt 0x0
	s_barrier_signal -1
	s_barrier_wait -1
                                        ; implicit-def: $vgpr6
	s_and_saveexec_b32 s7, s5
	s_cbranch_execz .LBB12_51
; %bb.46:                               ;   in Loop: Header=BB12_5 Depth=1
	ds_load_2addr_stride64_b32 v[4:5], v31 offset1:2
	ds_load_2addr_stride64_b32 v[6:7], v31 offset0:4 offset1:6
	ds_load_2addr_stride64_b32 v[8:9], v31 offset0:8 offset1:10
	s_mov_b32 s35, s44
	s_wait_dscnt 0x2
	v_add_f32_e32 v10, v4, v5
	ds_load_2addr_stride64_b32 v[4:5], v31 offset0:12 offset1:14
	s_wait_dscnt 0x2
	v_add_f32_e32 v6, v6, v10
	s_delay_alu instid0(VALU_DEP_1) | instskip(SKIP_3) | instid1(VALU_DEP_1)
	v_add_f32_e32 v10, v7, v6
	ds_load_2addr_stride64_b32 v[6:7], v31 offset0:16 offset1:18
	s_wait_dscnt 0x2
	v_add_f32_e32 v8, v8, v10
	v_add_f32_e32 v10, v9, v8
	ds_load_2addr_stride64_b32 v[8:9], v31 offset0:20 offset1:22
	s_wait_dscnt 0x2
	v_add_f32_e32 v4, v4, v10
	s_delay_alu instid0(VALU_DEP_1) | instskip(SKIP_1) | instid1(VALU_DEP_1)
	v_add_f32_e32 v4, v5, v4
	s_wait_dscnt 0x1
	v_add_f32_e32 v6, v6, v4
	ds_load_2addr_stride64_b32 v[4:5], v31 offset0:24 offset1:26
	v_add_f32_e32 v6, v7, v6
	s_wait_dscnt 0x1
	s_delay_alu instid0(VALU_DEP_1) | instskip(SKIP_3) | instid1(VALU_DEP_1)
	v_add_f32_e32 v8, v8, v6
	ds_load_2addr_stride64_b32 v[6:7], v31 offset0:28 offset1:30
	v_add_f32_e32 v8, v9, v8
	s_wait_dscnt 0x1
	v_add_f32_e32 v4, v4, v8
	s_delay_alu instid0(VALU_DEP_1) | instskip(SKIP_1) | instid1(VALU_DEP_1)
	v_add_f32_e32 v4, v5, v4
	s_wait_dscnt 0x0
	v_add_f32_e32 v4, v6, v4
                                        ; implicit-def: $vgpr6
	s_delay_alu instid0(VALU_DEP_1)
	v_add_f32_e32 v4, v7, v4
	ds_store_b32 v31, v4
	s_and_saveexec_b32 s34, s6
	s_cbranch_execz .LBB12_50
; %bb.47:                               ;   in Loop: Header=BB12_5 Depth=1
	v_mul_f32_e32 v6, s22, v4
	s_and_not1_b32 vcc_lo, exec_lo, s39
	s_cbranch_vccnz .LBB12_49
; %bb.48:                               ;   in Loop: Header=BB12_5 Depth=1
	v_lshl_add_u64 v[4:5], v[2:3], 2, s[30:31]
	global_load_b32 v4, v[4:5], off
	s_wait_loadcnt 0x0
	v_fmac_f32_e32 v6, s26, v4
.LBB12_49:                              ;   in Loop: Header=BB12_5 Depth=1
	s_or_b32 s35, s44, exec_lo
.LBB12_50:                              ;   in Loop: Header=BB12_5 Depth=1
	s_wait_xcnt 0x0
	s_or_b32 exec_lo, exec_lo, s34
	s_delay_alu instid0(SALU_CYCLE_1) | instskip(SKIP_1) | instid1(SALU_CYCLE_1)
	s_and_not1_b32 s34, s44, exec_lo
	s_and_b32 s35, s35, exec_lo
	s_or_b32 s44, s34, s35
.LBB12_51:                              ;   in Loop: Header=BB12_5 Depth=1
	s_or_b32 exec_lo, exec_lo, s7
	v_mov_b64_e32 v[4:5], v[2:3]
	s_and_saveexec_b32 s7, s44
	s_cbranch_execz .LBB12_3
.LBB12_52:                              ;   in Loop: Header=BB12_5 Depth=1
	s_delay_alu instid0(VALU_DEP_1)
	v_lshl_add_u64 v[4:5], v[4:5], 2, s[30:31]
	global_store_b32 v[4:5], v6, off
	s_branch .LBB12_3
.LBB12_53:
	s_endpgm
	.section	.rodata,"a",@progbits
	.p2align	6, 0x0
	.amdhsa_kernel _ZL20rocblas_gemvn_kernelILi32ELi16EifffEviiT3_lPKT2_lT1_lS3_lS4_lS0_lPT4_lS4_li
		.amdhsa_group_segment_fixed_size 8192
		.amdhsa_private_segment_fixed_size 0
		.amdhsa_kernarg_size 400
		.amdhsa_user_sgpr_count 2
		.amdhsa_user_sgpr_dispatch_ptr 0
		.amdhsa_user_sgpr_queue_ptr 0
		.amdhsa_user_sgpr_kernarg_segment_ptr 1
		.amdhsa_user_sgpr_dispatch_id 0
		.amdhsa_user_sgpr_kernarg_preload_length 0
		.amdhsa_user_sgpr_kernarg_preload_offset 0
		.amdhsa_user_sgpr_private_segment_size 0
		.amdhsa_wavefront_size32 1
		.amdhsa_uses_dynamic_stack 0
		.amdhsa_enable_private_segment 0
		.amdhsa_system_sgpr_workgroup_id_x 1
		.amdhsa_system_sgpr_workgroup_id_y 0
		.amdhsa_system_sgpr_workgroup_id_z 1
		.amdhsa_system_sgpr_workgroup_info 0
		.amdhsa_system_vgpr_workitem_id 1
		.amdhsa_next_free_vgpr 54
		.amdhsa_next_free_sgpr 51
		.amdhsa_named_barrier_count 0
		.amdhsa_reserve_vcc 1
		.amdhsa_float_round_mode_32 0
		.amdhsa_float_round_mode_16_64 0
		.amdhsa_float_denorm_mode_32 3
		.amdhsa_float_denorm_mode_16_64 3
		.amdhsa_fp16_overflow 0
		.amdhsa_memory_ordered 1
		.amdhsa_forward_progress 1
		.amdhsa_inst_pref_size 23
		.amdhsa_round_robin_scheduling 0
		.amdhsa_exception_fp_ieee_invalid_op 0
		.amdhsa_exception_fp_denorm_src 0
		.amdhsa_exception_fp_ieee_div_zero 0
		.amdhsa_exception_fp_ieee_overflow 0
		.amdhsa_exception_fp_ieee_underflow 0
		.amdhsa_exception_fp_ieee_inexact 0
		.amdhsa_exception_int_div_zero 0
	.end_amdhsa_kernel
	.section	.text._ZL20rocblas_gemvn_kernelILi32ELi16EifffEviiT3_lPKT2_lT1_lS3_lS4_lS0_lPT4_lS4_li,"axG",@progbits,_ZL20rocblas_gemvn_kernelILi32ELi16EifffEviiT3_lPKT2_lT1_lS3_lS4_lS0_lPT4_lS4_li,comdat
.Lfunc_end12:
	.size	_ZL20rocblas_gemvn_kernelILi32ELi16EifffEviiT3_lPKT2_lT1_lS3_lS4_lS0_lPT4_lS4_li, .Lfunc_end12-_ZL20rocblas_gemvn_kernelILi32ELi16EifffEviiT3_lPKT2_lT1_lS3_lS4_lS0_lPT4_lS4_li
                                        ; -- End function
	.set _ZL20rocblas_gemvn_kernelILi32ELi16EifffEviiT3_lPKT2_lT1_lS3_lS4_lS0_lPT4_lS4_li.num_vgpr, 54
	.set _ZL20rocblas_gemvn_kernelILi32ELi16EifffEviiT3_lPKT2_lT1_lS3_lS4_lS0_lPT4_lS4_li.num_agpr, 0
	.set _ZL20rocblas_gemvn_kernelILi32ELi16EifffEviiT3_lPKT2_lT1_lS3_lS4_lS0_lPT4_lS4_li.numbered_sgpr, 51
	.set _ZL20rocblas_gemvn_kernelILi32ELi16EifffEviiT3_lPKT2_lT1_lS3_lS4_lS0_lPT4_lS4_li.num_named_barrier, 0
	.set _ZL20rocblas_gemvn_kernelILi32ELi16EifffEviiT3_lPKT2_lT1_lS3_lS4_lS0_lPT4_lS4_li.private_seg_size, 0
	.set _ZL20rocblas_gemvn_kernelILi32ELi16EifffEviiT3_lPKT2_lT1_lS3_lS4_lS0_lPT4_lS4_li.uses_vcc, 1
	.set _ZL20rocblas_gemvn_kernelILi32ELi16EifffEviiT3_lPKT2_lT1_lS3_lS4_lS0_lPT4_lS4_li.uses_flat_scratch, 0
	.set _ZL20rocblas_gemvn_kernelILi32ELi16EifffEviiT3_lPKT2_lT1_lS3_lS4_lS0_lPT4_lS4_li.has_dyn_sized_stack, 0
	.set _ZL20rocblas_gemvn_kernelILi32ELi16EifffEviiT3_lPKT2_lT1_lS3_lS4_lS0_lPT4_lS4_li.has_recursion, 0
	.set _ZL20rocblas_gemvn_kernelILi32ELi16EifffEviiT3_lPKT2_lT1_lS3_lS4_lS0_lPT4_lS4_li.has_indirect_call, 0
	.section	.AMDGPU.csdata,"",@progbits
; Kernel info:
; codeLenInByte = 2884
; TotalNumSgprs: 53
; NumVgprs: 54
; ScratchSize: 0
; MemoryBound: 0
; FloatMode: 240
; IeeeMode: 1
; LDSByteSize: 8192 bytes/workgroup (compile time only)
; SGPRBlocks: 0
; VGPRBlocks: 3
; NumSGPRsForWavesPerEU: 53
; NumVGPRsForWavesPerEU: 54
; NamedBarCnt: 0
; Occupancy: 16
; WaveLimiterHint : 1
; COMPUTE_PGM_RSRC2:SCRATCH_EN: 0
; COMPUTE_PGM_RSRC2:USER_SGPR: 2
; COMPUTE_PGM_RSRC2:TRAP_HANDLER: 0
; COMPUTE_PGM_RSRC2:TGID_X_EN: 1
; COMPUTE_PGM_RSRC2:TGID_Y_EN: 0
; COMPUTE_PGM_RSRC2:TGID_Z_EN: 1
; COMPUTE_PGM_RSRC2:TIDIG_COMP_CNT: 1
	.section	.text._ZL20rocblas_gemvn_kernelILi32ELi16ElfffEviiT3_lPKT2_lT1_lS3_lS4_lS0_lPT4_lS4_li,"axG",@progbits,_ZL20rocblas_gemvn_kernelILi32ELi16ElfffEviiT3_lPKT2_lT1_lS3_lS4_lS0_lPT4_lS4_li,comdat
	.globl	_ZL20rocblas_gemvn_kernelILi32ELi16ElfffEviiT3_lPKT2_lT1_lS3_lS4_lS0_lPT4_lS4_li ; -- Begin function _ZL20rocblas_gemvn_kernelILi32ELi16ElfffEviiT3_lPKT2_lT1_lS3_lS4_lS0_lPT4_lS4_li
	.p2align	8
	.type	_ZL20rocblas_gemvn_kernelILi32ELi16ElfffEviiT3_lPKT2_lT1_lS3_lS4_lS0_lPT4_lS4_li,@function
_ZL20rocblas_gemvn_kernelILi32ELi16ElfffEviiT3_lPKT2_lT1_lS3_lS4_lS0_lPT4_lS4_li: ; @_ZL20rocblas_gemvn_kernelILi32ELi16ElfffEviiT3_lPKT2_lT1_lS3_lS4_lS0_lPT4_lS4_li
; %bb.0:
	s_load_b64 s[2:3], s[0:1], 0x9c
	s_wait_kmcnt 0x0
	s_lshr_b32 s4, s2, 16
	s_and_b32 s2, s2, 0xffff
	s_and_b32 s3, s3, 0xffff
	s_mul_i32 s2, s4, s2
	s_delay_alu instid0(SALU_CYCLE_1) | instskip(NEXT) | instid1(SALU_CYCLE_1)
	s_mul_i32 s2, s2, s3
	s_cmp_lg_u32 s2, 0x200
	s_cbranch_scc1 .LBB13_53
; %bb.1:
	s_load_b32 s33, s[0:1], 0x88
	s_bfe_u32 s2, ttmp6, 0x40014
	s_lshr_b32 s3, ttmp7, 16
	s_add_co_i32 s2, s2, 1
	s_bfe_u32 s4, ttmp6, 0x40008
	s_mul_i32 s2, s3, s2
	s_getreg_b32 s6, hwreg(HW_REG_IB_STS2, 6, 4)
	s_add_co_i32 s4, s4, s2
	s_cmp_eq_u32 s6, 0
	s_mov_b32 s35, 0
	s_cselect_b32 s34, s3, s4
	s_wait_kmcnt 0x0
	s_cmp_ge_u32 s34, s33
	s_cbranch_scc1 .LBB13_53
; %bb.2:
	s_clause 0x3
	s_load_b512 s[8:23], s[0:1], 0x18
	s_load_b256 s[24:31], s[0:1], 0x68
	s_load_b96 s[36:38], s[0:1], 0x0
	s_load_b32 s39, s[0:1], 0x58
	v_and_b32_e32 v6, 0x3ff, v0
	v_bfe_u32 v2, v0, 10, 10
	s_delay_alu instid0(VALU_DEP_2) | instskip(NEXT) | instid1(VALU_DEP_2)
	v_dual_mov_b32 v1, 0 :: v_dual_lshlrev_b32 v0, 2, v6
	v_lshl_add_u32 v7, v2, 5, v6
	s_delay_alu instid0(VALU_DEP_2) | instskip(NEXT) | instid1(VALU_DEP_3)
	v_dual_mov_b32 v3, v1 :: v_dual_lshlrev_b32 v64, 2, v2
	v_lshl_add_u32 v65, v2, 9, v0
	v_lshl_add_u32 v66, v2, 7, v0
	s_wait_xcnt 0x0
	v_cmp_gt_u32_e64 s0, 0x80, v7
	s_wait_kmcnt 0x0
	s_lshl_b64 s[4:5], s[10:11], 2
	s_lshl_b64 s[10:11], s[18:19], 2
	s_lshl_b64 s[2:3], s[26:27], 2
	s_cmp_eq_f32 s38, 0
	v_mul_u64_e32 v[10:11], s[20:21], v[2:3]
	v_mul_u64_e32 v[12:13], s[12:13], v[2:3]
	v_mad_nc_u64_u32 v[4:5], s20, v64, s[20:21]
	s_cselect_b32 s46, -1, 0
	s_cmp_neq_f32 s38, 0
	v_mad_nc_u64_u32 v[8:9], s12, v64, s[12:13]
	s_add_nc_u64 s[24:25], s[24:25], s[2:3]
	s_add_nc_u64 s[26:27], s[16:17], s[10:11]
	s_cselect_b32 s1, -1, 0
	s_cmp_neq_f32 s39, 1.0
	s_cselect_b32 s7, -1, 0
	s_bfe_u32 s18, ttmp6, 0x4000c
	s_and_b32 s19, ttmp6, 15
	s_add_co_i32 s18, s18, 1
	s_or_b32 s47, s1, s7
	s_mul_i32 s18, ttmp9, s18
	v_mad_u32 v5, s21, v64, v5
	s_add_co_i32 s19, s19, s18
	s_cmp_eq_u32 s6, 0
	s_mov_b32 s6, s36
	s_cselect_b32 s1, ttmp9, s19
	s_ashr_i32 s7, s36, 31
	s_lshl_b32 s1, s1, 7
	s_cmp_neq_f32 s39, 0
	v_dual_add_nc_u32 v0, s1, v7 :: v_dual_bitop2_b32 v14, s1, v7 bitop3:0x54
	v_mad_u32 v9, s13, v64, v9
	s_cselect_b32 s48, -1, 0
	s_add_nc_u64 s[18:19], s[8:9], s[4:5]
	s_delay_alu instid0(VALU_DEP_2)
	v_cmp_gt_i64_e32 vcc_lo, s[6:7], v[0:1]
	v_mul_u64_e32 v[2:3], s[28:29], v[0:1]
	v_dual_ashrrev_i32 v15, 31, v14 :: v_dual_bitop2_b32 v0, 3, v64 bitop3:0x54
	v_add_nc_u32_e32 v24, s1, v6
	s_ashr_i32 s1, s37, 31
	v_cmp_gt_i32_e64 s2, s36, v14
	s_delay_alu instid0(VALU_DEP_3)
	v_mul_u64_e32 v[16:17], s[12:13], v[0:1]
	v_mul_u64_e32 v[18:19], s[20:21], v[0:1]
	v_or_b32_e32 v0, 2, v64
	v_mul_u64_e32 v[6:7], s[28:29], v[14:15]
	s_lshr_b32 s3, s1, 26
	v_dual_ashrrev_i32 v25, 31, v24 :: v_dual_add_nc_u32 v15, 64, v24
	s_delay_alu instid0(VALU_DEP_3)
	v_mul_u64_e32 v[20:21], s[12:13], v[0:1]
	v_mul_u64_e32 v[22:23], s[20:21], v[0:1]
	s_add_co_i32 s49, s37, s3
	v_add_nc_u32_e32 v0, 32, v24
	v_add_nc_u32_e32 v26, 0x60, v24
	s_and_not1_b32 s49, s49, 63
	v_cmp_gt_i32_e64 s4, s36, v15
	s_sub_co_i32 s6, s37, s49
	v_lshlrev_b64_e32 v[14:15], 2, v[24:25]
	v_lshl_add_u64 v[4:5], v[4:5], 2, s[16:17]
	v_lshl_add_u64 v[8:9], v[8:9], 2, s[18:19]
	v_cmp_gt_i32_e64 s1, s36, v24
	v_lshl_add_u64 v[10:11], v[10:11], 4, s[16:17]
	v_lshl_add_u64 v[12:13], v[12:13], 4, s[18:19]
	v_cmp_gt_i32_e64 s3, s36, v0
	v_cmp_gt_i32_e64 s5, s36, v26
	s_cmp_gt_i32 s6, 0
	v_cmp_gt_i32_e64 s6, s49, v64
	s_cselect_b32 s36, -1, 0
	s_and_b32 s50, s0, vcc_lo
	s_lshl_b64 s[28:29], s[22:23], 2
	s_lshl_b64 s[40:41], s[14:15], 2
	s_lshl_b64 s[42:43], s[12:13], 8
	v_lshl_add_u64 v[16:17], v[16:17], 2, s[18:19]
	v_lshl_add_u64 v[18:19], v[18:19], 2, s[16:17]
	;; [unrolled: 1-line block ×4, first 2 shown]
	s_lshl_b64 s[16:17], s[20:21], 8
	s_branch .LBB13_5
.LBB13_3:                               ;   in Loop: Header=BB13_5 Depth=1
	s_wait_xcnt 0x0
	s_or_b32 exec_lo, exec_lo, s7
.LBB13_4:                               ;   in Loop: Header=BB13_5 Depth=1
	s_add_co_i32 s34, s34, 0x10000
	s_delay_alu instid0(SALU_CYCLE_1)
	s_cmp_lt_u32 s34, s33
	s_cbranch_scc0 .LBB13_53
.LBB13_5:                               ; =>This Loop Header: Depth=1
                                        ;     Child Loop BB13_21 Depth 2
	s_and_not1_b32 vcc_lo, exec_lo, s47
	s_cbranch_vccnz .LBB13_4
; %bb.6:                                ;   in Loop: Header=BB13_5 Depth=1
	s_mul_u64 s[8:9], s[30:31], s[34:35]
	s_and_not1_b32 vcc_lo, exec_lo, s46
	s_lshl_b64 s[8:9], s[8:9], 2
	s_delay_alu instid0(SALU_CYCLE_1)
	s_add_nc_u64 s[44:45], s[24:25], s[8:9]
	s_cbranch_vccnz .LBB13_10
; %bb.7:                                ;   in Loop: Header=BB13_5 Depth=1
	s_mov_b32 s7, 0
	s_mov_b32 s51, 0
                                        ; implicit-def: $vgpr0
	s_and_saveexec_b32 s8, s50
	s_cbranch_execz .LBB13_11
; %bb.8:                                ;   in Loop: Header=BB13_5 Depth=1
	s_and_not1_b32 vcc_lo, exec_lo, s48
	s_cbranch_vccnz .LBB13_13
; %bb.9:                                ;   in Loop: Header=BB13_5 Depth=1
	v_lshl_add_u64 v[24:25], v[2:3], 2, s[44:45]
	global_load_b32 v0, v[24:25], off
	s_wait_loadcnt 0x0
	v_mul_f32_e32 v0, s39, v0
	s_branch .LBB13_14
.LBB13_10:                              ;   in Loop: Header=BB13_5 Depth=1
	s_mov_b32 s51, 0
                                        ; implicit-def: $vgpr0
	s_cbranch_execz .LBB13_12
	s_branch .LBB13_15
.LBB13_11:                              ;   in Loop: Header=BB13_5 Depth=1
	s_or_b32 exec_lo, exec_lo, s8
	s_delay_alu instid0(SALU_CYCLE_1)
	s_and_b32 vcc_lo, exec_lo, s7
	s_cbranch_vccnz .LBB13_15
.LBB13_12:                              ;   in Loop: Header=BB13_5 Depth=1
	v_mov_b64_e32 v[24:25], v[2:3]
	s_and_saveexec_b32 s7, s51
	s_cbranch_execz .LBB13_3
	s_branch .LBB13_52
.LBB13_13:                              ;   in Loop: Header=BB13_5 Depth=1
	v_mov_b32_e32 v0, 0
.LBB13_14:                              ;   in Loop: Header=BB13_5 Depth=1
	s_mov_b32 s51, exec_lo
	s_wait_xcnt 0x0
	s_or_b32 exec_lo, exec_lo, s8
	s_delay_alu instid0(SALU_CYCLE_1)
	s_and_b32 vcc_lo, exec_lo, s7
	s_cbranch_vccz .LBB13_12
.LBB13_15:                              ;   in Loop: Header=BB13_5 Depth=1
	v_dual_mov_b32 v67, 0 :: v_dual_mov_b32 v0, v64
	v_dual_mov_b32 v68, 0 :: v_dual_mov_b32 v69, 0
	v_mov_b32_e32 v70, 0
	s_and_saveexec_b32 s7, s6
	s_cbranch_execz .LBB13_27
; %bb.16:                               ;   in Loop: Header=BB13_5 Depth=1
	s_mul_u64 s[8:9], s[28:29], s[34:35]
	s_mul_u64 s[52:53], s[40:41], s[34:35]
	v_add_nc_u64_e32 v[24:25], s[8:9], v[10:11]
	v_add_nc_u64_e32 v[26:27], s[52:53], v[16:17]
	;; [unrolled: 1-line block ×8, first 2 shown]
	v_dual_mov_b32 v67, 0 :: v_dual_mov_b32 v0, v64
	v_dual_mov_b32 v68, 0 :: v_dual_mov_b32 v69, 0
	v_mov_b32_e32 v70, 0
	s_mov_b32 s8, 0
	s_branch .LBB13_21
.LBB13_17:                              ;   in Loop: Header=BB13_21 Depth=2
	s_wait_xcnt 0x0
	s_or_b32 exec_lo, exec_lo, s54
	s_wait_loadcnt 0x2
	v_pk_mul_f32 v[52:53], v[44:45], v[62:63]
	s_delay_alu instid0(VALU_DEP_1) | instskip(NEXT) | instid1(VALU_DEP_1)
	v_add_f32_e32 v52, v69, v52
	v_add_f32_e32 v54, v52, v53
	s_wait_loadcnt 0x0
	v_pk_mul_f32 v[52:53], v[40:41], v[60:61]
	s_delay_alu instid0(VALU_DEP_1) | instskip(NEXT) | instid1(VALU_DEP_1)
	v_add_f32_e32 v52, v54, v52
	v_add_f32_e32 v69, v52, v53
.LBB13_18:                              ;   in Loop: Header=BB13_21 Depth=2
	s_or_b32 exec_lo, exec_lo, s53
	s_wait_loadcnt 0x2
	v_pk_mul_f32 v[50:51], v[44:45], v[50:51]
	s_wait_loadcnt 0x0
	v_pk_mul_f32 v[48:49], v[40:41], v[48:49]
	s_delay_alu instid0(VALU_DEP_2) | instskip(NEXT) | instid1(VALU_DEP_1)
	v_add_f32_e32 v50, v68, v50
	v_add_f32_e32 v50, v50, v51
	s_delay_alu instid0(VALU_DEP_1) | instskip(NEXT) | instid1(VALU_DEP_1)
	v_add_f32_e32 v48, v50, v48
	v_add_f32_e32 v68, v48, v49
.LBB13_19:                              ;   in Loop: Header=BB13_21 Depth=2
	s_or_b32 exec_lo, exec_lo, s52
	s_wait_loadcnt 0x2
	v_pk_mul_f32 v[44:45], v[44:45], v[46:47]
	s_wait_loadcnt 0x0
	v_pk_mul_f32 v[40:41], v[40:41], v[42:43]
	s_delay_alu instid0(VALU_DEP_2) | instskip(NEXT) | instid1(VALU_DEP_1)
	v_add_f32_e32 v44, v67, v44
	v_add_f32_e32 v44, v44, v45
	s_delay_alu instid0(VALU_DEP_1) | instskip(NEXT) | instid1(VALU_DEP_1)
	v_add_f32_e32 v40, v44, v40
	v_add_f32_e32 v67, v40, v41
.LBB13_20:                              ;   in Loop: Header=BB13_21 Depth=2
	s_or_b32 exec_lo, exec_lo, s9
	v_add_nc_u32_e32 v0, 64, v0
	v_add_nc_u64_e32 v[24:25], s[16:17], v[24:25]
	v_add_nc_u64_e32 v[26:27], s[42:43], v[26:27]
	;; [unrolled: 1-line block ×7, first 2 shown]
	v_cmp_le_i32_e32 vcc_lo, s49, v0
	v_add_nc_u64_e32 v[38:39], s[42:43], v[38:39]
	s_or_b32 s8, vcc_lo, s8
	s_delay_alu instid0(SALU_CYCLE_1)
	s_and_not1_b32 exec_lo, exec_lo, s8
	s_cbranch_execz .LBB13_26
.LBB13_21:                              ;   Parent Loop BB13_5 Depth=1
                                        ; =>  This Inner Loop Header: Depth=2
	s_and_saveexec_b32 s9, s1
	s_cbranch_execz .LBB13_20
; %bb.22:                               ;   in Loop: Header=BB13_21 Depth=2
	v_add_nc_u64_e32 v[40:41], s[10:11], v[28:29]
	v_add_nc_u64_e32 v[48:49], s[10:11], v[34:35]
	;; [unrolled: 1-line block ×8, first 2 shown]
	global_load_b32 v41, v[40:41], off
	global_load_b32 v40, v[48:49], off
	;; [unrolled: 1-line block ×8, first 2 shown]
	s_wait_xcnt 0x0
	s_and_saveexec_b32 s52, s3
	s_cbranch_execz .LBB13_19
; %bb.23:                               ;   in Loop: Header=BB13_21 Depth=2
	global_load_b32 v50, v[54:55], off offset:128
	global_load_b32 v51, v[56:57], off offset:128
	global_load_b32 v48, v[52:53], off offset:128
	global_load_b32 v49, v[58:59], off offset:128
	s_wait_xcnt 0x0
	s_and_saveexec_b32 s53, s4
	s_cbranch_execz .LBB13_18
; %bb.24:                               ;   in Loop: Header=BB13_21 Depth=2
	global_load_b32 v62, v[54:55], off offset:256
	global_load_b32 v63, v[56:57], off offset:256
	global_load_b32 v60, v[52:53], off offset:256
	global_load_b32 v61, v[58:59], off offset:256
	;; [unrolled: 8-line block ×3, first 2 shown]
	s_wait_loadcnt 0x2
	v_pk_mul_f32 v[54:55], v[44:45], v[54:55]
	s_wait_loadcnt 0x0
	v_pk_mul_f32 v[52:53], v[40:41], v[52:53]
	s_delay_alu instid0(VALU_DEP_2) | instskip(NEXT) | instid1(VALU_DEP_1)
	v_add_f32_e32 v54, v70, v54
	v_add_f32_e32 v54, v54, v55
	s_delay_alu instid0(VALU_DEP_1) | instskip(NEXT) | instid1(VALU_DEP_1)
	v_add_f32_e32 v52, v54, v52
	v_add_f32_e32 v70, v52, v53
	s_branch .LBB13_17
.LBB13_26:                              ;   in Loop: Header=BB13_5 Depth=1
	s_or_b32 exec_lo, exec_lo, s8
.LBB13_27:                              ;   in Loop: Header=BB13_5 Depth=1
	s_delay_alu instid0(SALU_CYCLE_1) | instskip(NEXT) | instid1(SALU_CYCLE_1)
	s_or_b32 exec_lo, exec_lo, s7
	s_and_not1_b32 vcc_lo, exec_lo, s36
	s_cbranch_vccnz .LBB13_45
; %bb.28:                               ;   in Loop: Header=BB13_5 Depth=1
	v_dual_mov_b32 v26, 0 :: v_dual_bitop2_b32 v28, 1, v0 bitop3:0x54
	v_cmp_gt_i32_e32 vcc_lo, s37, v0
	s_delay_alu instid0(VALU_DEP_2)
	v_dual_mov_b32 v27, v26 :: v_dual_mov_b32 v24, v26
	v_mov_b32_e32 v25, v26
	s_and_saveexec_b32 s52, vcc_lo
	s_cbranch_execz .LBB13_36
; %bb.29:                               ;   in Loop: Header=BB13_5 Depth=1
	v_mul_u64_e32 v[24:25], s[20:21], v[0:1]
	s_mul_u64 s[8:9], s[22:23], s[34:35]
	v_mov_b32_e32 v26, 0
	s_lshl_b64 s[8:9], s[8:9], 2
	s_mov_b32 s53, exec_lo
	s_add_nc_u64 s[8:9], s[26:27], s[8:9]
	v_mov_b32_e32 v27, 0
	s_delay_alu instid0(VALU_DEP_3)
	v_lshl_add_u64 v[24:25], v[24:25], 2, s[8:9]
	global_load_b32 v24, v[24:25], off
	s_wait_xcnt 0x0
	v_mov_b32_e32 v25, 0
	v_cmpx_gt_i32_e64 s37, v28
	s_cbranch_execz .LBB13_35
; %bb.30:                               ;   in Loop: Header=BB13_5 Depth=1
	v_dual_mov_b32 v29, v1 :: v_dual_bitop2_b32 v30, 2, v0 bitop3:0x54
	s_mov_b32 s54, exec_lo
	s_delay_alu instid0(VALU_DEP_1) | instskip(NEXT) | instid1(VALU_DEP_1)
	v_mul_u64_e32 v[26:27], s[20:21], v[28:29]
	v_lshl_add_u64 v[26:27], v[26:27], 2, s[8:9]
	global_load_b32 v25, v[26:27], off
	s_wait_xcnt 0x0
	v_dual_mov_b32 v27, 0 :: v_dual_mov_b32 v26, 0
	v_cmpx_gt_i32_e64 s37, v30
	s_cbranch_execz .LBB13_34
; %bb.31:                               ;   in Loop: Header=BB13_5 Depth=1
	v_mov_b32_e32 v31, v1
	s_mov_b32 s55, exec_lo
	s_delay_alu instid0(VALU_DEP_1) | instskip(SKIP_1) | instid1(VALU_DEP_2)
	v_mul_u64_e32 v[26:27], s[20:21], v[30:31]
	v_or_b32_e32 v30, 3, v0
	v_lshl_add_u64 v[26:27], v[26:27], 2, s[8:9]
	global_load_b32 v26, v[26:27], off
	s_wait_xcnt 0x0
	v_mov_b32_e32 v27, 0
	v_cmpx_gt_i32_e64 s37, v30
	s_cbranch_execz .LBB13_33
; %bb.32:                               ;   in Loop: Header=BB13_5 Depth=1
	v_mov_b32_e32 v31, v1
	s_delay_alu instid0(VALU_DEP_1) | instskip(NEXT) | instid1(VALU_DEP_1)
	v_mul_u64_e32 v[30:31], s[20:21], v[30:31]
	v_lshl_add_u64 v[30:31], v[30:31], 2, s[8:9]
	global_load_b32 v27, v[30:31], off
.LBB13_33:                              ;   in Loop: Header=BB13_5 Depth=1
	s_wait_xcnt 0x0
	s_or_b32 exec_lo, exec_lo, s55
.LBB13_34:                              ;   in Loop: Header=BB13_5 Depth=1
	s_delay_alu instid0(SALU_CYCLE_1)
	s_or_b32 exec_lo, exec_lo, s54
.LBB13_35:                              ;   in Loop: Header=BB13_5 Depth=1
	s_delay_alu instid0(SALU_CYCLE_1)
	s_or_b32 exec_lo, exec_lo, s53
.LBB13_36:                              ;   in Loop: Header=BB13_5 Depth=1
	s_delay_alu instid0(SALU_CYCLE_1)
	s_or_b32 exec_lo, exec_lo, s52
	s_and_saveexec_b32 s52, s1
	s_cbranch_execz .LBB13_44
; %bb.37:                               ;   in Loop: Header=BB13_5 Depth=1
	v_dual_mov_b32 v29, v1 :: v_dual_bitop2_b32 v30, 2, v0 bitop3:0x54
	v_mov_b32_e32 v31, v1
	v_mul_u64_e32 v[32:33], s[12:13], v[0:1]
	v_or_b32_e32 v0, 3, v0
	s_delay_alu instid0(VALU_DEP_4)
	v_mul_u64_e32 v[34:35], s[12:13], v[28:29]
	s_mul_u64 s[8:9], s[14:15], s[34:35]
	v_mul_u64_e32 v[36:37], s[12:13], v[30:31]
	v_cmp_gt_i32_e64 s7, s37, v28
	v_mul_u64_e32 v[38:39], s[12:13], v[0:1]
	s_lshl_b64 s[54:55], s[8:9], 2
	v_cmp_gt_i32_e64 s8, s37, v30
	v_cmp_gt_i32_e64 s9, s37, v0
	v_dual_cndmask_b32 v29, 0, v33 :: v_dual_cndmask_b32 v28, 0, v32
	v_dual_cndmask_b32 v31, 0, v35, s7 :: v_dual_cndmask_b32 v30, 0, v34, s7
	s_delay_alu instid0(VALU_DEP_4) | instskip(NEXT) | instid1(VALU_DEP_4)
	v_dual_cndmask_b32 v33, 0, v37, s8 :: v_dual_cndmask_b32 v32, 0, v36, s8
	v_dual_cndmask_b32 v35, 0, v39, s9 :: v_dual_cndmask_b32 v34, 0, v38, s9
	s_add_nc_u64 s[8:9], s[18:19], s[54:55]
	s_delay_alu instid0(SALU_CYCLE_1) | instskip(SKIP_3) | instid1(VALU_DEP_4)
	v_lshl_add_u64 v[28:29], v[28:29], 2, s[8:9]
	v_lshl_add_u64 v[30:31], v[30:31], 2, s[8:9]
	;; [unrolled: 1-line block ×4, first 2 shown]
	v_add_nc_u64_e32 v[40:41], v[28:29], v[14:15]
	s_delay_alu instid0(VALU_DEP_4) | instskip(NEXT) | instid1(VALU_DEP_4)
	v_add_nc_u64_e32 v[36:37], v[30:31], v[14:15]
	v_add_nc_u64_e32 v[38:39], v[32:33], v[14:15]
	s_delay_alu instid0(VALU_DEP_4)
	v_add_nc_u64_e32 v[42:43], v[34:35], v[14:15]
	s_clause 0x3
	global_load_b32 v30, v[40:41], off
	global_load_b32 v31, v[36:37], off
	;; [unrolled: 1-line block ×4, first 2 shown]
	s_wait_xcnt 0x0
	s_and_saveexec_b32 s7, s3
	s_cbranch_execz .LBB13_43
; %bb.38:                               ;   in Loop: Header=BB13_5 Depth=1
	s_clause 0x3
	global_load_b32 v34, v[40:41], off offset:128
	global_load_b32 v35, v[36:37], off offset:128
	global_load_b32 v32, v[38:39], off offset:128
	global_load_b32 v33, v[42:43], off offset:128
	s_wait_xcnt 0x0
	s_and_saveexec_b32 s8, s4
	s_cbranch_execz .LBB13_42
; %bb.39:                               ;   in Loop: Header=BB13_5 Depth=1
	s_clause 0x3
	global_load_b32 v46, v[40:41], off offset:256
	global_load_b32 v47, v[36:37], off offset:256
	global_load_b32 v44, v[38:39], off offset:256
	global_load_b32 v45, v[42:43], off offset:256
	;; [unrolled: 9-line block ×3, first 2 shown]
	s_wait_loadcnt 0x2
	s_wait_xcnt 0x2
	v_pk_mul_f32 v[36:37], v[24:25], v[48:49]
	s_delay_alu instid0(VALU_DEP_1) | instskip(NEXT) | instid1(VALU_DEP_1)
	v_add_f32_e32 v0, v70, v36
	v_add_f32_e32 v0, v0, v37
	s_wait_loadcnt 0x0
	v_pk_mul_f32 v[36:37], v[26:27], v[50:51]
	s_delay_alu instid0(VALU_DEP_1) | instskip(NEXT) | instid1(VALU_DEP_1)
	v_add_f32_e32 v0, v0, v36
	v_add_f32_e32 v70, v0, v37
.LBB13_41:                              ;   in Loop: Header=BB13_5 Depth=1
	s_wait_xcnt 0x0
	s_or_b32 exec_lo, exec_lo, s9
	s_wait_loadcnt 0x2
	v_pk_mul_f32 v[36:37], v[24:25], v[46:47]
	s_delay_alu instid0(VALU_DEP_1) | instskip(NEXT) | instid1(VALU_DEP_1)
	v_add_f32_e32 v0, v69, v36
	v_add_f32_e32 v0, v0, v37
	s_wait_loadcnt 0x0
	v_pk_mul_f32 v[36:37], v[26:27], v[44:45]
	s_delay_alu instid0(VALU_DEP_1) | instskip(NEXT) | instid1(VALU_DEP_1)
	v_add_f32_e32 v0, v0, v36
	v_add_f32_e32 v69, v0, v37
.LBB13_42:                              ;   in Loop: Header=BB13_5 Depth=1
	s_or_b32 exec_lo, exec_lo, s8
	s_wait_loadcnt 0x2
	v_pk_mul_f32 v[34:35], v[24:25], v[34:35]
	s_wait_loadcnt 0x0
	v_pk_mul_f32 v[32:33], v[26:27], v[32:33]
	s_delay_alu instid0(VALU_DEP_2) | instskip(NEXT) | instid1(VALU_DEP_1)
	v_add_f32_e32 v0, v68, v34
	v_add_f32_e32 v0, v0, v35
	s_delay_alu instid0(VALU_DEP_1) | instskip(NEXT) | instid1(VALU_DEP_1)
	v_add_f32_e32 v0, v0, v32
	v_add_f32_e32 v68, v0, v33
.LBB13_43:                              ;   in Loop: Header=BB13_5 Depth=1
	s_or_b32 exec_lo, exec_lo, s7
	s_wait_loadcnt 0x2
	v_pk_mul_f32 v[24:25], v[24:25], v[30:31]
	s_delay_alu instid0(VALU_DEP_1) | instskip(NEXT) | instid1(VALU_DEP_1)
	v_add_f32_e32 v0, v67, v24
	v_add_f32_e32 v0, v0, v25
	s_wait_loadcnt 0x0
	v_pk_mul_f32 v[24:25], v[26:27], v[28:29]
	s_delay_alu instid0(VALU_DEP_1) | instskip(NEXT) | instid1(VALU_DEP_1)
	v_add_f32_e32 v0, v0, v24
	v_add_f32_e32 v67, v0, v25
.LBB13_44:                              ;   in Loop: Header=BB13_5 Depth=1
	s_or_b32 exec_lo, exec_lo, s52
.LBB13_45:                              ;   in Loop: Header=BB13_5 Depth=1
	ds_store_2addr_b32 v65, v67, v68 offset1:32
	ds_store_2addr_b32 v65, v69, v70 offset0:64 offset1:96
	s_wait_loadcnt_dscnt 0x0
	s_barrier_signal -1
	s_barrier_wait -1
                                        ; implicit-def: $vgpr0
	s_and_saveexec_b32 s7, s0
	s_cbranch_execz .LBB13_51
; %bb.46:                               ;   in Loop: Header=BB13_5 Depth=1
	ds_load_2addr_stride64_b32 v[24:25], v66 offset1:2
	ds_load_2addr_stride64_b32 v[26:27], v66 offset0:4 offset1:6
	ds_load_2addr_stride64_b32 v[28:29], v66 offset0:8 offset1:10
	s_mov_b32 s9, s51
	s_wait_dscnt 0x2
	v_add_f32_e32 v0, v24, v25
	ds_load_2addr_stride64_b32 v[24:25], v66 offset0:12 offset1:14
	s_wait_dscnt 0x2
	v_add_f32_e32 v0, v26, v0
	s_delay_alu instid0(VALU_DEP_1) | instskip(SKIP_3) | instid1(VALU_DEP_1)
	v_add_f32_e32 v0, v27, v0
	ds_load_2addr_stride64_b32 v[26:27], v66 offset0:16 offset1:18
	s_wait_dscnt 0x2
	v_add_f32_e32 v0, v28, v0
	v_add_f32_e32 v0, v29, v0
	ds_load_2addr_stride64_b32 v[28:29], v66 offset0:20 offset1:22
	s_wait_dscnt 0x2
	v_add_f32_e32 v0, v24, v0
	s_delay_alu instid0(VALU_DEP_1) | instskip(SKIP_3) | instid1(VALU_DEP_1)
	v_add_f32_e32 v0, v25, v0
	ds_load_2addr_stride64_b32 v[24:25], v66 offset0:24 offset1:26
	s_wait_dscnt 0x2
	v_add_f32_e32 v0, v26, v0
	v_add_f32_e32 v0, v27, v0
	ds_load_2addr_stride64_b32 v[26:27], v66 offset0:28 offset1:30
	s_wait_dscnt 0x2
	v_add_f32_e32 v0, v28, v0
	s_delay_alu instid0(VALU_DEP_1) | instskip(SKIP_1) | instid1(VALU_DEP_1)
	v_add_f32_e32 v0, v29, v0
	s_wait_dscnt 0x1
	v_add_f32_e32 v0, v24, v0
	s_delay_alu instid0(VALU_DEP_1) | instskip(SKIP_1) | instid1(VALU_DEP_1)
	v_add_f32_e32 v0, v25, v0
	s_wait_dscnt 0x0
	v_add_f32_e32 v0, v26, v0
	s_delay_alu instid0(VALU_DEP_1)
	v_add_f32_e32 v24, v27, v0
                                        ; implicit-def: $vgpr0
	ds_store_b32 v66, v24
	s_and_saveexec_b32 s8, s2
	s_cbranch_execz .LBB13_50
; %bb.47:                               ;   in Loop: Header=BB13_5 Depth=1
	v_mul_f32_e32 v0, s38, v24
	s_and_not1_b32 vcc_lo, exec_lo, s48
	s_cbranch_vccnz .LBB13_49
; %bb.48:                               ;   in Loop: Header=BB13_5 Depth=1
	v_lshl_add_u64 v[24:25], v[6:7], 2, s[44:45]
	global_load_b32 v24, v[24:25], off
	s_wait_loadcnt 0x0
	v_fmac_f32_e32 v0, s39, v24
.LBB13_49:                              ;   in Loop: Header=BB13_5 Depth=1
	s_or_b32 s9, s51, exec_lo
.LBB13_50:                              ;   in Loop: Header=BB13_5 Depth=1
	s_wait_xcnt 0x0
	s_or_b32 exec_lo, exec_lo, s8
	s_delay_alu instid0(SALU_CYCLE_1) | instskip(SKIP_1) | instid1(SALU_CYCLE_1)
	s_and_not1_b32 s8, s51, exec_lo
	s_and_b32 s9, s9, exec_lo
	s_or_b32 s51, s8, s9
.LBB13_51:                              ;   in Loop: Header=BB13_5 Depth=1
	s_or_b32 exec_lo, exec_lo, s7
	v_mov_b64_e32 v[24:25], v[6:7]
	s_and_saveexec_b32 s7, s51
	s_cbranch_execz .LBB13_3
.LBB13_52:                              ;   in Loop: Header=BB13_5 Depth=1
	s_delay_alu instid0(VALU_DEP_1)
	v_lshl_add_u64 v[24:25], v[24:25], 2, s[44:45]
	global_store_b32 v[24:25], v0, off
	s_branch .LBB13_3
.LBB13_53:
	s_sendmsg sendmsg(MSG_DEALLOC_VGPRS)
	s_endpgm
	.section	.rodata,"a",@progbits
	.p2align	6, 0x0
	.amdhsa_kernel _ZL20rocblas_gemvn_kernelILi32ELi16ElfffEviiT3_lPKT2_lT1_lS3_lS4_lS0_lPT4_lS4_li
		.amdhsa_group_segment_fixed_size 8192
		.amdhsa_private_segment_fixed_size 0
		.amdhsa_kernarg_size 400
		.amdhsa_user_sgpr_count 2
		.amdhsa_user_sgpr_dispatch_ptr 0
		.amdhsa_user_sgpr_queue_ptr 0
		.amdhsa_user_sgpr_kernarg_segment_ptr 1
		.amdhsa_user_sgpr_dispatch_id 0
		.amdhsa_user_sgpr_kernarg_preload_length 0
		.amdhsa_user_sgpr_kernarg_preload_offset 0
		.amdhsa_user_sgpr_private_segment_size 0
		.amdhsa_wavefront_size32 1
		.amdhsa_uses_dynamic_stack 0
		.amdhsa_enable_private_segment 0
		.amdhsa_system_sgpr_workgroup_id_x 1
		.amdhsa_system_sgpr_workgroup_id_y 0
		.amdhsa_system_sgpr_workgroup_id_z 1
		.amdhsa_system_sgpr_workgroup_info 0
		.amdhsa_system_vgpr_workitem_id 1
		.amdhsa_next_free_vgpr 71
		.amdhsa_next_free_sgpr 56
		.amdhsa_named_barrier_count 0
		.amdhsa_reserve_vcc 1
		.amdhsa_float_round_mode_32 0
		.amdhsa_float_round_mode_16_64 0
		.amdhsa_float_denorm_mode_32 3
		.amdhsa_float_denorm_mode_16_64 3
		.amdhsa_fp16_overflow 0
		.amdhsa_memory_ordered 1
		.amdhsa_forward_progress 1
		.amdhsa_inst_pref_size 23
		.amdhsa_round_robin_scheduling 0
		.amdhsa_exception_fp_ieee_invalid_op 0
		.amdhsa_exception_fp_denorm_src 0
		.amdhsa_exception_fp_ieee_div_zero 0
		.amdhsa_exception_fp_ieee_overflow 0
		.amdhsa_exception_fp_ieee_underflow 0
		.amdhsa_exception_fp_ieee_inexact 0
		.amdhsa_exception_int_div_zero 0
	.end_amdhsa_kernel
	.section	.text._ZL20rocblas_gemvn_kernelILi32ELi16ElfffEviiT3_lPKT2_lT1_lS3_lS4_lS0_lPT4_lS4_li,"axG",@progbits,_ZL20rocblas_gemvn_kernelILi32ELi16ElfffEviiT3_lPKT2_lT1_lS3_lS4_lS0_lPT4_lS4_li,comdat
.Lfunc_end13:
	.size	_ZL20rocblas_gemvn_kernelILi32ELi16ElfffEviiT3_lPKT2_lT1_lS3_lS4_lS0_lPT4_lS4_li, .Lfunc_end13-_ZL20rocblas_gemvn_kernelILi32ELi16ElfffEviiT3_lPKT2_lT1_lS3_lS4_lS0_lPT4_lS4_li
                                        ; -- End function
	.set _ZL20rocblas_gemvn_kernelILi32ELi16ElfffEviiT3_lPKT2_lT1_lS3_lS4_lS0_lPT4_lS4_li.num_vgpr, 71
	.set _ZL20rocblas_gemvn_kernelILi32ELi16ElfffEviiT3_lPKT2_lT1_lS3_lS4_lS0_lPT4_lS4_li.num_agpr, 0
	.set _ZL20rocblas_gemvn_kernelILi32ELi16ElfffEviiT3_lPKT2_lT1_lS3_lS4_lS0_lPT4_lS4_li.numbered_sgpr, 56
	.set _ZL20rocblas_gemvn_kernelILi32ELi16ElfffEviiT3_lPKT2_lT1_lS3_lS4_lS0_lPT4_lS4_li.num_named_barrier, 0
	.set _ZL20rocblas_gemvn_kernelILi32ELi16ElfffEviiT3_lPKT2_lT1_lS3_lS4_lS0_lPT4_lS4_li.private_seg_size, 0
	.set _ZL20rocblas_gemvn_kernelILi32ELi16ElfffEviiT3_lPKT2_lT1_lS3_lS4_lS0_lPT4_lS4_li.uses_vcc, 1
	.set _ZL20rocblas_gemvn_kernelILi32ELi16ElfffEviiT3_lPKT2_lT1_lS3_lS4_lS0_lPT4_lS4_li.uses_flat_scratch, 0
	.set _ZL20rocblas_gemvn_kernelILi32ELi16ElfffEviiT3_lPKT2_lT1_lS3_lS4_lS0_lPT4_lS4_li.has_dyn_sized_stack, 0
	.set _ZL20rocblas_gemvn_kernelILi32ELi16ElfffEviiT3_lPKT2_lT1_lS3_lS4_lS0_lPT4_lS4_li.has_recursion, 0
	.set _ZL20rocblas_gemvn_kernelILi32ELi16ElfffEviiT3_lPKT2_lT1_lS3_lS4_lS0_lPT4_lS4_li.has_indirect_call, 0
	.section	.AMDGPU.csdata,"",@progbits
; Kernel info:
; codeLenInByte = 2852
; TotalNumSgprs: 58
; NumVgprs: 71
; ScratchSize: 0
; MemoryBound: 0
; FloatMode: 240
; IeeeMode: 1
; LDSByteSize: 8192 bytes/workgroup (compile time only)
; SGPRBlocks: 0
; VGPRBlocks: 4
; NumSGPRsForWavesPerEU: 58
; NumVGPRsForWavesPerEU: 71
; NamedBarCnt: 0
; Occupancy: 12
; WaveLimiterHint : 1
; COMPUTE_PGM_RSRC2:SCRATCH_EN: 0
; COMPUTE_PGM_RSRC2:USER_SGPR: 2
; COMPUTE_PGM_RSRC2:TRAP_HANDLER: 0
; COMPUTE_PGM_RSRC2:TGID_X_EN: 1
; COMPUTE_PGM_RSRC2:TGID_Y_EN: 0
; COMPUTE_PGM_RSRC2:TGID_Z_EN: 1
; COMPUTE_PGM_RSRC2:TIDIG_COMP_CNT: 1
	.section	.text._ZL20rocblas_gemvn_kernelILi64ELi16EifPKffEviiT3_lPKT2_lT1_lS5_lS6_lS2_lPT4_lS6_li,"axG",@progbits,_ZL20rocblas_gemvn_kernelILi64ELi16EifPKffEviiT3_lPKT2_lT1_lS5_lS6_lS2_lPT4_lS6_li,comdat
	.globl	_ZL20rocblas_gemvn_kernelILi64ELi16EifPKffEviiT3_lPKT2_lT1_lS5_lS6_lS2_lPT4_lS6_li ; -- Begin function _ZL20rocblas_gemvn_kernelILi64ELi16EifPKffEviiT3_lPKT2_lT1_lS5_lS6_lS2_lPT4_lS6_li
	.p2align	8
	.type	_ZL20rocblas_gemvn_kernelILi64ELi16EifPKffEviiT3_lPKT2_lT1_lS5_lS6_lS2_lPT4_lS6_li,@function
_ZL20rocblas_gemvn_kernelILi64ELi16EifPKffEviiT3_lPKT2_lT1_lS5_lS6_lS2_lPT4_lS6_li: ; @_ZL20rocblas_gemvn_kernelILi64ELi16EifPKffEviiT3_lPKT2_lT1_lS5_lS6_lS2_lPT4_lS6_li
; %bb.0:
	s_load_b64 s[2:3], s[0:1], 0x9c
	s_wait_kmcnt 0x0
	s_lshr_b32 s4, s2, 16
	s_and_b32 s2, s2, 0xffff
	s_and_b32 s3, s3, 0xffff
	s_mul_i32 s2, s4, s2
	s_delay_alu instid0(SALU_CYCLE_1) | instskip(NEXT) | instid1(SALU_CYCLE_1)
	s_mul_i32 s2, s2, s3
	s_cmp_lg_u32 s2, 0x400
	s_cbranch_scc1 .LBB14_53
; %bb.1:
	s_load_b32 s31, s[0:1], 0x88
	s_bfe_u32 s2, ttmp6, 0x40014
	s_lshr_b32 s3, ttmp7, 16
	s_add_co_i32 s2, s2, 1
	s_bfe_u32 s5, ttmp6, 0x40008
	s_mul_i32 s4, s3, s2
	s_getreg_b32 s2, hwreg(HW_REG_IB_STS2, 6, 4)
	s_add_co_i32 s5, s5, s4
	s_cmp_eq_u32 s2, 0
	s_mov_b32 s35, 0
	s_cselect_b32 s34, s3, s5
	s_wait_kmcnt 0x0
	s_cmp_ge_u32 s34, s31
	s_cbranch_scc1 .LBB14_53
; %bb.2:
	s_clause 0x7
	s_load_b256 s[8:15], s[0:1], 0x8
	s_load_b96 s[28:30], s[0:1], 0x40
	s_load_b96 s[4:6], s[0:1], 0x70
	s_load_b64 s[36:37], s[0:1], 0x0
	s_load_b32 s33, s[0:1], 0x28
	s_load_b128 s[24:27], s[0:1], 0x30
	s_load_b256 s[16:23], s[0:1], 0x50
	s_load_b64 s[38:39], s[0:1], 0x80
	s_wait_xcnt 0x0
	s_bfe_u32 s0, ttmp6, 0x4000c
	v_and_b32_e32 v6, 0x3ff, v0
	s_add_co_i32 s0, s0, 1
	v_bfe_u32 v5, v0, 10, 10
	s_and_b32 s1, ttmp6, 15
	s_mul_i32 s0, ttmp9, s0
	s_delay_alu instid0(SALU_CYCLE_1) | instskip(NEXT) | instid1(VALU_DEP_1)
	s_add_co_i32 s7, s1, s0
	v_lshl_add_u32 v4, v5, 6, v6
	v_dual_lshlrev_b32 v31, 2, v5 :: v_dual_lshlrev_b32 v9, 2, v6
	s_wait_kmcnt 0x0
	s_lshl_b64 s[0:1], s[14:15], 2
	s_lshl_b64 s[14:15], s[28:29], 2
	;; [unrolled: 1-line block ×3, first 2 shown]
	s_ashr_i32 s3, s6, 31
	s_cmp_eq_u32 s2, 0
	s_mov_b32 s2, s6
	s_cselect_b32 s7, ttmp9, s7
	s_add_nc_u64 s[12:13], s[12:13], s[0:1]
	s_lshl_b32 s42, s7, 8
	s_delay_alu instid0(SALU_CYCLE_1)
	v_dual_mov_b32 v1, 0 :: v_dual_add_nc_u32 v0, s42, v4
	v_add_nc_u32_e32 v30, s42, v6
	s_ashr_i32 s0, s37, 31
	s_mov_b32 s28, s36
	s_lshr_b32 s0, s0, 26
	v_mul_u64_e32 v[2:3], s[2:3], v[0:1]
	v_add_nc_u32_e32 v7, 0x80, v30
	s_ashr_i32 s29, s36, 31
	s_add_co_i32 s43, s37, s0
	v_cmp_gt_i64_e32 vcc_lo, s[28:29], v[0:1]
	v_add_nc_u32_e32 v0, 64, v30
	v_cmp_gt_i32_e64 s3, s36, v7
	v_or_b32_e32 v7, s42, v4
	s_and_not1_b32 s43, s43, 63
	s_add_nc_u64 s[22:23], s[22:23], s[4:5]
	s_sub_co_i32 s5, s37, s43
	v_add_nc_u32_e32 v8, 0xc0, v30
	s_cmp_gt_i32 s5, 0
	v_cmp_gt_u32_e64 s5, 0x100, v4
	v_mul_lo_u32 v4, s6, v7
	v_or_b32_e32 v10, 2, v31
	v_cmp_gt_i32_e64 s4, s36, v8
	v_mul_lo_u32 v8, s33, v31
	v_or_b32_e32 v11, 3, v31
	v_mul_lo_u32 v12, v5, s33
	v_mul_lo_u32 v13, v5, s30
	v_cmp_gt_i32_e64 s2, s36, v0
	v_lshl_add_u32 v0, v5, 10, v9
	v_lshl_add_u32 v32, v5, 8, v9
	v_mad_u32 v33, s33, v10, v6
	v_mul_lo_u32 v35, s30, v10
	v_mad_u32 v36, s30, v31, s30
	v_ashrrev_i32_e32 v5, 31, v4
	v_mad_u32 v34, s33, v11, v6
	v_mul_lo_u32 v37, s30, v11
	v_cmp_gt_i32_e64 s0, s43, v31
	v_cmp_gt_i32_e64 s1, s36, v30
	;; [unrolled: 1-line block ×3, first 2 shown]
	v_add3_u32 v38, v8, s33, v6
	v_lshl_add_u32 v39, v12, 2, v6
	v_lshlrev_b32_e32 v40, 2, v13
	s_add_nc_u64 s[14:15], s[26:27], s[14:15]
	s_cselect_b32 s36, -1, 0
	s_and_b32 s44, s5, vcc_lo
	s_lshl_b32 s45, s33, 6
	s_lshl_b32 s46, s30, 6
	s_branch .LBB14_5
.LBB14_3:                               ;   in Loop: Header=BB14_5 Depth=1
	s_wait_xcnt 0x0
	s_or_b32 exec_lo, exec_lo, s7
.LBB14_4:                               ;   in Loop: Header=BB14_5 Depth=1
	s_add_co_i32 s34, s34, 0x10000
	s_delay_alu instid0(SALU_CYCLE_1)
	s_cmp_lt_u32 s34, s31
	s_cbranch_scc0 .LBB14_53
.LBB14_5:                               ; =>This Loop Header: Depth=1
                                        ;     Child Loop BB14_21 Depth 2
	s_wait_xcnt 0x1
	s_mul_u64 s[26:27], s[10:11], s[34:35]
	s_wait_xcnt 0x0
	s_mul_u64 s[28:29], s[20:21], s[34:35]
	s_lshl_b64 s[26:27], s[26:27], 2
	s_lshl_b64 s[28:29], s[28:29], 2
	s_add_nc_u64 s[26:27], s[8:9], s[26:27]
	s_add_nc_u64 s[28:29], s[18:19], s[28:29]
	s_clause 0x1
	global_load_b32 v41, v1, s[26:27]
	global_load_b32 v6, v1, s[28:29]
	s_wait_loadcnt 0x1
	v_cmp_eq_f32_e32 vcc_lo, 0, v41
	s_wait_loadcnt 0x0
	v_cmp_eq_f32_e64 s7, 1.0, v6
	v_readfirstlane_b32 s48, v6
	s_and_b32 s7, vcc_lo, s7
	s_delay_alu instid0(SALU_CYCLE_1)
	s_and_b32 vcc_lo, exec_lo, s7
	s_cbranch_vccnz .LBB14_4
; %bb.6:                                ;   in Loop: Header=BB14_5 Depth=1
	v_cmp_neq_f32_e32 vcc_lo, 0, v41
	s_wait_xcnt 0x1
	s_mul_u64 s[26:27], s[38:39], s[34:35]
	s_delay_alu instid0(SALU_CYCLE_1) | instskip(NEXT) | instid1(SALU_CYCLE_1)
	s_lshl_b64 s[26:27], s[26:27], 2
	s_add_nc_u64 s[26:27], s[22:23], s[26:27]
	s_cbranch_vccnz .LBB14_10
; %bb.7:                                ;   in Loop: Header=BB14_5 Depth=1
	s_mov_b32 s7, 0
	s_mov_b32 s47, 0
                                        ; implicit-def: $vgpr8
	s_wait_xcnt 0x0
	s_and_saveexec_b32 s28, s44
	s_cbranch_execz .LBB14_11
; %bb.8:                                ;   in Loop: Header=BB14_5 Depth=1
	s_cmp_eq_f32 s48, 0
	s_cbranch_scc1 .LBB14_13
; %bb.9:                                ;   in Loop: Header=BB14_5 Depth=1
	v_lshl_add_u64 v[6:7], v[2:3], 2, s[26:27]
	global_load_b32 v6, v[6:7], off
	s_wait_loadcnt 0x0
	v_mul_f32_e32 v8, s48, v6
	s_branch .LBB14_14
.LBB14_10:                              ;   in Loop: Header=BB14_5 Depth=1
	s_mov_b32 s47, 0
                                        ; implicit-def: $vgpr8
	s_cbranch_execz .LBB14_12
	s_branch .LBB14_15
.LBB14_11:                              ;   in Loop: Header=BB14_5 Depth=1
	s_or_b32 exec_lo, exec_lo, s28
	s_delay_alu instid0(SALU_CYCLE_1)
	s_and_b32 vcc_lo, exec_lo, s7
	s_cbranch_vccnz .LBB14_15
.LBB14_12:                              ;   in Loop: Header=BB14_5 Depth=1
	v_mov_b64_e32 v[6:7], v[2:3]
	s_wait_xcnt 0x0
	s_and_saveexec_b32 s7, s47
	s_cbranch_execz .LBB14_3
	s_branch .LBB14_52
.LBB14_13:                              ;   in Loop: Header=BB14_5 Depth=1
	v_mov_b32_e32 v8, 0
.LBB14_14:                              ;   in Loop: Header=BB14_5 Depth=1
	s_mov_b32 s47, exec_lo
	s_wait_xcnt 0x0
	s_or_b32 exec_lo, exec_lo, s28
	s_delay_alu instid0(SALU_CYCLE_1)
	s_and_b32 vcc_lo, exec_lo, s7
	s_cbranch_vccz .LBB14_12
.LBB14_15:                              ;   in Loop: Header=BB14_5 Depth=1
	s_wait_xcnt 0x0
	s_mul_u64 s[28:29], s[24:25], s[34:35]
	s_mul_u64 s[40:41], s[16:17], s[34:35]
	v_dual_mov_b32 v42, 0 :: v_dual_mov_b32 v46, v31
	v_dual_mov_b32 v43, 0 :: v_dual_mov_b32 v44, 0
	v_mov_b32_e32 v45, 0
	s_lshl_b64 s[28:29], s[28:29], 2
	s_lshl_b64 s[40:41], s[40:41], 2
	s_add_nc_u64 s[28:29], s[12:13], s[28:29]
	s_add_nc_u64 s[40:41], s[14:15], s[40:41]
	s_and_saveexec_b32 s7, s0
	s_cbranch_execz .LBB14_27
; %bb.16:                               ;   in Loop: Header=BB14_5 Depth=1
	v_dual_mov_b32 v42, 0 :: v_dual_mov_b32 v47, v39
	v_dual_mov_b32 v48, v34 :: v_dual_mov_b32 v49, v33
	;; [unrolled: 1-line block ×4, first 2 shown]
	v_mov_b32_e32 v45, 0
	s_mov_b32 s49, 0
	s_mov_b32 s50, 0
	s_branch .LBB14_21
.LBB14_17:                              ;   in Loop: Header=BB14_21 Depth=2
	s_or_b32 exec_lo, exec_lo, s54
	s_wait_loadcnt 0x2
	v_pk_mul_f32 v[20:21], v[10:11], v[22:23]
	s_wait_loadcnt 0x0
	v_pk_mul_f32 v[18:19], v[6:7], v[18:19]
	s_delay_alu instid0(VALU_DEP_2) | instskip(NEXT) | instid1(VALU_DEP_1)
	v_add_f32_e32 v20, v44, v20
	v_add_f32_e32 v20, v20, v21
	s_delay_alu instid0(VALU_DEP_1) | instskip(NEXT) | instid1(VALU_DEP_1)
	v_add_f32_e32 v18, v20, v18
	v_add_f32_e32 v44, v18, v19
.LBB14_18:                              ;   in Loop: Header=BB14_21 Depth=2
	s_or_b32 exec_lo, exec_lo, s53
	s_wait_loadcnt 0x2
	v_pk_mul_f32 v[16:17], v[10:11], v[16:17]
	s_wait_loadcnt 0x0
	v_pk_mul_f32 v[14:15], v[6:7], v[14:15]
	s_delay_alu instid0(VALU_DEP_2) | instskip(NEXT) | instid1(VALU_DEP_1)
	v_add_f32_e32 v16, v43, v16
	v_add_f32_e32 v16, v16, v17
	s_delay_alu instid0(VALU_DEP_1) | instskip(NEXT) | instid1(VALU_DEP_1)
	v_add_f32_e32 v14, v16, v14
	v_add_f32_e32 v43, v14, v15
.LBB14_19:                              ;   in Loop: Header=BB14_21 Depth=2
	s_or_b32 exec_lo, exec_lo, s52
	s_wait_loadcnt 0x2
	v_pk_mul_f32 v[10:11], v[10:11], v[12:13]
	s_wait_loadcnt 0x0
	v_pk_mul_f32 v[6:7], v[6:7], v[8:9]
	s_delay_alu instid0(VALU_DEP_2) | instskip(NEXT) | instid1(VALU_DEP_1)
	v_add_f32_e32 v10, v42, v10
	v_add_f32_e32 v10, v10, v11
	s_delay_alu instid0(VALU_DEP_1) | instskip(NEXT) | instid1(VALU_DEP_1)
	v_add_f32_e32 v6, v10, v6
	v_add_f32_e32 v42, v6, v7
.LBB14_20:                              ;   in Loop: Header=BB14_21 Depth=2
	s_or_b32 exec_lo, exec_lo, s51
	v_dual_add_nc_u32 v46, 64, v46 :: v_dual_add_nc_u32 v49, s45, v49
	v_dual_add_nc_u32 v50, s45, v50 :: v_dual_add_nc_u32 v48, s45, v48
	v_add_nc_u32_e32 v47, s45, v47
	s_delay_alu instid0(VALU_DEP_3) | instskip(SKIP_2) | instid1(SALU_CYCLE_1)
	v_cmp_le_i32_e32 vcc_lo, s43, v46
	s_add_co_i32 s50, s50, s46
	s_or_b32 s49, vcc_lo, s49
	s_and_not1_b32 exec_lo, exec_lo, s49
	s_cbranch_execz .LBB14_26
.LBB14_21:                              ;   Parent Loop BB14_5 Depth=1
                                        ; =>  This Inner Loop Header: Depth=2
	s_and_saveexec_b32 s51, s1
	s_cbranch_execz .LBB14_20
; %bb.22:                               ;   in Loop: Header=BB14_21 Depth=2
	v_dual_add_nc_u32 v15, s50, v37 :: v_dual_add_nc_u32 v17, s50, v35
	v_dual_add_nc_u32 v19, s50, v36 :: v_dual_add_nc_u32 v14, s42, v47
	;; [unrolled: 1-line block ×4, first 2 shown]
	s_clause 0x3
	global_load_b32 v7, v15, s[40:41] scale_offset
	global_load_b32 v6, v17, s[40:41] scale_offset
	;; [unrolled: 1-line block ×4, first 2 shown]
	s_clause 0x3
	global_load_b32 v12, v14, s[28:29] scale_offset
	global_load_b32 v13, v16, s[28:29] scale_offset
	;; [unrolled: 1-line block ×4, first 2 shown]
	s_wait_xcnt 0x0
	s_and_saveexec_b32 s52, s2
	s_cbranch_execz .LBB14_19
; %bb.23:                               ;   in Loop: Header=BB14_21 Depth=2
	v_dual_ashrrev_i32 v15, 31, v14 :: v_dual_ashrrev_i32 v17, 31, v16
	v_dual_ashrrev_i32 v21, 31, v20 :: v_dual_ashrrev_i32 v19, 31, v18
	s_delay_alu instid0(VALU_DEP_2) | instskip(NEXT) | instid1(VALU_DEP_3)
	v_lshl_add_u64 v[26:27], v[14:15], 2, s[28:29]
	v_lshl_add_u64 v[28:29], v[16:17], 2, s[28:29]
	s_delay_alu instid0(VALU_DEP_3) | instskip(NEXT) | instid1(VALU_DEP_4)
	v_lshl_add_u64 v[20:21], v[20:21], 2, s[28:29]
	v_lshl_add_u64 v[24:25], v[18:19], 2, s[28:29]
	s_clause 0x3
	global_load_b32 v16, v[26:27], off offset:256
	global_load_b32 v17, v[28:29], off offset:256
	global_load_b32 v14, v[20:21], off offset:256
	global_load_b32 v15, v[24:25], off offset:256
	s_wait_xcnt 0x0
	s_and_saveexec_b32 s53, s3
	s_cbranch_execz .LBB14_18
; %bb.24:                               ;   in Loop: Header=BB14_21 Depth=2
	s_clause 0x3
	global_load_b32 v22, v[26:27], off offset:512
	global_load_b32 v23, v[28:29], off offset:512
	;; [unrolled: 1-line block ×4, first 2 shown]
	s_wait_xcnt 0x0
	s_and_saveexec_b32 s54, s4
	s_cbranch_execz .LBB14_17
; %bb.25:                               ;   in Loop: Header=BB14_21 Depth=2
	s_clause 0x3
	global_load_b32 v26, v[26:27], off offset:768
	global_load_b32 v27, v[28:29], off offset:768
	global_load_b32 v20, v[20:21], off offset:768
	global_load_b32 v21, v[24:25], off offset:768
	s_wait_loadcnt 0x2
	s_wait_xcnt 0x0
	v_pk_mul_f32 v[24:25], v[10:11], v[26:27]
	s_wait_loadcnt 0x0
	v_pk_mul_f32 v[20:21], v[6:7], v[20:21]
	s_delay_alu instid0(VALU_DEP_2) | instskip(NEXT) | instid1(VALU_DEP_1)
	v_add_f32_e32 v24, v45, v24
	v_add_f32_e32 v24, v24, v25
	s_delay_alu instid0(VALU_DEP_1) | instskip(NEXT) | instid1(VALU_DEP_1)
	v_add_f32_e32 v20, v24, v20
	v_add_f32_e32 v45, v20, v21
	s_branch .LBB14_17
.LBB14_26:                              ;   in Loop: Header=BB14_5 Depth=1
	s_or_b32 exec_lo, exec_lo, s49
.LBB14_27:                              ;   in Loop: Header=BB14_5 Depth=1
	s_delay_alu instid0(SALU_CYCLE_1) | instskip(NEXT) | instid1(SALU_CYCLE_1)
	s_or_b32 exec_lo, exec_lo, s7
	s_and_not1_b32 vcc_lo, exec_lo, s36
	s_cbranch_vccnz .LBB14_45
; %bb.28:                               ;   in Loop: Header=BB14_5 Depth=1
	v_dual_mov_b32 v8, 0 :: v_dual_bitop2_b32 v10, 1, v46 bitop3:0x54
	v_cmp_gt_i32_e32 vcc_lo, s37, v46
	s_delay_alu instid0(VALU_DEP_2)
	v_dual_mov_b32 v9, v8 :: v_dual_mov_b32 v6, v8
	v_mov_b32_e32 v7, v8
	s_and_saveexec_b32 s49, vcc_lo
	s_cbranch_execz .LBB14_36
; %bb.29:                               ;   in Loop: Header=BB14_5 Depth=1
	v_mul_lo_u32 v6, v46, s30
	v_dual_mov_b32 v7, 0 :: v_dual_mov_b32 v9, 0
	v_mov_b32_e32 v8, 0
	s_mov_b32 s50, exec_lo
	global_load_b32 v6, v6, s[40:41] scale_offset
	s_wait_xcnt 0x0
	v_cmpx_gt_i32_e64 s37, v10
	s_cbranch_execz .LBB14_35
; %bb.30:                               ;   in Loop: Header=BB14_5 Depth=1
	v_mul_lo_u32 v7, v10, s30
	v_dual_mov_b32 v9, 0 :: v_dual_bitop2_b32 v11, 2, v46 bitop3:0x54
	v_mov_b32_e32 v8, 0
	s_mov_b32 s51, exec_lo
	global_load_b32 v7, v7, s[40:41] scale_offset
	s_wait_xcnt 0x0
	v_cmpx_gt_i32_e64 s37, v11
	s_cbranch_execz .LBB14_34
; %bb.31:                               ;   in Loop: Header=BB14_5 Depth=1
	v_mul_lo_u32 v8, v11, s30
	v_dual_mov_b32 v9, 0 :: v_dual_bitop2_b32 v11, 3, v46 bitop3:0x54
	s_mov_b32 s52, exec_lo
	global_load_b32 v8, v8, s[40:41] scale_offset
	s_wait_xcnt 0x0
	v_cmpx_gt_i32_e64 s37, v11
	s_cbranch_execz .LBB14_33
; %bb.32:                               ;   in Loop: Header=BB14_5 Depth=1
	v_mul_lo_u32 v9, v11, s30
	global_load_b32 v9, v9, s[40:41] scale_offset
.LBB14_33:                              ;   in Loop: Header=BB14_5 Depth=1
	s_wait_xcnt 0x0
	s_or_b32 exec_lo, exec_lo, s52
.LBB14_34:                              ;   in Loop: Header=BB14_5 Depth=1
	s_delay_alu instid0(SALU_CYCLE_1)
	s_or_b32 exec_lo, exec_lo, s51
.LBB14_35:                              ;   in Loop: Header=BB14_5 Depth=1
	s_delay_alu instid0(SALU_CYCLE_1)
	s_or_b32 exec_lo, exec_lo, s50
.LBB14_36:                              ;   in Loop: Header=BB14_5 Depth=1
	s_delay_alu instid0(SALU_CYCLE_1)
	s_or_b32 exec_lo, exec_lo, s49
	s_and_saveexec_b32 s7, s1
	s_cbranch_execz .LBB14_44
; %bb.37:                               ;   in Loop: Header=BB14_5 Depth=1
	v_mul_lo_u32 v12, v46, s33
	v_or_b32_e32 v11, 2, v46
	v_mul_lo_u32 v14, v10, s33
	s_delay_alu instid0(VALU_DEP_3) | instskip(NEXT) | instid1(VALU_DEP_3)
	v_cndmask_b32_e32 v12, 0, v12, vcc_lo
	v_mul_lo_u32 v15, v11, s33
	v_cmp_gt_i32_e32 vcc_lo, s37, v10
	s_delay_alu instid0(VALU_DEP_4) | instskip(SKIP_1) | instid1(VALU_DEP_4)
	v_cndmask_b32_e32 v10, 0, v14, vcc_lo
	v_cmp_gt_i32_e32 vcc_lo, s37, v11
	v_dual_cndmask_b32 v11, 0, v15, vcc_lo :: v_dual_bitop2_b32 v13, 3, v46 bitop3:0x54
	s_delay_alu instid0(VALU_DEP_1) | instskip(SKIP_1) | instid1(VALU_DEP_2)
	v_mul_lo_u32 v16, v13, s33
	v_cmp_gt_i32_e32 vcc_lo, s37, v13
	v_dual_cndmask_b32 v13, 0, v16 :: v_dual_add_nc_u32 v16, v12, v30
	s_delay_alu instid0(VALU_DEP_4) | instskip(NEXT) | instid1(VALU_DEP_2)
	v_dual_add_nc_u32 v20, v10, v30 :: v_dual_add_nc_u32 v24, v11, v30
	v_add_nc_u32_e32 v14, v13, v30
	s_clause 0x3
	global_load_b32 v12, v16, s[28:29] scale_offset
	global_load_b32 v13, v20, s[28:29] scale_offset
	;; [unrolled: 1-line block ×4, first 2 shown]
	s_wait_xcnt 0x0
	s_and_saveexec_b32 s40, s2
	s_cbranch_execz .LBB14_43
; %bb.38:                               ;   in Loop: Header=BB14_5 Depth=1
	v_dual_ashrrev_i32 v17, 31, v16 :: v_dual_ashrrev_i32 v15, 31, v14
	v_ashrrev_i32_e32 v21, 31, v20
	v_ashrrev_i32_e32 v25, 31, v24
	s_delay_alu instid0(VALU_DEP_3) | instskip(NEXT) | instid1(VALU_DEP_4)
	v_lshl_add_u64 v[18:19], v[16:17], 2, s[28:29]
	v_lshl_add_u64 v[28:29], v[14:15], 2, s[28:29]
	s_delay_alu instid0(VALU_DEP_4) | instskip(NEXT) | instid1(VALU_DEP_4)
	v_lshl_add_u64 v[22:23], v[20:21], 2, s[28:29]
	v_lshl_add_u64 v[24:25], v[24:25], 2, s[28:29]
	s_clause 0x3
	global_load_b32 v16, v[18:19], off offset:256
	global_load_b32 v17, v[22:23], off offset:256
	;; [unrolled: 1-line block ×4, first 2 shown]
	s_wait_xcnt 0x0
	s_and_saveexec_b32 s28, s3
	s_cbranch_execz .LBB14_42
; %bb.39:                               ;   in Loop: Header=BB14_5 Depth=1
	s_clause 0x3
	global_load_b32 v26, v[18:19], off offset:512
	global_load_b32 v27, v[22:23], off offset:512
	;; [unrolled: 1-line block ×4, first 2 shown]
	s_wait_xcnt 0x0
	s_and_saveexec_b32 s29, s4
	s_cbranch_execz .LBB14_41
; %bb.40:                               ;   in Loop: Header=BB14_5 Depth=1
	s_clause 0x3
	global_load_b32 v46, v[18:19], off offset:768
	global_load_b32 v47, v[22:23], off offset:768
	;; [unrolled: 1-line block ×4, first 2 shown]
	s_wait_loadcnt 0x2
	s_wait_xcnt 0x3
	v_pk_mul_f32 v[18:19], v[6:7], v[46:47]
	s_delay_alu instid0(VALU_DEP_1) | instskip(SKIP_1) | instid1(VALU_DEP_1)
	v_add_f32_e32 v18, v45, v18
	s_wait_xcnt 0x2
	v_add_f32_e32 v22, v18, v19
	s_wait_loadcnt 0x0
	v_pk_mul_f32 v[18:19], v[8:9], v[48:49]
	s_delay_alu instid0(VALU_DEP_1) | instskip(NEXT) | instid1(VALU_DEP_1)
	v_add_f32_e32 v18, v22, v18
	v_add_f32_e32 v45, v18, v19
.LBB14_41:                              ;   in Loop: Header=BB14_5 Depth=1
	s_wait_xcnt 0x0
	s_or_b32 exec_lo, exec_lo, s29
	s_wait_loadcnt 0x2
	v_pk_mul_f32 v[18:19], v[6:7], v[26:27]
	s_delay_alu instid0(VALU_DEP_1) | instskip(NEXT) | instid1(VALU_DEP_1)
	v_add_f32_e32 v18, v44, v18
	v_add_f32_e32 v22, v18, v19
	s_wait_loadcnt 0x0
	v_pk_mul_f32 v[18:19], v[8:9], v[20:21]
	s_delay_alu instid0(VALU_DEP_1) | instskip(NEXT) | instid1(VALU_DEP_1)
	v_add_f32_e32 v18, v22, v18
	v_add_f32_e32 v44, v18, v19
.LBB14_42:                              ;   in Loop: Header=BB14_5 Depth=1
	s_or_b32 exec_lo, exec_lo, s28
	s_wait_loadcnt 0x2
	v_pk_mul_f32 v[16:17], v[6:7], v[16:17]
	s_wait_loadcnt 0x0
	v_pk_mul_f32 v[14:15], v[8:9], v[14:15]
	s_delay_alu instid0(VALU_DEP_2) | instskip(NEXT) | instid1(VALU_DEP_1)
	v_add_f32_e32 v16, v43, v16
	v_add_f32_e32 v16, v16, v17
	s_delay_alu instid0(VALU_DEP_1) | instskip(NEXT) | instid1(VALU_DEP_1)
	v_add_f32_e32 v14, v16, v14
	v_add_f32_e32 v43, v14, v15
.LBB14_43:                              ;   in Loop: Header=BB14_5 Depth=1
	s_or_b32 exec_lo, exec_lo, s40
	s_wait_loadcnt 0x2
	v_pk_mul_f32 v[6:7], v[6:7], v[12:13]
	s_delay_alu instid0(VALU_DEP_1) | instskip(NEXT) | instid1(VALU_DEP_1)
	v_add_f32_e32 v6, v42, v6
	v_add_f32_e32 v12, v6, v7
	s_wait_loadcnt 0x0
	v_pk_mul_f32 v[6:7], v[8:9], v[10:11]
	s_delay_alu instid0(VALU_DEP_1) | instskip(NEXT) | instid1(VALU_DEP_1)
	v_add_f32_e32 v6, v12, v6
	v_add_f32_e32 v42, v6, v7
.LBB14_44:                              ;   in Loop: Header=BB14_5 Depth=1
	s_or_b32 exec_lo, exec_lo, s7
.LBB14_45:                              ;   in Loop: Header=BB14_5 Depth=1
	ds_store_2addr_stride64_b32 v0, v42, v43 offset1:1
	ds_store_2addr_stride64_b32 v0, v44, v45 offset0:2 offset1:3
	s_wait_loadcnt_dscnt 0x0
	s_barrier_signal -1
	s_barrier_wait -1
                                        ; implicit-def: $vgpr8
	s_and_saveexec_b32 s7, s5
	s_cbranch_execz .LBB14_51
; %bb.46:                               ;   in Loop: Header=BB14_5 Depth=1
	ds_load_2addr_stride64_b32 v[6:7], v32 offset1:4
	ds_load_2addr_stride64_b32 v[8:9], v32 offset0:8 offset1:12
	ds_load_2addr_stride64_b32 v[10:11], v32 offset0:16 offset1:20
	s_mov_b32 s29, s47
	s_wait_dscnt 0x2
	v_add_f32_e32 v12, v6, v7
	ds_load_2addr_stride64_b32 v[6:7], v32 offset0:24 offset1:28
	s_wait_dscnt 0x2
	v_add_f32_e32 v8, v8, v12
	s_delay_alu instid0(VALU_DEP_1) | instskip(SKIP_3) | instid1(VALU_DEP_1)
	v_add_f32_e32 v12, v9, v8
	ds_load_2addr_stride64_b32 v[8:9], v32 offset0:32 offset1:36
	s_wait_dscnt 0x2
	v_add_f32_e32 v10, v10, v12
	v_add_f32_e32 v12, v11, v10
	ds_load_2addr_stride64_b32 v[10:11], v32 offset0:40 offset1:44
	s_wait_dscnt 0x2
	v_add_f32_e32 v6, v6, v12
	s_delay_alu instid0(VALU_DEP_1) | instskip(SKIP_1) | instid1(VALU_DEP_1)
	v_add_f32_e32 v6, v7, v6
	s_wait_dscnt 0x1
	v_add_f32_e32 v8, v8, v6
	ds_load_2addr_stride64_b32 v[6:7], v32 offset0:48 offset1:52
	v_add_f32_e32 v8, v9, v8
	s_wait_dscnt 0x1
	s_delay_alu instid0(VALU_DEP_1) | instskip(SKIP_3) | instid1(VALU_DEP_1)
	v_add_f32_e32 v10, v10, v8
	ds_load_2addr_stride64_b32 v[8:9], v32 offset0:56 offset1:60
	v_add_f32_e32 v10, v11, v10
	s_wait_dscnt 0x1
	v_add_f32_e32 v6, v6, v10
	s_delay_alu instid0(VALU_DEP_1) | instskip(SKIP_1) | instid1(VALU_DEP_1)
	v_add_f32_e32 v6, v7, v6
	s_wait_dscnt 0x0
	v_add_f32_e32 v6, v8, v6
                                        ; implicit-def: $vgpr8
	s_delay_alu instid0(VALU_DEP_1)
	v_add_f32_e32 v6, v9, v6
	ds_store_b32 v32, v6
	s_and_saveexec_b32 s28, s6
	s_cbranch_execz .LBB14_50
; %bb.47:                               ;   in Loop: Header=BB14_5 Depth=1
	v_mul_f32_e32 v8, v41, v6
	s_cmp_eq_f32 s48, 0
	s_cbranch_scc1 .LBB14_49
; %bb.48:                               ;   in Loop: Header=BB14_5 Depth=1
	v_lshl_add_u64 v[6:7], v[4:5], 2, s[26:27]
	global_load_b32 v6, v[6:7], off
	s_wait_loadcnt 0x0
	v_fmac_f32_e32 v8, s48, v6
.LBB14_49:                              ;   in Loop: Header=BB14_5 Depth=1
	s_or_b32 s29, s47, exec_lo
.LBB14_50:                              ;   in Loop: Header=BB14_5 Depth=1
	s_wait_xcnt 0x0
	s_or_b32 exec_lo, exec_lo, s28
	s_delay_alu instid0(SALU_CYCLE_1) | instskip(SKIP_1) | instid1(SALU_CYCLE_1)
	s_and_not1_b32 s28, s47, exec_lo
	s_and_b32 s29, s29, exec_lo
	s_or_b32 s47, s28, s29
.LBB14_51:                              ;   in Loop: Header=BB14_5 Depth=1
	s_or_b32 exec_lo, exec_lo, s7
	v_mov_b64_e32 v[6:7], v[4:5]
	s_and_saveexec_b32 s7, s47
	s_cbranch_execz .LBB14_3
.LBB14_52:                              ;   in Loop: Header=BB14_5 Depth=1
	s_delay_alu instid0(VALU_DEP_1)
	v_lshl_add_u64 v[6:7], v[6:7], 2, s[26:27]
	global_store_b32 v[6:7], v8, off
	s_branch .LBB14_3
.LBB14_53:
	s_endpgm
	.section	.rodata,"a",@progbits
	.p2align	6, 0x0
	.amdhsa_kernel _ZL20rocblas_gemvn_kernelILi64ELi16EifPKffEviiT3_lPKT2_lT1_lS5_lS6_lS2_lPT4_lS6_li
		.amdhsa_group_segment_fixed_size 16384
		.amdhsa_private_segment_fixed_size 0
		.amdhsa_kernarg_size 400
		.amdhsa_user_sgpr_count 2
		.amdhsa_user_sgpr_dispatch_ptr 0
		.amdhsa_user_sgpr_queue_ptr 0
		.amdhsa_user_sgpr_kernarg_segment_ptr 1
		.amdhsa_user_sgpr_dispatch_id 0
		.amdhsa_user_sgpr_kernarg_preload_length 0
		.amdhsa_user_sgpr_kernarg_preload_offset 0
		.amdhsa_user_sgpr_private_segment_size 0
		.amdhsa_wavefront_size32 1
		.amdhsa_uses_dynamic_stack 0
		.amdhsa_enable_private_segment 0
		.amdhsa_system_sgpr_workgroup_id_x 1
		.amdhsa_system_sgpr_workgroup_id_y 0
		.amdhsa_system_sgpr_workgroup_id_z 1
		.amdhsa_system_sgpr_workgroup_info 0
		.amdhsa_system_vgpr_workitem_id 1
		.amdhsa_next_free_vgpr 51
		.amdhsa_next_free_sgpr 55
		.amdhsa_named_barrier_count 0
		.amdhsa_reserve_vcc 1
		.amdhsa_float_round_mode_32 0
		.amdhsa_float_round_mode_16_64 0
		.amdhsa_float_denorm_mode_32 3
		.amdhsa_float_denorm_mode_16_64 3
		.amdhsa_fp16_overflow 0
		.amdhsa_memory_ordered 1
		.amdhsa_forward_progress 1
		.amdhsa_inst_pref_size 23
		.amdhsa_round_robin_scheduling 0
		.amdhsa_exception_fp_ieee_invalid_op 0
		.amdhsa_exception_fp_denorm_src 0
		.amdhsa_exception_fp_ieee_div_zero 0
		.amdhsa_exception_fp_ieee_overflow 0
		.amdhsa_exception_fp_ieee_underflow 0
		.amdhsa_exception_fp_ieee_inexact 0
		.amdhsa_exception_int_div_zero 0
	.end_amdhsa_kernel
	.section	.text._ZL20rocblas_gemvn_kernelILi64ELi16EifPKffEviiT3_lPKT2_lT1_lS5_lS6_lS2_lPT4_lS6_li,"axG",@progbits,_ZL20rocblas_gemvn_kernelILi64ELi16EifPKffEviiT3_lPKT2_lT1_lS5_lS6_lS2_lPT4_lS6_li,comdat
.Lfunc_end14:
	.size	_ZL20rocblas_gemvn_kernelILi64ELi16EifPKffEviiT3_lPKT2_lT1_lS5_lS6_lS2_lPT4_lS6_li, .Lfunc_end14-_ZL20rocblas_gemvn_kernelILi64ELi16EifPKffEviiT3_lPKT2_lT1_lS5_lS6_lS2_lPT4_lS6_li
                                        ; -- End function
	.set _ZL20rocblas_gemvn_kernelILi64ELi16EifPKffEviiT3_lPKT2_lT1_lS5_lS6_lS2_lPT4_lS6_li.num_vgpr, 51
	.set _ZL20rocblas_gemvn_kernelILi64ELi16EifPKffEviiT3_lPKT2_lT1_lS5_lS6_lS2_lPT4_lS6_li.num_agpr, 0
	.set _ZL20rocblas_gemvn_kernelILi64ELi16EifPKffEviiT3_lPKT2_lT1_lS5_lS6_lS2_lPT4_lS6_li.numbered_sgpr, 55
	.set _ZL20rocblas_gemvn_kernelILi64ELi16EifPKffEviiT3_lPKT2_lT1_lS5_lS6_lS2_lPT4_lS6_li.num_named_barrier, 0
	.set _ZL20rocblas_gemvn_kernelILi64ELi16EifPKffEviiT3_lPKT2_lT1_lS5_lS6_lS2_lPT4_lS6_li.private_seg_size, 0
	.set _ZL20rocblas_gemvn_kernelILi64ELi16EifPKffEviiT3_lPKT2_lT1_lS5_lS6_lS2_lPT4_lS6_li.uses_vcc, 1
	.set _ZL20rocblas_gemvn_kernelILi64ELi16EifPKffEviiT3_lPKT2_lT1_lS5_lS6_lS2_lPT4_lS6_li.uses_flat_scratch, 0
	.set _ZL20rocblas_gemvn_kernelILi64ELi16EifPKffEviiT3_lPKT2_lT1_lS5_lS6_lS2_lPT4_lS6_li.has_dyn_sized_stack, 0
	.set _ZL20rocblas_gemvn_kernelILi64ELi16EifPKffEviiT3_lPKT2_lT1_lS5_lS6_lS2_lPT4_lS6_li.has_recursion, 0
	.set _ZL20rocblas_gemvn_kernelILi64ELi16EifPKffEviiT3_lPKT2_lT1_lS5_lS6_lS2_lPT4_lS6_li.has_indirect_call, 0
	.section	.AMDGPU.csdata,"",@progbits
; Kernel info:
; codeLenInByte = 2940
; TotalNumSgprs: 57
; NumVgprs: 51
; ScratchSize: 0
; MemoryBound: 0
; FloatMode: 240
; IeeeMode: 1
; LDSByteSize: 16384 bytes/workgroup (compile time only)
; SGPRBlocks: 0
; VGPRBlocks: 3
; NumSGPRsForWavesPerEU: 57
; NumVGPRsForWavesPerEU: 51
; NamedBarCnt: 0
; Occupancy: 16
; WaveLimiterHint : 1
; COMPUTE_PGM_RSRC2:SCRATCH_EN: 0
; COMPUTE_PGM_RSRC2:USER_SGPR: 2
; COMPUTE_PGM_RSRC2:TRAP_HANDLER: 0
; COMPUTE_PGM_RSRC2:TGID_X_EN: 1
; COMPUTE_PGM_RSRC2:TGID_Y_EN: 0
; COMPUTE_PGM_RSRC2:TGID_Z_EN: 1
; COMPUTE_PGM_RSRC2:TIDIG_COMP_CNT: 1
	.section	.text._ZL20rocblas_gemvn_kernelILi64ELi16ElfPKffEviiT3_lPKT2_lT1_lS5_lS6_lS2_lPT4_lS6_li,"axG",@progbits,_ZL20rocblas_gemvn_kernelILi64ELi16ElfPKffEviiT3_lPKT2_lT1_lS5_lS6_lS2_lPT4_lS6_li,comdat
	.globl	_ZL20rocblas_gemvn_kernelILi64ELi16ElfPKffEviiT3_lPKT2_lT1_lS5_lS6_lS2_lPT4_lS6_li ; -- Begin function _ZL20rocblas_gemvn_kernelILi64ELi16ElfPKffEviiT3_lPKT2_lT1_lS5_lS6_lS2_lPT4_lS6_li
	.p2align	8
	.type	_ZL20rocblas_gemvn_kernelILi64ELi16ElfPKffEviiT3_lPKT2_lT1_lS5_lS6_lS2_lPT4_lS6_li,@function
_ZL20rocblas_gemvn_kernelILi64ELi16ElfPKffEviiT3_lPKT2_lT1_lS5_lS6_lS2_lPT4_lS6_li: ; @_ZL20rocblas_gemvn_kernelILi64ELi16ElfPKffEviiT3_lPKT2_lT1_lS5_lS6_lS2_lPT4_lS6_li
; %bb.0:
	s_load_b64 s[2:3], s[0:1], 0x9c
	s_wait_kmcnt 0x0
	s_lshr_b32 s4, s2, 16
	s_and_b32 s2, s2, 0xffff
	s_and_b32 s3, s3, 0xffff
	s_mul_i32 s2, s4, s2
	s_delay_alu instid0(SALU_CYCLE_1) | instskip(NEXT) | instid1(SALU_CYCLE_1)
	s_mul_i32 s2, s2, s3
	s_cmp_lg_u32 s2, 0x400
	s_cbranch_scc1 .LBB15_53
; %bb.1:
	s_load_b32 s33, s[0:1], 0x88
	s_bfe_u32 s2, ttmp6, 0x40014
	s_lshr_b32 s3, ttmp7, 16
	s_add_co_i32 s2, s2, 1
	s_bfe_u32 s5, ttmp6, 0x40008
	s_mul_i32 s4, s3, s2
	s_getreg_b32 s2, hwreg(HW_REG_IB_STS2, 6, 4)
	s_add_co_i32 s5, s5, s4
	s_cmp_eq_u32 s2, 0
	s_mov_b32 s11, 0
	s_cselect_b32 s10, s3, s5
	s_wait_kmcnt 0x0
	s_cmp_ge_u32 s10, s33
	s_cbranch_scc1 .LBB15_53
; %bb.2:
	s_clause 0x2
	s_load_b512 s[12:27], s[0:1], 0x8
	s_load_b512 s[36:51], s[0:1], 0x48
	s_load_b64 s[28:29], s[0:1], 0x0
	s_wait_xcnt 0x0
	s_bfe_u32 s0, ttmp6, 0x4000c
	v_and_b32_e32 v24, 0x3ff, v0
	s_add_co_i32 s0, s0, 1
	v_bfe_u32 v4, v0, 10, 10
	s_and_b32 s1, ttmp6, 15
	s_mul_i32 s0, ttmp9, s0
	v_dual_mov_b32 v1, 0 :: v_dual_lshlrev_b32 v2, 2, v24
	s_add_co_i32 s1, s1, s0
	v_lshl_add_u32 v6, v4, 6, v24
	s_delay_alu instid0(VALU_DEP_2) | instskip(NEXT) | instid1(VALU_DEP_3)
	v_dual_mov_b32 v5, v1 :: v_dual_lshlrev_b32 v64, 2, v4
	v_lshl_add_u32 v65, v4, 10, v2
	v_lshl_add_u32 v66, v4, 8, v2
	s_wait_kmcnt 0x0
	s_lshl_b64 s[4:5], s[18:19], 2
	s_lshl_b64 s[18:19], s[26:27], 2
	;; [unrolled: 1-line block ×3, first 2 shown]
	s_cmp_eq_u32 s2, 0
	s_mov_b32 s2, s28
	s_cselect_b32 s0, ttmp9, s1
	s_ashr_i32 s3, s28, 31
	s_lshl_b32 s1, s0, 8
	v_cmp_gt_u32_e64 s0, 0x100, v6
	v_dual_add_nc_u32 v0, s1, v6 :: v_dual_bitop2_b32 v6, s1, v6 bitop3:0x54
	v_mul_u64_e32 v[10:11], s[36:37], v[4:5]
	v_mul_u64_e32 v[12:13], s[20:21], v[4:5]
	v_mad_nc_u64_u32 v[8:9], s36, v64, s[36:37]
	s_delay_alu instid0(VALU_DEP_4)
	v_cmp_gt_i64_e32 vcc_lo, s[2:3], v[0:1]
	v_mul_u64_e32 v[2:3], s[48:49], v[0:1]
	v_dual_ashrrev_i32 v7, 31, v6 :: v_dual_bitop2_b32 v0, 3, v64 bitop3:0x54
	v_mad_nc_u64_u32 v[22:23], s20, v64, s[20:21]
	s_ashr_i32 s2, s29, 31
	v_add_nc_u32_e32 v24, s1, v24
	s_delay_alu instid0(VALU_DEP_3)
	v_mul_u64_e32 v[14:15], s[20:21], v[0:1]
	v_mul_u64_e32 v[16:17], s[36:37], v[0:1]
	v_or_b32_e32 v0, 2, v64
	v_mul_u64_e32 v[4:5], s[48:49], v[6:7]
	v_mad_u32 v9, s37, v64, v9
	s_lshr_b32 s2, s2, 26
	v_ashrrev_i32_e32 v25, 31, v24
	v_mul_u64_e32 v[18:19], s[20:21], v[0:1]
	v_mul_u64_e32 v[20:21], s[36:37], v[0:1]
	v_mad_u32 v23, s21, v64, v23
	s_add_co_i32 s52, s29, s2
	v_add_nc_u32_e32 v7, 0x80, v24
	s_and_not1_b32 s52, s52, 63
	v_add_nc_u32_e32 v0, 64, v24
	v_add_nc_u32_e32 v26, 0xc0, v24
	s_sub_co_i32 s3, s29, s52
	s_add_nc_u64 s[16:17], s[16:17], s[4:5]
	s_cmp_gt_i32 s3, 0
	v_cmp_gt_i32_e64 s3, s28, v6
	v_cmp_gt_i32_e64 s5, s28, v7
	v_lshlrev_b64_e32 v[6:7], 2, v[24:25]
	s_add_nc_u64 s[30:31], s[44:45], s[6:7]
	v_cmp_gt_i32_e64 s1, s52, v64
	v_cmp_gt_i32_e64 s2, s28, v24
	v_cmp_gt_i32_e64 s4, s28, v0
	v_cmp_gt_i32_e64 s6, s28, v26
	v_lshl_add_u64 v[8:9], v[8:9], 2, s[24:25]
	v_lshl_add_u64 v[10:11], v[10:11], 4, s[24:25]
	;; [unrolled: 1-line block ×4, first 2 shown]
	s_add_nc_u64 s[26:27], s[24:25], s[18:19]
	s_cselect_b32 s53, -1, 0
	v_lshl_add_u64 v[14:15], v[14:15], 2, s[16:17]
	v_lshl_add_u64 v[16:17], v[16:17], 2, s[24:25]
	s_lshl_b64 s[34:35], s[38:39], 2
	s_and_b32 s28, s0, vcc_lo
	s_lshl_b64 s[44:45], s[22:23], 2
	s_lshl_b64 s[46:47], s[20:21], 8
	v_lshl_add_u64 v[18:19], v[18:19], 2, s[16:17]
	v_lshl_add_u64 v[20:21], v[20:21], 2, s[24:25]
	s_lshl_b64 s[24:25], s[36:37], 8
	s_branch .LBB15_5
.LBB15_3:                               ;   in Loop: Header=BB15_5 Depth=1
	s_wait_xcnt 0x0
	s_or_b32 exec_lo, exec_lo, s7
.LBB15_4:                               ;   in Loop: Header=BB15_5 Depth=1
	s_add_co_i32 s10, s10, 0x10000
	s_delay_alu instid0(SALU_CYCLE_1)
	s_cmp_lt_u32 s10, s33
	s_cbranch_scc0 .LBB15_53
.LBB15_5:                               ; =>This Loop Header: Depth=1
                                        ;     Child Loop BB15_21 Depth 2
	s_wait_xcnt 0x1
	s_mul_u64 s[8:9], s[14:15], s[10:11]
	s_wait_xcnt 0x0
	s_mul_u64 s[48:49], s[42:43], s[10:11]
	s_lshl_b64 s[8:9], s[8:9], 2
	s_lshl_b64 s[48:49], s[48:49], 2
	s_add_nc_u64 s[8:9], s[12:13], s[8:9]
	s_add_nc_u64 s[48:49], s[40:41], s[48:49]
	s_clause 0x1
	global_load_b32 v67, v1, s[8:9]
	global_load_b32 v0, v1, s[48:49]
	s_wait_loadcnt 0x1
	v_cmp_eq_f32_e32 vcc_lo, 0, v67
	s_wait_loadcnt 0x0
	v_cmp_eq_f32_e64 s7, 1.0, v0
	v_readfirstlane_b32 s55, v0
	s_and_b32 s7, vcc_lo, s7
	s_delay_alu instid0(SALU_CYCLE_1)
	s_and_b32 vcc_lo, exec_lo, s7
	s_cbranch_vccnz .LBB15_4
; %bb.6:                                ;   in Loop: Header=BB15_5 Depth=1
	v_cmp_neq_f32_e32 vcc_lo, 0, v67
	s_wait_xcnt 0x1
	s_mul_u64 s[8:9], s[50:51], s[10:11]
	s_delay_alu instid0(SALU_CYCLE_1)
	s_lshl_b64 s[8:9], s[8:9], 2
	s_wait_xcnt 0x0
	s_add_nc_u64 s[48:49], s[30:31], s[8:9]
	s_cbranch_vccnz .LBB15_10
; %bb.7:                                ;   in Loop: Header=BB15_5 Depth=1
	s_mov_b32 s7, 0
	s_mov_b32 s54, 0
                                        ; implicit-def: $vgpr0
	s_and_saveexec_b32 s8, s28
	s_cbranch_execz .LBB15_11
; %bb.8:                                ;   in Loop: Header=BB15_5 Depth=1
	s_cmp_eq_f32 s55, 0
	s_cbranch_scc1 .LBB15_13
; %bb.9:                                ;   in Loop: Header=BB15_5 Depth=1
	v_lshl_add_u64 v[24:25], v[2:3], 2, s[48:49]
	global_load_b32 v0, v[24:25], off
	s_wait_loadcnt 0x0
	v_mul_f32_e32 v0, s55, v0
	s_branch .LBB15_14
.LBB15_10:                              ;   in Loop: Header=BB15_5 Depth=1
	s_mov_b32 s54, 0
                                        ; implicit-def: $vgpr0
	s_cbranch_execz .LBB15_12
	s_branch .LBB15_15
.LBB15_11:                              ;   in Loop: Header=BB15_5 Depth=1
	s_or_b32 exec_lo, exec_lo, s8
	s_delay_alu instid0(SALU_CYCLE_1)
	s_and_b32 vcc_lo, exec_lo, s7
	s_cbranch_vccnz .LBB15_15
.LBB15_12:                              ;   in Loop: Header=BB15_5 Depth=1
	v_mov_b64_e32 v[24:25], v[2:3]
	s_and_saveexec_b32 s7, s54
	s_cbranch_execz .LBB15_3
	s_branch .LBB15_52
.LBB15_13:                              ;   in Loop: Header=BB15_5 Depth=1
	v_mov_b32_e32 v0, 0
.LBB15_14:                              ;   in Loop: Header=BB15_5 Depth=1
	s_mov_b32 s54, exec_lo
	s_wait_xcnt 0x0
	s_or_b32 exec_lo, exec_lo, s8
	s_delay_alu instid0(SALU_CYCLE_1)
	s_and_b32 vcc_lo, exec_lo, s7
	s_cbranch_vccz .LBB15_12
.LBB15_15:                              ;   in Loop: Header=BB15_5 Depth=1
	v_dual_mov_b32 v68, 0 :: v_dual_mov_b32 v0, v64
	v_dual_mov_b32 v69, 0 :: v_dual_mov_b32 v70, 0
	v_mov_b32_e32 v71, 0
	s_and_saveexec_b32 s7, s1
	s_cbranch_execz .LBB15_27
; %bb.16:                               ;   in Loop: Header=BB15_5 Depth=1
	s_mul_u64 s[8:9], s[34:35], s[10:11]
	s_mul_u64 s[56:57], s[44:45], s[10:11]
	v_add_nc_u64_e32 v[24:25], s[8:9], v[10:11]
	v_add_nc_u64_e32 v[26:27], s[56:57], v[14:15]
	;; [unrolled: 1-line block ×8, first 2 shown]
	v_dual_mov_b32 v68, 0 :: v_dual_mov_b32 v0, v64
	v_dual_mov_b32 v69, 0 :: v_dual_mov_b32 v70, 0
	v_mov_b32_e32 v71, 0
	s_mov_b32 s8, 0
	s_branch .LBB15_21
.LBB15_17:                              ;   in Loop: Header=BB15_21 Depth=2
	s_wait_xcnt 0x0
	s_or_b32 exec_lo, exec_lo, s58
	s_wait_loadcnt 0x2
	v_pk_mul_f32 v[52:53], v[44:45], v[62:63]
	s_delay_alu instid0(VALU_DEP_1) | instskip(NEXT) | instid1(VALU_DEP_1)
	v_add_f32_e32 v52, v70, v52
	v_add_f32_e32 v54, v52, v53
	s_wait_loadcnt 0x0
	v_pk_mul_f32 v[52:53], v[40:41], v[60:61]
	s_delay_alu instid0(VALU_DEP_1) | instskip(NEXT) | instid1(VALU_DEP_1)
	v_add_f32_e32 v52, v54, v52
	v_add_f32_e32 v70, v52, v53
.LBB15_18:                              ;   in Loop: Header=BB15_21 Depth=2
	s_or_b32 exec_lo, exec_lo, s57
	s_wait_loadcnt 0x2
	v_pk_mul_f32 v[50:51], v[44:45], v[50:51]
	s_wait_loadcnt 0x0
	v_pk_mul_f32 v[48:49], v[40:41], v[48:49]
	s_delay_alu instid0(VALU_DEP_2) | instskip(NEXT) | instid1(VALU_DEP_1)
	v_add_f32_e32 v50, v69, v50
	v_add_f32_e32 v50, v50, v51
	s_delay_alu instid0(VALU_DEP_1) | instskip(NEXT) | instid1(VALU_DEP_1)
	v_add_f32_e32 v48, v50, v48
	v_add_f32_e32 v69, v48, v49
.LBB15_19:                              ;   in Loop: Header=BB15_21 Depth=2
	s_or_b32 exec_lo, exec_lo, s56
	s_wait_loadcnt 0x2
	v_pk_mul_f32 v[44:45], v[44:45], v[46:47]
	s_wait_loadcnt 0x0
	v_pk_mul_f32 v[40:41], v[40:41], v[42:43]
	s_delay_alu instid0(VALU_DEP_2) | instskip(NEXT) | instid1(VALU_DEP_1)
	v_add_f32_e32 v44, v68, v44
	v_add_f32_e32 v44, v44, v45
	s_delay_alu instid0(VALU_DEP_1) | instskip(NEXT) | instid1(VALU_DEP_1)
	v_add_f32_e32 v40, v44, v40
	v_add_f32_e32 v68, v40, v41
.LBB15_20:                              ;   in Loop: Header=BB15_21 Depth=2
	s_or_b32 exec_lo, exec_lo, s9
	v_add_nc_u32_e32 v0, 64, v0
	v_add_nc_u64_e32 v[24:25], s[24:25], v[24:25]
	v_add_nc_u64_e32 v[26:27], s[46:47], v[26:27]
	v_add_nc_u64_e32 v[28:29], s[24:25], v[28:29]
	v_add_nc_u64_e32 v[30:31], s[46:47], v[30:31]
	v_add_nc_u64_e32 v[32:33], s[46:47], v[32:33]
	v_add_nc_u64_e32 v[34:35], s[24:25], v[34:35]
	v_add_nc_u64_e32 v[36:37], s[24:25], v[36:37]
	v_cmp_le_i32_e32 vcc_lo, s52, v0
	v_add_nc_u64_e32 v[38:39], s[46:47], v[38:39]
	s_or_b32 s8, vcc_lo, s8
	s_delay_alu instid0(SALU_CYCLE_1)
	s_and_not1_b32 exec_lo, exec_lo, s8
	s_cbranch_execz .LBB15_26
.LBB15_21:                              ;   Parent Loop BB15_5 Depth=1
                                        ; =>  This Inner Loop Header: Depth=2
	s_and_saveexec_b32 s9, s2
	s_cbranch_execz .LBB15_20
; %bb.22:                               ;   in Loop: Header=BB15_21 Depth=2
	v_add_nc_u64_e32 v[40:41], s[18:19], v[28:29]
	v_add_nc_u64_e32 v[42:43], s[18:19], v[34:35]
	;; [unrolled: 1-line block ×8, first 2 shown]
	global_load_b32 v41, v[40:41], off
	global_load_b32 v40, v[42:43], off
	global_load_b32 v45, v[44:45], off
	global_load_b32 v44, v[46:47], off
	global_load_b32 v46, v[54:55], off
	global_load_b32 v47, v[56:57], off
	global_load_b32 v42, v[52:53], off
	global_load_b32 v43, v[58:59], off
	s_wait_xcnt 0x0
	s_and_saveexec_b32 s56, s4
	s_cbranch_execz .LBB15_19
; %bb.23:                               ;   in Loop: Header=BB15_21 Depth=2
	global_load_b32 v50, v[54:55], off offset:256
	global_load_b32 v51, v[56:57], off offset:256
	global_load_b32 v48, v[52:53], off offset:256
	global_load_b32 v49, v[58:59], off offset:256
	s_wait_xcnt 0x0
	s_and_saveexec_b32 s57, s5
	s_cbranch_execz .LBB15_18
; %bb.24:                               ;   in Loop: Header=BB15_21 Depth=2
	global_load_b32 v62, v[54:55], off offset:512
	global_load_b32 v63, v[56:57], off offset:512
	global_load_b32 v60, v[52:53], off offset:512
	global_load_b32 v61, v[58:59], off offset:512
	;; [unrolled: 8-line block ×3, first 2 shown]
	s_wait_loadcnt 0x2
	v_pk_mul_f32 v[54:55], v[44:45], v[54:55]
	s_wait_loadcnt 0x0
	v_pk_mul_f32 v[52:53], v[40:41], v[52:53]
	s_delay_alu instid0(VALU_DEP_2) | instskip(NEXT) | instid1(VALU_DEP_1)
	v_add_f32_e32 v54, v71, v54
	v_add_f32_e32 v54, v54, v55
	s_delay_alu instid0(VALU_DEP_1) | instskip(NEXT) | instid1(VALU_DEP_1)
	v_add_f32_e32 v52, v54, v52
	v_add_f32_e32 v71, v52, v53
	s_branch .LBB15_17
.LBB15_26:                              ;   in Loop: Header=BB15_5 Depth=1
	s_or_b32 exec_lo, exec_lo, s8
.LBB15_27:                              ;   in Loop: Header=BB15_5 Depth=1
	s_delay_alu instid0(SALU_CYCLE_1) | instskip(NEXT) | instid1(SALU_CYCLE_1)
	s_or_b32 exec_lo, exec_lo, s7
	s_and_not1_b32 vcc_lo, exec_lo, s53
	s_cbranch_vccnz .LBB15_45
; %bb.28:                               ;   in Loop: Header=BB15_5 Depth=1
	v_dual_mov_b32 v26, 0 :: v_dual_bitop2_b32 v28, 1, v0 bitop3:0x54
	v_cmp_gt_i32_e32 vcc_lo, s29, v0
	s_delay_alu instid0(VALU_DEP_2)
	v_dual_mov_b32 v27, v26 :: v_dual_mov_b32 v24, v26
	v_mov_b32_e32 v25, v26
	s_and_saveexec_b32 s56, vcc_lo
	s_cbranch_execz .LBB15_36
; %bb.29:                               ;   in Loop: Header=BB15_5 Depth=1
	v_mul_u64_e32 v[24:25], s[36:37], v[0:1]
	s_mul_u64 s[8:9], s[38:39], s[10:11]
	v_mov_b32_e32 v26, 0
	s_lshl_b64 s[8:9], s[8:9], 2
	s_mov_b32 s57, exec_lo
	s_add_nc_u64 s[8:9], s[26:27], s[8:9]
	v_mov_b32_e32 v27, 0
	s_delay_alu instid0(VALU_DEP_3)
	v_lshl_add_u64 v[24:25], v[24:25], 2, s[8:9]
	global_load_b32 v24, v[24:25], off
	s_wait_xcnt 0x0
	v_mov_b32_e32 v25, 0
	v_cmpx_gt_i32_e64 s29, v28
	s_cbranch_execz .LBB15_35
; %bb.30:                               ;   in Loop: Header=BB15_5 Depth=1
	v_dual_mov_b32 v29, v1 :: v_dual_bitop2_b32 v30, 2, v0 bitop3:0x54
	s_mov_b32 s58, exec_lo
	s_delay_alu instid0(VALU_DEP_1) | instskip(NEXT) | instid1(VALU_DEP_1)
	v_mul_u64_e32 v[26:27], s[36:37], v[28:29]
	v_lshl_add_u64 v[26:27], v[26:27], 2, s[8:9]
	global_load_b32 v25, v[26:27], off
	s_wait_xcnt 0x0
	v_dual_mov_b32 v27, 0 :: v_dual_mov_b32 v26, 0
	v_cmpx_gt_i32_e64 s29, v30
	s_cbranch_execz .LBB15_34
; %bb.31:                               ;   in Loop: Header=BB15_5 Depth=1
	v_mov_b32_e32 v31, v1
	s_mov_b32 s59, exec_lo
	s_delay_alu instid0(VALU_DEP_1) | instskip(SKIP_1) | instid1(VALU_DEP_2)
	v_mul_u64_e32 v[26:27], s[36:37], v[30:31]
	v_or_b32_e32 v30, 3, v0
	v_lshl_add_u64 v[26:27], v[26:27], 2, s[8:9]
	global_load_b32 v26, v[26:27], off
	s_wait_xcnt 0x0
	v_mov_b32_e32 v27, 0
	v_cmpx_gt_i32_e64 s29, v30
	s_cbranch_execz .LBB15_33
; %bb.32:                               ;   in Loop: Header=BB15_5 Depth=1
	v_mov_b32_e32 v31, v1
	s_delay_alu instid0(VALU_DEP_1) | instskip(NEXT) | instid1(VALU_DEP_1)
	v_mul_u64_e32 v[30:31], s[36:37], v[30:31]
	v_lshl_add_u64 v[30:31], v[30:31], 2, s[8:9]
	global_load_b32 v27, v[30:31], off
.LBB15_33:                              ;   in Loop: Header=BB15_5 Depth=1
	s_wait_xcnt 0x0
	s_or_b32 exec_lo, exec_lo, s59
.LBB15_34:                              ;   in Loop: Header=BB15_5 Depth=1
	s_delay_alu instid0(SALU_CYCLE_1)
	s_or_b32 exec_lo, exec_lo, s58
.LBB15_35:                              ;   in Loop: Header=BB15_5 Depth=1
	s_delay_alu instid0(SALU_CYCLE_1)
	s_or_b32 exec_lo, exec_lo, s57
.LBB15_36:                              ;   in Loop: Header=BB15_5 Depth=1
	s_delay_alu instid0(SALU_CYCLE_1)
	s_or_b32 exec_lo, exec_lo, s56
	s_and_saveexec_b32 s56, s2
	s_cbranch_execz .LBB15_44
; %bb.37:                               ;   in Loop: Header=BB15_5 Depth=1
	v_dual_mov_b32 v29, v1 :: v_dual_bitop2_b32 v30, 2, v0 bitop3:0x54
	v_mov_b32_e32 v31, v1
	v_mul_u64_e32 v[32:33], s[20:21], v[0:1]
	v_or_b32_e32 v0, 3, v0
	s_delay_alu instid0(VALU_DEP_4)
	v_mul_u64_e32 v[34:35], s[20:21], v[28:29]
	s_mul_u64 s[8:9], s[22:23], s[10:11]
	v_mul_u64_e32 v[36:37], s[20:21], v[30:31]
	v_cmp_gt_i32_e64 s7, s29, v28
	v_mul_u64_e32 v[38:39], s[20:21], v[0:1]
	s_lshl_b64 s[58:59], s[8:9], 2
	v_cmp_gt_i32_e64 s8, s29, v30
	v_cmp_gt_i32_e64 s9, s29, v0
	v_dual_cndmask_b32 v29, 0, v33 :: v_dual_cndmask_b32 v28, 0, v32
	v_dual_cndmask_b32 v31, 0, v35, s7 :: v_dual_cndmask_b32 v30, 0, v34, s7
	s_delay_alu instid0(VALU_DEP_4) | instskip(NEXT) | instid1(VALU_DEP_4)
	v_dual_cndmask_b32 v33, 0, v37, s8 :: v_dual_cndmask_b32 v32, 0, v36, s8
	v_dual_cndmask_b32 v35, 0, v39, s9 :: v_dual_cndmask_b32 v34, 0, v38, s9
	s_add_nc_u64 s[8:9], s[16:17], s[58:59]
	s_delay_alu instid0(SALU_CYCLE_1) | instskip(SKIP_3) | instid1(VALU_DEP_4)
	v_lshl_add_u64 v[28:29], v[28:29], 2, s[8:9]
	v_lshl_add_u64 v[30:31], v[30:31], 2, s[8:9]
	;; [unrolled: 1-line block ×4, first 2 shown]
	v_add_nc_u64_e32 v[40:41], v[28:29], v[6:7]
	s_delay_alu instid0(VALU_DEP_4) | instskip(NEXT) | instid1(VALU_DEP_4)
	v_add_nc_u64_e32 v[42:43], v[30:31], v[6:7]
	v_add_nc_u64_e32 v[36:37], v[32:33], v[6:7]
	s_delay_alu instid0(VALU_DEP_4)
	v_add_nc_u64_e32 v[38:39], v[34:35], v[6:7]
	s_clause 0x3
	global_load_b32 v30, v[40:41], off
	global_load_b32 v31, v[42:43], off
	;; [unrolled: 1-line block ×4, first 2 shown]
	s_wait_xcnt 0x0
	s_and_saveexec_b32 s7, s4
	s_cbranch_execz .LBB15_43
; %bb.38:                               ;   in Loop: Header=BB15_5 Depth=1
	s_clause 0x3
	global_load_b32 v34, v[40:41], off offset:256
	global_load_b32 v35, v[42:43], off offset:256
	global_load_b32 v32, v[36:37], off offset:256
	global_load_b32 v33, v[38:39], off offset:256
	s_wait_xcnt 0x0
	s_and_saveexec_b32 s8, s5
	s_cbranch_execz .LBB15_42
; %bb.39:                               ;   in Loop: Header=BB15_5 Depth=1
	s_clause 0x3
	global_load_b32 v46, v[40:41], off offset:512
	global_load_b32 v47, v[42:43], off offset:512
	global_load_b32 v44, v[36:37], off offset:512
	global_load_b32 v45, v[38:39], off offset:512
	;; [unrolled: 9-line block ×3, first 2 shown]
	s_wait_loadcnt 0x2
	s_wait_xcnt 0x0
	v_pk_mul_f32 v[38:39], v[24:25], v[40:41]
	s_wait_loadcnt 0x0
	v_pk_mul_f32 v[36:37], v[26:27], v[36:37]
	s_delay_alu instid0(VALU_DEP_2) | instskip(NEXT) | instid1(VALU_DEP_1)
	v_add_f32_e32 v0, v71, v38
	v_add_f32_e32 v0, v0, v39
	s_delay_alu instid0(VALU_DEP_1) | instskip(NEXT) | instid1(VALU_DEP_1)
	v_add_f32_e32 v0, v0, v36
	v_add_f32_e32 v71, v0, v37
.LBB15_41:                              ;   in Loop: Header=BB15_5 Depth=1
	s_or_b32 exec_lo, exec_lo, s9
	s_wait_loadcnt 0x2
	v_pk_mul_f32 v[36:37], v[24:25], v[46:47]
	s_delay_alu instid0(VALU_DEP_1) | instskip(NEXT) | instid1(VALU_DEP_1)
	v_add_f32_e32 v0, v70, v36
	v_add_f32_e32 v0, v0, v37
	s_wait_loadcnt 0x0
	v_pk_mul_f32 v[36:37], v[26:27], v[44:45]
	s_delay_alu instid0(VALU_DEP_1) | instskip(NEXT) | instid1(VALU_DEP_1)
	v_add_f32_e32 v0, v0, v36
	v_add_f32_e32 v70, v0, v37
.LBB15_42:                              ;   in Loop: Header=BB15_5 Depth=1
	s_or_b32 exec_lo, exec_lo, s8
	s_wait_loadcnt 0x2
	v_pk_mul_f32 v[34:35], v[24:25], v[34:35]
	s_wait_loadcnt 0x0
	v_pk_mul_f32 v[32:33], v[26:27], v[32:33]
	s_delay_alu instid0(VALU_DEP_2) | instskip(NEXT) | instid1(VALU_DEP_1)
	v_add_f32_e32 v0, v69, v34
	v_add_f32_e32 v0, v0, v35
	s_delay_alu instid0(VALU_DEP_1) | instskip(NEXT) | instid1(VALU_DEP_1)
	v_add_f32_e32 v0, v0, v32
	v_add_f32_e32 v69, v0, v33
.LBB15_43:                              ;   in Loop: Header=BB15_5 Depth=1
	s_or_b32 exec_lo, exec_lo, s7
	s_wait_loadcnt 0x2
	v_pk_mul_f32 v[24:25], v[24:25], v[30:31]
	s_delay_alu instid0(VALU_DEP_1) | instskip(NEXT) | instid1(VALU_DEP_1)
	v_add_f32_e32 v0, v68, v24
	v_add_f32_e32 v0, v0, v25
	s_wait_loadcnt 0x0
	v_pk_mul_f32 v[24:25], v[26:27], v[28:29]
	s_delay_alu instid0(VALU_DEP_1) | instskip(NEXT) | instid1(VALU_DEP_1)
	v_add_f32_e32 v0, v0, v24
	v_add_f32_e32 v68, v0, v25
.LBB15_44:                              ;   in Loop: Header=BB15_5 Depth=1
	s_or_b32 exec_lo, exec_lo, s56
.LBB15_45:                              ;   in Loop: Header=BB15_5 Depth=1
	ds_store_2addr_stride64_b32 v65, v68, v69 offset1:1
	ds_store_2addr_stride64_b32 v65, v70, v71 offset0:2 offset1:3
	s_wait_loadcnt_dscnt 0x0
	s_barrier_signal -1
	s_barrier_wait -1
                                        ; implicit-def: $vgpr0
	s_and_saveexec_b32 s7, s0
	s_cbranch_execz .LBB15_51
; %bb.46:                               ;   in Loop: Header=BB15_5 Depth=1
	ds_load_2addr_stride64_b32 v[24:25], v66 offset1:4
	ds_load_2addr_stride64_b32 v[26:27], v66 offset0:8 offset1:12
	ds_load_2addr_stride64_b32 v[28:29], v66 offset0:16 offset1:20
	s_mov_b32 s9, s54
	s_wait_dscnt 0x2
	v_add_f32_e32 v0, v24, v25
	ds_load_2addr_stride64_b32 v[24:25], v66 offset0:24 offset1:28
	s_wait_dscnt 0x2
	v_add_f32_e32 v0, v26, v0
	s_delay_alu instid0(VALU_DEP_1) | instskip(SKIP_3) | instid1(VALU_DEP_1)
	v_add_f32_e32 v0, v27, v0
	ds_load_2addr_stride64_b32 v[26:27], v66 offset0:32 offset1:36
	s_wait_dscnt 0x2
	v_add_f32_e32 v0, v28, v0
	v_add_f32_e32 v0, v29, v0
	ds_load_2addr_stride64_b32 v[28:29], v66 offset0:40 offset1:44
	s_wait_dscnt 0x2
	v_add_f32_e32 v0, v24, v0
	s_delay_alu instid0(VALU_DEP_1) | instskip(SKIP_3) | instid1(VALU_DEP_1)
	v_add_f32_e32 v0, v25, v0
	ds_load_2addr_stride64_b32 v[24:25], v66 offset0:48 offset1:52
	s_wait_dscnt 0x2
	v_add_f32_e32 v0, v26, v0
	v_add_f32_e32 v0, v27, v0
	ds_load_2addr_stride64_b32 v[26:27], v66 offset0:56 offset1:60
	s_wait_dscnt 0x2
	v_add_f32_e32 v0, v28, v0
	s_delay_alu instid0(VALU_DEP_1) | instskip(SKIP_1) | instid1(VALU_DEP_1)
	v_add_f32_e32 v0, v29, v0
	s_wait_dscnt 0x1
	v_add_f32_e32 v0, v24, v0
	s_delay_alu instid0(VALU_DEP_1) | instskip(SKIP_1) | instid1(VALU_DEP_1)
	v_add_f32_e32 v0, v25, v0
	s_wait_dscnt 0x0
	v_add_f32_e32 v0, v26, v0
	s_delay_alu instid0(VALU_DEP_1)
	v_add_f32_e32 v24, v27, v0
                                        ; implicit-def: $vgpr0
	ds_store_b32 v66, v24
	s_and_saveexec_b32 s8, s3
	s_cbranch_execz .LBB15_50
; %bb.47:                               ;   in Loop: Header=BB15_5 Depth=1
	v_mul_f32_e32 v0, v67, v24
	s_cmp_eq_f32 s55, 0
	s_cbranch_scc1 .LBB15_49
; %bb.48:                               ;   in Loop: Header=BB15_5 Depth=1
	v_lshl_add_u64 v[24:25], v[4:5], 2, s[48:49]
	global_load_b32 v24, v[24:25], off
	s_wait_loadcnt 0x0
	v_fmac_f32_e32 v0, s55, v24
.LBB15_49:                              ;   in Loop: Header=BB15_5 Depth=1
	s_or_b32 s9, s54, exec_lo
.LBB15_50:                              ;   in Loop: Header=BB15_5 Depth=1
	s_wait_xcnt 0x0
	s_or_b32 exec_lo, exec_lo, s8
	s_delay_alu instid0(SALU_CYCLE_1) | instskip(SKIP_1) | instid1(SALU_CYCLE_1)
	s_and_not1_b32 s8, s54, exec_lo
	s_and_b32 s9, s9, exec_lo
	s_or_b32 s54, s8, s9
.LBB15_51:                              ;   in Loop: Header=BB15_5 Depth=1
	s_or_b32 exec_lo, exec_lo, s7
	v_mov_b64_e32 v[24:25], v[4:5]
	s_and_saveexec_b32 s7, s54
	s_cbranch_execz .LBB15_3
.LBB15_52:                              ;   in Loop: Header=BB15_5 Depth=1
	s_delay_alu instid0(VALU_DEP_1)
	v_lshl_add_u64 v[24:25], v[24:25], 2, s[48:49]
	global_store_b32 v[24:25], v0, off
	s_branch .LBB15_3
.LBB15_53:
	s_sendmsg sendmsg(MSG_DEALLOC_VGPRS)
	s_endpgm
	.section	.rodata,"a",@progbits
	.p2align	6, 0x0
	.amdhsa_kernel _ZL20rocblas_gemvn_kernelILi64ELi16ElfPKffEviiT3_lPKT2_lT1_lS5_lS6_lS2_lPT4_lS6_li
		.amdhsa_group_segment_fixed_size 16384
		.amdhsa_private_segment_fixed_size 0
		.amdhsa_kernarg_size 400
		.amdhsa_user_sgpr_count 2
		.amdhsa_user_sgpr_dispatch_ptr 0
		.amdhsa_user_sgpr_queue_ptr 0
		.amdhsa_user_sgpr_kernarg_segment_ptr 1
		.amdhsa_user_sgpr_dispatch_id 0
		.amdhsa_user_sgpr_kernarg_preload_length 0
		.amdhsa_user_sgpr_kernarg_preload_offset 0
		.amdhsa_user_sgpr_private_segment_size 0
		.amdhsa_wavefront_size32 1
		.amdhsa_uses_dynamic_stack 0
		.amdhsa_enable_private_segment 0
		.amdhsa_system_sgpr_workgroup_id_x 1
		.amdhsa_system_sgpr_workgroup_id_y 0
		.amdhsa_system_sgpr_workgroup_id_z 1
		.amdhsa_system_sgpr_workgroup_info 0
		.amdhsa_system_vgpr_workitem_id 1
		.amdhsa_next_free_vgpr 72
		.amdhsa_next_free_sgpr 60
		.amdhsa_named_barrier_count 0
		.amdhsa_reserve_vcc 1
		.amdhsa_float_round_mode_32 0
		.amdhsa_float_round_mode_16_64 0
		.amdhsa_float_denorm_mode_32 3
		.amdhsa_float_denorm_mode_16_64 3
		.amdhsa_fp16_overflow 0
		.amdhsa_memory_ordered 1
		.amdhsa_forward_progress 1
		.amdhsa_inst_pref_size 23
		.amdhsa_round_robin_scheduling 0
		.amdhsa_exception_fp_ieee_invalid_op 0
		.amdhsa_exception_fp_denorm_src 0
		.amdhsa_exception_fp_ieee_div_zero 0
		.amdhsa_exception_fp_ieee_overflow 0
		.amdhsa_exception_fp_ieee_underflow 0
		.amdhsa_exception_fp_ieee_inexact 0
		.amdhsa_exception_int_div_zero 0
	.end_amdhsa_kernel
	.section	.text._ZL20rocblas_gemvn_kernelILi64ELi16ElfPKffEviiT3_lPKT2_lT1_lS5_lS6_lS2_lPT4_lS6_li,"axG",@progbits,_ZL20rocblas_gemvn_kernelILi64ELi16ElfPKffEviiT3_lPKT2_lT1_lS5_lS6_lS2_lPT4_lS6_li,comdat
.Lfunc_end15:
	.size	_ZL20rocblas_gemvn_kernelILi64ELi16ElfPKffEviiT3_lPKT2_lT1_lS5_lS6_lS2_lPT4_lS6_li, .Lfunc_end15-_ZL20rocblas_gemvn_kernelILi64ELi16ElfPKffEviiT3_lPKT2_lT1_lS5_lS6_lS2_lPT4_lS6_li
                                        ; -- End function
	.set _ZL20rocblas_gemvn_kernelILi64ELi16ElfPKffEviiT3_lPKT2_lT1_lS5_lS6_lS2_lPT4_lS6_li.num_vgpr, 72
	.set _ZL20rocblas_gemvn_kernelILi64ELi16ElfPKffEviiT3_lPKT2_lT1_lS5_lS6_lS2_lPT4_lS6_li.num_agpr, 0
	.set _ZL20rocblas_gemvn_kernelILi64ELi16ElfPKffEviiT3_lPKT2_lT1_lS5_lS6_lS2_lPT4_lS6_li.numbered_sgpr, 60
	.set _ZL20rocblas_gemvn_kernelILi64ELi16ElfPKffEviiT3_lPKT2_lT1_lS5_lS6_lS2_lPT4_lS6_li.num_named_barrier, 0
	.set _ZL20rocblas_gemvn_kernelILi64ELi16ElfPKffEviiT3_lPKT2_lT1_lS5_lS6_lS2_lPT4_lS6_li.private_seg_size, 0
	.set _ZL20rocblas_gemvn_kernelILi64ELi16ElfPKffEviiT3_lPKT2_lT1_lS5_lS6_lS2_lPT4_lS6_li.uses_vcc, 1
	.set _ZL20rocblas_gemvn_kernelILi64ELi16ElfPKffEviiT3_lPKT2_lT1_lS5_lS6_lS2_lPT4_lS6_li.uses_flat_scratch, 0
	.set _ZL20rocblas_gemvn_kernelILi64ELi16ElfPKffEviiT3_lPKT2_lT1_lS5_lS6_lS2_lPT4_lS6_li.has_dyn_sized_stack, 0
	.set _ZL20rocblas_gemvn_kernelILi64ELi16ElfPKffEviiT3_lPKT2_lT1_lS5_lS6_lS2_lPT4_lS6_li.has_recursion, 0
	.set _ZL20rocblas_gemvn_kernelILi64ELi16ElfPKffEviiT3_lPKT2_lT1_lS5_lS6_lS2_lPT4_lS6_li.has_indirect_call, 0
	.section	.AMDGPU.csdata,"",@progbits
; Kernel info:
; codeLenInByte = 2904
; TotalNumSgprs: 62
; NumVgprs: 72
; ScratchSize: 0
; MemoryBound: 0
; FloatMode: 240
; IeeeMode: 1
; LDSByteSize: 16384 bytes/workgroup (compile time only)
; SGPRBlocks: 0
; VGPRBlocks: 4
; NumSGPRsForWavesPerEU: 62
; NumVGPRsForWavesPerEU: 72
; NamedBarCnt: 0
; Occupancy: 12
; WaveLimiterHint : 1
; COMPUTE_PGM_RSRC2:SCRATCH_EN: 0
; COMPUTE_PGM_RSRC2:USER_SGPR: 2
; COMPUTE_PGM_RSRC2:TRAP_HANDLER: 0
; COMPUTE_PGM_RSRC2:TGID_X_EN: 1
; COMPUTE_PGM_RSRC2:TGID_Y_EN: 0
; COMPUTE_PGM_RSRC2:TGID_Z_EN: 1
; COMPUTE_PGM_RSRC2:TIDIG_COMP_CNT: 1
	.section	.text._ZL20rocblas_gemvn_kernelILi64ELi16EifffEviiT3_lPKT2_lT1_lS3_lS4_lS0_lPT4_lS4_li,"axG",@progbits,_ZL20rocblas_gemvn_kernelILi64ELi16EifffEviiT3_lPKT2_lT1_lS3_lS4_lS0_lPT4_lS4_li,comdat
	.globl	_ZL20rocblas_gemvn_kernelILi64ELi16EifffEviiT3_lPKT2_lT1_lS3_lS4_lS0_lPT4_lS4_li ; -- Begin function _ZL20rocblas_gemvn_kernelILi64ELi16EifffEviiT3_lPKT2_lT1_lS3_lS4_lS0_lPT4_lS4_li
	.p2align	8
	.type	_ZL20rocblas_gemvn_kernelILi64ELi16EifffEviiT3_lPKT2_lT1_lS3_lS4_lS0_lPT4_lS4_li,@function
_ZL20rocblas_gemvn_kernelILi64ELi16EifffEviiT3_lPKT2_lT1_lS3_lS4_lS0_lPT4_lS4_li: ; @_ZL20rocblas_gemvn_kernelILi64ELi16EifffEviiT3_lPKT2_lT1_lS3_lS4_lS0_lPT4_lS4_li
; %bb.0:
	s_load_b64 s[2:3], s[0:1], 0x9c
	s_wait_kmcnt 0x0
	s_lshr_b32 s4, s2, 16
	s_and_b32 s2, s2, 0xffff
	s_and_b32 s3, s3, 0xffff
	s_mul_i32 s2, s4, s2
	s_delay_alu instid0(SALU_CYCLE_1) | instskip(NEXT) | instid1(SALU_CYCLE_1)
	s_mul_i32 s2, s2, s3
	s_cmp_lg_u32 s2, 0x400
	s_cbranch_scc1 .LBB16_53
; %bb.1:
	s_load_b32 s19, s[0:1], 0x88
	s_bfe_u32 s2, ttmp6, 0x40014
	s_lshr_b32 s3, ttmp7, 16
	s_add_co_i32 s2, s2, 1
	s_bfe_u32 s5, ttmp6, 0x40008
	s_mul_i32 s4, s3, s2
	s_getreg_b32 s2, hwreg(HW_REG_IB_STS2, 6, 4)
	s_add_co_i32 s5, s5, s4
	s_cmp_eq_u32 s2, 0
	s_mov_b32 s29, 0
	s_cselect_b32 s28, s3, s5
	s_wait_kmcnt 0x0
	s_cmp_ge_u32 s28, s19
	s_cbranch_scc1 .LBB16_53
; %bb.2:
	s_clause 0x7
	s_load_b128 s[4:7], s[0:1], 0x18
	s_load_b96 s[16:18], s[0:1], 0x40
	s_load_b128 s[12:15], s[0:1], 0x68
	s_load_b32 s30, s[0:1], 0x78
	s_load_b96 s[20:22], s[0:1], 0x0
	s_load_b96 s[24:26], s[0:1], 0x50
	s_load_b32 s23, s[0:1], 0x28
	s_load_b128 s[8:11], s[0:1], 0x30
	v_and_b32_e32 v4, 0x3ff, v0
	v_bfe_u32 v3, v0, 10, 10
	s_delay_alu instid0(VALU_DEP_1) | instskip(NEXT) | instid1(VALU_DEP_3)
	v_dual_mov_b32 v1, 0 :: v_dual_lshlrev_b32 v28, 2, v3
	v_lshl_add_u32 v5, v3, 6, v4
	s_wait_kmcnt 0x0
	s_lshl_b64 s[6:7], s[6:7], 2
	s_lshl_b64 s[34:35], s[16:17], 2
	;; [unrolled: 1-line block ×3, first 2 shown]
	s_ashr_i32 s31, s30, 31
	s_cmp_eq_f32 s22, 0
	s_load_b64 s[14:15], s[0:1], 0x80
	s_add_nc_u64 s[16:17], s[4:5], s[6:7]
	s_wait_xcnt 0x0
	s_mov_b32 s0, s20
	s_cselect_b32 s27, -1, 0
	s_cmp_neq_f32 s22, 0
	v_mad_u32 v37, s18, v28, s18
	s_add_nc_u64 s[10:11], s[10:11], s[34:35]
	s_add_nc_u64 s[12:13], s[12:13], s[36:37]
	s_cselect_b32 s1, -1, 0
	s_cmp_neq_f32 s26, 1.0
	s_cselect_b32 s3, -1, 0
	s_bfe_u32 s4, ttmp6, 0x4000c
	s_and_b32 s5, ttmp6, 15
	s_add_co_i32 s4, s4, 1
	s_or_b32 s33, s1, s3
	s_mul_i32 s4, ttmp9, s4
	s_delay_alu instid0(SALU_CYCLE_1) | instskip(SKIP_4) | instid1(SALU_CYCLE_1)
	s_add_co_i32 s5, s5, s4
	s_cmp_eq_u32 s2, 0
	s_cselect_b32 s2, ttmp9, s5
	s_ashr_i32 s1, s20, 31
	s_lshl_b32 s38, s2, 8
	v_dual_lshlrev_b32 v6, 2, v4 :: v_dual_add_nc_u32 v0, s38, v5
	s_cmp_neq_f32 s26, 0
	v_dual_add_nc_u32 v29, s38, v4 :: v_dual_bitop2_b32 v7, s38, v5 bitop3:0x54
	s_delay_alu instid0(VALU_DEP_2)
	v_lshl_add_u32 v30, v3, 10, v6
	s_cselect_b32 s39, -1, 0
	s_ashr_i32 s2, s21, 31
	v_cmp_gt_i64_e32 vcc_lo, s[0:1], v[0:1]
	v_mul_u64_e32 v[0:1], s[30:31], v[0:1]
	s_lshr_b32 s1, s2, 26
	v_add_nc_u32_e32 v2, 64, v29
	s_add_co_i32 s40, s21, s1
	v_add_nc_u32_e32 v8, 0x80, v29
	s_and_not1_b32 s40, s40, 63
	v_add_nc_u32_e32 v9, 0xc0, v29
	s_sub_co_i32 s5, s21, s40
	v_lshl_add_u32 v31, v3, 8, v6
	s_cmp_gt_i32 s5, 0
	v_cmp_gt_u32_e64 s5, 0x100, v5
	v_or_b32_e32 v5, 2, v28
	v_cmp_gt_i32_e64 s1, s20, v2
	v_mul_lo_u32 v2, s30, v7
	v_cmp_gt_i32_e64 s2, s20, v8
	v_cmp_gt_i32_e64 s4, s20, v9
	v_mul_lo_u32 v8, s23, v28
	v_mul_lo_u32 v9, v3, s23
	;; [unrolled: 1-line block ×3, first 2 shown]
	v_or_b32_e32 v10, 3, v28
	v_mad_u32 v33, s23, v5, v4
	v_mul_lo_u32 v36, s18, v5
	v_cmp_gt_i32_e64 s0, s20, v29
	v_cmp_gt_i32_e64 s3, s40, v28
	v_ashrrev_i32_e32 v3, 31, v2
	v_mad_u32 v34, s23, v10, v4
	v_mul_lo_u32 v38, s18, v10
	v_cmp_gt_i32_e64 s6, s20, v7
	v_add3_u32 v32, v8, s23, v4
	v_lshl_add_u32 v35, v9, 2, v4
	v_lshlrev_b32_e32 v39, 2, v6
	s_cselect_b32 s20, -1, 0
	s_and_b32 s41, s5, vcc_lo
	s_lshl_b32 s42, s23, 6
	s_lshl_b32 s43, s18, 6
	s_branch .LBB16_5
.LBB16_3:                               ;   in Loop: Header=BB16_5 Depth=1
	s_wait_xcnt 0x0
	s_or_b32 exec_lo, exec_lo, s7
.LBB16_4:                               ;   in Loop: Header=BB16_5 Depth=1
	s_add_co_i32 s28, s28, 0x10000
	s_delay_alu instid0(SALU_CYCLE_1)
	s_cmp_lt_u32 s28, s19
	s_cbranch_scc0 .LBB16_53
.LBB16_5:                               ; =>This Loop Header: Depth=1
                                        ;     Child Loop BB16_21 Depth 2
	s_and_not1_b32 vcc_lo, exec_lo, s33
	s_cbranch_vccnz .LBB16_4
; %bb.6:                                ;   in Loop: Header=BB16_5 Depth=1
	s_wait_kmcnt 0x0
	s_mul_u64 s[30:31], s[14:15], s[28:29]
	s_and_not1_b32 vcc_lo, exec_lo, s27
	s_lshl_b64 s[30:31], s[30:31], 2
	s_delay_alu instid0(SALU_CYCLE_1)
	s_add_nc_u64 s[30:31], s[12:13], s[30:31]
	s_cbranch_vccnz .LBB16_10
; %bb.7:                                ;   in Loop: Header=BB16_5 Depth=1
	s_mov_b32 s7, 0
	s_mov_b32 s44, 0
                                        ; implicit-def: $vgpr6
	s_and_saveexec_b32 s34, s41
	s_cbranch_execz .LBB16_11
; %bb.8:                                ;   in Loop: Header=BB16_5 Depth=1
	s_and_not1_b32 vcc_lo, exec_lo, s39
	s_cbranch_vccnz .LBB16_13
; %bb.9:                                ;   in Loop: Header=BB16_5 Depth=1
	v_lshl_add_u64 v[4:5], v[0:1], 2, s[30:31]
	global_load_b32 v4, v[4:5], off
	s_wait_loadcnt 0x0
	v_mul_f32_e32 v6, s26, v4
	s_branch .LBB16_14
.LBB16_10:                              ;   in Loop: Header=BB16_5 Depth=1
	s_mov_b32 s44, 0
                                        ; implicit-def: $vgpr6
	s_cbranch_execz .LBB16_12
	s_branch .LBB16_15
.LBB16_11:                              ;   in Loop: Header=BB16_5 Depth=1
	s_or_b32 exec_lo, exec_lo, s34
	s_delay_alu instid0(SALU_CYCLE_1)
	s_and_b32 vcc_lo, exec_lo, s7
	s_cbranch_vccnz .LBB16_15
.LBB16_12:                              ;   in Loop: Header=BB16_5 Depth=1
	v_mov_b64_e32 v[4:5], v[0:1]
	s_and_saveexec_b32 s7, s44
	s_cbranch_execz .LBB16_3
	s_branch .LBB16_52
.LBB16_13:                              ;   in Loop: Header=BB16_5 Depth=1
	v_mov_b32_e32 v6, 0
.LBB16_14:                              ;   in Loop: Header=BB16_5 Depth=1
	s_mov_b32 s44, exec_lo
	s_wait_xcnt 0x0
	s_or_b32 exec_lo, exec_lo, s34
	s_delay_alu instid0(SALU_CYCLE_1)
	s_and_b32 vcc_lo, exec_lo, s7
	s_cbranch_vccz .LBB16_12
.LBB16_15:                              ;   in Loop: Header=BB16_5 Depth=1
	s_mul_u64 s[34:35], s[8:9], s[28:29]
	s_mul_u64 s[36:37], s[24:25], s[28:29]
	v_dual_mov_b32 v40, 0 :: v_dual_mov_b32 v44, v28
	v_dual_mov_b32 v41, 0 :: v_dual_mov_b32 v42, 0
	v_mov_b32_e32 v43, 0
	s_lshl_b64 s[34:35], s[34:35], 2
	s_lshl_b64 s[36:37], s[36:37], 2
	s_add_nc_u64 s[34:35], s[16:17], s[34:35]
	s_add_nc_u64 s[36:37], s[10:11], s[36:37]
	s_and_saveexec_b32 s7, s3
	s_cbranch_execz .LBB16_27
; %bb.16:                               ;   in Loop: Header=BB16_5 Depth=1
	v_dual_mov_b32 v40, 0 :: v_dual_mov_b32 v45, v35
	v_dual_mov_b32 v46, v34 :: v_dual_mov_b32 v47, v33
	;; [unrolled: 1-line block ×4, first 2 shown]
	v_mov_b32_e32 v43, 0
	s_mov_b32 s45, 0
	s_mov_b32 s46, 0
	s_branch .LBB16_21
.LBB16_17:                              ;   in Loop: Header=BB16_21 Depth=2
	s_wait_xcnt 0x0
	s_or_b32 exec_lo, exec_lo, s50
	s_wait_loadcnt 0x2
	v_pk_mul_f32 v[18:19], v[8:9], v[18:19]
	s_wait_loadcnt 0x0
	v_pk_mul_f32 v[16:17], v[4:5], v[16:17]
	s_delay_alu instid0(VALU_DEP_2) | instskip(NEXT) | instid1(VALU_DEP_1)
	v_add_f32_e32 v18, v42, v18
	v_add_f32_e32 v18, v18, v19
	s_delay_alu instid0(VALU_DEP_1) | instskip(NEXT) | instid1(VALU_DEP_1)
	v_add_f32_e32 v16, v18, v16
	v_add_f32_e32 v42, v16, v17
.LBB16_18:                              ;   in Loop: Header=BB16_21 Depth=2
	s_or_b32 exec_lo, exec_lo, s49
	s_wait_loadcnt 0x2
	v_pk_mul_f32 v[14:15], v[8:9], v[14:15]
	s_wait_loadcnt 0x0
	v_pk_mul_f32 v[12:13], v[4:5], v[12:13]
	s_delay_alu instid0(VALU_DEP_2) | instskip(NEXT) | instid1(VALU_DEP_1)
	v_add_f32_e32 v14, v41, v14
	v_add_f32_e32 v14, v14, v15
	s_delay_alu instid0(VALU_DEP_1) | instskip(NEXT) | instid1(VALU_DEP_1)
	v_add_f32_e32 v12, v14, v12
	v_add_f32_e32 v41, v12, v13
.LBB16_19:                              ;   in Loop: Header=BB16_21 Depth=2
	s_or_b32 exec_lo, exec_lo, s48
	s_wait_loadcnt 0x2
	v_pk_mul_f32 v[8:9], v[8:9], v[10:11]
	s_wait_loadcnt 0x0
	v_pk_mul_f32 v[4:5], v[4:5], v[6:7]
	s_delay_alu instid0(VALU_DEP_2) | instskip(NEXT) | instid1(VALU_DEP_1)
	v_add_f32_e32 v8, v40, v8
	v_add_f32_e32 v8, v8, v9
	s_delay_alu instid0(VALU_DEP_1) | instskip(NEXT) | instid1(VALU_DEP_1)
	v_add_f32_e32 v4, v8, v4
	v_add_f32_e32 v40, v4, v5
.LBB16_20:                              ;   in Loop: Header=BB16_21 Depth=2
	s_or_b32 exec_lo, exec_lo, s47
	v_dual_add_nc_u32 v44, 64, v44 :: v_dual_add_nc_u32 v47, s42, v47
	v_dual_add_nc_u32 v48, s42, v48 :: v_dual_add_nc_u32 v46, s42, v46
	v_add_nc_u32_e32 v45, s42, v45
	s_delay_alu instid0(VALU_DEP_3) | instskip(SKIP_2) | instid1(SALU_CYCLE_1)
	v_cmp_le_i32_e32 vcc_lo, s40, v44
	s_add_co_i32 s46, s46, s43
	s_or_b32 s45, vcc_lo, s45
	s_and_not1_b32 exec_lo, exec_lo, s45
	s_cbranch_execz .LBB16_26
.LBB16_21:                              ;   Parent Loop BB16_5 Depth=1
                                        ; =>  This Inner Loop Header: Depth=2
	s_and_saveexec_b32 s47, s0
	s_cbranch_execz .LBB16_20
; %bb.22:                               ;   in Loop: Header=BB16_21 Depth=2
	v_dual_add_nc_u32 v13, s46, v38 :: v_dual_add_nc_u32 v15, s46, v36
	v_dual_add_nc_u32 v17, s46, v37 :: v_dual_add_nc_u32 v19, s46, v39
	;; [unrolled: 1-line block ×4, first 2 shown]
	s_clause 0x3
	global_load_b32 v5, v13, s[36:37] scale_offset
	global_load_b32 v4, v15, s[36:37] scale_offset
	;; [unrolled: 1-line block ×4, first 2 shown]
	s_clause 0x3
	global_load_b32 v10, v12, s[34:35] scale_offset
	global_load_b32 v11, v14, s[34:35] scale_offset
	;; [unrolled: 1-line block ×4, first 2 shown]
	s_wait_xcnt 0x0
	s_and_saveexec_b32 s48, s1
	s_cbranch_execz .LBB16_19
; %bb.23:                               ;   in Loop: Header=BB16_21 Depth=2
	v_dual_ashrrev_i32 v13, 31, v12 :: v_dual_ashrrev_i32 v15, 31, v14
	v_dual_ashrrev_i32 v19, 31, v18 :: v_dual_ashrrev_i32 v17, 31, v16
	s_delay_alu instid0(VALU_DEP_2) | instskip(NEXT) | instid1(VALU_DEP_3)
	v_lshl_add_u64 v[22:23], v[12:13], 2, s[34:35]
	v_lshl_add_u64 v[20:21], v[14:15], 2, s[34:35]
	s_delay_alu instid0(VALU_DEP_3) | instskip(NEXT) | instid1(VALU_DEP_4)
	v_lshl_add_u64 v[24:25], v[18:19], 2, s[34:35]
	v_lshl_add_u64 v[26:27], v[16:17], 2, s[34:35]
	s_clause 0x3
	global_load_b32 v14, v[22:23], off offset:256
	global_load_b32 v15, v[20:21], off offset:256
	;; [unrolled: 1-line block ×4, first 2 shown]
	s_wait_xcnt 0x0
	s_and_saveexec_b32 s49, s2
	s_cbranch_execz .LBB16_18
; %bb.24:                               ;   in Loop: Header=BB16_21 Depth=2
	s_clause 0x3
	global_load_b32 v18, v[22:23], off offset:512
	global_load_b32 v19, v[20:21], off offset:512
	;; [unrolled: 1-line block ×4, first 2 shown]
	s_wait_xcnt 0x0
	s_and_saveexec_b32 s50, s4
	s_cbranch_execz .LBB16_17
; %bb.25:                               ;   in Loop: Header=BB16_21 Depth=2
	s_clause 0x3
	global_load_b32 v50, v[22:23], off offset:768
	global_load_b32 v51, v[20:21], off offset:768
	;; [unrolled: 1-line block ×4, first 2 shown]
	s_wait_loadcnt 0x2
	s_wait_xcnt 0x2
	v_pk_mul_f32 v[20:21], v[8:9], v[50:51]
	s_delay_alu instid0(VALU_DEP_1) | instskip(NEXT) | instid1(VALU_DEP_1)
	v_add_f32_e32 v20, v43, v20
	v_add_f32_e32 v22, v20, v21
	s_wait_loadcnt 0x0
	v_pk_mul_f32 v[20:21], v[4:5], v[52:53]
	s_delay_alu instid0(VALU_DEP_1) | instskip(NEXT) | instid1(VALU_DEP_1)
	v_add_f32_e32 v20, v22, v20
	v_add_f32_e32 v43, v20, v21
	s_branch .LBB16_17
.LBB16_26:                              ;   in Loop: Header=BB16_5 Depth=1
	s_or_b32 exec_lo, exec_lo, s45
.LBB16_27:                              ;   in Loop: Header=BB16_5 Depth=1
	s_delay_alu instid0(SALU_CYCLE_1) | instskip(NEXT) | instid1(SALU_CYCLE_1)
	s_or_b32 exec_lo, exec_lo, s7
	s_and_not1_b32 vcc_lo, exec_lo, s20
	s_cbranch_vccnz .LBB16_45
; %bb.28:                               ;   in Loop: Header=BB16_5 Depth=1
	v_dual_mov_b32 v6, 0 :: v_dual_bitop2_b32 v8, 1, v44 bitop3:0x54
	v_cmp_gt_i32_e32 vcc_lo, s21, v44
	s_delay_alu instid0(VALU_DEP_2)
	v_dual_mov_b32 v7, v6 :: v_dual_mov_b32 v4, v6
	v_mov_b32_e32 v5, v6
	s_and_saveexec_b32 s45, vcc_lo
	s_cbranch_execz .LBB16_36
; %bb.29:                               ;   in Loop: Header=BB16_5 Depth=1
	v_mul_lo_u32 v4, v44, s18
	v_dual_mov_b32 v5, 0 :: v_dual_mov_b32 v7, 0
	v_mov_b32_e32 v6, 0
	s_mov_b32 s46, exec_lo
	global_load_b32 v4, v4, s[36:37] scale_offset
	s_wait_xcnt 0x0
	v_cmpx_gt_i32_e64 s21, v8
	s_cbranch_execz .LBB16_35
; %bb.30:                               ;   in Loop: Header=BB16_5 Depth=1
	v_mul_lo_u32 v5, v8, s18
	v_dual_mov_b32 v7, 0 :: v_dual_bitop2_b32 v9, 2, v44 bitop3:0x54
	v_mov_b32_e32 v6, 0
	s_mov_b32 s47, exec_lo
	global_load_b32 v5, v5, s[36:37] scale_offset
	s_wait_xcnt 0x0
	v_cmpx_gt_i32_e64 s21, v9
	s_cbranch_execz .LBB16_34
; %bb.31:                               ;   in Loop: Header=BB16_5 Depth=1
	v_mul_lo_u32 v6, v9, s18
	v_dual_mov_b32 v7, 0 :: v_dual_bitop2_b32 v9, 3, v44 bitop3:0x54
	s_mov_b32 s48, exec_lo
	global_load_b32 v6, v6, s[36:37] scale_offset
	s_wait_xcnt 0x0
	v_cmpx_gt_i32_e64 s21, v9
	s_cbranch_execz .LBB16_33
; %bb.32:                               ;   in Loop: Header=BB16_5 Depth=1
	v_mul_lo_u32 v7, v9, s18
	global_load_b32 v7, v7, s[36:37] scale_offset
.LBB16_33:                              ;   in Loop: Header=BB16_5 Depth=1
	s_wait_xcnt 0x0
	s_or_b32 exec_lo, exec_lo, s48
.LBB16_34:                              ;   in Loop: Header=BB16_5 Depth=1
	s_delay_alu instid0(SALU_CYCLE_1)
	s_or_b32 exec_lo, exec_lo, s47
.LBB16_35:                              ;   in Loop: Header=BB16_5 Depth=1
	s_delay_alu instid0(SALU_CYCLE_1)
	s_or_b32 exec_lo, exec_lo, s46
.LBB16_36:                              ;   in Loop: Header=BB16_5 Depth=1
	s_delay_alu instid0(SALU_CYCLE_1)
	s_or_b32 exec_lo, exec_lo, s45
	s_and_saveexec_b32 s7, s0
	s_cbranch_execz .LBB16_44
; %bb.37:                               ;   in Loop: Header=BB16_5 Depth=1
	v_mul_lo_u32 v10, v44, s23
	v_or_b32_e32 v9, 2, v44
	v_mul_lo_u32 v12, v8, s23
	s_delay_alu instid0(VALU_DEP_3) | instskip(NEXT) | instid1(VALU_DEP_3)
	v_cndmask_b32_e32 v10, 0, v10, vcc_lo
	v_mul_lo_u32 v13, v9, s23
	v_cmp_gt_i32_e32 vcc_lo, s21, v8
	s_delay_alu instid0(VALU_DEP_4) | instskip(SKIP_1) | instid1(VALU_DEP_4)
	v_cndmask_b32_e32 v8, 0, v12, vcc_lo
	v_cmp_gt_i32_e32 vcc_lo, s21, v9
	v_dual_cndmask_b32 v9, 0, v13, vcc_lo :: v_dual_bitop2_b32 v11, 3, v44 bitop3:0x54
	s_delay_alu instid0(VALU_DEP_1) | instskip(SKIP_1) | instid1(VALU_DEP_2)
	v_mul_lo_u32 v14, v11, s23
	v_cmp_gt_i32_e32 vcc_lo, s21, v11
	v_dual_cndmask_b32 v11, 0, v14 :: v_dual_add_nc_u32 v14, v10, v29
	s_delay_alu instid0(VALU_DEP_4) | instskip(NEXT) | instid1(VALU_DEP_2)
	v_dual_add_nc_u32 v16, v8, v29 :: v_dual_add_nc_u32 v22, v9, v29
	v_add_nc_u32_e32 v12, v11, v29
	s_clause 0x3
	global_load_b32 v10, v14, s[34:35] scale_offset
	global_load_b32 v11, v16, s[34:35] scale_offset
	;; [unrolled: 1-line block ×4, first 2 shown]
	s_wait_xcnt 0x0
	s_and_saveexec_b32 s36, s1
	s_cbranch_execz .LBB16_43
; %bb.38:                               ;   in Loop: Header=BB16_5 Depth=1
	v_dual_ashrrev_i32 v15, 31, v14 :: v_dual_ashrrev_i32 v17, 31, v16
	v_dual_ashrrev_i32 v23, 31, v22 :: v_dual_ashrrev_i32 v13, 31, v12
	s_delay_alu instid0(VALU_DEP_2) | instskip(NEXT) | instid1(VALU_DEP_3)
	v_lshl_add_u64 v[20:21], v[14:15], 2, s[34:35]
	v_lshl_add_u64 v[18:19], v[16:17], 2, s[34:35]
	s_delay_alu instid0(VALU_DEP_3) | instskip(NEXT) | instid1(VALU_DEP_4)
	v_lshl_add_u64 v[24:25], v[22:23], 2, s[34:35]
	v_lshl_add_u64 v[26:27], v[12:13], 2, s[34:35]
	s_clause 0x3
	global_load_b32 v14, v[20:21], off offset:256
	global_load_b32 v15, v[18:19], off offset:256
	;; [unrolled: 1-line block ×4, first 2 shown]
	s_wait_xcnt 0x0
	s_and_saveexec_b32 s34, s2
	s_cbranch_execz .LBB16_42
; %bb.39:                               ;   in Loop: Header=BB16_5 Depth=1
	s_clause 0x3
	global_load_b32 v22, v[20:21], off offset:512
	global_load_b32 v23, v[18:19], off offset:512
	;; [unrolled: 1-line block ×4, first 2 shown]
	s_wait_xcnt 0x0
	s_and_saveexec_b32 s35, s4
	s_cbranch_execz .LBB16_41
; %bb.40:                               ;   in Loop: Header=BB16_5 Depth=1
	s_clause 0x3
	global_load_b32 v44, v[20:21], off offset:768
	global_load_b32 v45, v[18:19], off offset:768
	;; [unrolled: 1-line block ×4, first 2 shown]
	s_wait_loadcnt 0x2
	s_wait_xcnt 0x2
	v_pk_mul_f32 v[18:19], v[4:5], v[44:45]
	s_delay_alu instid0(VALU_DEP_1) | instskip(NEXT) | instid1(VALU_DEP_1)
	v_add_f32_e32 v18, v43, v18
	v_add_f32_e32 v20, v18, v19
	s_wait_loadcnt 0x0
	v_pk_mul_f32 v[18:19], v[6:7], v[46:47]
	s_delay_alu instid0(VALU_DEP_1) | instskip(NEXT) | instid1(VALU_DEP_1)
	v_add_f32_e32 v18, v20, v18
	v_add_f32_e32 v43, v18, v19
.LBB16_41:                              ;   in Loop: Header=BB16_5 Depth=1
	s_wait_xcnt 0x0
	s_or_b32 exec_lo, exec_lo, s35
	s_wait_loadcnt 0x2
	v_pk_mul_f32 v[18:19], v[4:5], v[22:23]
	s_wait_loadcnt 0x0
	v_pk_mul_f32 v[16:17], v[6:7], v[16:17]
	s_delay_alu instid0(VALU_DEP_2) | instskip(NEXT) | instid1(VALU_DEP_1)
	v_add_f32_e32 v18, v42, v18
	v_add_f32_e32 v18, v18, v19
	s_delay_alu instid0(VALU_DEP_1) | instskip(NEXT) | instid1(VALU_DEP_1)
	v_add_f32_e32 v16, v18, v16
	v_add_f32_e32 v42, v16, v17
.LBB16_42:                              ;   in Loop: Header=BB16_5 Depth=1
	s_or_b32 exec_lo, exec_lo, s34
	s_wait_loadcnt 0x2
	v_pk_mul_f32 v[14:15], v[4:5], v[14:15]
	s_wait_loadcnt 0x0
	v_pk_mul_f32 v[12:13], v[6:7], v[12:13]
	s_delay_alu instid0(VALU_DEP_2) | instskip(NEXT) | instid1(VALU_DEP_1)
	v_add_f32_e32 v14, v41, v14
	v_add_f32_e32 v14, v14, v15
	s_delay_alu instid0(VALU_DEP_1) | instskip(NEXT) | instid1(VALU_DEP_1)
	v_add_f32_e32 v12, v14, v12
	v_add_f32_e32 v41, v12, v13
.LBB16_43:                              ;   in Loop: Header=BB16_5 Depth=1
	s_or_b32 exec_lo, exec_lo, s36
	s_wait_loadcnt 0x2
	v_pk_mul_f32 v[4:5], v[4:5], v[10:11]
	s_delay_alu instid0(VALU_DEP_1) | instskip(NEXT) | instid1(VALU_DEP_1)
	v_add_f32_e32 v4, v40, v4
	v_add_f32_e32 v10, v4, v5
	s_wait_loadcnt 0x0
	v_pk_mul_f32 v[4:5], v[6:7], v[8:9]
	s_delay_alu instid0(VALU_DEP_1) | instskip(NEXT) | instid1(VALU_DEP_1)
	v_add_f32_e32 v4, v10, v4
	v_add_f32_e32 v40, v4, v5
.LBB16_44:                              ;   in Loop: Header=BB16_5 Depth=1
	s_or_b32 exec_lo, exec_lo, s7
.LBB16_45:                              ;   in Loop: Header=BB16_5 Depth=1
	ds_store_2addr_stride64_b32 v30, v40, v41 offset1:1
	ds_store_2addr_stride64_b32 v30, v42, v43 offset0:2 offset1:3
	s_wait_loadcnt_dscnt 0x0
	s_barrier_signal -1
	s_barrier_wait -1
                                        ; implicit-def: $vgpr6
	s_and_saveexec_b32 s7, s5
	s_cbranch_execz .LBB16_51
; %bb.46:                               ;   in Loop: Header=BB16_5 Depth=1
	ds_load_2addr_stride64_b32 v[4:5], v31 offset1:4
	ds_load_2addr_stride64_b32 v[6:7], v31 offset0:8 offset1:12
	ds_load_2addr_stride64_b32 v[8:9], v31 offset0:16 offset1:20
	s_mov_b32 s35, s44
	s_wait_dscnt 0x2
	v_add_f32_e32 v10, v4, v5
	ds_load_2addr_stride64_b32 v[4:5], v31 offset0:24 offset1:28
	s_wait_dscnt 0x2
	v_add_f32_e32 v6, v6, v10
	s_delay_alu instid0(VALU_DEP_1) | instskip(SKIP_3) | instid1(VALU_DEP_1)
	v_add_f32_e32 v10, v7, v6
	ds_load_2addr_stride64_b32 v[6:7], v31 offset0:32 offset1:36
	s_wait_dscnt 0x2
	v_add_f32_e32 v8, v8, v10
	v_add_f32_e32 v10, v9, v8
	ds_load_2addr_stride64_b32 v[8:9], v31 offset0:40 offset1:44
	s_wait_dscnt 0x2
	v_add_f32_e32 v4, v4, v10
	s_delay_alu instid0(VALU_DEP_1) | instskip(SKIP_1) | instid1(VALU_DEP_1)
	v_add_f32_e32 v4, v5, v4
	s_wait_dscnt 0x1
	v_add_f32_e32 v6, v6, v4
	ds_load_2addr_stride64_b32 v[4:5], v31 offset0:48 offset1:52
	v_add_f32_e32 v6, v7, v6
	s_wait_dscnt 0x1
	s_delay_alu instid0(VALU_DEP_1) | instskip(SKIP_3) | instid1(VALU_DEP_1)
	v_add_f32_e32 v8, v8, v6
	ds_load_2addr_stride64_b32 v[6:7], v31 offset0:56 offset1:60
	v_add_f32_e32 v8, v9, v8
	s_wait_dscnt 0x1
	v_add_f32_e32 v4, v4, v8
	s_delay_alu instid0(VALU_DEP_1) | instskip(SKIP_1) | instid1(VALU_DEP_1)
	v_add_f32_e32 v4, v5, v4
	s_wait_dscnt 0x0
	v_add_f32_e32 v4, v6, v4
                                        ; implicit-def: $vgpr6
	s_delay_alu instid0(VALU_DEP_1)
	v_add_f32_e32 v4, v7, v4
	ds_store_b32 v31, v4
	s_and_saveexec_b32 s34, s6
	s_cbranch_execz .LBB16_50
; %bb.47:                               ;   in Loop: Header=BB16_5 Depth=1
	v_mul_f32_e32 v6, s22, v4
	s_and_not1_b32 vcc_lo, exec_lo, s39
	s_cbranch_vccnz .LBB16_49
; %bb.48:                               ;   in Loop: Header=BB16_5 Depth=1
	v_lshl_add_u64 v[4:5], v[2:3], 2, s[30:31]
	global_load_b32 v4, v[4:5], off
	s_wait_loadcnt 0x0
	v_fmac_f32_e32 v6, s26, v4
.LBB16_49:                              ;   in Loop: Header=BB16_5 Depth=1
	s_or_b32 s35, s44, exec_lo
.LBB16_50:                              ;   in Loop: Header=BB16_5 Depth=1
	s_wait_xcnt 0x0
	s_or_b32 exec_lo, exec_lo, s34
	s_delay_alu instid0(SALU_CYCLE_1) | instskip(SKIP_1) | instid1(SALU_CYCLE_1)
	s_and_not1_b32 s34, s44, exec_lo
	s_and_b32 s35, s35, exec_lo
	s_or_b32 s44, s34, s35
.LBB16_51:                              ;   in Loop: Header=BB16_5 Depth=1
	s_or_b32 exec_lo, exec_lo, s7
	v_mov_b64_e32 v[4:5], v[2:3]
	s_and_saveexec_b32 s7, s44
	s_cbranch_execz .LBB16_3
.LBB16_52:                              ;   in Loop: Header=BB16_5 Depth=1
	s_delay_alu instid0(VALU_DEP_1)
	v_lshl_add_u64 v[4:5], v[4:5], 2, s[30:31]
	global_store_b32 v[4:5], v6, off
	s_branch .LBB16_3
.LBB16_53:
	s_endpgm
	.section	.rodata,"a",@progbits
	.p2align	6, 0x0
	.amdhsa_kernel _ZL20rocblas_gemvn_kernelILi64ELi16EifffEviiT3_lPKT2_lT1_lS3_lS4_lS0_lPT4_lS4_li
		.amdhsa_group_segment_fixed_size 16384
		.amdhsa_private_segment_fixed_size 0
		.amdhsa_kernarg_size 400
		.amdhsa_user_sgpr_count 2
		.amdhsa_user_sgpr_dispatch_ptr 0
		.amdhsa_user_sgpr_queue_ptr 0
		.amdhsa_user_sgpr_kernarg_segment_ptr 1
		.amdhsa_user_sgpr_dispatch_id 0
		.amdhsa_user_sgpr_kernarg_preload_length 0
		.amdhsa_user_sgpr_kernarg_preload_offset 0
		.amdhsa_user_sgpr_private_segment_size 0
		.amdhsa_wavefront_size32 1
		.amdhsa_uses_dynamic_stack 0
		.amdhsa_enable_private_segment 0
		.amdhsa_system_sgpr_workgroup_id_x 1
		.amdhsa_system_sgpr_workgroup_id_y 0
		.amdhsa_system_sgpr_workgroup_id_z 1
		.amdhsa_system_sgpr_workgroup_info 0
		.amdhsa_system_vgpr_workitem_id 1
		.amdhsa_next_free_vgpr 54
		.amdhsa_next_free_sgpr 51
		.amdhsa_named_barrier_count 0
		.amdhsa_reserve_vcc 1
		.amdhsa_float_round_mode_32 0
		.amdhsa_float_round_mode_16_64 0
		.amdhsa_float_denorm_mode_32 3
		.amdhsa_float_denorm_mode_16_64 3
		.amdhsa_fp16_overflow 0
		.amdhsa_memory_ordered 1
		.amdhsa_forward_progress 1
		.amdhsa_inst_pref_size 23
		.amdhsa_round_robin_scheduling 0
		.amdhsa_exception_fp_ieee_invalid_op 0
		.amdhsa_exception_fp_denorm_src 0
		.amdhsa_exception_fp_ieee_div_zero 0
		.amdhsa_exception_fp_ieee_overflow 0
		.amdhsa_exception_fp_ieee_underflow 0
		.amdhsa_exception_fp_ieee_inexact 0
		.amdhsa_exception_int_div_zero 0
	.end_amdhsa_kernel
	.section	.text._ZL20rocblas_gemvn_kernelILi64ELi16EifffEviiT3_lPKT2_lT1_lS3_lS4_lS0_lPT4_lS4_li,"axG",@progbits,_ZL20rocblas_gemvn_kernelILi64ELi16EifffEviiT3_lPKT2_lT1_lS3_lS4_lS0_lPT4_lS4_li,comdat
.Lfunc_end16:
	.size	_ZL20rocblas_gemvn_kernelILi64ELi16EifffEviiT3_lPKT2_lT1_lS3_lS4_lS0_lPT4_lS4_li, .Lfunc_end16-_ZL20rocblas_gemvn_kernelILi64ELi16EifffEviiT3_lPKT2_lT1_lS3_lS4_lS0_lPT4_lS4_li
                                        ; -- End function
	.set _ZL20rocblas_gemvn_kernelILi64ELi16EifffEviiT3_lPKT2_lT1_lS3_lS4_lS0_lPT4_lS4_li.num_vgpr, 54
	.set _ZL20rocblas_gemvn_kernelILi64ELi16EifffEviiT3_lPKT2_lT1_lS3_lS4_lS0_lPT4_lS4_li.num_agpr, 0
	.set _ZL20rocblas_gemvn_kernelILi64ELi16EifffEviiT3_lPKT2_lT1_lS3_lS4_lS0_lPT4_lS4_li.numbered_sgpr, 51
	.set _ZL20rocblas_gemvn_kernelILi64ELi16EifffEviiT3_lPKT2_lT1_lS3_lS4_lS0_lPT4_lS4_li.num_named_barrier, 0
	.set _ZL20rocblas_gemvn_kernelILi64ELi16EifffEviiT3_lPKT2_lT1_lS3_lS4_lS0_lPT4_lS4_li.private_seg_size, 0
	.set _ZL20rocblas_gemvn_kernelILi64ELi16EifffEviiT3_lPKT2_lT1_lS3_lS4_lS0_lPT4_lS4_li.uses_vcc, 1
	.set _ZL20rocblas_gemvn_kernelILi64ELi16EifffEviiT3_lPKT2_lT1_lS3_lS4_lS0_lPT4_lS4_li.uses_flat_scratch, 0
	.set _ZL20rocblas_gemvn_kernelILi64ELi16EifffEviiT3_lPKT2_lT1_lS3_lS4_lS0_lPT4_lS4_li.has_dyn_sized_stack, 0
	.set _ZL20rocblas_gemvn_kernelILi64ELi16EifffEviiT3_lPKT2_lT1_lS3_lS4_lS0_lPT4_lS4_li.has_recursion, 0
	.set _ZL20rocblas_gemvn_kernelILi64ELi16EifffEviiT3_lPKT2_lT1_lS3_lS4_lS0_lPT4_lS4_li.has_indirect_call, 0
	.section	.AMDGPU.csdata,"",@progbits
; Kernel info:
; codeLenInByte = 2888
; TotalNumSgprs: 53
; NumVgprs: 54
; ScratchSize: 0
; MemoryBound: 0
; FloatMode: 240
; IeeeMode: 1
; LDSByteSize: 16384 bytes/workgroup (compile time only)
; SGPRBlocks: 0
; VGPRBlocks: 3
; NumSGPRsForWavesPerEU: 53
; NumVGPRsForWavesPerEU: 54
; NamedBarCnt: 0
; Occupancy: 16
; WaveLimiterHint : 1
; COMPUTE_PGM_RSRC2:SCRATCH_EN: 0
; COMPUTE_PGM_RSRC2:USER_SGPR: 2
; COMPUTE_PGM_RSRC2:TRAP_HANDLER: 0
; COMPUTE_PGM_RSRC2:TGID_X_EN: 1
; COMPUTE_PGM_RSRC2:TGID_Y_EN: 0
; COMPUTE_PGM_RSRC2:TGID_Z_EN: 1
; COMPUTE_PGM_RSRC2:TIDIG_COMP_CNT: 1
	.section	.text._ZL20rocblas_gemvn_kernelILi64ELi16ElfffEviiT3_lPKT2_lT1_lS3_lS4_lS0_lPT4_lS4_li,"axG",@progbits,_ZL20rocblas_gemvn_kernelILi64ELi16ElfffEviiT3_lPKT2_lT1_lS3_lS4_lS0_lPT4_lS4_li,comdat
	.globl	_ZL20rocblas_gemvn_kernelILi64ELi16ElfffEviiT3_lPKT2_lT1_lS3_lS4_lS0_lPT4_lS4_li ; -- Begin function _ZL20rocblas_gemvn_kernelILi64ELi16ElfffEviiT3_lPKT2_lT1_lS3_lS4_lS0_lPT4_lS4_li
	.p2align	8
	.type	_ZL20rocblas_gemvn_kernelILi64ELi16ElfffEviiT3_lPKT2_lT1_lS3_lS4_lS0_lPT4_lS4_li,@function
_ZL20rocblas_gemvn_kernelILi64ELi16ElfffEviiT3_lPKT2_lT1_lS3_lS4_lS0_lPT4_lS4_li: ; @_ZL20rocblas_gemvn_kernelILi64ELi16ElfffEviiT3_lPKT2_lT1_lS3_lS4_lS0_lPT4_lS4_li
; %bb.0:
	s_load_b64 s[2:3], s[0:1], 0x9c
	s_wait_kmcnt 0x0
	s_lshr_b32 s4, s2, 16
	s_and_b32 s2, s2, 0xffff
	s_and_b32 s3, s3, 0xffff
	s_mul_i32 s2, s4, s2
	s_delay_alu instid0(SALU_CYCLE_1) | instskip(NEXT) | instid1(SALU_CYCLE_1)
	s_mul_i32 s2, s2, s3
	s_cmp_lg_u32 s2, 0x400
	s_cbranch_scc1 .LBB17_53
; %bb.1:
	s_load_b32 s33, s[0:1], 0x88
	s_bfe_u32 s2, ttmp6, 0x40014
	s_lshr_b32 s3, ttmp7, 16
	s_add_co_i32 s2, s2, 1
	s_bfe_u32 s4, ttmp6, 0x40008
	s_mul_i32 s2, s3, s2
	s_getreg_b32 s6, hwreg(HW_REG_IB_STS2, 6, 4)
	s_add_co_i32 s4, s4, s2
	s_cmp_eq_u32 s6, 0
	s_mov_b32 s35, 0
	s_cselect_b32 s34, s3, s4
	s_wait_kmcnt 0x0
	s_cmp_ge_u32 s34, s33
	s_cbranch_scc1 .LBB17_53
; %bb.2:
	s_clause 0x3
	s_load_b512 s[8:23], s[0:1], 0x18
	s_load_b256 s[24:31], s[0:1], 0x68
	s_load_b96 s[36:38], s[0:1], 0x0
	s_load_b32 s39, s[0:1], 0x58
	v_and_b32_e32 v6, 0x3ff, v0
	v_bfe_u32 v2, v0, 10, 10
	s_delay_alu instid0(VALU_DEP_2) | instskip(NEXT) | instid1(VALU_DEP_2)
	v_dual_mov_b32 v1, 0 :: v_dual_lshlrev_b32 v0, 2, v6
	v_lshl_add_u32 v7, v2, 6, v6
	s_delay_alu instid0(VALU_DEP_2) | instskip(NEXT) | instid1(VALU_DEP_3)
	v_dual_mov_b32 v3, v1 :: v_dual_lshlrev_b32 v64, 2, v2
	v_lshl_add_u32 v65, v2, 10, v0
	v_lshl_add_u32 v66, v2, 8, v0
	s_wait_xcnt 0x0
	v_cmp_gt_u32_e64 s0, 0x100, v7
	s_wait_kmcnt 0x0
	s_lshl_b64 s[4:5], s[10:11], 2
	s_lshl_b64 s[10:11], s[18:19], 2
	;; [unrolled: 1-line block ×3, first 2 shown]
	s_cmp_eq_f32 s38, 0
	v_mul_u64_e32 v[10:11], s[20:21], v[2:3]
	v_mul_u64_e32 v[12:13], s[12:13], v[2:3]
	v_mad_nc_u64_u32 v[4:5], s20, v64, s[20:21]
	s_cselect_b32 s46, -1, 0
	s_cmp_neq_f32 s38, 0
	v_mad_nc_u64_u32 v[8:9], s12, v64, s[12:13]
	s_add_nc_u64 s[24:25], s[24:25], s[2:3]
	s_add_nc_u64 s[26:27], s[16:17], s[10:11]
	s_cselect_b32 s1, -1, 0
	s_cmp_neq_f32 s39, 1.0
	s_cselect_b32 s7, -1, 0
	s_bfe_u32 s18, ttmp6, 0x4000c
	s_and_b32 s19, ttmp6, 15
	s_add_co_i32 s18, s18, 1
	s_or_b32 s47, s1, s7
	s_mul_i32 s18, ttmp9, s18
	v_mad_u32 v5, s21, v64, v5
	s_add_co_i32 s19, s19, s18
	s_cmp_eq_u32 s6, 0
	s_mov_b32 s6, s36
	s_cselect_b32 s1, ttmp9, s19
	s_ashr_i32 s7, s36, 31
	s_lshl_b32 s1, s1, 8
	s_cmp_neq_f32 s39, 0
	v_dual_add_nc_u32 v0, s1, v7 :: v_dual_bitop2_b32 v14, s1, v7 bitop3:0x54
	v_mad_u32 v9, s13, v64, v9
	s_cselect_b32 s48, -1, 0
	s_add_nc_u64 s[18:19], s[8:9], s[4:5]
	s_delay_alu instid0(VALU_DEP_2)
	v_cmp_gt_i64_e32 vcc_lo, s[6:7], v[0:1]
	v_mul_u64_e32 v[2:3], s[28:29], v[0:1]
	v_dual_ashrrev_i32 v15, 31, v14 :: v_dual_bitop2_b32 v0, 3, v64 bitop3:0x54
	v_add_nc_u32_e32 v24, s1, v6
	s_ashr_i32 s1, s37, 31
	v_cmp_gt_i32_e64 s2, s36, v14
	s_delay_alu instid0(VALU_DEP_3)
	v_mul_u64_e32 v[16:17], s[12:13], v[0:1]
	v_mul_u64_e32 v[18:19], s[20:21], v[0:1]
	v_or_b32_e32 v0, 2, v64
	v_mul_u64_e32 v[6:7], s[28:29], v[14:15]
	s_lshr_b32 s3, s1, 26
	v_ashrrev_i32_e32 v25, 31, v24
	v_add_nc_u32_e32 v15, 0x80, v24
	v_mul_u64_e32 v[20:21], s[12:13], v[0:1]
	v_mul_u64_e32 v[22:23], s[20:21], v[0:1]
	s_add_co_i32 s49, s37, s3
	v_add_nc_u32_e32 v0, 64, v24
	v_add_nc_u32_e32 v26, 0xc0, v24
	s_and_not1_b32 s49, s49, 63
	v_cmp_gt_i32_e64 s4, s36, v15
	s_sub_co_i32 s6, s37, s49
	v_lshlrev_b64_e32 v[14:15], 2, v[24:25]
	v_lshl_add_u64 v[4:5], v[4:5], 2, s[16:17]
	v_lshl_add_u64 v[8:9], v[8:9], 2, s[18:19]
	v_cmp_gt_i32_e64 s1, s36, v24
	v_lshl_add_u64 v[10:11], v[10:11], 4, s[16:17]
	v_lshl_add_u64 v[12:13], v[12:13], 4, s[18:19]
	v_cmp_gt_i32_e64 s3, s36, v0
	v_cmp_gt_i32_e64 s5, s36, v26
	s_cmp_gt_i32 s6, 0
	v_cmp_gt_i32_e64 s6, s49, v64
	s_cselect_b32 s36, -1, 0
	s_and_b32 s50, s0, vcc_lo
	s_lshl_b64 s[28:29], s[22:23], 2
	s_lshl_b64 s[40:41], s[14:15], 2
	;; [unrolled: 1-line block ×3, first 2 shown]
	v_lshl_add_u64 v[16:17], v[16:17], 2, s[18:19]
	v_lshl_add_u64 v[18:19], v[18:19], 2, s[16:17]
	v_lshl_add_u64 v[20:21], v[20:21], 2, s[18:19]
	v_lshl_add_u64 v[22:23], v[22:23], 2, s[16:17]
	s_lshl_b64 s[16:17], s[20:21], 8
	s_branch .LBB17_5
.LBB17_3:                               ;   in Loop: Header=BB17_5 Depth=1
	s_wait_xcnt 0x0
	s_or_b32 exec_lo, exec_lo, s7
.LBB17_4:                               ;   in Loop: Header=BB17_5 Depth=1
	s_add_co_i32 s34, s34, 0x10000
	s_delay_alu instid0(SALU_CYCLE_1)
	s_cmp_lt_u32 s34, s33
	s_cbranch_scc0 .LBB17_53
.LBB17_5:                               ; =>This Loop Header: Depth=1
                                        ;     Child Loop BB17_21 Depth 2
	s_and_not1_b32 vcc_lo, exec_lo, s47
	s_cbranch_vccnz .LBB17_4
; %bb.6:                                ;   in Loop: Header=BB17_5 Depth=1
	s_mul_u64 s[8:9], s[30:31], s[34:35]
	s_and_not1_b32 vcc_lo, exec_lo, s46
	s_lshl_b64 s[8:9], s[8:9], 2
	s_delay_alu instid0(SALU_CYCLE_1)
	s_add_nc_u64 s[44:45], s[24:25], s[8:9]
	s_cbranch_vccnz .LBB17_10
; %bb.7:                                ;   in Loop: Header=BB17_5 Depth=1
	s_mov_b32 s7, 0
	s_mov_b32 s51, 0
                                        ; implicit-def: $vgpr0
	s_and_saveexec_b32 s8, s50
	s_cbranch_execz .LBB17_11
; %bb.8:                                ;   in Loop: Header=BB17_5 Depth=1
	s_and_not1_b32 vcc_lo, exec_lo, s48
	s_cbranch_vccnz .LBB17_13
; %bb.9:                                ;   in Loop: Header=BB17_5 Depth=1
	v_lshl_add_u64 v[24:25], v[2:3], 2, s[44:45]
	global_load_b32 v0, v[24:25], off
	s_wait_loadcnt 0x0
	v_mul_f32_e32 v0, s39, v0
	s_branch .LBB17_14
.LBB17_10:                              ;   in Loop: Header=BB17_5 Depth=1
	s_mov_b32 s51, 0
                                        ; implicit-def: $vgpr0
	s_cbranch_execz .LBB17_12
	s_branch .LBB17_15
.LBB17_11:                              ;   in Loop: Header=BB17_5 Depth=1
	s_or_b32 exec_lo, exec_lo, s8
	s_delay_alu instid0(SALU_CYCLE_1)
	s_and_b32 vcc_lo, exec_lo, s7
	s_cbranch_vccnz .LBB17_15
.LBB17_12:                              ;   in Loop: Header=BB17_5 Depth=1
	v_mov_b64_e32 v[24:25], v[2:3]
	s_and_saveexec_b32 s7, s51
	s_cbranch_execz .LBB17_3
	s_branch .LBB17_52
.LBB17_13:                              ;   in Loop: Header=BB17_5 Depth=1
	v_mov_b32_e32 v0, 0
.LBB17_14:                              ;   in Loop: Header=BB17_5 Depth=1
	s_mov_b32 s51, exec_lo
	s_wait_xcnt 0x0
	s_or_b32 exec_lo, exec_lo, s8
	s_delay_alu instid0(SALU_CYCLE_1)
	s_and_b32 vcc_lo, exec_lo, s7
	s_cbranch_vccz .LBB17_12
.LBB17_15:                              ;   in Loop: Header=BB17_5 Depth=1
	v_dual_mov_b32 v67, 0 :: v_dual_mov_b32 v0, v64
	v_dual_mov_b32 v68, 0 :: v_dual_mov_b32 v69, 0
	v_mov_b32_e32 v70, 0
	s_and_saveexec_b32 s7, s6
	s_cbranch_execz .LBB17_27
; %bb.16:                               ;   in Loop: Header=BB17_5 Depth=1
	s_mul_u64 s[8:9], s[28:29], s[34:35]
	s_mul_u64 s[52:53], s[40:41], s[34:35]
	v_add_nc_u64_e32 v[24:25], s[8:9], v[10:11]
	v_add_nc_u64_e32 v[26:27], s[52:53], v[16:17]
	;; [unrolled: 1-line block ×8, first 2 shown]
	v_dual_mov_b32 v67, 0 :: v_dual_mov_b32 v0, v64
	v_dual_mov_b32 v68, 0 :: v_dual_mov_b32 v69, 0
	v_mov_b32_e32 v70, 0
	s_mov_b32 s8, 0
	s_branch .LBB17_21
.LBB17_17:                              ;   in Loop: Header=BB17_21 Depth=2
	s_wait_xcnt 0x0
	s_or_b32 exec_lo, exec_lo, s54
	s_wait_loadcnt 0x2
	v_pk_mul_f32 v[52:53], v[42:43], v[62:63]
	s_delay_alu instid0(VALU_DEP_1) | instskip(NEXT) | instid1(VALU_DEP_1)
	v_add_f32_e32 v52, v69, v52
	v_add_f32_e32 v54, v52, v53
	s_wait_loadcnt 0x0
	v_pk_mul_f32 v[52:53], v[40:41], v[60:61]
	s_delay_alu instid0(VALU_DEP_1) | instskip(NEXT) | instid1(VALU_DEP_1)
	v_add_f32_e32 v52, v54, v52
	v_add_f32_e32 v69, v52, v53
.LBB17_18:                              ;   in Loop: Header=BB17_21 Depth=2
	s_or_b32 exec_lo, exec_lo, s53
	s_wait_loadcnt 0x2
	v_pk_mul_f32 v[50:51], v[42:43], v[50:51]
	s_wait_loadcnt 0x0
	v_pk_mul_f32 v[48:49], v[40:41], v[48:49]
	s_delay_alu instid0(VALU_DEP_2) | instskip(NEXT) | instid1(VALU_DEP_1)
	v_add_f32_e32 v50, v68, v50
	v_add_f32_e32 v50, v50, v51
	s_delay_alu instid0(VALU_DEP_1) | instskip(NEXT) | instid1(VALU_DEP_1)
	v_add_f32_e32 v48, v50, v48
	v_add_f32_e32 v68, v48, v49
.LBB17_19:                              ;   in Loop: Header=BB17_21 Depth=2
	s_or_b32 exec_lo, exec_lo, s52
	s_wait_loadcnt 0x2
	v_pk_mul_f32 v[42:43], v[42:43], v[46:47]
	s_wait_loadcnt 0x0
	v_pk_mul_f32 v[40:41], v[40:41], v[44:45]
	s_delay_alu instid0(VALU_DEP_2) | instskip(NEXT) | instid1(VALU_DEP_1)
	v_add_f32_e32 v42, v67, v42
	v_add_f32_e32 v42, v42, v43
	s_delay_alu instid0(VALU_DEP_1) | instskip(NEXT) | instid1(VALU_DEP_1)
	v_add_f32_e32 v40, v42, v40
	v_add_f32_e32 v67, v40, v41
.LBB17_20:                              ;   in Loop: Header=BB17_21 Depth=2
	s_or_b32 exec_lo, exec_lo, s9
	v_add_nc_u32_e32 v0, 64, v0
	v_add_nc_u64_e32 v[24:25], s[16:17], v[24:25]
	v_add_nc_u64_e32 v[26:27], s[42:43], v[26:27]
	;; [unrolled: 1-line block ×7, first 2 shown]
	v_cmp_le_i32_e32 vcc_lo, s49, v0
	v_add_nc_u64_e32 v[38:39], s[42:43], v[38:39]
	s_or_b32 s8, vcc_lo, s8
	s_delay_alu instid0(SALU_CYCLE_1)
	s_and_not1_b32 exec_lo, exec_lo, s8
	s_cbranch_execz .LBB17_26
.LBB17_21:                              ;   Parent Loop BB17_5 Depth=1
                                        ; =>  This Inner Loop Header: Depth=2
	s_and_saveexec_b32 s9, s1
	s_cbranch_execz .LBB17_20
; %bb.22:                               ;   in Loop: Header=BB17_21 Depth=2
	v_add_nc_u64_e32 v[40:41], s[10:11], v[28:29]
	v_add_nc_u64_e32 v[44:45], s[10:11], v[34:35]
	;; [unrolled: 1-line block ×7, first 2 shown]
	global_load_b32 v41, v[40:41], off
	v_add_nc_u64_e32 v[58:59], v[26:27], v[14:15]
	global_load_b32 v40, v[44:45], off
	global_load_b32 v43, v[46:47], off
                                        ; kill: killed $vgpr46_vgpr47
                                        ; kill: killed $vgpr44_vgpr45
	global_load_b32 v42, v[48:49], off
	global_load_b32 v46, v[54:55], off
	;; [unrolled: 1-line block ×4, first 2 shown]
                                        ; kill: killed $vgpr48_vgpr49
	global_load_b32 v45, v[58:59], off
	s_wait_xcnt 0x0
	s_and_saveexec_b32 s52, s3
	s_cbranch_execz .LBB17_19
; %bb.23:                               ;   in Loop: Header=BB17_21 Depth=2
	global_load_b32 v50, v[54:55], off offset:256
	global_load_b32 v51, v[56:57], off offset:256
	global_load_b32 v48, v[52:53], off offset:256
	global_load_b32 v49, v[58:59], off offset:256
	s_wait_xcnt 0x0
	s_and_saveexec_b32 s53, s4
	s_cbranch_execz .LBB17_18
; %bb.24:                               ;   in Loop: Header=BB17_21 Depth=2
	global_load_b32 v62, v[54:55], off offset:512
	global_load_b32 v63, v[56:57], off offset:512
	global_load_b32 v60, v[52:53], off offset:512
	global_load_b32 v61, v[58:59], off offset:512
	;; [unrolled: 8-line block ×3, first 2 shown]
	s_wait_loadcnt 0x2
	v_pk_mul_f32 v[54:55], v[42:43], v[54:55]
	s_wait_loadcnt 0x0
	v_pk_mul_f32 v[52:53], v[40:41], v[52:53]
	s_delay_alu instid0(VALU_DEP_2) | instskip(NEXT) | instid1(VALU_DEP_1)
	v_add_f32_e32 v54, v70, v54
	v_add_f32_e32 v54, v54, v55
	s_delay_alu instid0(VALU_DEP_1) | instskip(NEXT) | instid1(VALU_DEP_1)
	v_add_f32_e32 v52, v54, v52
	v_add_f32_e32 v70, v52, v53
	s_branch .LBB17_17
.LBB17_26:                              ;   in Loop: Header=BB17_5 Depth=1
	s_or_b32 exec_lo, exec_lo, s8
.LBB17_27:                              ;   in Loop: Header=BB17_5 Depth=1
	s_delay_alu instid0(SALU_CYCLE_1) | instskip(NEXT) | instid1(SALU_CYCLE_1)
	s_or_b32 exec_lo, exec_lo, s7
	s_and_not1_b32 vcc_lo, exec_lo, s36
	s_cbranch_vccnz .LBB17_45
; %bb.28:                               ;   in Loop: Header=BB17_5 Depth=1
	v_dual_mov_b32 v26, 0 :: v_dual_bitop2_b32 v28, 1, v0 bitop3:0x54
	v_cmp_gt_i32_e32 vcc_lo, s37, v0
	s_delay_alu instid0(VALU_DEP_2)
	v_dual_mov_b32 v27, v26 :: v_dual_mov_b32 v24, v26
	v_mov_b32_e32 v25, v26
	s_and_saveexec_b32 s52, vcc_lo
	s_cbranch_execz .LBB17_36
; %bb.29:                               ;   in Loop: Header=BB17_5 Depth=1
	v_mul_u64_e32 v[24:25], s[20:21], v[0:1]
	s_mul_u64 s[8:9], s[22:23], s[34:35]
	v_mov_b32_e32 v26, 0
	s_lshl_b64 s[8:9], s[8:9], 2
	s_mov_b32 s53, exec_lo
	s_add_nc_u64 s[8:9], s[26:27], s[8:9]
	v_mov_b32_e32 v27, 0
	s_delay_alu instid0(VALU_DEP_3)
	v_lshl_add_u64 v[24:25], v[24:25], 2, s[8:9]
	global_load_b32 v24, v[24:25], off
	s_wait_xcnt 0x0
	v_mov_b32_e32 v25, 0
	v_cmpx_gt_i32_e64 s37, v28
	s_cbranch_execz .LBB17_35
; %bb.30:                               ;   in Loop: Header=BB17_5 Depth=1
	v_dual_mov_b32 v29, v1 :: v_dual_bitop2_b32 v30, 2, v0 bitop3:0x54
	s_mov_b32 s54, exec_lo
	s_delay_alu instid0(VALU_DEP_1) | instskip(NEXT) | instid1(VALU_DEP_1)
	v_mul_u64_e32 v[26:27], s[20:21], v[28:29]
	v_lshl_add_u64 v[26:27], v[26:27], 2, s[8:9]
	global_load_b32 v25, v[26:27], off
	s_wait_xcnt 0x0
	v_dual_mov_b32 v27, 0 :: v_dual_mov_b32 v26, 0
	v_cmpx_gt_i32_e64 s37, v30
	s_cbranch_execz .LBB17_34
; %bb.31:                               ;   in Loop: Header=BB17_5 Depth=1
	v_mov_b32_e32 v31, v1
	s_mov_b32 s55, exec_lo
	s_delay_alu instid0(VALU_DEP_1) | instskip(SKIP_1) | instid1(VALU_DEP_2)
	v_mul_u64_e32 v[26:27], s[20:21], v[30:31]
	v_or_b32_e32 v30, 3, v0
	v_lshl_add_u64 v[26:27], v[26:27], 2, s[8:9]
	global_load_b32 v26, v[26:27], off
	s_wait_xcnt 0x0
	v_mov_b32_e32 v27, 0
	v_cmpx_gt_i32_e64 s37, v30
	s_cbranch_execz .LBB17_33
; %bb.32:                               ;   in Loop: Header=BB17_5 Depth=1
	v_mov_b32_e32 v31, v1
	s_delay_alu instid0(VALU_DEP_1) | instskip(NEXT) | instid1(VALU_DEP_1)
	v_mul_u64_e32 v[30:31], s[20:21], v[30:31]
	v_lshl_add_u64 v[30:31], v[30:31], 2, s[8:9]
	global_load_b32 v27, v[30:31], off
.LBB17_33:                              ;   in Loop: Header=BB17_5 Depth=1
	s_wait_xcnt 0x0
	s_or_b32 exec_lo, exec_lo, s55
.LBB17_34:                              ;   in Loop: Header=BB17_5 Depth=1
	s_delay_alu instid0(SALU_CYCLE_1)
	s_or_b32 exec_lo, exec_lo, s54
.LBB17_35:                              ;   in Loop: Header=BB17_5 Depth=1
	s_delay_alu instid0(SALU_CYCLE_1)
	s_or_b32 exec_lo, exec_lo, s53
.LBB17_36:                              ;   in Loop: Header=BB17_5 Depth=1
	s_delay_alu instid0(SALU_CYCLE_1)
	s_or_b32 exec_lo, exec_lo, s52
	s_and_saveexec_b32 s52, s1
	s_cbranch_execz .LBB17_44
; %bb.37:                               ;   in Loop: Header=BB17_5 Depth=1
	v_dual_mov_b32 v29, v1 :: v_dual_bitop2_b32 v30, 2, v0 bitop3:0x54
	v_mov_b32_e32 v31, v1
	v_mul_u64_e32 v[32:33], s[12:13], v[0:1]
	v_or_b32_e32 v0, 3, v0
	s_delay_alu instid0(VALU_DEP_4)
	v_mul_u64_e32 v[34:35], s[12:13], v[28:29]
	s_mul_u64 s[8:9], s[14:15], s[34:35]
	v_mul_u64_e32 v[36:37], s[12:13], v[30:31]
	v_cmp_gt_i32_e64 s7, s37, v28
	v_mul_u64_e32 v[38:39], s[12:13], v[0:1]
	s_lshl_b64 s[54:55], s[8:9], 2
	v_cmp_gt_i32_e64 s8, s37, v30
	v_cmp_gt_i32_e64 s9, s37, v0
	v_dual_cndmask_b32 v29, 0, v33 :: v_dual_cndmask_b32 v28, 0, v32
	v_dual_cndmask_b32 v31, 0, v35, s7 :: v_dual_cndmask_b32 v30, 0, v34, s7
	s_delay_alu instid0(VALU_DEP_4) | instskip(NEXT) | instid1(VALU_DEP_4)
	v_dual_cndmask_b32 v33, 0, v37, s8 :: v_dual_cndmask_b32 v32, 0, v36, s8
	v_dual_cndmask_b32 v35, 0, v39, s9 :: v_dual_cndmask_b32 v34, 0, v38, s9
	s_add_nc_u64 s[8:9], s[18:19], s[54:55]
	s_delay_alu instid0(SALU_CYCLE_1) | instskip(SKIP_3) | instid1(VALU_DEP_4)
	v_lshl_add_u64 v[28:29], v[28:29], 2, s[8:9]
	v_lshl_add_u64 v[30:31], v[30:31], 2, s[8:9]
	;; [unrolled: 1-line block ×4, first 2 shown]
	v_add_nc_u64_e32 v[40:41], v[28:29], v[14:15]
	s_delay_alu instid0(VALU_DEP_4) | instskip(NEXT) | instid1(VALU_DEP_4)
	v_add_nc_u64_e32 v[36:37], v[30:31], v[14:15]
	v_add_nc_u64_e32 v[38:39], v[32:33], v[14:15]
	s_delay_alu instid0(VALU_DEP_4)
	v_add_nc_u64_e32 v[42:43], v[34:35], v[14:15]
	s_clause 0x3
	global_load_b32 v30, v[40:41], off
	global_load_b32 v31, v[36:37], off
	;; [unrolled: 1-line block ×4, first 2 shown]
	s_wait_xcnt 0x0
	s_and_saveexec_b32 s7, s3
	s_cbranch_execz .LBB17_43
; %bb.38:                               ;   in Loop: Header=BB17_5 Depth=1
	s_clause 0x3
	global_load_b32 v34, v[40:41], off offset:256
	global_load_b32 v35, v[36:37], off offset:256
	global_load_b32 v32, v[38:39], off offset:256
	global_load_b32 v33, v[42:43], off offset:256
	s_wait_xcnt 0x0
	s_and_saveexec_b32 s8, s4
	s_cbranch_execz .LBB17_42
; %bb.39:                               ;   in Loop: Header=BB17_5 Depth=1
	s_clause 0x3
	global_load_b32 v46, v[40:41], off offset:512
	global_load_b32 v47, v[36:37], off offset:512
	global_load_b32 v44, v[38:39], off offset:512
	global_load_b32 v45, v[42:43], off offset:512
	;; [unrolled: 9-line block ×3, first 2 shown]
	s_wait_loadcnt 0x2
	s_wait_xcnt 0x2
	v_pk_mul_f32 v[36:37], v[24:25], v[48:49]
	s_delay_alu instid0(VALU_DEP_1) | instskip(NEXT) | instid1(VALU_DEP_1)
	v_add_f32_e32 v0, v70, v36
	v_add_f32_e32 v0, v0, v37
	s_wait_loadcnt 0x0
	v_pk_mul_f32 v[36:37], v[26:27], v[50:51]
	s_delay_alu instid0(VALU_DEP_1) | instskip(NEXT) | instid1(VALU_DEP_1)
	v_add_f32_e32 v0, v0, v36
	v_add_f32_e32 v70, v0, v37
.LBB17_41:                              ;   in Loop: Header=BB17_5 Depth=1
	s_wait_xcnt 0x0
	s_or_b32 exec_lo, exec_lo, s9
	s_wait_loadcnt 0x2
	v_pk_mul_f32 v[36:37], v[24:25], v[46:47]
	s_delay_alu instid0(VALU_DEP_1) | instskip(NEXT) | instid1(VALU_DEP_1)
	v_add_f32_e32 v0, v69, v36
	v_add_f32_e32 v0, v0, v37
	s_wait_loadcnt 0x0
	v_pk_mul_f32 v[36:37], v[26:27], v[44:45]
	s_delay_alu instid0(VALU_DEP_1) | instskip(NEXT) | instid1(VALU_DEP_1)
	v_add_f32_e32 v0, v0, v36
	v_add_f32_e32 v69, v0, v37
.LBB17_42:                              ;   in Loop: Header=BB17_5 Depth=1
	s_or_b32 exec_lo, exec_lo, s8
	s_wait_loadcnt 0x2
	v_pk_mul_f32 v[34:35], v[24:25], v[34:35]
	s_wait_loadcnt 0x0
	v_pk_mul_f32 v[32:33], v[26:27], v[32:33]
	s_delay_alu instid0(VALU_DEP_2) | instskip(NEXT) | instid1(VALU_DEP_1)
	v_add_f32_e32 v0, v68, v34
	v_add_f32_e32 v0, v0, v35
	s_delay_alu instid0(VALU_DEP_1) | instskip(NEXT) | instid1(VALU_DEP_1)
	v_add_f32_e32 v0, v0, v32
	v_add_f32_e32 v68, v0, v33
.LBB17_43:                              ;   in Loop: Header=BB17_5 Depth=1
	s_or_b32 exec_lo, exec_lo, s7
	s_wait_loadcnt 0x2
	v_pk_mul_f32 v[24:25], v[24:25], v[30:31]
	s_delay_alu instid0(VALU_DEP_1) | instskip(NEXT) | instid1(VALU_DEP_1)
	v_add_f32_e32 v0, v67, v24
	v_add_f32_e32 v0, v0, v25
	s_wait_loadcnt 0x0
	v_pk_mul_f32 v[24:25], v[26:27], v[28:29]
	s_delay_alu instid0(VALU_DEP_1) | instskip(NEXT) | instid1(VALU_DEP_1)
	v_add_f32_e32 v0, v0, v24
	v_add_f32_e32 v67, v0, v25
.LBB17_44:                              ;   in Loop: Header=BB17_5 Depth=1
	s_or_b32 exec_lo, exec_lo, s52
.LBB17_45:                              ;   in Loop: Header=BB17_5 Depth=1
	ds_store_2addr_stride64_b32 v65, v67, v68 offset1:1
	ds_store_2addr_stride64_b32 v65, v69, v70 offset0:2 offset1:3
	s_wait_loadcnt_dscnt 0x0
	s_barrier_signal -1
	s_barrier_wait -1
                                        ; implicit-def: $vgpr0
	s_and_saveexec_b32 s7, s0
	s_cbranch_execz .LBB17_51
; %bb.46:                               ;   in Loop: Header=BB17_5 Depth=1
	ds_load_2addr_stride64_b32 v[24:25], v66 offset1:4
	ds_load_2addr_stride64_b32 v[26:27], v66 offset0:8 offset1:12
	ds_load_2addr_stride64_b32 v[28:29], v66 offset0:16 offset1:20
	s_mov_b32 s9, s51
	s_wait_dscnt 0x2
	v_add_f32_e32 v0, v24, v25
	ds_load_2addr_stride64_b32 v[24:25], v66 offset0:24 offset1:28
	s_wait_dscnt 0x2
	v_add_f32_e32 v0, v26, v0
	s_delay_alu instid0(VALU_DEP_1) | instskip(SKIP_3) | instid1(VALU_DEP_1)
	v_add_f32_e32 v0, v27, v0
	ds_load_2addr_stride64_b32 v[26:27], v66 offset0:32 offset1:36
	s_wait_dscnt 0x2
	v_add_f32_e32 v0, v28, v0
	v_add_f32_e32 v0, v29, v0
	ds_load_2addr_stride64_b32 v[28:29], v66 offset0:40 offset1:44
	s_wait_dscnt 0x2
	v_add_f32_e32 v0, v24, v0
	s_delay_alu instid0(VALU_DEP_1) | instskip(SKIP_3) | instid1(VALU_DEP_1)
	v_add_f32_e32 v0, v25, v0
	ds_load_2addr_stride64_b32 v[24:25], v66 offset0:48 offset1:52
	s_wait_dscnt 0x2
	v_add_f32_e32 v0, v26, v0
	v_add_f32_e32 v0, v27, v0
	ds_load_2addr_stride64_b32 v[26:27], v66 offset0:56 offset1:60
	s_wait_dscnt 0x2
	v_add_f32_e32 v0, v28, v0
	s_delay_alu instid0(VALU_DEP_1) | instskip(SKIP_1) | instid1(VALU_DEP_1)
	v_add_f32_e32 v0, v29, v0
	s_wait_dscnt 0x1
	v_add_f32_e32 v0, v24, v0
	s_delay_alu instid0(VALU_DEP_1) | instskip(SKIP_1) | instid1(VALU_DEP_1)
	v_add_f32_e32 v0, v25, v0
	s_wait_dscnt 0x0
	v_add_f32_e32 v0, v26, v0
	s_delay_alu instid0(VALU_DEP_1)
	v_add_f32_e32 v24, v27, v0
                                        ; implicit-def: $vgpr0
	ds_store_b32 v66, v24
	s_and_saveexec_b32 s8, s2
	s_cbranch_execz .LBB17_50
; %bb.47:                               ;   in Loop: Header=BB17_5 Depth=1
	v_mul_f32_e32 v0, s38, v24
	s_and_not1_b32 vcc_lo, exec_lo, s48
	s_cbranch_vccnz .LBB17_49
; %bb.48:                               ;   in Loop: Header=BB17_5 Depth=1
	v_lshl_add_u64 v[24:25], v[6:7], 2, s[44:45]
	global_load_b32 v24, v[24:25], off
	s_wait_loadcnt 0x0
	v_fmac_f32_e32 v0, s39, v24
.LBB17_49:                              ;   in Loop: Header=BB17_5 Depth=1
	s_or_b32 s9, s51, exec_lo
.LBB17_50:                              ;   in Loop: Header=BB17_5 Depth=1
	s_wait_xcnt 0x0
	s_or_b32 exec_lo, exec_lo, s8
	s_delay_alu instid0(SALU_CYCLE_1) | instskip(SKIP_1) | instid1(SALU_CYCLE_1)
	s_and_not1_b32 s8, s51, exec_lo
	s_and_b32 s9, s9, exec_lo
	s_or_b32 s51, s8, s9
.LBB17_51:                              ;   in Loop: Header=BB17_5 Depth=1
	s_or_b32 exec_lo, exec_lo, s7
	v_mov_b64_e32 v[24:25], v[6:7]
	s_and_saveexec_b32 s7, s51
	s_cbranch_execz .LBB17_3
.LBB17_52:                              ;   in Loop: Header=BB17_5 Depth=1
	s_delay_alu instid0(VALU_DEP_1)
	v_lshl_add_u64 v[24:25], v[24:25], 2, s[44:45]
	global_store_b32 v[24:25], v0, off
	s_branch .LBB17_3
.LBB17_53:
	s_sendmsg sendmsg(MSG_DEALLOC_VGPRS)
	s_endpgm
	.section	.rodata,"a",@progbits
	.p2align	6, 0x0
	.amdhsa_kernel _ZL20rocblas_gemvn_kernelILi64ELi16ElfffEviiT3_lPKT2_lT1_lS3_lS4_lS0_lPT4_lS4_li
		.amdhsa_group_segment_fixed_size 16384
		.amdhsa_private_segment_fixed_size 0
		.amdhsa_kernarg_size 400
		.amdhsa_user_sgpr_count 2
		.amdhsa_user_sgpr_dispatch_ptr 0
		.amdhsa_user_sgpr_queue_ptr 0
		.amdhsa_user_sgpr_kernarg_segment_ptr 1
		.amdhsa_user_sgpr_dispatch_id 0
		.amdhsa_user_sgpr_kernarg_preload_length 0
		.amdhsa_user_sgpr_kernarg_preload_offset 0
		.amdhsa_user_sgpr_private_segment_size 0
		.amdhsa_wavefront_size32 1
		.amdhsa_uses_dynamic_stack 0
		.amdhsa_enable_private_segment 0
		.amdhsa_system_sgpr_workgroup_id_x 1
		.amdhsa_system_sgpr_workgroup_id_y 0
		.amdhsa_system_sgpr_workgroup_id_z 1
		.amdhsa_system_sgpr_workgroup_info 0
		.amdhsa_system_vgpr_workitem_id 1
		.amdhsa_next_free_vgpr 71
		.amdhsa_next_free_sgpr 56
		.amdhsa_named_barrier_count 0
		.amdhsa_reserve_vcc 1
		.amdhsa_float_round_mode_32 0
		.amdhsa_float_round_mode_16_64 0
		.amdhsa_float_denorm_mode_32 3
		.amdhsa_float_denorm_mode_16_64 3
		.amdhsa_fp16_overflow 0
		.amdhsa_memory_ordered 1
		.amdhsa_forward_progress 1
		.amdhsa_inst_pref_size 23
		.amdhsa_round_robin_scheduling 0
		.amdhsa_exception_fp_ieee_invalid_op 0
		.amdhsa_exception_fp_denorm_src 0
		.amdhsa_exception_fp_ieee_div_zero 0
		.amdhsa_exception_fp_ieee_overflow 0
		.amdhsa_exception_fp_ieee_underflow 0
		.amdhsa_exception_fp_ieee_inexact 0
		.amdhsa_exception_int_div_zero 0
	.end_amdhsa_kernel
	.section	.text._ZL20rocblas_gemvn_kernelILi64ELi16ElfffEviiT3_lPKT2_lT1_lS3_lS4_lS0_lPT4_lS4_li,"axG",@progbits,_ZL20rocblas_gemvn_kernelILi64ELi16ElfffEviiT3_lPKT2_lT1_lS3_lS4_lS0_lPT4_lS4_li,comdat
.Lfunc_end17:
	.size	_ZL20rocblas_gemvn_kernelILi64ELi16ElfffEviiT3_lPKT2_lT1_lS3_lS4_lS0_lPT4_lS4_li, .Lfunc_end17-_ZL20rocblas_gemvn_kernelILi64ELi16ElfffEviiT3_lPKT2_lT1_lS3_lS4_lS0_lPT4_lS4_li
                                        ; -- End function
	.set _ZL20rocblas_gemvn_kernelILi64ELi16ElfffEviiT3_lPKT2_lT1_lS3_lS4_lS0_lPT4_lS4_li.num_vgpr, 71
	.set _ZL20rocblas_gemvn_kernelILi64ELi16ElfffEviiT3_lPKT2_lT1_lS3_lS4_lS0_lPT4_lS4_li.num_agpr, 0
	.set _ZL20rocblas_gemvn_kernelILi64ELi16ElfffEviiT3_lPKT2_lT1_lS3_lS4_lS0_lPT4_lS4_li.numbered_sgpr, 56
	.set _ZL20rocblas_gemvn_kernelILi64ELi16ElfffEviiT3_lPKT2_lT1_lS3_lS4_lS0_lPT4_lS4_li.num_named_barrier, 0
	.set _ZL20rocblas_gemvn_kernelILi64ELi16ElfffEviiT3_lPKT2_lT1_lS3_lS4_lS0_lPT4_lS4_li.private_seg_size, 0
	.set _ZL20rocblas_gemvn_kernelILi64ELi16ElfffEviiT3_lPKT2_lT1_lS3_lS4_lS0_lPT4_lS4_li.uses_vcc, 1
	.set _ZL20rocblas_gemvn_kernelILi64ELi16ElfffEviiT3_lPKT2_lT1_lS3_lS4_lS0_lPT4_lS4_li.uses_flat_scratch, 0
	.set _ZL20rocblas_gemvn_kernelILi64ELi16ElfffEviiT3_lPKT2_lT1_lS3_lS4_lS0_lPT4_lS4_li.has_dyn_sized_stack, 0
	.set _ZL20rocblas_gemvn_kernelILi64ELi16ElfffEviiT3_lPKT2_lT1_lS3_lS4_lS0_lPT4_lS4_li.has_recursion, 0
	.set _ZL20rocblas_gemvn_kernelILi64ELi16ElfffEviiT3_lPKT2_lT1_lS3_lS4_lS0_lPT4_lS4_li.has_indirect_call, 0
	.section	.AMDGPU.csdata,"",@progbits
; Kernel info:
; codeLenInByte = 2848
; TotalNumSgprs: 58
; NumVgprs: 71
; ScratchSize: 0
; MemoryBound: 0
; FloatMode: 240
; IeeeMode: 1
; LDSByteSize: 16384 bytes/workgroup (compile time only)
; SGPRBlocks: 0
; VGPRBlocks: 4
; NumSGPRsForWavesPerEU: 58
; NumVGPRsForWavesPerEU: 71
; NamedBarCnt: 0
; Occupancy: 12
; WaveLimiterHint : 1
; COMPUTE_PGM_RSRC2:SCRATCH_EN: 0
; COMPUTE_PGM_RSRC2:USER_SGPR: 2
; COMPUTE_PGM_RSRC2:TRAP_HANDLER: 0
; COMPUTE_PGM_RSRC2:TGID_X_EN: 1
; COMPUTE_PGM_RSRC2:TGID_Y_EN: 0
; COMPUTE_PGM_RSRC2:TGID_Z_EN: 1
; COMPUTE_PGM_RSRC2:TIDIG_COMP_CNT: 1
	.section	.text._ZL22rocblas_gemvtsm_kernelILb0ELi256EfPKffEviiT2_lPKT1_lilS5_lilS2_lPT3_lil,"axG",@progbits,_ZL22rocblas_gemvtsm_kernelILb0ELi256EfPKffEviiT2_lPKT1_lilS5_lilS2_lPT3_lil,comdat
	.globl	_ZL22rocblas_gemvtsm_kernelILb0ELi256EfPKffEviiT2_lPKT1_lilS5_lilS2_lPT3_lil ; -- Begin function _ZL22rocblas_gemvtsm_kernelILb0ELi256EfPKffEviiT2_lPKT1_lilS5_lilS2_lPT3_lil
	.p2align	8
	.type	_ZL22rocblas_gemvtsm_kernelILb0ELi256EfPKffEviiT2_lPKT1_lilS5_lilS2_lPT3_lil,@function
_ZL22rocblas_gemvtsm_kernelILb0ELi256EfPKffEviiT2_lPKT1_lilS5_lilS2_lPT3_lil: ; @_ZL22rocblas_gemvtsm_kernelILb0ELi256EfPKffEviiT2_lPKT1_lilS5_lilS2_lPT3_lil
; %bb.0:
	s_clause 0x1
	s_load_b256 s[4:11], s[0:1], 0x8
	s_load_b256 s[12:19], s[0:1], 0x50
	s_bfe_u32 s2, ttmp6, 0x4000c
	s_and_b32 s3, ttmp6, 15
	s_add_co_i32 s2, s2, 1
	s_getreg_b32 s20, hwreg(HW_REG_IB_STS2, 6, 4)
	s_mul_i32 s2, ttmp9, s2
	s_mov_b32 s25, 0
	s_add_co_i32 s3, s3, s2
	s_cmp_eq_u32 s20, 0
	s_cselect_b32 s24, ttmp9, s3
	s_wait_kmcnt 0x0
	s_mul_u64 s[2:3], s[6:7], s[24:25]
	s_delay_alu instid0(SALU_CYCLE_1) | instskip(NEXT) | instid1(SALU_CYCLE_1)
	s_lshl_b64 s[2:3], s[2:3], 2
	s_add_nc_u64 s[2:3], s[4:5], s[2:3]
	s_mul_u64 s[4:5], s[16:17], s[24:25]
	s_load_b32 s26, s[2:3], 0x0
	s_wait_xcnt 0x0
	s_lshl_b64 s[2:3], s[4:5], 2
	s_delay_alu instid0(SALU_CYCLE_1)
	s_add_nc_u64 s[2:3], s[14:15], s[2:3]
	s_load_b32 s23, s[2:3], 0x0
	s_wait_kmcnt 0x0
	s_cmp_eq_f32 s26, 0
	s_cselect_b32 s2, -1, 0
	s_cmp_eq_f32 s23, 1.0
	s_cselect_b32 s3, -1, 0
	s_delay_alu instid0(SALU_CYCLE_1) | instskip(NEXT) | instid1(SALU_CYCLE_1)
	s_and_b32 s2, s2, s3
	s_and_b32 vcc_lo, exec_lo, s2
	s_cbranch_vccnz .LBB18_34
; %bb.1:
	s_clause 0x2
	s_load_b64 s[4:5], s[0:1], 0x80
	s_load_b96 s[20:22], s[0:1], 0x70
	s_load_b64 s[2:3], s[0:1], 0x0
	s_cmp_neq_f32 s26, 0
	s_wait_kmcnt 0x0
	s_mul_u64 s[14:15], s[4:5], s[24:25]
	s_cbranch_scc1 .LBB18_9
; %bb.2:
	s_cmp_gt_i32 s3, 0
	s_cselect_b32 s6, -1, 0
	s_cmp_neq_f32 s23, 0
	v_cndmask_b32_e64 v1, 0, 1, s6
	s_delay_alu instid0(VALU_DEP_1)
	v_cmp_ne_u32_e32 vcc_lo, 1, v1
	s_cbranch_scc1 .LBB18_10
; %bb.3:
	s_and_b32 vcc_lo, exec_lo, vcc_lo
	s_cbranch_vccnz .LBB18_8
; %bb.4:
	v_mov_b32_e32 v1, 0
	s_ashr_i32 s5, s22, 31
	s_mov_b32 s4, s22
	s_lshl_b64 s[16:17], s[20:21], 2
	s_lshl_b64 s[28:29], s[14:15], 2
	v_mul_u64_e32 v[2:3], s[4:5], v[0:1]
	s_add_nc_u64 s[16:17], s[18:19], s[16:17]
	s_lshl_b64 s[4:5], s[4:5], 10
	s_add_nc_u64 s[16:17], s[16:17], s[28:29]
	s_mov_b32 s7, 0
	s_delay_alu instid0(VALU_DEP_1)
	v_lshl_add_u64 v[2:3], v[2:3], 2, s[16:17]
	s_branch .LBB18_6
.LBB18_5:                               ;   in Loop: Header=BB18_6 Depth=1
	s_wait_xcnt 0x0
	s_or_b32 exec_lo, exec_lo, s16
	v_add_nc_u64_e32 v[2:3], s[4:5], v[2:3]
	s_addk_co_i32 s7, 0x100
	s_delay_alu instid0(SALU_CYCLE_1)
	s_cmp_ge_i32 s7, s3
	s_cbranch_scc1 .LBB18_8
.LBB18_6:                               ; =>This Inner Loop Header: Depth=1
	v_add_nc_u32_e32 v4, s7, v0
	s_mov_b32 s16, exec_lo
	s_delay_alu instid0(VALU_DEP_1)
	v_cmpx_gt_i32_e64 s3, v4
	s_cbranch_execz .LBB18_5
; %bb.7:                                ;   in Loop: Header=BB18_6 Depth=1
	global_store_b32 v[2:3], v1, off
	s_branch .LBB18_5
.LBB18_8:
	s_cbranch_execz .LBB18_11
	s_branch .LBB18_16
.LBB18_9:
	s_branch .LBB18_17
.LBB18_10:
.LBB18_11:
	s_and_not1_b32 vcc_lo, exec_lo, s6
	s_cbranch_vccnz .LBB18_16
; %bb.12:
	v_mov_b32_e32 v1, 0
	s_ashr_i32 s5, s22, 31
	s_mov_b32 s4, s22
	s_lshl_b64 s[6:7], s[20:21], 2
	s_lshl_b64 s[16:17], s[14:15], 2
	v_mul_u64_e32 v[2:3], s[4:5], v[0:1]
	s_add_nc_u64 s[6:7], s[18:19], s[6:7]
	s_lshl_b64 s[4:5], s[4:5], 10
	s_add_nc_u64 s[6:7], s[6:7], s[16:17]
	s_delay_alu instid0(VALU_DEP_1) | instid1(SALU_CYCLE_1)
	v_lshl_add_u64 v[2:3], v[2:3], 2, s[6:7]
	s_mov_b32 s6, 0
	s_branch .LBB18_14
.LBB18_13:                              ;   in Loop: Header=BB18_14 Depth=1
	s_wait_xcnt 0x0
	s_or_b32 exec_lo, exec_lo, s7
	v_add_nc_u64_e32 v[2:3], s[4:5], v[2:3]
	s_addk_co_i32 s6, 0x100
	s_delay_alu instid0(SALU_CYCLE_1)
	s_cmp_ge_i32 s6, s3
	s_cbranch_scc1 .LBB18_16
.LBB18_14:                              ; =>This Inner Loop Header: Depth=1
	v_add_nc_u32_e32 v1, s6, v0
	s_mov_b32 s7, exec_lo
	s_delay_alu instid0(VALU_DEP_1)
	v_cmpx_gt_i32_e64 s3, v1
	s_cbranch_execz .LBB18_13
; %bb.15:                               ;   in Loop: Header=BB18_14 Depth=1
	global_load_b32 v1, v[2:3], off
	s_wait_loadcnt 0x0
	v_mul_f32_e32 v1, s23, v1
	global_store_b32 v[2:3], v1, off
	s_branch .LBB18_13
.LBB18_16:
	s_cbranch_execnz .LBB18_34
.LBB18_17:
	s_clause 0x1
	s_load_b128 s[4:7], s[0:1], 0x30
	s_load_b64 s[16:17], s[0:1], 0x40
	s_mov_b32 s27, exec_lo
	v_cmpx_gt_i32_e64 s2, v0
	s_cbranch_execz .LBB18_19
; %bb.18:
	s_load_b32 s28, s[0:1], 0x48
	v_mov_b32_e32 v1, 0
	s_mul_u64 s[12:13], s[12:13], s[24:25]
	s_wait_kmcnt 0x0
	s_lshl_b64 s[16:17], s[16:17], 2
	s_lshl_b64 s[12:13], s[12:13], 2
	s_delay_alu instid0(SALU_CYCLE_1) | instskip(NEXT) | instid1(SALU_CYCLE_1)
	s_add_nc_u64 s[6:7], s[6:7], s[12:13]
	s_add_nc_u64 s[6:7], s[6:7], s[16:17]
	s_ashr_i32 s29, s28, 31
	s_delay_alu instid0(SALU_CYCLE_1) | instskip(NEXT) | instid1(VALU_DEP_1)
	v_mul_u64_e32 v[2:3], s[28:29], v[0:1]
	v_lshl_add_u64 v[2:3], v[2:3], 2, s[6:7]
	global_load_b32 v1, v[2:3], off
	s_wait_loadcnt 0x0
	v_dual_mul_f32 v1, s26, v1 :: v_dual_lshlrev_b32 v2, 2, v0
	ds_store_b32 v2, v1
.LBB18_19:
	s_or_b32 exec_lo, exec_lo, s27
	s_cmp_lt_i32 s3, 1
	s_wait_storecnt_dscnt 0x0
	s_barrier_signal -1
	s_barrier_wait -1
	s_cbranch_scc1 .LBB18_34
; %bb.20:
	s_load_b32 s26, s[0:1], 0x28
	v_mov_b32_e32 v3, 0
	s_wait_kmcnt 0x0
	s_lshl_b64 s[6:7], s[14:15], 2
	s_lshl_b64 s[20:21], s[20:21], 2
	s_ashr_i32 s1, s22, 31
	s_mul_u64 s[4:5], s[4:5], s[24:25]
	v_mov_b32_e32 v1, v3
	s_mov_b32 s0, s22
	s_ashr_i32 s27, s26, 31
	s_cmp_neq_f32 s23, 0
	s_delay_alu instid0(VALU_DEP_1)
	v_mul_u64_e32 v[4:5], s[26:27], v[0:1]
	s_cselect_b32 s12, -1, 0
	s_cmp_gt_i32 s2, 0
	s_cselect_b32 s13, -1, 0
	s_and_b32 s14, s2, 7
	s_cmp_gt_u32 s2, 7
	s_cselect_b32 s15, -1, 0
	s_and_b32 s2, s2, 0x7ffffff8
	s_cmp_lg_u32 s14, 0
	s_cselect_b32 s16, -1, 0
	s_lshl_b64 s[10:11], s[10:11], 2
	s_lshl_b64 s[4:5], s[4:5], 2
	s_add_nc_u64 s[8:9], s[8:9], s[10:11]
	s_mov_b32 s10, 0
	s_add_nc_u64 s[4:5], s[8:9], s[4:5]
	s_lshl_b64 s[8:9], s[26:27], 10
	s_delay_alu instid0(VALU_DEP_1) | instskip(SKIP_3) | instid1(VALU_DEP_1)
	v_lshl_add_u64 v[4:5], v[4:5], 2, s[4:5]
	s_add_nc_u64 s[4:5], s[18:19], s[6:7]
	s_mov_b32 s7, 0
	s_add_nc_u64 s[4:5], s[4:5], s[20:21]
	v_add_nc_u64_e32 v[6:7], 28, v[4:5]
	s_branch .LBB18_23
.LBB18_21:                              ;   in Loop: Header=BB18_23 Depth=1
	global_store_b32 v[8:9], v1, off
.LBB18_22:                              ;   in Loop: Header=BB18_23 Depth=1
	s_wait_xcnt 0x0
	s_or_b32 exec_lo, exec_lo, s11
	v_add_nc_u64_e32 v[6:7], s[8:9], v[6:7]
	v_add_nc_u64_e32 v[4:5], s[8:9], v[4:5]
	s_addk_co_i32 s10, 0x100
	s_delay_alu instid0(SALU_CYCLE_1)
	s_cmp_ge_i32 s10, s3
	s_cbranch_scc1 .LBB18_34
.LBB18_23:                              ; =>This Loop Header: Depth=1
                                        ;     Child Loop BB18_29 Depth 2
                                        ;     Child Loop BB18_33 Depth 2
	v_add_nc_u32_e32 v2, s10, v0
	s_mov_b32 s11, exec_lo
	s_delay_alu instid0(VALU_DEP_1)
	v_cmpx_gt_i32_e64 s3, v2
	s_cbranch_execz .LBB18_22
; %bb.24:                               ;   in Loop: Header=BB18_23 Depth=1
	v_mul_u64_e32 v[8:9], s[0:1], v[2:3]
	s_and_not1_b32 vcc_lo, exec_lo, s12
	s_delay_alu instid0(VALU_DEP_1)
	v_lshl_add_u64 v[8:9], v[8:9], 2, s[4:5]
	s_cbranch_vccnz .LBB18_26
; %bb.25:                               ;   in Loop: Header=BB18_23 Depth=1
	global_load_b32 v1, v[8:9], off
	s_wait_loadcnt 0x0
	v_mul_f32_e32 v1, s23, v1
	s_and_not1_b32 vcc_lo, exec_lo, s13
	s_cbranch_vccz .LBB18_27
	s_branch .LBB18_21
.LBB18_26:                              ;   in Loop: Header=BB18_23 Depth=1
	v_mov_b32_e32 v1, 0
	s_and_not1_b32 vcc_lo, exec_lo, s13
	s_cbranch_vccnz .LBB18_21
.LBB18_27:                              ;   in Loop: Header=BB18_23 Depth=1
	s_and_not1_b32 vcc_lo, exec_lo, s15
	s_mov_b32 s6, 0
	s_cbranch_vccnz .LBB18_31
; %bb.28:                               ;   in Loop: Header=BB18_23 Depth=1
	v_mov_b64_e32 v[10:11], v[6:7]
	s_mov_b32 s17, 0
.LBB18_29:                              ;   Parent Loop BB18_23 Depth=1
                                        ; =>  This Inner Loop Header: Depth=2
	s_clause 0x1
	global_load_b128 v[12:15], v[10:11], off offset:-28
	global_load_b128 v[16:19], v[10:11], off offset:-12
	v_mov_b32_e32 v2, s6
	s_wait_xcnt 0x0
	v_add_nc_u64_e32 v[10:11], 32, v[10:11]
	s_add_co_i32 s17, s17, 8
	s_add_co_i32 s6, s6, 32
	ds_load_b128 v[20:23], v2
	ds_load_b128 v[24:27], v2 offset:16
	s_cmp_eq_u32 s2, s17
	s_wait_loadcnt_dscnt 0x101
	v_fmac_f32_e32 v1, v20, v12
	s_delay_alu instid0(VALU_DEP_1) | instskip(NEXT) | instid1(VALU_DEP_1)
	v_fmac_f32_e32 v1, v21, v13
	v_fmac_f32_e32 v1, v22, v14
	s_delay_alu instid0(VALU_DEP_1) | instskip(SKIP_1) | instid1(VALU_DEP_1)
	v_fmac_f32_e32 v1, v23, v15
	s_wait_loadcnt_dscnt 0x0
	v_fmac_f32_e32 v1, v24, v16
	s_delay_alu instid0(VALU_DEP_1) | instskip(NEXT) | instid1(VALU_DEP_1)
	v_fmac_f32_e32 v1, v25, v17
	v_fmac_f32_e32 v1, v26, v18
	s_delay_alu instid0(VALU_DEP_1)
	v_fmac_f32_e32 v1, v27, v19
	s_cbranch_scc0 .LBB18_29
; %bb.30:                               ;   in Loop: Header=BB18_23 Depth=1
	s_mov_b32 s6, s2
.LBB18_31:                              ;   in Loop: Header=BB18_23 Depth=1
	s_and_not1_b32 vcc_lo, exec_lo, s16
	s_cbranch_vccnz .LBB18_21
; %bb.32:                               ;   in Loop: Header=BB18_23 Depth=1
	v_lshl_add_u64 v[10:11], s[6:7], 2, v[4:5]
	s_lshl_b32 s6, s6, 2
	s_mov_b32 s17, s14
.LBB18_33:                              ;   Parent Loop BB18_23 Depth=1
                                        ; =>  This Inner Loop Header: Depth=2
	global_load_b32 v2, v[10:11], off
	v_mov_b32_e32 v12, s6
	s_wait_xcnt 0x0
	v_add_nc_u64_e32 v[10:11], 4, v[10:11]
	s_add_co_i32 s17, s17, -1
	s_add_co_i32 s6, s6, 4
	s_cmp_lg_u32 s17, 0
	ds_load_b32 v12, v12
	s_wait_loadcnt_dscnt 0x0
	v_fmac_f32_e32 v1, v12, v2
	s_cbranch_scc1 .LBB18_33
	s_branch .LBB18_21
.LBB18_34:
	s_endpgm
	.section	.rodata,"a",@progbits
	.p2align	6, 0x0
	.amdhsa_kernel _ZL22rocblas_gemvtsm_kernelILb0ELi256EfPKffEviiT2_lPKT1_lilS5_lilS2_lPT3_lil
		.amdhsa_group_segment_fixed_size 256
		.amdhsa_private_segment_fixed_size 0
		.amdhsa_kernarg_size 136
		.amdhsa_user_sgpr_count 2
		.amdhsa_user_sgpr_dispatch_ptr 0
		.amdhsa_user_sgpr_queue_ptr 0
		.amdhsa_user_sgpr_kernarg_segment_ptr 1
		.amdhsa_user_sgpr_dispatch_id 0
		.amdhsa_user_sgpr_kernarg_preload_length 0
		.amdhsa_user_sgpr_kernarg_preload_offset 0
		.amdhsa_user_sgpr_private_segment_size 0
		.amdhsa_wavefront_size32 1
		.amdhsa_uses_dynamic_stack 0
		.amdhsa_enable_private_segment 0
		.amdhsa_system_sgpr_workgroup_id_x 1
		.amdhsa_system_sgpr_workgroup_id_y 0
		.amdhsa_system_sgpr_workgroup_id_z 0
		.amdhsa_system_sgpr_workgroup_info 0
		.amdhsa_system_vgpr_workitem_id 0
		.amdhsa_next_free_vgpr 28
		.amdhsa_next_free_sgpr 30
		.amdhsa_named_barrier_count 0
		.amdhsa_reserve_vcc 1
		.amdhsa_float_round_mode_32 0
		.amdhsa_float_round_mode_16_64 0
		.amdhsa_float_denorm_mode_32 3
		.amdhsa_float_denorm_mode_16_64 3
		.amdhsa_fp16_overflow 0
		.amdhsa_memory_ordered 1
		.amdhsa_forward_progress 1
		.amdhsa_inst_pref_size 10
		.amdhsa_round_robin_scheduling 0
		.amdhsa_exception_fp_ieee_invalid_op 0
		.amdhsa_exception_fp_denorm_src 0
		.amdhsa_exception_fp_ieee_div_zero 0
		.amdhsa_exception_fp_ieee_overflow 0
		.amdhsa_exception_fp_ieee_underflow 0
		.amdhsa_exception_fp_ieee_inexact 0
		.amdhsa_exception_int_div_zero 0
	.end_amdhsa_kernel
	.section	.text._ZL22rocblas_gemvtsm_kernelILb0ELi256EfPKffEviiT2_lPKT1_lilS5_lilS2_lPT3_lil,"axG",@progbits,_ZL22rocblas_gemvtsm_kernelILb0ELi256EfPKffEviiT2_lPKT1_lilS5_lilS2_lPT3_lil,comdat
.Lfunc_end18:
	.size	_ZL22rocblas_gemvtsm_kernelILb0ELi256EfPKffEviiT2_lPKT1_lilS5_lilS2_lPT3_lil, .Lfunc_end18-_ZL22rocblas_gemvtsm_kernelILb0ELi256EfPKffEviiT2_lPKT1_lilS5_lilS2_lPT3_lil
                                        ; -- End function
	.set _ZL22rocblas_gemvtsm_kernelILb0ELi256EfPKffEviiT2_lPKT1_lilS5_lilS2_lPT3_lil.num_vgpr, 28
	.set _ZL22rocblas_gemvtsm_kernelILb0ELi256EfPKffEviiT2_lPKT1_lilS5_lilS2_lPT3_lil.num_agpr, 0
	.set _ZL22rocblas_gemvtsm_kernelILb0ELi256EfPKffEviiT2_lPKT1_lilS5_lilS2_lPT3_lil.numbered_sgpr, 30
	.set _ZL22rocblas_gemvtsm_kernelILb0ELi256EfPKffEviiT2_lPKT1_lilS5_lilS2_lPT3_lil.num_named_barrier, 0
	.set _ZL22rocblas_gemvtsm_kernelILb0ELi256EfPKffEviiT2_lPKT1_lilS5_lilS2_lPT3_lil.private_seg_size, 0
	.set _ZL22rocblas_gemvtsm_kernelILb0ELi256EfPKffEviiT2_lPKT1_lilS5_lilS2_lPT3_lil.uses_vcc, 1
	.set _ZL22rocblas_gemvtsm_kernelILb0ELi256EfPKffEviiT2_lPKT1_lilS5_lilS2_lPT3_lil.uses_flat_scratch, 0
	.set _ZL22rocblas_gemvtsm_kernelILb0ELi256EfPKffEviiT2_lPKT1_lilS5_lilS2_lPT3_lil.has_dyn_sized_stack, 0
	.set _ZL22rocblas_gemvtsm_kernelILb0ELi256EfPKffEviiT2_lPKT1_lilS5_lilS2_lPT3_lil.has_recursion, 0
	.set _ZL22rocblas_gemvtsm_kernelILb0ELi256EfPKffEviiT2_lPKT1_lilS5_lilS2_lPT3_lil.has_indirect_call, 0
	.section	.AMDGPU.csdata,"",@progbits
; Kernel info:
; codeLenInByte = 1208
; TotalNumSgprs: 32
; NumVgprs: 28
; ScratchSize: 0
; MemoryBound: 0
; FloatMode: 240
; IeeeMode: 1
; LDSByteSize: 256 bytes/workgroup (compile time only)
; SGPRBlocks: 0
; VGPRBlocks: 1
; NumSGPRsForWavesPerEU: 32
; NumVGPRsForWavesPerEU: 28
; NamedBarCnt: 0
; Occupancy: 16
; WaveLimiterHint : 1
; COMPUTE_PGM_RSRC2:SCRATCH_EN: 0
; COMPUTE_PGM_RSRC2:USER_SGPR: 2
; COMPUTE_PGM_RSRC2:TRAP_HANDLER: 0
; COMPUTE_PGM_RSRC2:TGID_X_EN: 1
; COMPUTE_PGM_RSRC2:TGID_Y_EN: 0
; COMPUTE_PGM_RSRC2:TGID_Z_EN: 0
; COMPUTE_PGM_RSRC2:TIDIG_COMP_CNT: 0
	.section	.text._ZL22rocblas_gemvtsm_kernelILb0ELi256EfffEviiT2_lPKT1_lilS3_lilS0_lPT3_lil,"axG",@progbits,_ZL22rocblas_gemvtsm_kernelILb0ELi256EfffEviiT2_lPKT1_lilS3_lilS0_lPT3_lil,comdat
	.globl	_ZL22rocblas_gemvtsm_kernelILb0ELi256EfffEviiT2_lPKT1_lilS3_lilS0_lPT3_lil ; -- Begin function _ZL22rocblas_gemvtsm_kernelILb0ELi256EfffEviiT2_lPKT1_lilS3_lilS0_lPT3_lil
	.p2align	8
	.type	_ZL22rocblas_gemvtsm_kernelILb0ELi256EfffEviiT2_lPKT1_lilS3_lilS0_lPT3_lil,@function
_ZL22rocblas_gemvtsm_kernelILb0ELi256EfffEviiT2_lPKT1_lilS3_lilS0_lPT3_lil: ; @_ZL22rocblas_gemvtsm_kernelILb0ELi256EfffEviiT2_lPKT1_lilS3_lilS0_lPT3_lil
; %bb.0:
	s_clause 0x1
	s_load_b96 s[12:14], s[0:1], 0x0
	s_load_b32 s15, s[0:1], 0x58
	s_mov_b32 s17, 0
	s_wait_kmcnt 0x0
	s_cmp_eq_f32 s14, 0
	s_cselect_b32 s2, -1, 0
	s_cmp_eq_f32 s15, 1.0
	s_cselect_b32 s3, -1, 0
	s_delay_alu instid0(SALU_CYCLE_1) | instskip(NEXT) | instid1(SALU_CYCLE_1)
	s_and_b32 s2, s2, s3
	s_and_b32 vcc_lo, exec_lo, s2
	s_cbranch_vccnz .LBB19_34
; %bb.1:
	s_clause 0x2
	s_load_b64 s[8:9], s[0:1], 0x80
	s_load_b128 s[4:7], s[0:1], 0x68
	s_load_b32 s2, s[0:1], 0x78
	s_bfe_u32 s3, ttmp6, 0x4000c
	s_and_b32 s10, ttmp6, 15
	s_add_co_i32 s3, s3, 1
	s_getreg_b32 s11, hwreg(HW_REG_IB_STS2, 6, 4)
	s_mul_i32 s3, ttmp9, s3
	s_delay_alu instid0(SALU_CYCLE_1)
	s_add_co_i32 s10, s10, s3
	s_cmp_eq_u32 s11, 0
	s_cselect_b32 s16, ttmp9, s10
	s_cmp_neq_f32 s14, 0
	s_wait_kmcnt 0x0
	s_mul_u64 s[18:19], s[8:9], s[16:17]
	s_cbranch_scc1 .LBB19_9
; %bb.2:
	s_cmp_gt_i32 s13, 0
	s_cselect_b32 s10, -1, 0
	s_cmp_neq_f32 s15, 0
	v_cndmask_b32_e64 v1, 0, 1, s10
	s_delay_alu instid0(VALU_DEP_1)
	v_cmp_ne_u32_e32 vcc_lo, 1, v1
	s_cbranch_scc1 .LBB19_10
; %bb.3:
	s_and_b32 vcc_lo, exec_lo, vcc_lo
	s_cbranch_vccnz .LBB19_8
; %bb.4:
	v_mov_b32_e32 v1, 0
	s_ashr_i32 s3, s2, 31
	s_lshl_b64 s[8:9], s[6:7], 2
	s_lshl_b64 s[20:21], s[18:19], 2
	s_add_nc_u64 s[8:9], s[4:5], s[8:9]
	v_mul_u64_e32 v[2:3], s[2:3], v[0:1]
	s_add_nc_u64 s[8:9], s[8:9], s[20:21]
	s_delay_alu instid0(VALU_DEP_1) | instid1(SALU_CYCLE_1)
	v_lshl_add_u64 v[2:3], v[2:3], 2, s[8:9]
	s_lshl_b64 s[8:9], s[2:3], 10
	s_mov_b32 s3, 0
	s_branch .LBB19_6
.LBB19_5:                               ;   in Loop: Header=BB19_6 Depth=1
	s_wait_xcnt 0x0
	s_or_b32 exec_lo, exec_lo, s11
	v_add_nc_u64_e32 v[2:3], s[8:9], v[2:3]
	s_addk_co_i32 s3, 0x100
	s_delay_alu instid0(SALU_CYCLE_1)
	s_cmp_ge_i32 s3, s13
	s_cbranch_scc1 .LBB19_8
.LBB19_6:                               ; =>This Inner Loop Header: Depth=1
	v_add_nc_u32_e32 v4, s3, v0
	s_mov_b32 s11, exec_lo
	s_delay_alu instid0(VALU_DEP_1)
	v_cmpx_gt_i32_e64 s13, v4
	s_cbranch_execz .LBB19_5
; %bb.7:                                ;   in Loop: Header=BB19_6 Depth=1
	global_store_b32 v[2:3], v1, off
	s_branch .LBB19_5
.LBB19_8:
	s_cbranch_execz .LBB19_11
	s_branch .LBB19_16
.LBB19_9:
	s_branch .LBB19_17
.LBB19_10:
.LBB19_11:
	s_and_not1_b32 vcc_lo, exec_lo, s10
	s_cbranch_vccnz .LBB19_16
; %bb.12:
	v_mov_b32_e32 v1, 0
	s_ashr_i32 s3, s2, 31
	s_lshl_b64 s[8:9], s[6:7], 2
	s_lshl_b64 s[10:11], s[18:19], 2
	s_add_nc_u64 s[8:9], s[4:5], s[8:9]
	v_mul_u64_e32 v[2:3], s[2:3], v[0:1]
	s_add_nc_u64 s[8:9], s[8:9], s[10:11]
	s_delay_alu instid0(VALU_DEP_1) | instid1(SALU_CYCLE_1)
	v_lshl_add_u64 v[2:3], v[2:3], 2, s[8:9]
	s_lshl_b64 s[8:9], s[2:3], 10
	s_mov_b32 s3, 0
	s_branch .LBB19_14
.LBB19_13:                              ;   in Loop: Header=BB19_14 Depth=1
	s_wait_xcnt 0x0
	s_or_b32 exec_lo, exec_lo, s10
	v_add_nc_u64_e32 v[2:3], s[8:9], v[2:3]
	s_addk_co_i32 s3, 0x100
	s_delay_alu instid0(SALU_CYCLE_1)
	s_cmp_ge_i32 s3, s13
	s_cbranch_scc1 .LBB19_16
.LBB19_14:                              ; =>This Inner Loop Header: Depth=1
	v_add_nc_u32_e32 v1, s3, v0
	s_mov_b32 s10, exec_lo
	s_delay_alu instid0(VALU_DEP_1)
	v_cmpx_gt_i32_e64 s13, v1
	s_cbranch_execz .LBB19_13
; %bb.15:                               ;   in Loop: Header=BB19_14 Depth=1
	global_load_b32 v1, v[2:3], off
	s_wait_loadcnt 0x0
	v_mul_f32_e32 v1, s15, v1
	global_store_b32 v[2:3], v1, off
	s_branch .LBB19_13
.LBB19_16:
	s_cbranch_execnz .LBB19_34
.LBB19_17:
	s_clause 0x1
	s_load_b128 s[8:11], s[0:1], 0x30
	s_load_b64 s[20:21], s[0:1], 0x40
	s_mov_b32 s3, exec_lo
	v_cmpx_gt_i32_e64 s12, v0
	s_cbranch_execz .LBB19_19
; %bb.18:
	s_clause 0x1
	s_load_b32 s22, s[0:1], 0x48
	s_load_b64 s[24:25], s[0:1], 0x50
	v_mov_b32_e32 v1, 0
	s_wait_kmcnt 0x0
	s_lshl_b64 s[20:21], s[20:21], 2
	s_ashr_i32 s23, s22, 31
	s_delay_alu instid0(VALU_DEP_1) | instid1(SALU_CYCLE_1)
	v_mul_u64_e32 v[2:3], s[22:23], v[0:1]
	s_mul_u64 s[22:23], s[24:25], s[16:17]
	s_delay_alu instid0(SALU_CYCLE_1) | instskip(NEXT) | instid1(SALU_CYCLE_1)
	s_lshl_b64 s[22:23], s[22:23], 2
	s_add_nc_u64 s[10:11], s[10:11], s[22:23]
	s_delay_alu instid0(SALU_CYCLE_1)
	s_add_nc_u64 s[10:11], s[10:11], s[20:21]
	s_delay_alu instid0(VALU_DEP_1) | instid1(SALU_CYCLE_1)
	v_lshl_add_u64 v[2:3], v[2:3], 2, s[10:11]
	global_load_b32 v1, v[2:3], off
	s_wait_loadcnt 0x0
	v_dual_mul_f32 v1, s14, v1 :: v_dual_lshlrev_b32 v2, 2, v0
	ds_store_b32 v2, v1
.LBB19_19:
	s_or_b32 exec_lo, exec_lo, s3
	s_cmp_lt_i32 s13, 1
	s_wait_storecnt_dscnt 0x0
	s_barrier_signal -1
	s_barrier_wait -1
	s_cbranch_scc1 .LBB19_34
; %bb.20:
	s_load_b32 s24, s[0:1], 0x28
	s_wait_kmcnt 0x0
	s_load_b128 s[20:23], s[0:1], 0x18
	v_mov_b32_e32 v3, 0
	s_wait_xcnt 0x0
	s_lshl_b64 s[0:1], s[18:19], 2
	s_lshl_b64 s[6:7], s[6:7], 2
	s_ashr_i32 s3, s2, 31
	s_mul_u64 s[16:17], s[8:9], s[16:17]
	v_mov_b32_e32 v1, v3
	s_add_nc_u64 s[0:1], s[4:5], s[0:1]
	s_mov_b32 s5, 0
	s_add_nc_u64 s[0:1], s[0:1], s[6:7]
	s_mov_b32 s9, 0
	s_ashr_i32 s25, s24, 31
	s_cmp_neq_f32 s15, 0
	v_mul_u64_e32 v[4:5], s[24:25], v[0:1]
	s_cselect_b32 s10, -1, 0
	s_cmp_gt_i32 s12, 0
	s_cselect_b32 s11, -1, 0
	s_and_b32 s14, s12, 7
	s_cmp_gt_u32 s12, 7
	s_cselect_b32 s18, -1, 0
	s_and_b32 s12, s12, 0x7ffffff8
	s_cmp_lg_u32 s14, 0
	s_cselect_b32 s8, -1, 0
	s_wait_kmcnt 0x0
	s_lshl_b64 s[22:23], s[22:23], 2
	s_lshl_b64 s[16:17], s[16:17], 2
	s_add_nc_u64 s[20:21], s[20:21], s[22:23]
	s_lshl_b64 s[6:7], s[24:25], 10
	s_add_nc_u64 s[16:17], s[20:21], s[16:17]
	s_delay_alu instid0(VALU_DEP_1) | instid1(SALU_CYCLE_1)
	v_lshl_add_u64 v[4:5], v[4:5], 2, s[16:17]
	s_delay_alu instid0(VALU_DEP_1)
	v_add_nc_u64_e32 v[6:7], 28, v[4:5]
	s_branch .LBB19_23
.LBB19_21:                              ;   in Loop: Header=BB19_23 Depth=1
	global_store_b32 v[8:9], v1, off
.LBB19_22:                              ;   in Loop: Header=BB19_23 Depth=1
	s_wait_xcnt 0x0
	s_or_b32 exec_lo, exec_lo, s16
	v_add_nc_u64_e32 v[6:7], s[6:7], v[6:7]
	v_add_nc_u64_e32 v[4:5], s[6:7], v[4:5]
	s_addk_co_i32 s9, 0x100
	s_delay_alu instid0(SALU_CYCLE_1)
	s_cmp_ge_i32 s9, s13
	s_cbranch_scc1 .LBB19_34
.LBB19_23:                              ; =>This Loop Header: Depth=1
                                        ;     Child Loop BB19_29 Depth 2
                                        ;     Child Loop BB19_33 Depth 2
	v_add_nc_u32_e32 v2, s9, v0
	s_mov_b32 s16, exec_lo
	s_delay_alu instid0(VALU_DEP_1)
	v_cmpx_gt_i32_e64 s13, v2
	s_cbranch_execz .LBB19_22
; %bb.24:                               ;   in Loop: Header=BB19_23 Depth=1
	v_mul_u64_e32 v[8:9], s[2:3], v[2:3]
	s_and_not1_b32 vcc_lo, exec_lo, s10
	s_delay_alu instid0(VALU_DEP_1)
	v_lshl_add_u64 v[8:9], v[8:9], 2, s[0:1]
	s_cbranch_vccnz .LBB19_26
; %bb.25:                               ;   in Loop: Header=BB19_23 Depth=1
	global_load_b32 v1, v[8:9], off
	s_wait_loadcnt 0x0
	v_mul_f32_e32 v1, s15, v1
	s_and_not1_b32 vcc_lo, exec_lo, s11
	s_cbranch_vccz .LBB19_27
	s_branch .LBB19_21
.LBB19_26:                              ;   in Loop: Header=BB19_23 Depth=1
	v_mov_b32_e32 v1, 0
	s_and_not1_b32 vcc_lo, exec_lo, s11
	s_cbranch_vccnz .LBB19_21
.LBB19_27:                              ;   in Loop: Header=BB19_23 Depth=1
	s_and_not1_b32 vcc_lo, exec_lo, s18
	s_mov_b32 s4, 0
	s_cbranch_vccnz .LBB19_31
; %bb.28:                               ;   in Loop: Header=BB19_23 Depth=1
	v_mov_b64_e32 v[10:11], v[6:7]
	s_mov_b32 s17, 0
.LBB19_29:                              ;   Parent Loop BB19_23 Depth=1
                                        ; =>  This Inner Loop Header: Depth=2
	s_clause 0x1
	global_load_b128 v[12:15], v[10:11], off offset:-28
	global_load_b128 v[16:19], v[10:11], off offset:-12
	v_mov_b32_e32 v2, s4
	s_wait_xcnt 0x0
	v_add_nc_u64_e32 v[10:11], 32, v[10:11]
	s_add_co_i32 s17, s17, 8
	s_add_co_i32 s4, s4, 32
	ds_load_b128 v[20:23], v2
	ds_load_b128 v[24:27], v2 offset:16
	s_cmp_eq_u32 s12, s17
	s_wait_loadcnt_dscnt 0x101
	v_fmac_f32_e32 v1, v20, v12
	s_delay_alu instid0(VALU_DEP_1) | instskip(NEXT) | instid1(VALU_DEP_1)
	v_fmac_f32_e32 v1, v21, v13
	v_fmac_f32_e32 v1, v22, v14
	s_delay_alu instid0(VALU_DEP_1) | instskip(SKIP_1) | instid1(VALU_DEP_1)
	v_fmac_f32_e32 v1, v23, v15
	s_wait_loadcnt_dscnt 0x0
	v_fmac_f32_e32 v1, v24, v16
	s_delay_alu instid0(VALU_DEP_1) | instskip(NEXT) | instid1(VALU_DEP_1)
	v_fmac_f32_e32 v1, v25, v17
	v_fmac_f32_e32 v1, v26, v18
	s_delay_alu instid0(VALU_DEP_1)
	v_fmac_f32_e32 v1, v27, v19
	s_cbranch_scc0 .LBB19_29
; %bb.30:                               ;   in Loop: Header=BB19_23 Depth=1
	s_mov_b32 s4, s12
.LBB19_31:                              ;   in Loop: Header=BB19_23 Depth=1
	s_and_not1_b32 vcc_lo, exec_lo, s8
	s_cbranch_vccnz .LBB19_21
; %bb.32:                               ;   in Loop: Header=BB19_23 Depth=1
	v_lshl_add_u64 v[10:11], s[4:5], 2, v[4:5]
	s_lshl_b32 s4, s4, 2
	s_mov_b32 s17, s14
.LBB19_33:                              ;   Parent Loop BB19_23 Depth=1
                                        ; =>  This Inner Loop Header: Depth=2
	global_load_b32 v2, v[10:11], off
	v_mov_b32_e32 v12, s4
	s_wait_xcnt 0x0
	v_add_nc_u64_e32 v[10:11], 4, v[10:11]
	s_add_co_i32 s17, s17, -1
	s_add_co_i32 s4, s4, 4
	s_cmp_lg_u32 s17, 0
	ds_load_b32 v12, v12
	s_wait_loadcnt_dscnt 0x0
	v_fmac_f32_e32 v1, v12, v2
	s_cbranch_scc1 .LBB19_33
	s_branch .LBB19_21
.LBB19_34:
	s_endpgm
	.section	.rodata,"a",@progbits
	.p2align	6, 0x0
	.amdhsa_kernel _ZL22rocblas_gemvtsm_kernelILb0ELi256EfffEviiT2_lPKT1_lilS3_lilS0_lPT3_lil
		.amdhsa_group_segment_fixed_size 256
		.amdhsa_private_segment_fixed_size 0
		.amdhsa_kernarg_size 136
		.amdhsa_user_sgpr_count 2
		.amdhsa_user_sgpr_dispatch_ptr 0
		.amdhsa_user_sgpr_queue_ptr 0
		.amdhsa_user_sgpr_kernarg_segment_ptr 1
		.amdhsa_user_sgpr_dispatch_id 0
		.amdhsa_user_sgpr_kernarg_preload_length 0
		.amdhsa_user_sgpr_kernarg_preload_offset 0
		.amdhsa_user_sgpr_private_segment_size 0
		.amdhsa_wavefront_size32 1
		.amdhsa_uses_dynamic_stack 0
		.amdhsa_enable_private_segment 0
		.amdhsa_system_sgpr_workgroup_id_x 1
		.amdhsa_system_sgpr_workgroup_id_y 0
		.amdhsa_system_sgpr_workgroup_id_z 0
		.amdhsa_system_sgpr_workgroup_info 0
		.amdhsa_system_vgpr_workitem_id 0
		.amdhsa_next_free_vgpr 28
		.amdhsa_next_free_sgpr 26
		.amdhsa_named_barrier_count 0
		.amdhsa_reserve_vcc 1
		.amdhsa_float_round_mode_32 0
		.amdhsa_float_round_mode_16_64 0
		.amdhsa_float_denorm_mode_32 3
		.amdhsa_float_denorm_mode_16_64 3
		.amdhsa_fp16_overflow 0
		.amdhsa_memory_ordered 1
		.amdhsa_forward_progress 1
		.amdhsa_inst_pref_size 10
		.amdhsa_round_robin_scheduling 0
		.amdhsa_exception_fp_ieee_invalid_op 0
		.amdhsa_exception_fp_denorm_src 0
		.amdhsa_exception_fp_ieee_div_zero 0
		.amdhsa_exception_fp_ieee_overflow 0
		.amdhsa_exception_fp_ieee_underflow 0
		.amdhsa_exception_fp_ieee_inexact 0
		.amdhsa_exception_int_div_zero 0
	.end_amdhsa_kernel
	.section	.text._ZL22rocblas_gemvtsm_kernelILb0ELi256EfffEviiT2_lPKT1_lilS3_lilS0_lPT3_lil,"axG",@progbits,_ZL22rocblas_gemvtsm_kernelILb0ELi256EfffEviiT2_lPKT1_lilS3_lilS0_lPT3_lil,comdat
.Lfunc_end19:
	.size	_ZL22rocblas_gemvtsm_kernelILb0ELi256EfffEviiT2_lPKT1_lilS3_lilS0_lPT3_lil, .Lfunc_end19-_ZL22rocblas_gemvtsm_kernelILb0ELi256EfffEviiT2_lPKT1_lilS3_lilS0_lPT3_lil
                                        ; -- End function
	.set _ZL22rocblas_gemvtsm_kernelILb0ELi256EfffEviiT2_lPKT1_lilS3_lilS0_lPT3_lil.num_vgpr, 28
	.set _ZL22rocblas_gemvtsm_kernelILb0ELi256EfffEviiT2_lPKT1_lilS3_lilS0_lPT3_lil.num_agpr, 0
	.set _ZL22rocblas_gemvtsm_kernelILb0ELi256EfffEviiT2_lPKT1_lilS3_lilS0_lPT3_lil.numbered_sgpr, 26
	.set _ZL22rocblas_gemvtsm_kernelILb0ELi256EfffEviiT2_lPKT1_lilS3_lilS0_lPT3_lil.num_named_barrier, 0
	.set _ZL22rocblas_gemvtsm_kernelILb0ELi256EfffEviiT2_lPKT1_lilS3_lilS0_lPT3_lil.private_seg_size, 0
	.set _ZL22rocblas_gemvtsm_kernelILb0ELi256EfffEviiT2_lPKT1_lilS3_lilS0_lPT3_lil.uses_vcc, 1
	.set _ZL22rocblas_gemvtsm_kernelILb0ELi256EfffEviiT2_lPKT1_lilS3_lilS0_lPT3_lil.uses_flat_scratch, 0
	.set _ZL22rocblas_gemvtsm_kernelILb0ELi256EfffEviiT2_lPKT1_lilS3_lilS0_lPT3_lil.has_dyn_sized_stack, 0
	.set _ZL22rocblas_gemvtsm_kernelILb0ELi256EfffEviiT2_lPKT1_lilS3_lilS0_lPT3_lil.has_recursion, 0
	.set _ZL22rocblas_gemvtsm_kernelILb0ELi256EfffEviiT2_lPKT1_lilS3_lilS0_lPT3_lil.has_indirect_call, 0
	.section	.AMDGPU.csdata,"",@progbits
; Kernel info:
; codeLenInByte = 1180
; TotalNumSgprs: 28
; NumVgprs: 28
; ScratchSize: 0
; MemoryBound: 0
; FloatMode: 240
; IeeeMode: 1
; LDSByteSize: 256 bytes/workgroup (compile time only)
; SGPRBlocks: 0
; VGPRBlocks: 1
; NumSGPRsForWavesPerEU: 28
; NumVGPRsForWavesPerEU: 28
; NamedBarCnt: 0
; Occupancy: 16
; WaveLimiterHint : 1
; COMPUTE_PGM_RSRC2:SCRATCH_EN: 0
; COMPUTE_PGM_RSRC2:USER_SGPR: 2
; COMPUTE_PGM_RSRC2:TRAP_HANDLER: 0
; COMPUTE_PGM_RSRC2:TGID_X_EN: 1
; COMPUTE_PGM_RSRC2:TGID_Y_EN: 0
; COMPUTE_PGM_RSRC2:TGID_Z_EN: 0
; COMPUTE_PGM_RSRC2:TIDIG_COMP_CNT: 0
	.section	.text._ZL23rocblas_gemvt_sn_kernelILb0ELi256ELi4EifPKffEviiT4_lPKT3_lilS5_lilPT5_i,"axG",@progbits,_ZL23rocblas_gemvt_sn_kernelILb0ELi256ELi4EifPKffEviiT4_lPKT3_lilS5_lilPT5_i,comdat
	.globl	_ZL23rocblas_gemvt_sn_kernelILb0ELi256ELi4EifPKffEviiT4_lPKT3_lilS5_lilPT5_i ; -- Begin function _ZL23rocblas_gemvt_sn_kernelILb0ELi256ELi4EifPKffEviiT4_lPKT3_lilS5_lilPT5_i
	.p2align	8
	.type	_ZL23rocblas_gemvt_sn_kernelILb0ELi256ELi4EifPKffEviiT4_lPKT3_lilS5_lilPT5_i,@function
_ZL23rocblas_gemvt_sn_kernelILb0ELi256ELi4EifPKffEviiT4_lPKT3_lilS5_lilPT5_i: ; @_ZL23rocblas_gemvt_sn_kernelILb0ELi256ELi4EifPKffEviiT4_lPKT3_lilS5_lilPT5_i
; %bb.0:
	s_load_b32 s11, s[0:1], 0x60
	s_bfe_u32 s2, ttmp6, 0x40014
	s_lshr_b32 s3, ttmp7, 16
	s_add_co_i32 s2, s2, 1
	s_bfe_u32 s5, ttmp6, 0x40008
	s_mul_i32 s2, s3, s2
	s_getreg_b32 s4, hwreg(HW_REG_IB_STS2, 6, 4)
	s_add_co_i32 s5, s5, s2
	s_cmp_eq_u32 s4, 0
	s_mov_b32 s31, 0
	s_cselect_b32 s28, s3, s5
	s_wait_kmcnt 0x0
	s_cmp_ge_u32 s28, s11
	s_cbranch_scc1 .LBB20_88
; %bb.1:
	s_clause 0x6
	s_load_b96 s[8:10], s[0:1], 0x40
	s_load_b256 s[12:19], s[0:1], 0x8
	s_load_b64 s[34:35], s[0:1], 0x0
	s_load_b32 s36, s[0:1], 0x28
	s_load_b128 s[20:23], s[0:1], 0x30
	s_load_b128 s[24:27], s[0:1], 0x50
	s_load_b32 s38, s[0:1], 0x68
	s_wait_xcnt 0x0
	v_cmp_eq_u32_e64 s0, 0, v0
	v_dual_lshrrev_b32 v2, 3, v0 :: v_dual_bitop2_b32 v1, 31, v0 bitop3:0x40
	v_cmp_gt_u32_e64 s1, 32, v0
	v_cmp_gt_u32_e64 s2, 8, v0
	v_mbcnt_lo_u32_b32 v38, -1, 0
	s_delay_alu instid0(VALU_DEP_4)
	v_cmp_eq_u32_e64 s3, 0, v1
	v_dual_lshlrev_b32 v36, 2, v1 :: v_dual_bitop2_b32 v37, 28, v2 bitop3:0x40
	v_mov_b64_e32 v[18:19], 0
	s_mov_b32 s39, s31
	s_mov_b32 s41, s31
	v_lshl_or_b32 v39, v38, 2, 64
	s_wait_kmcnt 0x0
	s_lshl_b64 s[6:7], s[8:9], 2
	s_lshl_b64 s[8:9], s[18:19], 2
	s_ashr_i32 s47, s35, 31
	s_cmp_gt_i32 s35, 0
	s_add_nc_u64 s[18:19], s[22:23], s[6:7]
	s_cselect_b32 s5, -1, 0
	s_bfe_u32 s29, ttmp6, 0x4000c
	s_and_b32 s6, ttmp6, 15
	s_add_co_i32 s29, s29, 1
	s_and_b32 s33, s0, s5
	s_mul_i32 s7, ttmp9, s29
	s_mov_b32 s46, s35
	s_add_co_i32 s6, s6, s7
	s_cmp_eq_u32 s4, 0
	s_add_nc_u64 s[4:5], s[16:17], s[8:9]
	s_cselect_b32 s40, ttmp9, s6
	s_ashr_i32 s7, s34, 31
	s_lshl_b32 s6, s40, 10
	s_lshr_b32 s7, s7, 30
	v_lshl_or_b32 v0, v0, 2, s6
	s_lshr_b32 s6, s47, 30
	s_add_co_i32 s7, s34, s7
	s_add_co_i32 s6, s35, s6
	s_and_b32 s7, s7, -4
	v_mul_lo_u32 v8, s10, v0
	s_and_b32 s72, s6, -4
	s_sub_co_i32 s73, s34, s7
	s_cmp_gt_i32 s72, 0
	v_dual_ashrrev_i32 v1, 31, v0 :: v_dual_add_nc_u32 v2, 4, v0
	s_cselect_b32 s74, -1, 0
	s_cmp_gt_i32 s73, 0
	s_mul_u64 s[16:17], s[46:47], s[38:39]
	s_cselect_b32 s75, -1, 0
	s_cmp_gt_u32 s35, 1
	s_delay_alu instid0(VALU_DEP_2) | instskip(SKIP_3) | instid1(VALU_DEP_2)
	v_dual_add_nc_u32 v10, s10, v8 :: v_dual_ashrrev_i32 v9, 31, v8
	v_add_nc_u32_e32 v3, s73, v0
	s_cselect_b32 s6, -1, 0
	s_cmp_eq_u32 s38, 1
	v_add_nc_u32_e32 v14, s10, v10
	s_cselect_b32 s7, -1, 0
	v_lshl_add_u64 v[12:13], v[0:1], 2, s[4:5]
	v_cmp_ge_i32_e64 s4, s34, v2
	v_cmp_ge_i32_e64 s5, s34, v3
	v_dual_add_nc_u32 v16, s10, v14 :: v_dual_ashrrev_i32 v15, 31, v14
	s_and_b32 s34, s35, 0x7ffffffe
	s_and_b32 s76, s6, s7
	s_cmp_lg_u32 s35, s34
	s_delay_alu instid0(VALU_DEP_1)
	v_dual_ashrrev_i32 v11, 31, v10 :: v_dual_ashrrev_i32 v17, 31, v16
	s_cselect_b32 s77, -1, 0
	s_lshl_b32 s30, s36, 1
	v_mov_b32_e32 v0, 0
	s_lshl_b64 s[22:23], s[40:41], 2
	s_mov_b64 s[52:53], s[30:31]
	s_mul_i32 s30, s36, 3
	s_add_nc_u64 s[42:43], s[26:27], s[22:23]
	s_lshl_b64 s[44:45], s[16:17], 2
	s_lshl_b64 s[46:47], s[46:47], 2
	;; [unrolled: 1-line block ×3, first 2 shown]
	s_mov_b32 s37, s31
	s_lshl_b32 s50, s36, 2
	s_mov_b32 s51, s31
	s_mov_b64 s[54:55], s[30:31]
	s_lshl_b64 s[56:57], s[20:21], 2
	s_branch .LBB20_3
.LBB20_2:                               ;   in Loop: Header=BB20_3 Depth=1
	s_add_co_i32 s28, s28, 0x10000
	s_delay_alu instid0(SALU_CYCLE_1)
	s_cmp_lt_u32 s28, s11
	s_cbranch_scc0 .LBB20_88
.LBB20_3:                               ; =>This Loop Header: Depth=1
                                        ;     Child Loop BB20_7 Depth 2
                                        ;     Child Loop BB20_11 Depth 2
	;; [unrolled: 1-line block ×3, first 2 shown]
                                        ;       Child Loop BB20_48 Depth 3
                                        ;       Child Loop BB20_51 Depth 3
                                        ;     Child Loop BB20_67 Depth 2
                                        ;       Child Loop BB20_80 Depth 3
                                        ;       Child Loop BB20_83 Depth 3
	s_mov_b32 s29, s31
	s_delay_alu instid0(SALU_CYCLE_1) | instskip(NEXT) | instid1(SALU_CYCLE_1)
	s_mul_u64 s[6:7], s[14:15], s[28:29]
	s_lshl_b64 s[6:7], s[6:7], 2
	s_delay_alu instid0(SALU_CYCLE_1)
	s_add_nc_u64 s[6:7], s[12:13], s[6:7]
	global_load_b32 v40, v0, s[6:7]
	s_wait_xcnt 0x0
	s_mov_b32 s6, -1
	s_wait_loadcnt 0x0
	v_cmp_neq_f32_e32 vcc_lo, 0, v40
	s_cbranch_vccnz .LBB20_13
; %bb.4:                                ;   in Loop: Header=BB20_3 Depth=1
	s_and_saveexec_b32 s8, s33
	s_cbranch_execz .LBB20_12
; %bb.5:                                ;   in Loop: Header=BB20_3 Depth=1
	s_and_not1_b32 vcc_lo, exec_lo, s76
	s_cbranch_vccnz .LBB20_9
; %bb.6:                                ;   in Loop: Header=BB20_3 Depth=1
	s_mul_u64 s[6:7], s[44:45], s[28:29]
	s_mov_b32 s9, s34
	s_add_nc_u64 s[6:7], s[42:43], s[6:7]
.LBB20_7:                               ;   Parent Loop BB20_3 Depth=1
                                        ; =>  This Inner Loop Header: Depth=2
	s_add_co_i32 s9, s9, -2
	global_store_b64 v0, v[18:19], s[6:7]
	s_wait_xcnt 0x0
	s_add_nc_u64 s[6:7], s[6:7], 8
	s_mov_b32 s30, s34
	s_cmp_lg_u32 s9, 0
	s_mov_b32 s41, s77
	s_cbranch_scc1 .LBB20_7
; %bb.8:                                ;   in Loop: Header=BB20_3 Depth=1
	s_and_b32 vcc_lo, exec_lo, s41
	s_cbranch_vccnz .LBB20_10
	s_branch .LBB20_12
.LBB20_9:                               ;   in Loop: Header=BB20_3 Depth=1
	s_mov_b32 s30, 0
	s_cbranch_execz .LBB20_12
.LBB20_10:                              ;   in Loop: Header=BB20_3 Depth=1
	s_mul_u64 s[6:7], s[46:47], s[28:29]
	s_lshl_b64 s[58:59], s[30:31], 2
	s_sub_co_i32 s9, s35, s30
	s_add_nc_u64 s[6:7], s[6:7], s[58:59]
	s_delay_alu instid0(SALU_CYCLE_1) | instskip(NEXT) | instid1(SALU_CYCLE_1)
	s_mul_u64 s[6:7], s[38:39], s[6:7]
	s_add_nc_u64 s[6:7], s[42:43], s[6:7]
.LBB20_11:                              ;   Parent Loop BB20_3 Depth=1
                                        ; =>  This Inner Loop Header: Depth=2
	s_add_co_i32 s9, s9, -1
	global_store_b32 v0, v0, s[6:7]
	s_cmp_eq_u32 s9, 0
	s_wait_xcnt 0x0
	s_add_nc_u64 s[6:7], s[6:7], s[48:49]
	s_cbranch_scc0 .LBB20_11
.LBB20_12:                              ;   in Loop: Header=BB20_3 Depth=1
	s_or_b32 exec_lo, exec_lo, s8
	s_mov_b32 s6, 0
.LBB20_13:                              ;   in Loop: Header=BB20_3 Depth=1
	s_delay_alu instid0(SALU_CYCLE_1)
	s_and_not1_b32 vcc_lo, exec_lo, s6
	s_cbranch_vccnz .LBB20_2
; %bb.14:                               ;   in Loop: Header=BB20_3 Depth=1
	s_mul_u64 s[6:7], s[24:25], s[28:29]
	s_mul_u64 s[8:9], s[56:57], s[28:29]
	s_lshl_b64 s[6:7], s[6:7], 2
	s_mul_u64 s[60:61], s[20:21], s[28:29]
	s_add_nc_u64 s[58:59], s[18:19], s[6:7]
	v_add_nc_u64_e32 v[30:31], s[8:9], v[12:13]
	s_mul_u64 s[62:63], s[16:17], s[28:29]
	v_lshl_add_u64 v[20:21], s[60:61], 2, v[12:13]
	v_lshl_add_u64 v[22:23], v[8:9], 2, s[58:59]
	;; [unrolled: 1-line block ×5, first 2 shown]
	v_cmp_gt_u32_e64 s9, 24, v38
	v_cmp_gt_u32_e64 s8, 28, v38
	;; [unrolled: 1-line block ×3, first 2 shown]
	v_cmp_ne_u32_e64 s6, 31, v38
	s_lshl_b64 s[60:61], s[62:63], 2
	s_and_not1_b32 vcc_lo, exec_lo, s74
	s_add_nc_u64 s[60:61], s[26:27], s[60:61]
	s_cbranch_vccnz .LBB20_63
; %bb.15:                               ;   in Loop: Header=BB20_3 Depth=1
	v_cndmask_b32_e64 v1, 0, 8, s9
	v_cndmask_b32_e64 v4, 0, 4, s8
	;; [unrolled: 1-line block ×3, first 2 shown]
	s_wait_dscnt 0x0
	v_add_co_ci_u32_e64 v6, null, 0, v38, s6
	v_add_lshl_u32 v41, v1, v38, 2
	v_dual_mov_b32 v1, v0 :: v_dual_mov_b32 v2, v0
	s_delay_alu instid0(VALU_DEP_3) | instskip(SKIP_3) | instid1(VALU_DEP_3)
	v_dual_mov_b32 v3, v0 :: v_dual_lshlrev_b32 v44, 2, v6
	v_add_lshl_u32 v42, v4, v38, 2
	v_add_lshl_u32 v43, v5, v38, 2
	s_mov_b32 s62, 0
	v_mov_b64_e32 v[4:5], v[2:3]
	v_mov_b64_e32 v[2:3], v[0:1]
	s_mov_b64 s[64:65], s[54:55]
	s_mov_b64 s[66:67], s[52:53]
	;; [unrolled: 1-line block ×3, first 2 shown]
	s_mov_b32 s30, s62
	s_branch .LBB20_17
.LBB20_16:                              ;   in Loop: Header=BB20_17 Depth=2
	s_wait_xcnt 0x0
	s_or_b32 exec_lo, exec_lo, s6
	s_add_co_i32 s30, s30, 4
	s_add_co_i32 s62, s62, s50
	s_add_nc_u64 s[68:69], s[68:69], s[50:51]
	s_add_nc_u64 s[66:67], s[66:67], s[50:51]
	s_cmp_ge_i32 s30, s72
	s_add_nc_u64 s[64:65], s[64:65], s[50:51]
	s_cbranch_scc1 .LBB20_64
.LBB20_17:                              ;   Parent Loop BB20_3 Depth=1
                                        ; =>  This Loop Header: Depth=2
                                        ;       Child Loop BB20_48 Depth 3
                                        ;       Child Loop BB20_51 Depth 3
                                        ; implicit-def: $vgpr7
                                        ; implicit-def: $vgpr33
	s_and_saveexec_b32 s6, s4
	s_delay_alu instid0(SALU_CYCLE_1)
	s_xor_b32 s6, exec_lo, s6
	s_cbranch_execnz .LBB20_44
; %bb.18:                               ;   in Loop: Header=BB20_17 Depth=2
	s_and_not1_saveexec_b32 s9, s6
	s_cbranch_execnz .LBB20_45
.LBB20_19:                              ;   in Loop: Header=BB20_17 Depth=2
	s_or_b32 exec_lo, exec_lo, s9
	s_and_saveexec_b32 s6, s1
.LBB20_20:                              ;   in Loop: Header=BB20_17 Depth=2
	ds_store_b32 v36, v0
.LBB20_21:                              ;   in Loop: Header=BB20_17 Depth=2
	s_or_b32 exec_lo, exec_lo, s6
	ds_bpermute_b32 v1, v39, v32
	s_wait_storecnt_dscnt 0x0
	s_barrier_signal -1
	s_barrier_wait -1
	v_add_f32_e32 v1, v32, v1
	ds_bpermute_b32 v32, v41, v1
	s_wait_dscnt 0x0
	v_add_f32_e32 v1, v1, v32
	ds_bpermute_b32 v32, v42, v1
	s_wait_dscnt 0x0
	;; [unrolled: 3-line block ×3, first 2 shown]
	v_add_f32_e32 v1, v1, v32
	ds_bpermute_b32 v32, v44, v1
	s_and_saveexec_b32 s6, s3
	s_cbranch_execz .LBB20_23
; %bb.22:                               ;   in Loop: Header=BB20_17 Depth=2
	s_wait_dscnt 0x0
	v_add_f32_e32 v1, v1, v32
	ds_store_b32 v37, v1
.LBB20_23:                              ;   in Loop: Header=BB20_17 Depth=2
	s_or_b32 exec_lo, exec_lo, s6
	v_mov_b32_e32 v1, 0
	s_wait_dscnt 0x0
	s_barrier_signal -1
	s_barrier_wait -1
	s_and_saveexec_b32 s6, s2
	s_cbranch_execnz .LBB20_52
; %bb.24:                               ;   in Loop: Header=BB20_17 Depth=2
	s_or_b32 exec_lo, exec_lo, s6
	s_and_saveexec_b32 s6, s1
	s_cbranch_execnz .LBB20_53
.LBB20_25:                              ;   in Loop: Header=BB20_17 Depth=2
	s_or_b32 exec_lo, exec_lo, s6
	s_and_saveexec_b32 s6, s1
.LBB20_26:                              ;   in Loop: Header=BB20_17 Depth=2
	ds_store_b32 v36, v0
.LBB20_27:                              ;   in Loop: Header=BB20_17 Depth=2
	s_or_b32 exec_lo, exec_lo, s6
	ds_bpermute_b32 v32, v39, v33
	s_wait_dscnt 0x0
	s_barrier_signal -1
	s_barrier_wait -1
	v_add_f32_e32 v32, v33, v32
	ds_bpermute_b32 v33, v41, v32
	s_wait_dscnt 0x0
	v_add_f32_e32 v32, v32, v33
	ds_bpermute_b32 v33, v42, v32
	s_wait_dscnt 0x0
	;; [unrolled: 3-line block ×3, first 2 shown]
	v_add_f32_e32 v32, v32, v33
	ds_bpermute_b32 v33, v44, v32
	s_and_saveexec_b32 s6, s3
	s_cbranch_execz .LBB20_29
; %bb.28:                               ;   in Loop: Header=BB20_17 Depth=2
	s_wait_dscnt 0x0
	v_add_f32_e32 v32, v32, v33
	ds_store_b32 v37, v32
.LBB20_29:                              ;   in Loop: Header=BB20_17 Depth=2
	s_or_b32 exec_lo, exec_lo, s6
	v_mov_b32_e32 v32, 0
	s_wait_dscnt 0x0
	s_barrier_signal -1
	s_barrier_wait -1
	s_and_saveexec_b32 s6, s2
	s_cbranch_execnz .LBB20_54
; %bb.30:                               ;   in Loop: Header=BB20_17 Depth=2
	s_or_b32 exec_lo, exec_lo, s6
	s_and_saveexec_b32 s6, s1
	s_cbranch_execnz .LBB20_55
.LBB20_31:                              ;   in Loop: Header=BB20_17 Depth=2
	s_or_b32 exec_lo, exec_lo, s6
	s_and_saveexec_b32 s6, s1
.LBB20_32:                              ;   in Loop: Header=BB20_17 Depth=2
	ds_store_b32 v36, v0
.LBB20_33:                              ;   in Loop: Header=BB20_17 Depth=2
	s_or_b32 exec_lo, exec_lo, s6
	ds_bpermute_b32 v33, v39, v6
	s_wait_dscnt 0x0
	s_barrier_signal -1
	s_barrier_wait -1
	v_add_f32_e32 v6, v6, v33
	ds_bpermute_b32 v33, v41, v6
	s_wait_dscnt 0x0
	v_add_f32_e32 v6, v6, v33
	ds_bpermute_b32 v33, v42, v6
	s_wait_dscnt 0x0
	;; [unrolled: 3-line block ×3, first 2 shown]
	v_add_f32_e32 v6, v6, v33
	ds_bpermute_b32 v33, v44, v6
	s_and_saveexec_b32 s6, s3
	s_cbranch_execz .LBB20_35
; %bb.34:                               ;   in Loop: Header=BB20_17 Depth=2
	s_wait_dscnt 0x0
	v_add_f32_e32 v6, v6, v33
	ds_store_b32 v37, v6
.LBB20_35:                              ;   in Loop: Header=BB20_17 Depth=2
	s_or_b32 exec_lo, exec_lo, s6
	v_mov_b32_e32 v6, 0
	s_wait_dscnt 0x0
	s_barrier_signal -1
	s_barrier_wait -1
	s_and_saveexec_b32 s6, s2
	s_cbranch_execnz .LBB20_56
; %bb.36:                               ;   in Loop: Header=BB20_17 Depth=2
	s_or_b32 exec_lo, exec_lo, s6
	s_and_saveexec_b32 s6, s1
	s_cbranch_execnz .LBB20_57
.LBB20_37:                              ;   in Loop: Header=BB20_17 Depth=2
	s_or_b32 exec_lo, exec_lo, s6
	s_and_saveexec_b32 s6, s1
.LBB20_38:                              ;   in Loop: Header=BB20_17 Depth=2
	ds_store_b32 v36, v0
.LBB20_39:                              ;   in Loop: Header=BB20_17 Depth=2
	s_or_b32 exec_lo, exec_lo, s6
	ds_bpermute_b32 v33, v39, v7
	s_wait_dscnt 0x0
	s_barrier_signal -1
	s_barrier_wait -1
	v_add_f32_e32 v7, v7, v33
	ds_bpermute_b32 v33, v41, v7
	s_wait_dscnt 0x0
	v_add_f32_e32 v7, v7, v33
	ds_bpermute_b32 v33, v42, v7
	s_wait_dscnt 0x0
	;; [unrolled: 3-line block ×3, first 2 shown]
	v_add_f32_e32 v7, v7, v33
	ds_bpermute_b32 v33, v44, v7
	s_and_saveexec_b32 s6, s3
	s_cbranch_execz .LBB20_41
; %bb.40:                               ;   in Loop: Header=BB20_17 Depth=2
	s_wait_dscnt 0x0
	v_add_f32_e32 v7, v7, v33
	ds_store_b32 v37, v7
.LBB20_41:                              ;   in Loop: Header=BB20_17 Depth=2
	s_or_b32 exec_lo, exec_lo, s6
	v_mov_b32_e32 v7, 0
	s_wait_dscnt 0x0
	s_barrier_signal -1
	s_barrier_wait -1
	s_and_saveexec_b32 s6, s2
	s_cbranch_execnz .LBB20_58
; %bb.42:                               ;   in Loop: Header=BB20_17 Depth=2
	s_or_b32 exec_lo, exec_lo, s6
	s_and_saveexec_b32 s6, s1
	s_cbranch_execnz .LBB20_59
.LBB20_43:                              ;   in Loop: Header=BB20_17 Depth=2
	s_or_b32 exec_lo, exec_lo, s6
	s_and_saveexec_b32 s6, s0
	s_cbranch_execz .LBB20_16
	s_branch .LBB20_60
.LBB20_44:                              ;   in Loop: Header=BB20_17 Depth=2
	s_mul_i32 s8, s30, s36
	s_delay_alu instid0(SALU_CYCLE_1)
	s_ashr_i32 s9, s8, 31
	s_add_co_i32 s70, s8, s36
	s_wait_dscnt 0x0
	v_lshl_add_u64 v[6:7], s[8:9], 2, v[20:21]
	s_add_co_i32 s8, s70, s36
	s_ashr_i32 s71, s70, 31
	s_add_co_i32 s78, s8, s36
	s_ashr_i32 s9, s8, 31
	s_ashr_i32 s79, s78, 31
	v_lshl_add_u64 v[50:51], s[70:71], 2, v[20:21]
	v_lshl_add_u64 v[32:33], s[78:79], 2, v[20:21]
	;; [unrolled: 1-line block ×3, first 2 shown]
	s_clause 0x2
	global_load_b32 v2, v[22:23], off
	global_load_b32 v3, v[24:25], off
	;; [unrolled: 1-line block ×3, first 2 shown]
	s_clause 0x3
	global_load_b128 v[32:35], v[32:33], off
	global_load_b128 v[46:49], v[6:7], off
	;; [unrolled: 1-line block ×4, first 2 shown]
	global_load_b32 v4, v[26:27], off
	s_wait_loadcnt 0x5
	s_wait_xcnt 0x3
	v_dual_mov_b32 v6, v3 :: v_dual_mov_b32 v58, v5
	s_wait_loadcnt 0x4
	v_pk_mul_f32 v[32:33], v[2:3], v[32:33]
	s_wait_loadcnt 0x3
	v_dual_mov_b32 v60, v46 :: v_dual_mov_b32 v46, v48
	s_wait_loadcnt 0x2
	v_mov_b32_e32 v61, v50
	s_wait_loadcnt 0x1
	s_wait_xcnt 0x2
	v_dual_mul_f32 v62, v2, v54 :: v_dual_mov_b32 v50, v47
	v_dual_mov_b32 v63, v32 :: v_dual_mul_f32 v32, v3, v55
	v_mov_b32_e32 v47, v52
	s_wait_loadcnt 0x0
	v_pk_mul_f32 v[34:35], v[4:5], v[34:35]
	v_pk_fma_f32 v[60:61], v[2:3], v[60:61], 0 op_sel_hi:[0,1,0]
	s_wait_xcnt 0x1
	v_pk_add_f32 v[54:55], v[62:63], 0 op_sel_hi:[1,0]
	v_dual_mul_f32 v62, v4, v56 :: v_dual_mov_b32 v52, v49
	v_mov_b32_e32 v63, v34
	v_pk_fma_f32 v[6:7], v[6:7], v[50:51], v[60:61] op_sel_hi:[0,1,1]
	s_delay_alu instid0(VALU_DEP_4) | instskip(SKIP_1) | instid1(VALU_DEP_3)
	v_pk_add_f32 v[32:33], v[54:55], v[32:33]
	v_mul_f32_e32 v34, v5, v57
	v_pk_fma_f32 v[46:47], v[4:5], v[46:47], v[6:7] op_sel_hi:[0,1,1]
	s_delay_alu instid0(VALU_DEP_3) | instskip(NEXT) | instid1(VALU_DEP_1)
	v_pk_add_f32 v[32:33], v[32:33], v[62:63]
	v_pk_add_f32 v[6:7], v[32:33], v[34:35]
	s_delay_alu instid0(VALU_DEP_3)
	v_pk_fma_f32 v[32:33], v[58:59], v[52:53], v[46:47] op_sel_hi:[0,1,1]
	s_wait_xcnt 0x0
	s_and_not1_saveexec_b32 s9, s6
	s_cbranch_execz .LBB20_19
.LBB20_45:                              ;   in Loop: Header=BB20_17 Depth=2
	s_wait_dscnt 0x0
	v_dual_mov_b32 v7, 0 :: v_dual_mov_b32 v6, 0
	v_dual_mov_b32 v33, 0 :: v_dual_mov_b32 v32, 0
	s_and_saveexec_b32 s29, s5
	s_cbranch_execz .LBB20_62
; %bb.46:                               ;   in Loop: Header=BB20_17 Depth=2
	s_and_not1_b32 vcc_lo, exec_lo, s75
	s_cbranch_vccnz .LBB20_49
; %bb.47:                               ;   in Loop: Header=BB20_17 Depth=2
	v_mov_b32_e32 v1, v8
	s_mov_b64 s[70:71], 0
.LBB20_48:                              ;   Parent Loop BB20_3 Depth=1
                                        ;     Parent Loop BB20_17 Depth=2
                                        ; =>    This Inner Loop Header: Depth=3
	global_load_b32 v6, v1, s[58:59] scale_offset
	s_cmp_eq_u32 s70, 3
	s_cselect_b32 vcc_lo, -1, 0
	s_cmp_eq_u32 s70, 2
	s_wait_xcnt 0x0
	v_add_nc_u32_e32 v1, s10, v1
	s_cselect_b32 s6, -1, 0
	s_cmp_eq_u32 s70, 1
	s_cselect_b32 s7, -1, 0
	s_cmp_eq_u32 s70, 0
	s_add_nc_u64 s[70:71], s[70:71], 1
	s_cselect_b32 s8, -1, 0
	s_cmp_eq_u32 s73, s70
	s_wait_loadcnt 0x0
	v_dual_cndmask_b32 v5, v5, v6, vcc_lo :: v_dual_cndmask_b32 v4, v4, v6, s6
	v_dual_cndmask_b32 v3, v3, v6, s7 :: v_dual_cndmask_b32 v2, v2, v6, s8
	s_cbranch_scc0 .LBB20_48
.LBB20_49:                              ;   in Loop: Header=BB20_17 Depth=2
	s_and_not1_b32 vcc_lo, exec_lo, s75
	s_cbranch_vccnz .LBB20_61
; %bb.50:                               ;   in Loop: Header=BB20_17 Depth=2
	v_mov_b32_e32 v32, 0
	s_ashr_i32 s63, s62, 31
	s_mov_b64 s[6:7], 0
	v_lshl_add_u64 v[34:35], s[62:63], 2, v[30:31]
	s_delay_alu instid0(VALU_DEP_2)
	v_dual_mov_b32 v33, v32 :: v_dual_mov_b32 v6, v32
	v_mov_b32_e32 v7, v32
.LBB20_51:                              ;   Parent Loop BB20_3 Depth=1
                                        ;     Parent Loop BB20_17 Depth=2
                                        ; =>    This Inner Loop Header: Depth=3
	s_cmp_eq_u32 s6, 1
	s_cselect_b32 vcc_lo, -1, 0
	s_cmp_eq_u32 s6, 2
	v_cndmask_b32_e32 v1, v2, v3, vcc_lo
	s_cselect_b32 vcc_lo, -1, 0
	s_cmp_eq_u32 s6, 3
	s_delay_alu instid0(VALU_DEP_1)
	v_cndmask_b32_e32 v1, v1, v4, vcc_lo
	s_cselect_b32 vcc_lo, -1, 0
	s_add_co_i32 s78, s66, s6
	s_add_co_i32 s80, s64, s6
	;; [unrolled: 1-line block ×3, first 2 shown]
	s_ashr_i32 s79, s78, 31
	s_ashr_i32 s81, s80, 31
	;; [unrolled: 1-line block ×3, first 2 shown]
	v_lshl_add_u64 v[46:47], s[78:79], 2, v[20:21]
	v_lshl_add_u64 v[48:49], s[80:81], 2, v[20:21]
	s_wait_xcnt 0x0
	v_lshl_add_u64 v[50:51], s[70:71], 2, v[20:21]
	global_load_b32 v52, v[34:35], off
	s_clause 0x2
	global_load_b32 v46, v[46:47], off
	global_load_b32 v47, v[48:49], off
	;; [unrolled: 1-line block ×3, first 2 shown]
	s_wait_xcnt 0x1
	v_cndmask_b32_e32 v48, v1, v5, vcc_lo
	v_add_nc_u64_e32 v[34:35], 4, v[34:35]
	s_add_nc_u64 s[6:7], s[6:7], 1
	s_delay_alu instid0(SALU_CYCLE_1)
	s_cmp_lg_u32 s73, s6
	s_wait_loadcnt 0x1
	v_pk_fma_f32 v[6:7], v[48:49], v[46:47], v[6:7] op_sel_hi:[0,1,1]
	s_wait_loadcnt 0x0
	v_pk_fma_f32 v[32:33], v[48:49], v[52:53], v[32:33] op_sel_hi:[0,1,1]
	s_cbranch_scc1 .LBB20_51
	s_branch .LBB20_62
.LBB20_52:                              ;   in Loop: Header=BB20_17 Depth=2
	ds_load_b32 v1, v36
	s_or_b32 exec_lo, exec_lo, s6
	s_and_saveexec_b32 s6, s1
	s_cbranch_execz .LBB20_25
.LBB20_53:                              ;   in Loop: Header=BB20_17 Depth=2
	s_wait_dscnt 0x0
	ds_bpermute_b32 v32, v42, v1
	s_wait_dscnt 0x0
	v_add_f32_e32 v1, v1, v32
	ds_bpermute_b32 v32, v43, v1
	s_wait_dscnt 0x0
	v_add_f32_e32 v1, v1, v32
	;; [unrolled: 3-line block ×3, first 2 shown]
	s_or_b32 exec_lo, exec_lo, s6
	s_and_saveexec_b32 s6, s1
	s_cbranch_execnz .LBB20_26
	s_branch .LBB20_27
.LBB20_54:                              ;   in Loop: Header=BB20_17 Depth=2
	ds_load_b32 v32, v36
	s_or_b32 exec_lo, exec_lo, s6
	s_and_saveexec_b32 s6, s1
	s_cbranch_execz .LBB20_31
.LBB20_55:                              ;   in Loop: Header=BB20_17 Depth=2
	s_wait_dscnt 0x0
	ds_bpermute_b32 v33, v42, v32
	s_wait_dscnt 0x0
	v_add_f32_e32 v32, v32, v33
	ds_bpermute_b32 v33, v43, v32
	s_wait_dscnt 0x0
	v_add_f32_e32 v32, v32, v33
	;; [unrolled: 3-line block ×3, first 2 shown]
	s_or_b32 exec_lo, exec_lo, s6
	s_and_saveexec_b32 s6, s1
	s_cbranch_execnz .LBB20_32
	s_branch .LBB20_33
.LBB20_56:                              ;   in Loop: Header=BB20_17 Depth=2
	ds_load_b32 v6, v36
	s_or_b32 exec_lo, exec_lo, s6
	s_and_saveexec_b32 s6, s1
	s_cbranch_execz .LBB20_37
.LBB20_57:                              ;   in Loop: Header=BB20_17 Depth=2
	s_wait_dscnt 0x0
	ds_bpermute_b32 v33, v42, v6
	s_wait_dscnt 0x0
	v_add_f32_e32 v6, v6, v33
	ds_bpermute_b32 v33, v43, v6
	s_wait_dscnt 0x0
	v_add_f32_e32 v6, v6, v33
	ds_bpermute_b32 v33, v44, v6
	s_wait_dscnt 0x0
	v_add_f32_e32 v6, v6, v33
	s_or_b32 exec_lo, exec_lo, s6
	s_and_saveexec_b32 s6, s1
	s_cbranch_execnz .LBB20_38
	s_branch .LBB20_39
.LBB20_58:                              ;   in Loop: Header=BB20_17 Depth=2
	ds_load_b32 v7, v36
	s_or_b32 exec_lo, exec_lo, s6
	s_and_saveexec_b32 s6, s1
	s_cbranch_execz .LBB20_43
.LBB20_59:                              ;   in Loop: Header=BB20_17 Depth=2
	s_wait_dscnt 0x0
	ds_bpermute_b32 v33, v42, v7
	s_wait_dscnt 0x0
	v_add_f32_e32 v7, v7, v33
	ds_bpermute_b32 v33, v43, v7
	s_wait_dscnt 0x0
	v_add_f32_e32 v7, v7, v33
	;; [unrolled: 3-line block ×3, first 2 shown]
	s_or_b32 exec_lo, exec_lo, s6
	s_and_saveexec_b32 s6, s0
	s_cbranch_execz .LBB20_16
.LBB20_60:                              ;   in Loop: Header=BB20_17 Depth=2
	s_mul_i32 s7, s30, s38
	v_dual_mul_f32 v1, v40, v1 :: v_dual_mul_f32 v32, v40, v32
	s_add_co_i32 s7, s7, s40
	s_delay_alu instid0(SALU_CYCLE_1) | instskip(NEXT) | instid1(SALU_CYCLE_1)
	s_add_co_i32 s8, s7, s38
	v_dual_mov_b32 v33, s7 :: v_dual_mov_b32 v34, s8
	s_add_co_i32 s7, s8, s38
	s_delay_alu instid0(SALU_CYCLE_1)
	v_dual_mul_f32 v6, v40, v6 :: v_dual_mov_b32 v35, s7
	s_add_co_i32 s7, s7, s38
	s_wait_dscnt 0x0
	v_dual_mul_f32 v7, v40, v7 :: v_dual_mov_b32 v45, s7
	s_clause 0x3
	global_store_b32 v33, v1, s[60:61] scale_offset
	global_store_b32 v34, v32, s[60:61] scale_offset
	;; [unrolled: 1-line block ×4, first 2 shown]
	s_branch .LBB20_16
.LBB20_61:                              ;   in Loop: Header=BB20_17 Depth=2
	v_mov_b32_e32 v7, 0
	s_delay_alu instid0(VALU_DEP_1)
	v_dual_mov_b32 v6, v7 :: v_dual_mov_b32 v33, v7
	v_mov_b32_e32 v32, v7
.LBB20_62:                              ;   in Loop: Header=BB20_17 Depth=2
	s_wait_xcnt 0x0
	s_or_b32 exec_lo, exec_lo, s29
	s_delay_alu instid0(SALU_CYCLE_1)
	s_or_b32 exec_lo, exec_lo, s9
	s_and_saveexec_b32 s6, s1
	s_cbranch_execnz .LBB20_20
	s_branch .LBB20_21
.LBB20_63:                              ;   in Loop: Header=BB20_3 Depth=1
	v_dual_mov_b32 v1, v0 :: v_dual_mov_b32 v2, v0
	v_mov_b32_e32 v3, v0
	s_mov_b32 s30, 0
	s_delay_alu instid0(VALU_DEP_1) | instskip(NEXT) | instid1(VALU_DEP_3)
	v_mov_b64_e32 v[4:5], v[2:3]
	v_mov_b64_e32 v[2:3], v[0:1]
.LBB20_64:                              ;   in Loop: Header=BB20_3 Depth=1
	s_cmp_ge_i32 s30, s35
	s_cbranch_scc1 .LBB20_2
; %bb.65:                               ;   in Loop: Header=BB20_3 Depth=1
	v_cmp_gt_u32_e32 vcc_lo, 24, v38
	s_add_nc_u64 s[60:61], s[60:61], s[22:23]
	s_mul_i32 s62, s36, s30
	v_cndmask_b32_e64 v1, 0, 8, vcc_lo
	v_cmp_gt_u32_e32 vcc_lo, 28, v38
	s_delay_alu instid0(VALU_DEP_2) | instskip(SKIP_4) | instid1(VALU_DEP_2)
	v_add_lshl_u32 v1, v1, v38, 2
	s_wait_dscnt 0x0
	v_cndmask_b32_e64 v6, 0, 4, vcc_lo
	v_cmp_gt_u32_e32 vcc_lo, 30, v38
	s_wait_dscnt 0x0
	v_add_lshl_u32 v7, v6, v38, 2
	v_cndmask_b32_e64 v32, 0, 2, vcc_lo
	v_cmp_ne_u32_e32 vcc_lo, 31, v38
	s_delay_alu instid0(VALU_DEP_2) | instskip(SKIP_1) | instid1(VALU_DEP_1)
	v_add_lshl_u32 v34, v32, v38, 2
	v_add_co_ci_u32_e64 v33, null, 0, v38, vcc_lo
	v_lshlrev_b32_e32 v35, 2, v33
	s_branch .LBB20_67
.LBB20_66:                              ;   in Loop: Header=BB20_67 Depth=2
	s_wait_xcnt 0x0
	s_or_b32 exec_lo, exec_lo, s6
	s_add_co_i32 s30, s30, 1
	s_add_co_i32 s62, s62, s36
	s_cmp_ge_i32 s30, s35
	s_cbranch_scc1 .LBB20_2
.LBB20_67:                              ;   Parent Loop BB20_3 Depth=1
                                        ; =>  This Loop Header: Depth=2
                                        ;       Child Loop BB20_80 Depth 3
                                        ;       Child Loop BB20_83 Depth 3
	s_wait_dscnt 0x0
	v_mov_b32_e32 v6, s31
	s_and_saveexec_b32 s6, s4
	s_delay_alu instid0(SALU_CYCLE_1)
	s_xor_b32 s6, exec_lo, s6
	s_cbranch_execnz .LBB20_76
; %bb.68:                               ;   in Loop: Header=BB20_67 Depth=2
	s_and_not1_saveexec_b32 s9, s6
	s_cbranch_execnz .LBB20_77
.LBB20_69:                              ;   in Loop: Header=BB20_67 Depth=2
	s_or_b32 exec_lo, exec_lo, s9
	s_and_saveexec_b32 s6, s1
.LBB20_70:                              ;   in Loop: Header=BB20_67 Depth=2
	ds_store_b32 v36, v0
.LBB20_71:                              ;   in Loop: Header=BB20_67 Depth=2
	s_or_b32 exec_lo, exec_lo, s6
	ds_bpermute_b32 v32, v39, v6
	s_wait_storecnt_dscnt 0x0
	s_barrier_signal -1
	s_barrier_wait -1
	v_add_f32_e32 v6, v6, v32
	ds_bpermute_b32 v32, v1, v6
	s_wait_dscnt 0x0
	v_add_f32_e32 v6, v6, v32
	ds_bpermute_b32 v32, v7, v6
	s_wait_dscnt 0x0
	;; [unrolled: 3-line block ×3, first 2 shown]
	v_add_f32_e32 v6, v6, v32
	ds_bpermute_b32 v32, v35, v6
	s_and_saveexec_b32 s6, s3
	s_cbranch_execz .LBB20_73
; %bb.72:                               ;   in Loop: Header=BB20_67 Depth=2
	s_wait_dscnt 0x0
	v_add_f32_e32 v6, v6, v32
	ds_store_b32 v37, v6
.LBB20_73:                              ;   in Loop: Header=BB20_67 Depth=2
	s_or_b32 exec_lo, exec_lo, s6
	v_mov_b32_e32 v6, 0
	s_wait_dscnt 0x0
	s_barrier_signal -1
	s_barrier_wait -1
	s_and_saveexec_b32 s6, s2
	s_cbranch_execnz .LBB20_85
; %bb.74:                               ;   in Loop: Header=BB20_67 Depth=2
	s_or_b32 exec_lo, exec_lo, s6
	s_and_saveexec_b32 s6, s1
	s_cbranch_execnz .LBB20_86
.LBB20_75:                              ;   in Loop: Header=BB20_67 Depth=2
	s_or_b32 exec_lo, exec_lo, s6
	s_and_saveexec_b32 s6, s0
	s_cbranch_execz .LBB20_66
	s_branch .LBB20_87
.LBB20_76:                              ;   in Loop: Header=BB20_67 Depth=2
	s_mul_i32 s8, s30, s36
	s_delay_alu instid0(SALU_CYCLE_1) | instskip(NEXT) | instid1(SALU_CYCLE_1)
	s_ashr_i32 s9, s8, 31
	v_lshl_add_u64 v[2:3], s[8:9], 2, v[20:21]
	global_load_b128 v[42:45], v[2:3], off
	s_clause 0x3
	global_load_b32 v2, v[22:23], off
	global_load_b32 v3, v[24:25], off
	;; [unrolled: 1-line block ×4, first 2 shown]
	s_wait_loadcnt 0x2
	v_pk_mul_f32 v[32:33], v[2:3], v[42:43]
	s_delay_alu instid0(VALU_DEP_1) | instskip(NEXT) | instid1(VALU_DEP_1)
	v_add_f32_e32 v6, 0, v32
	v_add_f32_e32 v6, v6, v33
	s_wait_loadcnt 0x0
	v_pk_mul_f32 v[32:33], v[4:5], v[44:45]
	s_delay_alu instid0(VALU_DEP_1) | instskip(NEXT) | instid1(VALU_DEP_1)
	v_add_f32_e32 v6, v6, v32
	v_add_f32_e32 v6, v6, v33
	s_wait_xcnt 0x0
	s_and_not1_saveexec_b32 s9, s6
	s_cbranch_execz .LBB20_69
.LBB20_77:                              ;   in Loop: Header=BB20_67 Depth=2
	s_and_saveexec_b32 s29, s5
	s_cbranch_execz .LBB20_84
; %bb.78:                               ;   in Loop: Header=BB20_67 Depth=2
	s_and_not1_b32 vcc_lo, exec_lo, s75
	s_cbranch_vccnz .LBB20_81
; %bb.79:                               ;   in Loop: Header=BB20_67 Depth=2
	v_mov_b32_e32 v32, v8
	s_mov_b64 s[64:65], 0
.LBB20_80:                              ;   Parent Loop BB20_3 Depth=1
                                        ;     Parent Loop BB20_67 Depth=2
                                        ; =>    This Inner Loop Header: Depth=3
	global_load_b32 v33, v32, s[58:59] scale_offset
	s_cmp_eq_u32 s64, 3
	s_cselect_b32 vcc_lo, -1, 0
	s_cmp_eq_u32 s64, 2
	s_wait_xcnt 0x0
	v_add_nc_u32_e32 v32, s10, v32
	s_cselect_b32 s6, -1, 0
	s_cmp_eq_u32 s64, 1
	s_cselect_b32 s7, -1, 0
	s_cmp_eq_u32 s64, 0
	s_add_nc_u64 s[64:65], s[64:65], 1
	s_cselect_b32 s8, -1, 0
	s_cmp_eq_u32 s73, s64
	s_wait_loadcnt 0x0
	v_dual_cndmask_b32 v5, v5, v33, vcc_lo :: v_dual_cndmask_b32 v4, v4, v33, s6
	v_dual_cndmask_b32 v3, v3, v33, s7 :: v_dual_cndmask_b32 v2, v2, v33, s8
	s_cbranch_scc0 .LBB20_80
.LBB20_81:                              ;   in Loop: Header=BB20_67 Depth=2
	s_and_not1_b32 vcc_lo, exec_lo, s75
	s_cbranch_vccnz .LBB20_84
; %bb.82:                               ;   in Loop: Header=BB20_67 Depth=2
	s_ashr_i32 s63, s62, 31
	s_mov_b64 s[6:7], 0
	v_lshl_add_u64 v[32:33], s[62:63], 2, v[30:31]
.LBB20_83:                              ;   Parent Loop BB20_3 Depth=1
                                        ;     Parent Loop BB20_67 Depth=2
                                        ; =>    This Inner Loop Header: Depth=3
	global_load_b32 v41, v[32:33], off
	s_cmp_eq_u32 s6, 1
	s_wait_xcnt 0x0
	v_add_nc_u64_e32 v[32:33], 4, v[32:33]
	s_cselect_b32 vcc_lo, -1, 0
	s_cmp_eq_u32 s6, 2
	v_cndmask_b32_e32 v42, v2, v3, vcc_lo
	s_cselect_b32 vcc_lo, -1, 0
	s_cmp_eq_u32 s6, 3
	s_add_nc_u64 s[6:7], s[6:7], 1
	s_delay_alu instid0(VALU_DEP_1) | instskip(SKIP_2) | instid1(VALU_DEP_1)
	v_cndmask_b32_e32 v42, v42, v4, vcc_lo
	s_cselect_b32 vcc_lo, -1, 0
	s_cmp_lg_u32 s73, s6
	v_cndmask_b32_e32 v42, v42, v5, vcc_lo
	s_wait_loadcnt 0x0
	s_delay_alu instid0(VALU_DEP_1)
	v_fmac_f32_e32 v6, v42, v41
	s_cbranch_scc1 .LBB20_83
.LBB20_84:                              ;   in Loop: Header=BB20_67 Depth=2
	s_or_b32 exec_lo, exec_lo, s29
	s_delay_alu instid0(SALU_CYCLE_1)
	s_or_b32 exec_lo, exec_lo, s9
	s_and_saveexec_b32 s6, s1
	s_cbranch_execnz .LBB20_70
	s_branch .LBB20_71
.LBB20_85:                              ;   in Loop: Header=BB20_67 Depth=2
	ds_load_b32 v6, v36
	s_or_b32 exec_lo, exec_lo, s6
	s_and_saveexec_b32 s6, s1
	s_cbranch_execz .LBB20_75
.LBB20_86:                              ;   in Loop: Header=BB20_67 Depth=2
	s_wait_dscnt 0x0
	ds_bpermute_b32 v32, v7, v6
	s_wait_dscnt 0x0
	v_add_f32_e32 v6, v6, v32
	ds_bpermute_b32 v32, v34, v6
	s_wait_dscnt 0x0
	v_add_f32_e32 v6, v6, v32
	;; [unrolled: 3-line block ×3, first 2 shown]
	s_or_b32 exec_lo, exec_lo, s6
	s_and_saveexec_b32 s6, s0
	s_cbranch_execz .LBB20_66
.LBB20_87:                              ;   in Loop: Header=BB20_67 Depth=2
	s_mul_u64 s[8:9], s[30:31], s[38:39]
	s_wait_dscnt 0x0
	v_mul_f32_e32 v6, v40, v6
	s_lshl_b64 s[8:9], s[8:9], 2
	s_delay_alu instid0(SALU_CYCLE_1)
	s_add_nc_u64 s[8:9], s[60:61], s[8:9]
	global_store_b32 v0, v6, s[8:9]
	s_branch .LBB20_66
.LBB20_88:
	s_endpgm
	.section	.rodata,"a",@progbits
	.p2align	6, 0x0
	.amdhsa_kernel _ZL23rocblas_gemvt_sn_kernelILb0ELi256ELi4EifPKffEviiT4_lPKT3_lilS5_lilPT5_i
		.amdhsa_group_segment_fixed_size 128
		.amdhsa_private_segment_fixed_size 0
		.amdhsa_kernarg_size 360
		.amdhsa_user_sgpr_count 2
		.amdhsa_user_sgpr_dispatch_ptr 0
		.amdhsa_user_sgpr_queue_ptr 0
		.amdhsa_user_sgpr_kernarg_segment_ptr 1
		.amdhsa_user_sgpr_dispatch_id 0
		.amdhsa_user_sgpr_kernarg_preload_length 0
		.amdhsa_user_sgpr_kernarg_preload_offset 0
		.amdhsa_user_sgpr_private_segment_size 0
		.amdhsa_wavefront_size32 1
		.amdhsa_uses_dynamic_stack 0
		.amdhsa_enable_private_segment 0
		.amdhsa_system_sgpr_workgroup_id_x 1
		.amdhsa_system_sgpr_workgroup_id_y 0
		.amdhsa_system_sgpr_workgroup_id_z 1
		.amdhsa_system_sgpr_workgroup_info 0
		.amdhsa_system_vgpr_workitem_id 0
		.amdhsa_next_free_vgpr 64
		.amdhsa_next_free_sgpr 82
		.amdhsa_named_barrier_count 0
		.amdhsa_reserve_vcc 1
		.amdhsa_float_round_mode_32 0
		.amdhsa_float_round_mode_16_64 0
		.amdhsa_float_denorm_mode_32 3
		.amdhsa_float_denorm_mode_16_64 3
		.amdhsa_fp16_overflow 0
		.amdhsa_memory_ordered 1
		.amdhsa_forward_progress 1
		.amdhsa_inst_pref_size 31
		.amdhsa_round_robin_scheduling 0
		.amdhsa_exception_fp_ieee_invalid_op 0
		.amdhsa_exception_fp_denorm_src 0
		.amdhsa_exception_fp_ieee_div_zero 0
		.amdhsa_exception_fp_ieee_overflow 0
		.amdhsa_exception_fp_ieee_underflow 0
		.amdhsa_exception_fp_ieee_inexact 0
		.amdhsa_exception_int_div_zero 0
	.end_amdhsa_kernel
	.section	.text._ZL23rocblas_gemvt_sn_kernelILb0ELi256ELi4EifPKffEviiT4_lPKT3_lilS5_lilPT5_i,"axG",@progbits,_ZL23rocblas_gemvt_sn_kernelILb0ELi256ELi4EifPKffEviiT4_lPKT3_lilS5_lilPT5_i,comdat
.Lfunc_end20:
	.size	_ZL23rocblas_gemvt_sn_kernelILb0ELi256ELi4EifPKffEviiT4_lPKT3_lilS5_lilPT5_i, .Lfunc_end20-_ZL23rocblas_gemvt_sn_kernelILb0ELi256ELi4EifPKffEviiT4_lPKT3_lilS5_lilPT5_i
                                        ; -- End function
	.set _ZL23rocblas_gemvt_sn_kernelILb0ELi256ELi4EifPKffEviiT4_lPKT3_lilS5_lilPT5_i.num_vgpr, 64
	.set _ZL23rocblas_gemvt_sn_kernelILb0ELi256ELi4EifPKffEviiT4_lPKT3_lilS5_lilPT5_i.num_agpr, 0
	.set _ZL23rocblas_gemvt_sn_kernelILb0ELi256ELi4EifPKffEviiT4_lPKT3_lilS5_lilPT5_i.numbered_sgpr, 82
	.set _ZL23rocblas_gemvt_sn_kernelILb0ELi256ELi4EifPKffEviiT4_lPKT3_lilS5_lilPT5_i.num_named_barrier, 0
	.set _ZL23rocblas_gemvt_sn_kernelILb0ELi256ELi4EifPKffEviiT4_lPKT3_lilS5_lilPT5_i.private_seg_size, 0
	.set _ZL23rocblas_gemvt_sn_kernelILb0ELi256ELi4EifPKffEviiT4_lPKT3_lilS5_lilPT5_i.uses_vcc, 1
	.set _ZL23rocblas_gemvt_sn_kernelILb0ELi256ELi4EifPKffEviiT4_lPKT3_lilS5_lilPT5_i.uses_flat_scratch, 0
	.set _ZL23rocblas_gemvt_sn_kernelILb0ELi256ELi4EifPKffEviiT4_lPKT3_lilS5_lilPT5_i.has_dyn_sized_stack, 0
	.set _ZL23rocblas_gemvt_sn_kernelILb0ELi256ELi4EifPKffEviiT4_lPKT3_lilS5_lilPT5_i.has_recursion, 0
	.set _ZL23rocblas_gemvt_sn_kernelILb0ELi256ELi4EifPKffEviiT4_lPKT3_lilS5_lilPT5_i.has_indirect_call, 0
	.section	.AMDGPU.csdata,"",@progbits
; Kernel info:
; codeLenInByte = 3932
; TotalNumSgprs: 84
; NumVgprs: 64
; ScratchSize: 0
; MemoryBound: 0
; FloatMode: 240
; IeeeMode: 1
; LDSByteSize: 128 bytes/workgroup (compile time only)
; SGPRBlocks: 0
; VGPRBlocks: 3
; NumSGPRsForWavesPerEU: 84
; NumVGPRsForWavesPerEU: 64
; NamedBarCnt: 0
; Occupancy: 16
; WaveLimiterHint : 0
; COMPUTE_PGM_RSRC2:SCRATCH_EN: 0
; COMPUTE_PGM_RSRC2:USER_SGPR: 2
; COMPUTE_PGM_RSRC2:TRAP_HANDLER: 0
; COMPUTE_PGM_RSRC2:TGID_X_EN: 1
; COMPUTE_PGM_RSRC2:TGID_Y_EN: 0
; COMPUTE_PGM_RSRC2:TGID_Z_EN: 1
; COMPUTE_PGM_RSRC2:TIDIG_COMP_CNT: 0
	.section	.text._ZL23rocblas_gemvt_sn_kernelILb0ELi256ELi4ElfPKffEviiT4_lPKT3_lilS5_lilPT5_i,"axG",@progbits,_ZL23rocblas_gemvt_sn_kernelILb0ELi256ELi4ElfPKffEviiT4_lPKT3_lilS5_lilPT5_i,comdat
	.globl	_ZL23rocblas_gemvt_sn_kernelILb0ELi256ELi4ElfPKffEviiT4_lPKT3_lilS5_lilPT5_i ; -- Begin function _ZL23rocblas_gemvt_sn_kernelILb0ELi256ELi4ElfPKffEviiT4_lPKT3_lilS5_lilPT5_i
	.p2align	8
	.type	_ZL23rocblas_gemvt_sn_kernelILb0ELi256ELi4ElfPKffEviiT4_lPKT3_lilS5_lilPT5_i,@function
_ZL23rocblas_gemvt_sn_kernelILb0ELi256ELi4ElfPKffEviiT4_lPKT3_lilS5_lilPT5_i: ; @_ZL23rocblas_gemvt_sn_kernelILb0ELi256ELi4ElfPKffEviiT4_lPKT3_lilS5_lilPT5_i
; %bb.0:
	s_load_b32 s33, s[0:1], 0x60
	s_bfe_u32 s2, ttmp6, 0x40014
	s_lshr_b32 s3, ttmp7, 16
	s_add_co_i32 s2, s2, 1
	s_bfe_u32 s5, ttmp6, 0x40008
	s_mul_i32 s4, s3, s2
	s_getreg_b32 s2, hwreg(HW_REG_IB_STS2, 6, 4)
	s_add_co_i32 s5, s5, s4
	s_cmp_eq_u32 s2, 0
	s_mov_b32 s29, 0
	s_cselect_b32 s10, s3, s5
	s_wait_kmcnt 0x0
	s_cmp_ge_u32 s10, s33
	s_cbranch_scc1 .LBB21_88
; %bb.1:
	s_clause 0x6
	s_load_b32 s30, s[0:1], 0x28
	s_load_b96 s[4:6], s[0:1], 0x40
	s_load_b256 s[12:19], s[0:1], 0x8
	s_load_b64 s[34:35], s[0:1], 0x0
	s_load_b128 s[20:23], s[0:1], 0x30
	s_load_b128 s[24:27], s[0:1], 0x50
	s_load_b32 s36, s[0:1], 0x68
	s_wait_xcnt 0x0
	v_cmp_eq_u32_e64 s0, 0, v0
	v_mbcnt_lo_u32_b32 v42, -1, 0
	v_mov_b64_e32 v[20:21], 0
	s_mov_b32 s37, s29
	s_delay_alu instid0(VALU_DEP_2)
	v_lshl_or_b32 v43, v42, 2, 64
	s_wait_kmcnt 0x0
	s_ashr_i32 s31, s30, 31
	s_ashr_i32 s7, s6, 31
	s_lshl_b64 s[4:5], s[4:5], 2
	s_lshl_b64 s[8:9], s[18:19], 2
	s_ashr_i32 s43, s35, 31
	s_cmp_gt_i32 s35, 0
	s_add_nc_u64 s[18:19], s[22:23], s[4:5]
	s_cselect_b32 s1, -1, 0
	s_bfe_u32 s3, ttmp6, 0x4000c
	s_add_nc_u64 s[4:5], s[16:17], s[8:9]
	s_add_co_i32 s3, s3, 1
	s_and_b32 s8, ttmp6, 15
	s_mul_i32 s3, ttmp9, s3
	s_and_b32 s66, s0, s1
	s_add_co_i32 s8, s8, s3
	s_cmp_eq_u32 s2, 0
	s_mov_b32 s42, s35
	s_cselect_b32 s28, ttmp9, s8
	s_ashr_i32 s2, s34, 31
	s_lshl_b32 s3, s28, 10
	s_lshr_b32 s2, s2, 30
	v_lshl_or_b32 v2, v0, 2, s3
	s_add_co_i32 s2, s34, s2
	s_lshr_b32 s1, s43, 30
	s_and_b32 s2, s2, -4
	s_add_co_i32 s1, s35, s1
	s_sub_co_i32 s68, s34, s2
	v_dual_ashrrev_i32 v3, 31, v2 :: v_dual_add_nc_u32 v1, 4, v2
	v_dual_add_nc_u32 v4, s68, v2 :: v_dual_bitop2_b32 v6, 2, v2 bitop3:0x54
	s_and_b32 s67, s1, -4
	s_delay_alu instid0(VALU_DEP_2) | instskip(SKIP_1) | instid1(VALU_DEP_3)
	v_lshl_add_u64 v[8:9], v[2:3], 2, s[4:5]
	v_mul_u64_e32 v[10:11], s[6:7], v[2:3]
	v_cmp_ge_i32_e64 s2, s34, v4
	v_or_b32_e32 v4, 1, v2
	v_or_b32_e32 v2, 3, v2
	v_cmp_ge_i32_e64 s1, s34, v1
	v_dual_ashrrev_i32 v7, 31, v6 :: v_dual_bitop2_b32 v1, 31, v0 bitop3:0x40
	s_cmp_gt_i32 s67, 0
	v_dual_ashrrev_i32 v3, 31, v2 :: v_dual_ashrrev_i32 v5, 31, v4
	s_cselect_b32 s69, -1, 0
	s_delay_alu instid0(VALU_DEP_2) | instskip(SKIP_1) | instid1(VALU_DEP_2)
	v_mul_u64_e32 v[14:15], s[6:7], v[6:7]
	s_cmp_gt_i32 s68, 0
	v_mul_u64_e32 v[16:17], s[6:7], v[2:3]
	v_mul_u64_e32 v[12:13], s[6:7], v[4:5]
	s_cselect_b32 s34, -1, 0
	s_cmp_gt_u32 s35, 1
	v_cmp_gt_u32_e64 s3, 32, v0
	s_cselect_b32 s8, -1, 0
	s_cmp_eq_u32 s36, 1
	v_cmp_gt_u32_e64 s5, 8, v0
	v_dual_lshrrev_b32 v0, 3, v0 :: v_dual_lshlrev_b32 v40, 2, v1
	s_cselect_b32 s9, -1, 0
	s_and_b32 s70, s35, 0x7ffffffe
	s_and_b32 s71, s8, s9
	s_cmp_lg_u32 s35, s70
	v_cmp_eq_u32_e64 s4, 0, v1
	v_dual_mov_b32 v0, 0 :: v_dual_bitop2_b32 v41, 28, v0 bitop3:0x40
	s_mul_u64 s[16:17], s[42:43], s[36:37]
	s_cselect_b32 s72, -1, 0
	v_lshl_add_u64 v[18:19], v[10:11], 2, s[18:19]
	s_lshl_b64 s[22:23], s[28:29], 2
	s_lshl_b64 s[40:41], s[16:17], 2
	s_add_nc_u64 s[38:39], s[26:27], s[22:23]
	s_lshl_b64 s[42:43], s[42:43], 2
	s_lshl_b64 s[44:45], s[36:37], 2
	;; [unrolled: 1-line block ×8, first 2 shown]
	s_mul_u64 s[58:59], s[30:31], 12
	s_branch .LBB21_3
.LBB21_2:                               ;   in Loop: Header=BB21_3 Depth=1
	s_add_co_i32 s10, s10, 0x10000
	s_delay_alu instid0(SALU_CYCLE_1)
	s_cmp_lt_u32 s10, s33
	s_cbranch_scc0 .LBB21_88
.LBB21_3:                               ; =>This Loop Header: Depth=1
                                        ;     Child Loop BB21_7 Depth 2
                                        ;     Child Loop BB21_11 Depth 2
	;; [unrolled: 1-line block ×3, first 2 shown]
                                        ;       Child Loop BB21_48 Depth 3
                                        ;       Child Loop BB21_51 Depth 3
                                        ;     Child Loop BB21_67 Depth 2
                                        ;       Child Loop BB21_80 Depth 3
                                        ;       Child Loop BB21_83 Depth 3
	s_mov_b32 s11, s29
	s_delay_alu instid0(SALU_CYCLE_1) | instskip(NEXT) | instid1(SALU_CYCLE_1)
	s_mul_u64 s[6:7], s[14:15], s[10:11]
	s_lshl_b64 s[6:7], s[6:7], 2
	s_delay_alu instid0(SALU_CYCLE_1)
	s_add_nc_u64 s[6:7], s[12:13], s[6:7]
	global_load_b32 v44, v0, s[6:7]
	s_wait_xcnt 0x0
	s_mov_b32 s6, -1
	s_wait_loadcnt 0x0
	v_cmp_neq_f32_e32 vcc_lo, 0, v44
	s_cbranch_vccnz .LBB21_13
; %bb.4:                                ;   in Loop: Header=BB21_3 Depth=1
	s_and_saveexec_b32 s8, s66
	s_cbranch_execz .LBB21_12
; %bb.5:                                ;   in Loop: Header=BB21_3 Depth=1
	s_and_not1_b32 vcc_lo, exec_lo, s71
	s_cbranch_vccnz .LBB21_9
; %bb.6:                                ;   in Loop: Header=BB21_3 Depth=1
	s_mul_u64 s[6:7], s[40:41], s[10:11]
	s_mov_b32 s9, s70
	s_add_nc_u64 s[6:7], s[38:39], s[6:7]
.LBB21_7:                               ;   Parent Loop BB21_3 Depth=1
                                        ; =>  This Inner Loop Header: Depth=2
	s_add_co_i32 s9, s9, -2
	global_store_b64 v0, v[20:21], s[6:7]
	s_wait_xcnt 0x0
	s_add_nc_u64 s[6:7], s[6:7], 8
	s_mov_b32 s28, s70
	s_cmp_lg_u32 s9, 0
	s_mov_b32 s60, s72
	s_cbranch_scc1 .LBB21_7
; %bb.8:                                ;   in Loop: Header=BB21_3 Depth=1
	s_and_b32 vcc_lo, exec_lo, s60
	s_cbranch_vccnz .LBB21_10
	s_branch .LBB21_12
.LBB21_9:                               ;   in Loop: Header=BB21_3 Depth=1
	s_mov_b32 s28, 0
	s_cbranch_execz .LBB21_12
.LBB21_10:                              ;   in Loop: Header=BB21_3 Depth=1
	s_mul_u64 s[6:7], s[42:43], s[10:11]
	s_lshl_b64 s[60:61], s[28:29], 2
	s_sub_co_i32 s9, s35, s28
	s_add_nc_u64 s[6:7], s[6:7], s[60:61]
	s_delay_alu instid0(SALU_CYCLE_1) | instskip(NEXT) | instid1(SALU_CYCLE_1)
	s_mul_u64 s[6:7], s[36:37], s[6:7]
	s_add_nc_u64 s[6:7], s[38:39], s[6:7]
.LBB21_11:                              ;   Parent Loop BB21_3 Depth=1
                                        ; =>  This Inner Loop Header: Depth=2
	s_add_co_i32 s9, s9, -1
	global_store_b32 v0, v0, s[6:7]
	s_cmp_eq_u32 s9, 0
	s_wait_xcnt 0x0
	s_add_nc_u64 s[6:7], s[6:7], s[44:45]
	s_cbranch_scc0 .LBB21_11
.LBB21_12:                              ;   in Loop: Header=BB21_3 Depth=1
	s_or_b32 exec_lo, exec_lo, s8
	s_mov_b32 s6, 0
.LBB21_13:                              ;   in Loop: Header=BB21_3 Depth=1
	s_delay_alu instid0(SALU_CYCLE_1)
	s_and_not1_b32 vcc_lo, exec_lo, s6
	s_cbranch_vccnz .LBB21_2
; %bb.14:                               ;   in Loop: Header=BB21_3 Depth=1
	v_mad_nc_u64_u32 v[22:23], s46, s10, v[18:19]
	s_mul_u64 s[6:7], s[24:25], s[10:11]
	s_mul_u64 s[8:9], s[16:17], s[10:11]
	s_lshl_b64 s[6:7], s[6:7], 2
	s_mul_u64 s[60:61], s[20:21], s[10:11]
	s_add_nc_u64 s[6:7], s[18:19], s[6:7]
	s_lshl_b64 s[64:65], s[8:9], 2
	v_lshl_add_u64 v[24:25], s[60:61], 2, v[8:9]
	v_lshl_add_u64 v[26:27], v[10:11], 2, s[6:7]
	;; [unrolled: 1-line block ×4, first 2 shown]
	v_mad_u32 v23, s47, s10, v23
	v_lshl_add_u64 v[32:33], v[16:17], 2, s[6:7]
	v_cmp_gt_u32_e64 s9, 24, v42
	v_cmp_gt_u32_e64 s8, 28, v42
	;; [unrolled: 1-line block ×3, first 2 shown]
	v_cmp_ne_u32_e64 s6, 31, v42
	s_add_nc_u64 s[60:61], s[26:27], s[64:65]
	s_mul_u64 s[62:63], s[50:51], s[10:11]
	s_and_not1_b32 vcc_lo, exec_lo, s69
	s_add_nc_u64 s[60:61], s[60:61], s[22:23]
	s_cbranch_vccnz .LBB21_63
; %bb.15:                               ;   in Loop: Header=BB21_3 Depth=1
	v_cndmask_b32_e64 v4, 0, 8, s9
	v_cndmask_b32_e64 v5, 0, 4, s8
	s_wait_dscnt 0x0
	v_add_co_ci_u32_e64 v35, null, 0, v42, s6
	v_dual_mov_b32 v1, v0 :: v_dual_mov_b32 v2, v0
	s_delay_alu instid0(VALU_DEP_2) | instskip(SKIP_3) | instid1(VALU_DEP_4)
	v_dual_mov_b32 v3, v0 :: v_dual_lshlrev_b32 v48, 2, v35
	v_cndmask_b32_e64 v34, 0, 2, s7
	v_add_lshl_u32 v45, v4, v42, 2
	v_add_lshl_u32 v46, v5, v42, 2
	v_mov_b64_e32 v[4:5], v[2:3]
	v_add_nc_u64_e32 v[6:7], s[62:63], v[8:9]
	v_mov_b64_e32 v[2:3], v[0:1]
	v_add_lshl_u32 v47, v34, v42, 2
	s_mov_b32 s28, 0
	s_branch .LBB21_17
.LBB21_16:                              ;   in Loop: Header=BB21_17 Depth=2
	s_wait_xcnt 0x0
	s_or_b32 exec_lo, exec_lo, s6
	v_add_nc_u64_e32 v[6:7], s[52:53], v[6:7]
	s_add_co_i32 s28, s28, 4
	s_delay_alu instid0(SALU_CYCLE_1)
	s_cmp_ge_i32 s28, s67
	s_cbranch_scc1 .LBB21_64
.LBB21_17:                              ;   Parent Loop BB21_3 Depth=1
                                        ; =>  This Loop Header: Depth=2
                                        ;       Child Loop BB21_48 Depth 3
                                        ;       Child Loop BB21_51 Depth 3
                                        ; implicit-def: $vgpr35
                                        ; implicit-def: $vgpr37
	s_and_saveexec_b32 s6, s1
	s_delay_alu instid0(SALU_CYCLE_1)
	s_xor_b32 s6, exec_lo, s6
	s_cbranch_execnz .LBB21_44
; %bb.18:                               ;   in Loop: Header=BB21_17 Depth=2
	s_and_not1_saveexec_b32 s9, s6
	s_cbranch_execnz .LBB21_45
.LBB21_19:                              ;   in Loop: Header=BB21_17 Depth=2
	s_or_b32 exec_lo, exec_lo, s9
	s_and_saveexec_b32 s6, s3
.LBB21_20:                              ;   in Loop: Header=BB21_17 Depth=2
	ds_store_b32 v40, v0
.LBB21_21:                              ;   in Loop: Header=BB21_17 Depth=2
	s_or_b32 exec_lo, exec_lo, s6
	ds_bpermute_b32 v1, v43, v36
	s_wait_storecnt_dscnt 0x0
	s_barrier_signal -1
	s_barrier_wait -1
	v_add_f32_e32 v1, v36, v1
	ds_bpermute_b32 v36, v45, v1
	s_wait_dscnt 0x0
	v_add_f32_e32 v1, v1, v36
	ds_bpermute_b32 v36, v46, v1
	s_wait_dscnt 0x0
	;; [unrolled: 3-line block ×3, first 2 shown]
	v_add_f32_e32 v1, v1, v36
	ds_bpermute_b32 v36, v48, v1
	s_and_saveexec_b32 s6, s4
	s_cbranch_execz .LBB21_23
; %bb.22:                               ;   in Loop: Header=BB21_17 Depth=2
	s_wait_dscnt 0x0
	v_add_f32_e32 v1, v1, v36
	ds_store_b32 v41, v1
.LBB21_23:                              ;   in Loop: Header=BB21_17 Depth=2
	s_or_b32 exec_lo, exec_lo, s6
	v_mov_b32_e32 v1, 0
	s_wait_dscnt 0x0
	s_barrier_signal -1
	s_barrier_wait -1
	s_and_saveexec_b32 s6, s5
	s_cbranch_execnz .LBB21_52
; %bb.24:                               ;   in Loop: Header=BB21_17 Depth=2
	s_or_b32 exec_lo, exec_lo, s6
	s_and_saveexec_b32 s6, s3
	s_cbranch_execnz .LBB21_53
.LBB21_25:                              ;   in Loop: Header=BB21_17 Depth=2
	s_or_b32 exec_lo, exec_lo, s6
	s_and_saveexec_b32 s6, s3
.LBB21_26:                              ;   in Loop: Header=BB21_17 Depth=2
	ds_store_b32 v40, v0
.LBB21_27:                              ;   in Loop: Header=BB21_17 Depth=2
	s_or_b32 exec_lo, exec_lo, s6
	ds_bpermute_b32 v36, v43, v37
	s_wait_dscnt 0x0
	s_barrier_signal -1
	s_barrier_wait -1
	v_add_f32_e32 v36, v37, v36
	ds_bpermute_b32 v37, v45, v36
	s_wait_dscnt 0x0
	v_add_f32_e32 v36, v36, v37
	ds_bpermute_b32 v37, v46, v36
	s_wait_dscnt 0x0
	;; [unrolled: 3-line block ×3, first 2 shown]
	v_add_f32_e32 v36, v36, v37
	ds_bpermute_b32 v37, v48, v36
	s_and_saveexec_b32 s6, s4
	s_cbranch_execz .LBB21_29
; %bb.28:                               ;   in Loop: Header=BB21_17 Depth=2
	s_wait_dscnt 0x0
	v_add_f32_e32 v36, v36, v37
	ds_store_b32 v41, v36
.LBB21_29:                              ;   in Loop: Header=BB21_17 Depth=2
	s_or_b32 exec_lo, exec_lo, s6
	v_mov_b32_e32 v36, 0
	s_wait_dscnt 0x0
	s_barrier_signal -1
	s_barrier_wait -1
	s_and_saveexec_b32 s6, s5
	s_cbranch_execnz .LBB21_54
; %bb.30:                               ;   in Loop: Header=BB21_17 Depth=2
	s_or_b32 exec_lo, exec_lo, s6
	s_and_saveexec_b32 s6, s3
	s_cbranch_execnz .LBB21_55
.LBB21_31:                              ;   in Loop: Header=BB21_17 Depth=2
	s_or_b32 exec_lo, exec_lo, s6
	s_and_saveexec_b32 s6, s3
.LBB21_32:                              ;   in Loop: Header=BB21_17 Depth=2
	ds_store_b32 v40, v0
.LBB21_33:                              ;   in Loop: Header=BB21_17 Depth=2
	s_or_b32 exec_lo, exec_lo, s6
	ds_bpermute_b32 v37, v43, v34
	s_wait_dscnt 0x0
	s_barrier_signal -1
	s_barrier_wait -1
	v_add_f32_e32 v34, v34, v37
	ds_bpermute_b32 v37, v45, v34
	s_wait_dscnt 0x0
	v_add_f32_e32 v34, v34, v37
	ds_bpermute_b32 v37, v46, v34
	s_wait_dscnt 0x0
	;; [unrolled: 3-line block ×3, first 2 shown]
	v_add_f32_e32 v34, v34, v37
	ds_bpermute_b32 v37, v48, v34
	s_and_saveexec_b32 s6, s4
	s_cbranch_execz .LBB21_35
; %bb.34:                               ;   in Loop: Header=BB21_17 Depth=2
	s_wait_dscnt 0x0
	v_add_f32_e32 v34, v34, v37
	ds_store_b32 v41, v34
.LBB21_35:                              ;   in Loop: Header=BB21_17 Depth=2
	s_or_b32 exec_lo, exec_lo, s6
	v_mov_b32_e32 v34, 0
	s_wait_dscnt 0x0
	s_barrier_signal -1
	s_barrier_wait -1
	s_and_saveexec_b32 s6, s5
	s_cbranch_execnz .LBB21_56
; %bb.36:                               ;   in Loop: Header=BB21_17 Depth=2
	s_or_b32 exec_lo, exec_lo, s6
	s_and_saveexec_b32 s6, s3
	s_cbranch_execnz .LBB21_57
.LBB21_37:                              ;   in Loop: Header=BB21_17 Depth=2
	s_or_b32 exec_lo, exec_lo, s6
	s_and_saveexec_b32 s6, s3
.LBB21_38:                              ;   in Loop: Header=BB21_17 Depth=2
	ds_store_b32 v40, v0
.LBB21_39:                              ;   in Loop: Header=BB21_17 Depth=2
	s_or_b32 exec_lo, exec_lo, s6
	ds_bpermute_b32 v37, v43, v35
	s_wait_dscnt 0x0
	s_barrier_signal -1
	s_barrier_wait -1
	v_add_f32_e32 v35, v35, v37
	ds_bpermute_b32 v37, v45, v35
	s_wait_dscnt 0x0
	v_add_f32_e32 v35, v35, v37
	ds_bpermute_b32 v37, v46, v35
	s_wait_dscnt 0x0
	;; [unrolled: 3-line block ×3, first 2 shown]
	v_add_f32_e32 v35, v35, v37
	ds_bpermute_b32 v37, v48, v35
	s_and_saveexec_b32 s6, s4
	s_cbranch_execz .LBB21_41
; %bb.40:                               ;   in Loop: Header=BB21_17 Depth=2
	s_wait_dscnt 0x0
	v_add_f32_e32 v35, v35, v37
	ds_store_b32 v41, v35
.LBB21_41:                              ;   in Loop: Header=BB21_17 Depth=2
	s_or_b32 exec_lo, exec_lo, s6
	v_mov_b32_e32 v35, 0
	s_wait_dscnt 0x0
	s_barrier_signal -1
	s_barrier_wait -1
	s_and_saveexec_b32 s6, s5
	s_cbranch_execnz .LBB21_58
; %bb.42:                               ;   in Loop: Header=BB21_17 Depth=2
	s_or_b32 exec_lo, exec_lo, s6
	s_and_saveexec_b32 s6, s3
	s_cbranch_execnz .LBB21_59
.LBB21_43:                              ;   in Loop: Header=BB21_17 Depth=2
	s_or_b32 exec_lo, exec_lo, s6
	s_and_saveexec_b32 s6, s0
	s_cbranch_execz .LBB21_16
	s_branch .LBB21_60
.LBB21_44:                              ;   in Loop: Header=BB21_17 Depth=2
	s_or_b32 s64, s28, 3
	s_mov_b32 s65, s29
	s_mul_u64 s[8:9], s[28:29], s[30:31]
	s_or_b32 s74, s28, 2
	s_mul_u64 s[64:65], s[64:65], s[30:31]
	s_mov_b32 s75, s29
	v_lshl_add_u64 v[38:39], s[8:9], 2, v[24:25]
	s_or_b32 s8, s28, 1
	s_mov_b32 s9, s29
	s_wait_dscnt 0x0
	v_lshl_add_u64 v[34:35], s[64:65], 2, v[24:25]
	s_mul_u64 s[64:65], s[74:75], s[30:31]
	s_mul_u64 s[8:9], s[8:9], s[30:31]
	s_clause 0x2
	global_load_b32 v2, v[26:27], off
	global_load_b32 v3, v[28:29], off
	;; [unrolled: 1-line block ×3, first 2 shown]
	v_lshl_add_u64 v[54:55], s[64:65], 2, v[24:25]
	v_lshl_add_u64 v[58:59], s[8:9], 2, v[24:25]
	s_clause 0x3
	global_load_b128 v[34:37], v[34:35], off
	global_load_b128 v[50:53], v[38:39], off
	;; [unrolled: 1-line block ×4, first 2 shown]
	global_load_b32 v4, v[30:31], off
	s_wait_loadcnt 0x5
	s_wait_xcnt 0x3
	v_dual_mov_b32 v38, v3 :: v_dual_mov_b32 v62, v5
	s_wait_loadcnt 0x4
	v_pk_mul_f32 v[34:35], v[2:3], v[34:35]
	s_wait_loadcnt 0x3
	v_dual_mov_b32 v64, v50 :: v_dual_mov_b32 v50, v52
	s_wait_loadcnt 0x2
	s_wait_xcnt 0x2
	v_dual_mul_f32 v54, v2, v54 :: v_dual_mul_f32 v66, v3, v55
	s_wait_loadcnt 0x1
	v_dual_mov_b32 v55, v34 :: v_dual_mov_b32 v65, v58
	s_wait_xcnt 0x1
	v_dual_mov_b32 v58, v51 :: v_dual_mov_b32 v67, v35
	s_wait_loadcnt 0x0
	v_pk_mul_f32 v[36:37], v[4:5], v[36:37]
	v_pk_add_f32 v[34:35], v[54:55], 0 op_sel_hi:[1,0]
	v_pk_fma_f32 v[54:55], v[2:3], v[64:65], 0 op_sel_hi:[0,1,0]
	v_mul_f32_e32 v64, v4, v56
	s_delay_alu instid0(VALU_DEP_4) | instskip(NEXT) | instid1(VALU_DEP_4)
	v_dual_mov_b32 v51, v60 :: v_dual_mov_b32 v65, v36
	v_pk_add_f32 v[34:35], v[34:35], v[66:67]
	s_delay_alu instid0(VALU_DEP_4) | instskip(SKIP_2) | instid1(VALU_DEP_4)
	v_pk_fma_f32 v[38:39], v[38:39], v[58:59], v[54:55] op_sel_hi:[0,1,1]
	v_mov_b32_e32 v60, v53
	v_mul_f32_e32 v36, v5, v57
	v_pk_add_f32 v[34:35], v[34:35], v[64:65]
	s_delay_alu instid0(VALU_DEP_4) | instskip(NEXT) | instid1(VALU_DEP_2)
	v_pk_fma_f32 v[38:39], v[4:5], v[50:51], v[38:39] op_sel_hi:[0,1,1]
	v_pk_add_f32 v[34:35], v[34:35], v[36:37]
	s_delay_alu instid0(VALU_DEP_2)
	v_pk_fma_f32 v[36:37], v[62:63], v[60:61], v[38:39] op_sel_hi:[0,1,1]
	s_wait_xcnt 0x0
	s_and_not1_saveexec_b32 s9, s6
	s_cbranch_execz .LBB21_19
.LBB21_45:                              ;   in Loop: Header=BB21_17 Depth=2
	s_wait_dscnt 0x0
	v_dual_mov_b32 v35, 0 :: v_dual_mov_b32 v34, 0
	v_dual_mov_b32 v37, 0 :: v_dual_mov_b32 v36, 0
	s_and_saveexec_b32 s11, s2
	s_cbranch_execz .LBB21_62
; %bb.46:                               ;   in Loop: Header=BB21_17 Depth=2
	s_and_not1_b32 vcc_lo, exec_lo, s34
	s_cbranch_vccnz .LBB21_49
; %bb.47:                               ;   in Loop: Header=BB21_17 Depth=2
	v_mov_b64_e32 v[34:35], v[22:23]
	s_mov_b64 s[64:65], 0
.LBB21_48:                              ;   Parent Loop BB21_3 Depth=1
                                        ;     Parent Loop BB21_17 Depth=2
                                        ; =>    This Inner Loop Header: Depth=3
	global_load_b32 v1, v[34:35], off
	s_cmp_eq_u32 s64, 3
	s_wait_xcnt 0x0
	v_add_nc_u64_e32 v[34:35], s[48:49], v[34:35]
	s_cselect_b32 vcc_lo, -1, 0
	s_cmp_eq_u32 s64, 2
	s_cselect_b32 s6, -1, 0
	s_cmp_eq_u32 s64, 1
	s_cselect_b32 s7, -1, 0
	s_cmp_eq_u32 s64, 0
	s_add_nc_u64 s[64:65], s[64:65], 1
	s_cselect_b32 s8, -1, 0
	s_cmp_eq_u32 s68, s64
	s_wait_loadcnt 0x0
	v_dual_cndmask_b32 v5, v5, v1, vcc_lo :: v_dual_cndmask_b32 v4, v4, v1, s6
	v_dual_cndmask_b32 v3, v3, v1, s7 :: v_dual_cndmask_b32 v2, v2, v1, s8
	s_cbranch_scc0 .LBB21_48
.LBB21_49:                              ;   in Loop: Header=BB21_17 Depth=2
	s_and_not1_b32 vcc_lo, exec_lo, s34
	s_cbranch_vccnz .LBB21_61
; %bb.50:                               ;   in Loop: Header=BB21_17 Depth=2
	v_mov_b32_e32 v36, 0
	v_mov_b64_e32 v[38:39], v[6:7]
	s_mov_b64 s[6:7], 0
	s_delay_alu instid0(VALU_DEP_2)
	v_dual_mov_b32 v37, v36 :: v_dual_mov_b32 v34, v36
	v_mov_b32_e32 v35, v36
.LBB21_51:                              ;   Parent Loop BB21_3 Depth=1
                                        ;     Parent Loop BB21_17 Depth=2
                                        ; =>    This Inner Loop Header: Depth=3
	s_delay_alu instid0(VALU_DEP_3)
	v_add_nc_u64_e32 v[50:51], s[56:57], v[38:39]
	v_add_nc_u64_e32 v[52:53], s[58:59], v[38:39]
	s_wait_xcnt 0x0
	v_add_nc_u64_e32 v[54:55], s[54:55], v[38:39]
	s_cmp_eq_u32 s6, 1
	s_clause 0x3
	global_load_b32 v56, v[38:39], off
	global_load_b32 v50, v[50:51], off
	;; [unrolled: 1-line block ×4, first 2 shown]
	s_cselect_b32 vcc_lo, -1, 0
	s_cmp_eq_u32 s6, 2
	v_cndmask_b32_e32 v1, v2, v3, vcc_lo
	s_cselect_b32 vcc_lo, -1, 0
	s_cmp_eq_u32 s6, 3
	v_add_nc_u64_e32 v[38:39], 4, v[38:39]
	s_add_nc_u64 s[6:7], s[6:7], 1
	v_cndmask_b32_e32 v1, v1, v4, vcc_lo
	s_cselect_b32 vcc_lo, -1, 0
	s_cmp_lg_u32 s68, s6
	s_wait_xcnt 0x1
	s_delay_alu instid0(VALU_DEP_1) | instskip(SKIP_1) | instid1(VALU_DEP_1)
	v_cndmask_b32_e32 v52, v1, v5, vcc_lo
	s_wait_loadcnt 0x1
	v_pk_fma_f32 v[34:35], v[52:53], v[50:51], v[34:35] op_sel_hi:[0,1,1]
	s_wait_loadcnt 0x0
	v_pk_fma_f32 v[36:37], v[52:53], v[56:57], v[36:37] op_sel_hi:[0,1,1]
	s_cbranch_scc1 .LBB21_51
	s_branch .LBB21_62
.LBB21_52:                              ;   in Loop: Header=BB21_17 Depth=2
	ds_load_b32 v1, v40
	s_or_b32 exec_lo, exec_lo, s6
	s_and_saveexec_b32 s6, s3
	s_cbranch_execz .LBB21_25
.LBB21_53:                              ;   in Loop: Header=BB21_17 Depth=2
	s_wait_dscnt 0x0
	ds_bpermute_b32 v36, v46, v1
	s_wait_dscnt 0x0
	v_add_f32_e32 v1, v1, v36
	ds_bpermute_b32 v36, v47, v1
	s_wait_dscnt 0x0
	v_add_f32_e32 v1, v1, v36
	;; [unrolled: 3-line block ×3, first 2 shown]
	s_or_b32 exec_lo, exec_lo, s6
	s_and_saveexec_b32 s6, s3
	s_cbranch_execnz .LBB21_26
	s_branch .LBB21_27
.LBB21_54:                              ;   in Loop: Header=BB21_17 Depth=2
	ds_load_b32 v36, v40
	s_or_b32 exec_lo, exec_lo, s6
	s_and_saveexec_b32 s6, s3
	s_cbranch_execz .LBB21_31
.LBB21_55:                              ;   in Loop: Header=BB21_17 Depth=2
	s_wait_dscnt 0x0
	ds_bpermute_b32 v37, v46, v36
	s_wait_dscnt 0x0
	v_add_f32_e32 v36, v36, v37
	ds_bpermute_b32 v37, v47, v36
	s_wait_dscnt 0x0
	v_add_f32_e32 v36, v36, v37
	;; [unrolled: 3-line block ×3, first 2 shown]
	s_or_b32 exec_lo, exec_lo, s6
	s_and_saveexec_b32 s6, s3
	s_cbranch_execnz .LBB21_32
	s_branch .LBB21_33
.LBB21_56:                              ;   in Loop: Header=BB21_17 Depth=2
	ds_load_b32 v34, v40
	s_or_b32 exec_lo, exec_lo, s6
	s_and_saveexec_b32 s6, s3
	s_cbranch_execz .LBB21_37
.LBB21_57:                              ;   in Loop: Header=BB21_17 Depth=2
	s_wait_dscnt 0x0
	ds_bpermute_b32 v37, v46, v34
	s_wait_dscnt 0x0
	v_add_f32_e32 v34, v34, v37
	ds_bpermute_b32 v37, v47, v34
	s_wait_dscnt 0x0
	v_add_f32_e32 v34, v34, v37
	;; [unrolled: 3-line block ×3, first 2 shown]
	s_or_b32 exec_lo, exec_lo, s6
	s_and_saveexec_b32 s6, s3
	s_cbranch_execnz .LBB21_38
	s_branch .LBB21_39
.LBB21_58:                              ;   in Loop: Header=BB21_17 Depth=2
	ds_load_b32 v35, v40
	s_or_b32 exec_lo, exec_lo, s6
	s_and_saveexec_b32 s6, s3
	s_cbranch_execz .LBB21_43
.LBB21_59:                              ;   in Loop: Header=BB21_17 Depth=2
	s_wait_dscnt 0x0
	ds_bpermute_b32 v37, v46, v35
	s_wait_dscnt 0x0
	v_add_f32_e32 v35, v35, v37
	ds_bpermute_b32 v37, v47, v35
	s_wait_dscnt 0x0
	v_add_f32_e32 v35, v35, v37
	;; [unrolled: 3-line block ×3, first 2 shown]
	s_or_b32 exec_lo, exec_lo, s6
	s_and_saveexec_b32 s6, s0
	s_cbranch_execz .LBB21_16
.LBB21_60:                              ;   in Loop: Header=BB21_17 Depth=2
	s_or_b32 s64, s28, 1
	s_mov_b32 s65, s29
	s_mul_u64 s[8:9], s[28:29], s[36:37]
	v_dual_mul_f32 v1, v44, v1 :: v_dual_mul_f32 v36, v44, v36
	s_mul_u64 s[64:65], s[64:65], s[36:37]
	s_lshl_b64 s[8:9], s[8:9], 2
	s_lshl_b64 s[64:65], s[64:65], 2
	s_add_nc_u64 s[8:9], s[60:61], s[8:9]
	s_add_nc_u64 s[64:65], s[60:61], s[64:65]
	s_clause 0x1
	global_store_b32 v0, v1, s[8:9]
	global_store_b32 v0, v36, s[64:65]
	s_wait_xcnt 0x1
	s_or_b32 s8, s28, 2
	s_mov_b32 s9, s29
	s_wait_xcnt 0x0
	s_or_b32 s64, s28, 3
	s_mov_b32 s65, s29
	s_mul_u64 s[8:9], s[8:9], s[36:37]
	s_wait_dscnt 0x0
	v_dual_mul_f32 v1, v44, v34 :: v_dual_mul_f32 v34, v44, v35
	s_mul_u64 s[64:65], s[64:65], s[36:37]
	s_lshl_b64 s[8:9], s[8:9], 2
	s_lshl_b64 s[64:65], s[64:65], 2
	s_add_nc_u64 s[8:9], s[60:61], s[8:9]
	s_add_nc_u64 s[64:65], s[60:61], s[64:65]
	s_clause 0x1
	global_store_b32 v0, v1, s[8:9]
	global_store_b32 v0, v34, s[64:65]
	s_branch .LBB21_16
.LBB21_61:                              ;   in Loop: Header=BB21_17 Depth=2
	v_mov_b32_e32 v35, 0
	s_delay_alu instid0(VALU_DEP_1)
	v_dual_mov_b32 v34, v35 :: v_dual_mov_b32 v37, v35
	v_mov_b32_e32 v36, v35
.LBB21_62:                              ;   in Loop: Header=BB21_17 Depth=2
	s_wait_xcnt 0x0
	s_or_b32 exec_lo, exec_lo, s11
	s_delay_alu instid0(SALU_CYCLE_1)
	s_or_b32 exec_lo, exec_lo, s9
	s_and_saveexec_b32 s6, s3
	s_cbranch_execnz .LBB21_20
	s_branch .LBB21_21
.LBB21_63:                              ;   in Loop: Header=BB21_3 Depth=1
	v_dual_mov_b32 v1, v0 :: v_dual_mov_b32 v2, v0
	v_mov_b32_e32 v3, v0
	s_mov_b32 s28, 0
	s_delay_alu instid0(VALU_DEP_1) | instskip(NEXT) | instid1(VALU_DEP_3)
	v_mov_b64_e32 v[4:5], v[2:3]
	v_mov_b64_e32 v[2:3], v[0:1]
.LBB21_64:                              ;   in Loop: Header=BB21_3 Depth=1
	s_cmp_ge_i32 s28, s35
	s_cbranch_scc1 .LBB21_2
; %bb.65:                               ;   in Loop: Header=BB21_3 Depth=1
	v_cmp_gt_u32_e32 vcc_lo, 24, v42
	s_mul_u64 s[6:7], s[54:55], s[28:29]
	s_delay_alu instid0(SALU_CYCLE_1) | instskip(SKIP_4) | instid1(VALU_DEP_2)
	s_add_nc_u64 s[6:7], s[6:7], s[62:63]
	s_wait_dscnt 0x0
	v_add_nc_u64_e32 v[34:35], s[6:7], v[8:9]
	v_cndmask_b32_e64 v1, 0, 8, vcc_lo
	v_cmp_gt_u32_e32 vcc_lo, 28, v42
	v_add_lshl_u32 v1, v1, v42, 2
	v_cndmask_b32_e64 v6, 0, 4, vcc_lo
	v_cmp_gt_u32_e32 vcc_lo, 30, v42
	s_delay_alu instid0(VALU_DEP_2) | instskip(SKIP_2) | instid1(VALU_DEP_2)
	v_add_lshl_u32 v7, v6, v42, 2
	v_cndmask_b32_e64 v36, 0, 2, vcc_lo
	v_cmp_ne_u32_e32 vcc_lo, 31, v42
	v_add_lshl_u32 v38, v36, v42, 2
	v_add_co_ci_u32_e64 v37, null, 0, v42, vcc_lo
	s_delay_alu instid0(VALU_DEP_1)
	v_lshlrev_b32_e32 v39, 2, v37
	s_branch .LBB21_67
.LBB21_66:                              ;   in Loop: Header=BB21_67 Depth=2
	s_wait_xcnt 0x0
	s_or_b32 exec_lo, exec_lo, s6
	v_add_nc_u64_e32 v[34:35], s[54:55], v[34:35]
	s_add_co_i32 s28, s28, 1
	s_delay_alu instid0(SALU_CYCLE_1)
	s_cmp_ge_i32 s28, s35
	s_cbranch_scc1 .LBB21_2
.LBB21_67:                              ;   Parent Loop BB21_3 Depth=1
                                        ; =>  This Loop Header: Depth=2
                                        ;       Child Loop BB21_80 Depth 3
                                        ;       Child Loop BB21_83 Depth 3
	s_wait_dscnt 0x0
	v_mov_b32_e32 v6, s29
	s_and_saveexec_b32 s6, s1
	s_delay_alu instid0(SALU_CYCLE_1)
	s_xor_b32 s6, exec_lo, s6
	s_cbranch_execnz .LBB21_76
; %bb.68:                               ;   in Loop: Header=BB21_67 Depth=2
	s_and_not1_saveexec_b32 s9, s6
	s_cbranch_execnz .LBB21_77
.LBB21_69:                              ;   in Loop: Header=BB21_67 Depth=2
	s_or_b32 exec_lo, exec_lo, s9
	s_and_saveexec_b32 s6, s3
.LBB21_70:                              ;   in Loop: Header=BB21_67 Depth=2
	ds_store_b32 v40, v0
.LBB21_71:                              ;   in Loop: Header=BB21_67 Depth=2
	s_or_b32 exec_lo, exec_lo, s6
	ds_bpermute_b32 v36, v43, v6
	s_wait_storecnt_dscnt 0x0
	s_barrier_signal -1
	s_barrier_wait -1
	v_add_f32_e32 v6, v6, v36
	ds_bpermute_b32 v36, v1, v6
	s_wait_dscnt 0x0
	v_add_f32_e32 v6, v6, v36
	ds_bpermute_b32 v36, v7, v6
	s_wait_dscnt 0x0
	;; [unrolled: 3-line block ×3, first 2 shown]
	v_add_f32_e32 v6, v6, v36
	ds_bpermute_b32 v36, v39, v6
	s_and_saveexec_b32 s6, s4
	s_cbranch_execz .LBB21_73
; %bb.72:                               ;   in Loop: Header=BB21_67 Depth=2
	s_wait_dscnt 0x0
	v_add_f32_e32 v6, v6, v36
	ds_store_b32 v41, v6
.LBB21_73:                              ;   in Loop: Header=BB21_67 Depth=2
	s_or_b32 exec_lo, exec_lo, s6
	v_mov_b32_e32 v6, 0
	s_wait_dscnt 0x0
	s_barrier_signal -1
	s_barrier_wait -1
	s_and_saveexec_b32 s6, s5
	s_cbranch_execnz .LBB21_85
; %bb.74:                               ;   in Loop: Header=BB21_67 Depth=2
	s_or_b32 exec_lo, exec_lo, s6
	s_and_saveexec_b32 s6, s3
	s_cbranch_execnz .LBB21_86
.LBB21_75:                              ;   in Loop: Header=BB21_67 Depth=2
	s_or_b32 exec_lo, exec_lo, s6
	s_and_saveexec_b32 s6, s0
	s_cbranch_execz .LBB21_66
	s_branch .LBB21_87
.LBB21_76:                              ;   in Loop: Header=BB21_67 Depth=2
	s_mul_u64 s[8:9], s[28:29], s[30:31]
	s_delay_alu instid0(SALU_CYCLE_1)
	v_lshl_add_u64 v[2:3], s[8:9], 2, v[24:25]
	global_load_b128 v[46:49], v[2:3], off
	s_clause 0x3
	global_load_b32 v2, v[26:27], off
	global_load_b32 v3, v[28:29], off
	;; [unrolled: 1-line block ×4, first 2 shown]
	s_wait_loadcnt 0x2
	v_pk_mul_f32 v[36:37], v[2:3], v[46:47]
	s_delay_alu instid0(VALU_DEP_1) | instskip(NEXT) | instid1(VALU_DEP_1)
	v_add_f32_e32 v6, 0, v36
	v_add_f32_e32 v6, v6, v37
	s_wait_loadcnt 0x0
	v_pk_mul_f32 v[36:37], v[4:5], v[48:49]
	s_delay_alu instid0(VALU_DEP_1) | instskip(NEXT) | instid1(VALU_DEP_1)
	v_add_f32_e32 v6, v6, v36
	v_add_f32_e32 v6, v6, v37
	s_wait_xcnt 0x0
	s_and_not1_saveexec_b32 s9, s6
	s_cbranch_execz .LBB21_69
.LBB21_77:                              ;   in Loop: Header=BB21_67 Depth=2
	s_and_saveexec_b32 s11, s2
	s_cbranch_execz .LBB21_84
; %bb.78:                               ;   in Loop: Header=BB21_67 Depth=2
	s_and_not1_b32 vcc_lo, exec_lo, s34
	s_cbranch_vccnz .LBB21_81
; %bb.79:                               ;   in Loop: Header=BB21_67 Depth=2
	v_mov_b64_e32 v[36:37], v[22:23]
	s_mov_b64 s[62:63], 0
.LBB21_80:                              ;   Parent Loop BB21_3 Depth=1
                                        ;     Parent Loop BB21_67 Depth=2
                                        ; =>    This Inner Loop Header: Depth=3
	global_load_b32 v45, v[36:37], off
	s_cmp_eq_u32 s62, 3
	s_wait_xcnt 0x0
	v_add_nc_u64_e32 v[36:37], s[48:49], v[36:37]
	s_cselect_b32 vcc_lo, -1, 0
	s_cmp_eq_u32 s62, 2
	s_cselect_b32 s6, -1, 0
	s_cmp_eq_u32 s62, 1
	s_cselect_b32 s7, -1, 0
	s_cmp_eq_u32 s62, 0
	s_add_nc_u64 s[62:63], s[62:63], 1
	s_cselect_b32 s8, -1, 0
	s_cmp_eq_u32 s68, s62
	s_wait_loadcnt 0x0
	v_dual_cndmask_b32 v5, v5, v45, vcc_lo :: v_dual_cndmask_b32 v4, v4, v45, s6
	v_dual_cndmask_b32 v3, v3, v45, s7 :: v_dual_cndmask_b32 v2, v2, v45, s8
	s_cbranch_scc0 .LBB21_80
.LBB21_81:                              ;   in Loop: Header=BB21_67 Depth=2
	s_and_not1_b32 vcc_lo, exec_lo, s34
	s_cbranch_vccnz .LBB21_84
; %bb.82:                               ;   in Loop: Header=BB21_67 Depth=2
	v_mov_b64_e32 v[36:37], v[34:35]
	s_mov_b64 s[6:7], 0
.LBB21_83:                              ;   Parent Loop BB21_3 Depth=1
                                        ;     Parent Loop BB21_67 Depth=2
                                        ; =>    This Inner Loop Header: Depth=3
	global_load_b32 v45, v[36:37], off
	s_cmp_eq_u32 s6, 1
	s_wait_xcnt 0x0
	v_add_nc_u64_e32 v[36:37], 4, v[36:37]
	s_cselect_b32 vcc_lo, -1, 0
	s_cmp_eq_u32 s6, 2
	v_cndmask_b32_e32 v46, v2, v3, vcc_lo
	s_cselect_b32 vcc_lo, -1, 0
	s_cmp_eq_u32 s6, 3
	s_add_nc_u64 s[6:7], s[6:7], 1
	s_delay_alu instid0(VALU_DEP_1) | instskip(SKIP_2) | instid1(VALU_DEP_1)
	v_cndmask_b32_e32 v46, v46, v4, vcc_lo
	s_cselect_b32 vcc_lo, -1, 0
	s_cmp_lg_u32 s68, s6
	v_cndmask_b32_e32 v46, v46, v5, vcc_lo
	s_wait_loadcnt 0x0
	s_delay_alu instid0(VALU_DEP_1)
	v_fmac_f32_e32 v6, v46, v45
	s_cbranch_scc1 .LBB21_83
.LBB21_84:                              ;   in Loop: Header=BB21_67 Depth=2
	s_or_b32 exec_lo, exec_lo, s11
	s_delay_alu instid0(SALU_CYCLE_1)
	s_or_b32 exec_lo, exec_lo, s9
	s_and_saveexec_b32 s6, s3
	s_cbranch_execnz .LBB21_70
	s_branch .LBB21_71
.LBB21_85:                              ;   in Loop: Header=BB21_67 Depth=2
	ds_load_b32 v6, v40
	s_or_b32 exec_lo, exec_lo, s6
	s_and_saveexec_b32 s6, s3
	s_cbranch_execz .LBB21_75
.LBB21_86:                              ;   in Loop: Header=BB21_67 Depth=2
	s_wait_dscnt 0x0
	ds_bpermute_b32 v36, v7, v6
	s_wait_dscnt 0x0
	v_add_f32_e32 v6, v6, v36
	ds_bpermute_b32 v36, v38, v6
	s_wait_dscnt 0x0
	v_add_f32_e32 v6, v6, v36
	;; [unrolled: 3-line block ×3, first 2 shown]
	s_or_b32 exec_lo, exec_lo, s6
	s_and_saveexec_b32 s6, s0
	s_cbranch_execz .LBB21_66
.LBB21_87:                              ;   in Loop: Header=BB21_67 Depth=2
	s_mul_u64 s[8:9], s[28:29], s[36:37]
	s_wait_dscnt 0x0
	v_mul_f32_e32 v6, v44, v6
	s_lshl_b64 s[8:9], s[8:9], 2
	s_delay_alu instid0(SALU_CYCLE_1)
	s_add_nc_u64 s[8:9], s[60:61], s[8:9]
	global_store_b32 v0, v6, s[8:9]
	s_branch .LBB21_66
.LBB21_88:
	s_sendmsg sendmsg(MSG_DEALLOC_VGPRS)
	s_endpgm
	.section	.rodata,"a",@progbits
	.p2align	6, 0x0
	.amdhsa_kernel _ZL23rocblas_gemvt_sn_kernelILb0ELi256ELi4ElfPKffEviiT4_lPKT3_lilS5_lilPT5_i
		.amdhsa_group_segment_fixed_size 128
		.amdhsa_private_segment_fixed_size 0
		.amdhsa_kernarg_size 360
		.amdhsa_user_sgpr_count 2
		.amdhsa_user_sgpr_dispatch_ptr 0
		.amdhsa_user_sgpr_queue_ptr 0
		.amdhsa_user_sgpr_kernarg_segment_ptr 1
		.amdhsa_user_sgpr_dispatch_id 0
		.amdhsa_user_sgpr_kernarg_preload_length 0
		.amdhsa_user_sgpr_kernarg_preload_offset 0
		.amdhsa_user_sgpr_private_segment_size 0
		.amdhsa_wavefront_size32 1
		.amdhsa_uses_dynamic_stack 0
		.amdhsa_enable_private_segment 0
		.amdhsa_system_sgpr_workgroup_id_x 1
		.amdhsa_system_sgpr_workgroup_id_y 0
		.amdhsa_system_sgpr_workgroup_id_z 1
		.amdhsa_system_sgpr_workgroup_info 0
		.amdhsa_system_vgpr_workitem_id 0
		.amdhsa_next_free_vgpr 68
		.amdhsa_next_free_sgpr 76
		.amdhsa_named_barrier_count 0
		.amdhsa_reserve_vcc 1
		.amdhsa_float_round_mode_32 0
		.amdhsa_float_round_mode_16_64 0
		.amdhsa_float_denorm_mode_32 3
		.amdhsa_float_denorm_mode_16_64 3
		.amdhsa_fp16_overflow 0
		.amdhsa_memory_ordered 1
		.amdhsa_forward_progress 1
		.amdhsa_inst_pref_size 31
		.amdhsa_round_robin_scheduling 0
		.amdhsa_exception_fp_ieee_invalid_op 0
		.amdhsa_exception_fp_denorm_src 0
		.amdhsa_exception_fp_ieee_div_zero 0
		.amdhsa_exception_fp_ieee_overflow 0
		.amdhsa_exception_fp_ieee_underflow 0
		.amdhsa_exception_fp_ieee_inexact 0
		.amdhsa_exception_int_div_zero 0
	.end_amdhsa_kernel
	.section	.text._ZL23rocblas_gemvt_sn_kernelILb0ELi256ELi4ElfPKffEviiT4_lPKT3_lilS5_lilPT5_i,"axG",@progbits,_ZL23rocblas_gemvt_sn_kernelILb0ELi256ELi4ElfPKffEviiT4_lPKT3_lilS5_lilPT5_i,comdat
.Lfunc_end21:
	.size	_ZL23rocblas_gemvt_sn_kernelILb0ELi256ELi4ElfPKffEviiT4_lPKT3_lilS5_lilPT5_i, .Lfunc_end21-_ZL23rocblas_gemvt_sn_kernelILb0ELi256ELi4ElfPKffEviiT4_lPKT3_lilS5_lilPT5_i
                                        ; -- End function
	.set _ZL23rocblas_gemvt_sn_kernelILb0ELi256ELi4ElfPKffEviiT4_lPKT3_lilS5_lilPT5_i.num_vgpr, 68
	.set _ZL23rocblas_gemvt_sn_kernelILb0ELi256ELi4ElfPKffEviiT4_lPKT3_lilS5_lilPT5_i.num_agpr, 0
	.set _ZL23rocblas_gemvt_sn_kernelILb0ELi256ELi4ElfPKffEviiT4_lPKT3_lilS5_lilPT5_i.numbered_sgpr, 76
	.set _ZL23rocblas_gemvt_sn_kernelILb0ELi256ELi4ElfPKffEviiT4_lPKT3_lilS5_lilPT5_i.num_named_barrier, 0
	.set _ZL23rocblas_gemvt_sn_kernelILb0ELi256ELi4ElfPKffEviiT4_lPKT3_lilS5_lilPT5_i.private_seg_size, 0
	.set _ZL23rocblas_gemvt_sn_kernelILb0ELi256ELi4ElfPKffEviiT4_lPKT3_lilS5_lilPT5_i.uses_vcc, 1
	.set _ZL23rocblas_gemvt_sn_kernelILb0ELi256ELi4ElfPKffEviiT4_lPKT3_lilS5_lilPT5_i.uses_flat_scratch, 0
	.set _ZL23rocblas_gemvt_sn_kernelILb0ELi256ELi4ElfPKffEviiT4_lPKT3_lilS5_lilPT5_i.has_dyn_sized_stack, 0
	.set _ZL23rocblas_gemvt_sn_kernelILb0ELi256ELi4ElfPKffEviiT4_lPKT3_lilS5_lilPT5_i.has_recursion, 0
	.set _ZL23rocblas_gemvt_sn_kernelILb0ELi256ELi4ElfPKffEviiT4_lPKT3_lilS5_lilPT5_i.has_indirect_call, 0
	.section	.AMDGPU.csdata,"",@progbits
; Kernel info:
; codeLenInByte = 3948
; TotalNumSgprs: 78
; NumVgprs: 68
; ScratchSize: 0
; MemoryBound: 0
; FloatMode: 240
; IeeeMode: 1
; LDSByteSize: 128 bytes/workgroup (compile time only)
; SGPRBlocks: 0
; VGPRBlocks: 4
; NumSGPRsForWavesPerEU: 78
; NumVGPRsForWavesPerEU: 68
; NamedBarCnt: 0
; Occupancy: 12
; WaveLimiterHint : 0
; COMPUTE_PGM_RSRC2:SCRATCH_EN: 0
; COMPUTE_PGM_RSRC2:USER_SGPR: 2
; COMPUTE_PGM_RSRC2:TRAP_HANDLER: 0
; COMPUTE_PGM_RSRC2:TGID_X_EN: 1
; COMPUTE_PGM_RSRC2:TGID_Y_EN: 0
; COMPUTE_PGM_RSRC2:TGID_Z_EN: 1
; COMPUTE_PGM_RSRC2:TIDIG_COMP_CNT: 0
	.section	.text._ZL23rocblas_gemvt_sn_kernelILb0ELi256ELi4EifffEviiT4_lPKT3_lilS3_lilPT5_i,"axG",@progbits,_ZL23rocblas_gemvt_sn_kernelILb0ELi256ELi4EifffEviiT4_lPKT3_lilS3_lilPT5_i,comdat
	.globl	_ZL23rocblas_gemvt_sn_kernelILb0ELi256ELi4EifffEviiT4_lPKT3_lilS3_lilPT5_i ; -- Begin function _ZL23rocblas_gemvt_sn_kernelILb0ELi256ELi4EifffEviiT4_lPKT3_lilS3_lilPT5_i
	.p2align	8
	.type	_ZL23rocblas_gemvt_sn_kernelILb0ELi256ELi4EifffEviiT4_lPKT3_lilS3_lilPT5_i,@function
_ZL23rocblas_gemvt_sn_kernelILb0ELi256ELi4EifffEviiT4_lPKT3_lilS3_lilPT5_i: ; @_ZL23rocblas_gemvt_sn_kernelILb0ELi256ELi4EifffEviiT4_lPKT3_lilS3_lilPT5_i
; %bb.0:
	s_load_b32 s11, s[0:1], 0x60
	s_bfe_u32 s2, ttmp6, 0x40014
	s_lshr_b32 s3, ttmp7, 16
	s_add_co_i32 s2, s2, 1
	s_bfe_u32 s4, ttmp6, 0x40008
	s_mul_i32 s2, s3, s2
	s_getreg_b32 s25, hwreg(HW_REG_IB_STS2, 6, 4)
	s_add_co_i32 s4, s4, s2
	s_cmp_eq_u32 s25, 0
	s_mov_b32 s27, 0
	s_cselect_b32 s24, s3, s4
	s_wait_kmcnt 0x0
	s_cmp_ge_u32 s24, s11
	s_cbranch_scc1 .LBB22_88
; %bb.1:
	s_clause 0x6
	s_load_b96 s[8:10], s[0:1], 0x40
	s_load_b128 s[4:7], s[0:1], 0x18
	s_load_b96 s[20:22], s[0:1], 0x0
	s_load_b32 s28, s[0:1], 0x28
	s_load_b128 s[12:15], s[0:1], 0x30
	s_load_b128 s[16:19], s[0:1], 0x50
	s_load_b32 s30, s[0:1], 0x68
	s_wait_xcnt 0x0
	v_cmp_eq_u32_e64 s0, 0, v0
	v_dual_lshrrev_b32 v2, 3, v0 :: v_dual_bitop2_b32 v1, 31, v0 bitop3:0x40
	v_cmp_gt_u32_e64 s1, 32, v0
	v_cmp_gt_u32_e64 s2, 8, v0
	v_mbcnt_lo_u32_b32 v38, -1, 0
	s_delay_alu instid0(VALU_DEP_4)
	v_cmp_eq_u32_e64 s3, 0, v1
	v_dual_lshlrev_b32 v36, 2, v1 :: v_dual_bitop2_b32 v37, 28, v2 bitop3:0x40
	v_mov_b64_e32 v[18:19], 0
	s_mov_b32 s31, s27
	s_mov_b32 s35, s27
	v_lshl_or_b32 v39, v38, 2, 64
	s_wait_kmcnt 0x0
	s_lshl_b64 s[8:9], s[8:9], 2
	s_lshl_b64 s[6:7], s[6:7], 2
	s_ashr_i32 s45, s21, 31
	s_cmp_eq_f32 s22, 0
	s_add_nc_u64 s[14:15], s[14:15], s[8:9]
	s_add_nc_u64 s[4:5], s[4:5], s[6:7]
	s_mov_b32 s44, s21
	s_cselect_b32 s23, -1, 0
	s_cmp_gt_i32 s21, 0
	s_mul_u64 s[36:37], s[44:45], s[30:31]
	s_cselect_b32 s8, -1, 0
	s_bfe_u32 s9, ttmp6, 0x4000c
	s_and_b32 s6, ttmp6, 15
	s_add_co_i32 s9, s9, 1
	s_and_b32 s33, s0, s8
	s_mul_i32 s7, ttmp9, s9
	s_mov_b32 s29, s27
	s_add_co_i32 s6, s6, s7
	s_cmp_eq_u32 s25, 0
	s_mov_b32 s49, s27
	s_cselect_b32 s34, ttmp9, s6
	s_ashr_i32 s7, s20, 31
	s_lshl_b32 s8, s34, 10
	s_lshr_b32 s6, s45, 30
	v_lshl_or_b32 v0, v0, 2, s8
	s_lshr_b32 s7, s7, 30
	s_add_co_i32 s6, s21, s6
	s_add_co_i32 s7, s20, s7
	s_and_b32 s70, s6, -4
	v_mul_lo_u32 v8, s10, v0
	s_and_b32 s6, s7, -4
	v_dual_ashrrev_i32 v1, 31, v0 :: v_dual_add_nc_u32 v2, 4, v0
	s_sub_co_i32 s71, s20, s6
	s_cmp_gt_i32 s70, 0
	s_cselect_b32 s72, -1, 0
	s_cmp_gt_i32 s71, 0
	v_lshl_add_u64 v[10:11], v[0:1], 2, s[4:5]
	s_cselect_b32 s73, -1, 0
	s_delay_alu instid0(VALU_DEP_3)
	v_dual_add_nc_u32 v12, s10, v8 :: v_dual_ashrrev_i32 v9, 31, v8
	s_cmp_gt_u32 s21, 1
	v_cmp_ge_i32_e64 s4, s20, v2
	s_cselect_b32 s6, -1, 0
	v_dual_add_nc_u32 v14, s10, v12 :: v_dual_ashrrev_i32 v13, 31, v12
	v_add_nc_u32_e32 v3, s71, v0
	s_cmp_eq_u32 s30, 1
	v_mov_b32_e32 v0, 0
	s_cselect_b32 s7, -1, 0
	v_add_nc_u32_e32 v16, s10, v14
	v_cmp_ge_i32_e64 s5, s20, v3
	s_and_b32 s20, s21, 0x7ffffffe
	s_and_b32 s74, s6, s7
	s_cmp_lg_u32 s21, s20
	v_dual_ashrrev_i32 v15, 31, v14 :: v_dual_ashrrev_i32 v17, 31, v16
	s_cselect_b32 s75, -1, 0
	s_lshl_b32 s26, s28, 1
	s_lshl_b64 s[38:39], s[34:35], 2
	s_mov_b64 s[50:51], s[26:27]
	s_mul_i32 s26, s28, 3
	s_add_nc_u64 s[40:41], s[18:19], s[38:39]
	s_lshl_b64 s[42:43], s[36:37], 2
	s_lshl_b64 s[44:45], s[44:45], 2
	;; [unrolled: 1-line block ×3, first 2 shown]
	s_lshl_b32 s48, s28, 2
	s_mov_b64 s[52:53], s[26:27]
	s_lshl_b64 s[54:55], s[12:13], 2
	s_branch .LBB22_3
.LBB22_2:                               ;   in Loop: Header=BB22_3 Depth=1
	s_add_co_i32 s24, s24, 0x10000
	s_delay_alu instid0(SALU_CYCLE_1)
	s_cmp_lt_u32 s24, s11
	s_cbranch_scc0 .LBB22_88
.LBB22_3:                               ; =>This Loop Header: Depth=1
                                        ;     Child Loop BB22_7 Depth 2
                                        ;     Child Loop BB22_11 Depth 2
	;; [unrolled: 1-line block ×3, first 2 shown]
                                        ;       Child Loop BB22_48 Depth 3
                                        ;       Child Loop BB22_51 Depth 3
                                        ;     Child Loop BB22_67 Depth 2
                                        ;       Child Loop BB22_80 Depth 3
                                        ;       Child Loop BB22_83 Depth 3
	s_mov_b32 s25, s27
	s_and_not1_b32 vcc_lo, exec_lo, s23
	s_mov_b32 s6, -1
	s_cbranch_vccnz .LBB22_13
; %bb.4:                                ;   in Loop: Header=BB22_3 Depth=1
	s_and_saveexec_b32 s8, s33
	s_cbranch_execz .LBB22_12
; %bb.5:                                ;   in Loop: Header=BB22_3 Depth=1
	s_and_not1_b32 vcc_lo, exec_lo, s74
	s_cbranch_vccnz .LBB22_9
; %bb.6:                                ;   in Loop: Header=BB22_3 Depth=1
	s_mul_u64 s[6:7], s[42:43], s[24:25]
	s_mov_b32 s9, s20
	s_add_nc_u64 s[6:7], s[40:41], s[6:7]
.LBB22_7:                               ;   Parent Loop BB22_3 Depth=1
                                        ; =>  This Inner Loop Header: Depth=2
	s_add_co_i32 s9, s9, -2
	global_store_b64 v0, v[18:19], s[6:7]
	s_wait_xcnt 0x0
	s_add_nc_u64 s[6:7], s[6:7], 8
	s_mov_b32 s26, s20
	s_cmp_lg_u32 s9, 0
	s_mov_b32 s35, s75
	s_cbranch_scc1 .LBB22_7
; %bb.8:                                ;   in Loop: Header=BB22_3 Depth=1
	s_and_b32 vcc_lo, exec_lo, s35
	s_cbranch_vccnz .LBB22_10
	s_branch .LBB22_12
.LBB22_9:                               ;   in Loop: Header=BB22_3 Depth=1
	s_mov_b32 s26, 0
	s_cbranch_execz .LBB22_12
.LBB22_10:                              ;   in Loop: Header=BB22_3 Depth=1
	s_mul_u64 s[6:7], s[44:45], s[24:25]
	s_lshl_b64 s[56:57], s[26:27], 2
	s_sub_co_i32 s9, s21, s26
	s_add_nc_u64 s[6:7], s[6:7], s[56:57]
	s_delay_alu instid0(SALU_CYCLE_1) | instskip(NEXT) | instid1(SALU_CYCLE_1)
	s_mul_u64 s[6:7], s[30:31], s[6:7]
	s_add_nc_u64 s[6:7], s[40:41], s[6:7]
.LBB22_11:                              ;   Parent Loop BB22_3 Depth=1
                                        ; =>  This Inner Loop Header: Depth=2
	s_add_co_i32 s9, s9, -1
	global_store_b32 v0, v0, s[6:7]
	s_cmp_eq_u32 s9, 0
	s_wait_xcnt 0x0
	s_add_nc_u64 s[6:7], s[6:7], s[46:47]
	s_cbranch_scc0 .LBB22_11
.LBB22_12:                              ;   in Loop: Header=BB22_3 Depth=1
	s_or_b32 exec_lo, exec_lo, s8
	s_mov_b32 s6, 0
.LBB22_13:                              ;   in Loop: Header=BB22_3 Depth=1
	s_delay_alu instid0(SALU_CYCLE_1)
	s_and_not1_b32 vcc_lo, exec_lo, s6
	s_cbranch_vccnz .LBB22_2
; %bb.14:                               ;   in Loop: Header=BB22_3 Depth=1
	s_mul_u64 s[6:7], s[16:17], s[24:25]
	s_mul_u64 s[8:9], s[54:55], s[24:25]
	s_lshl_b64 s[6:7], s[6:7], 2
	s_mul_u64 s[58:59], s[12:13], s[24:25]
	s_add_nc_u64 s[56:57], s[14:15], s[6:7]
	v_add_nc_u64_e32 v[30:31], s[8:9], v[10:11]
	s_mul_u64 s[60:61], s[36:37], s[24:25]
	v_lshl_add_u64 v[20:21], s[58:59], 2, v[10:11]
	v_lshl_add_u64 v[22:23], v[8:9], 2, s[56:57]
	;; [unrolled: 1-line block ×5, first 2 shown]
	v_cmp_gt_u32_e64 s9, 24, v38
	v_cmp_gt_u32_e64 s8, 28, v38
	;; [unrolled: 1-line block ×3, first 2 shown]
	v_cmp_ne_u32_e64 s6, 31, v38
	s_lshl_b64 s[58:59], s[60:61], 2
	s_and_not1_b32 vcc_lo, exec_lo, s72
	s_add_nc_u64 s[58:59], s[18:19], s[58:59]
	s_cbranch_vccnz .LBB22_63
; %bb.15:                               ;   in Loop: Header=BB22_3 Depth=1
	v_cndmask_b32_e64 v1, 0, 8, s9
	v_cndmask_b32_e64 v4, 0, 4, s8
	;; [unrolled: 1-line block ×3, first 2 shown]
	s_wait_dscnt 0x0
	v_add_co_ci_u32_e64 v6, null, 0, v38, s6
	v_add_lshl_u32 v40, v1, v38, 2
	v_dual_mov_b32 v1, v0 :: v_dual_mov_b32 v2, v0
	s_delay_alu instid0(VALU_DEP_3) | instskip(SKIP_3) | instid1(VALU_DEP_3)
	v_dual_mov_b32 v3, v0 :: v_dual_lshlrev_b32 v43, 2, v6
	v_add_lshl_u32 v41, v4, v38, 2
	v_add_lshl_u32 v42, v5, v38, 2
	s_mov_b32 s60, 0
	v_mov_b64_e32 v[4:5], v[2:3]
	v_mov_b64_e32 v[2:3], v[0:1]
	s_mov_b64 s[62:63], s[52:53]
	s_mov_b64 s[64:65], s[50:51]
	s_mov_b64 s[66:67], s[28:29]
	s_mov_b32 s26, s60
	s_branch .LBB22_17
.LBB22_16:                              ;   in Loop: Header=BB22_17 Depth=2
	s_wait_xcnt 0x0
	s_or_b32 exec_lo, exec_lo, s6
	s_add_co_i32 s26, s26, 4
	s_add_co_i32 s60, s60, s48
	s_add_nc_u64 s[66:67], s[66:67], s[48:49]
	s_add_nc_u64 s[64:65], s[64:65], s[48:49]
	s_cmp_ge_i32 s26, s70
	s_add_nc_u64 s[62:63], s[62:63], s[48:49]
	s_cbranch_scc1 .LBB22_64
.LBB22_17:                              ;   Parent Loop BB22_3 Depth=1
                                        ; =>  This Loop Header: Depth=2
                                        ;       Child Loop BB22_48 Depth 3
                                        ;       Child Loop BB22_51 Depth 3
                                        ; implicit-def: $vgpr7
                                        ; implicit-def: $vgpr33
	s_and_saveexec_b32 s6, s4
	s_delay_alu instid0(SALU_CYCLE_1)
	s_xor_b32 s6, exec_lo, s6
	s_cbranch_execnz .LBB22_44
; %bb.18:                               ;   in Loop: Header=BB22_17 Depth=2
	s_and_not1_saveexec_b32 s9, s6
	s_cbranch_execnz .LBB22_45
.LBB22_19:                              ;   in Loop: Header=BB22_17 Depth=2
	s_or_b32 exec_lo, exec_lo, s9
	s_and_saveexec_b32 s6, s1
.LBB22_20:                              ;   in Loop: Header=BB22_17 Depth=2
	ds_store_b32 v36, v0
.LBB22_21:                              ;   in Loop: Header=BB22_17 Depth=2
	s_or_b32 exec_lo, exec_lo, s6
	ds_bpermute_b32 v1, v39, v32
	s_wait_storecnt_dscnt 0x0
	s_barrier_signal -1
	s_barrier_wait -1
	v_add_f32_e32 v1, v32, v1
	ds_bpermute_b32 v32, v40, v1
	s_wait_dscnt 0x0
	v_add_f32_e32 v1, v1, v32
	ds_bpermute_b32 v32, v41, v1
	s_wait_dscnt 0x0
	;; [unrolled: 3-line block ×3, first 2 shown]
	v_add_f32_e32 v1, v1, v32
	ds_bpermute_b32 v32, v43, v1
	s_and_saveexec_b32 s6, s3
	s_cbranch_execz .LBB22_23
; %bb.22:                               ;   in Loop: Header=BB22_17 Depth=2
	s_wait_dscnt 0x0
	v_add_f32_e32 v1, v1, v32
	ds_store_b32 v37, v1
.LBB22_23:                              ;   in Loop: Header=BB22_17 Depth=2
	s_or_b32 exec_lo, exec_lo, s6
	v_mov_b32_e32 v1, 0
	s_wait_dscnt 0x0
	s_barrier_signal -1
	s_barrier_wait -1
	s_and_saveexec_b32 s6, s2
	s_cbranch_execnz .LBB22_52
; %bb.24:                               ;   in Loop: Header=BB22_17 Depth=2
	s_or_b32 exec_lo, exec_lo, s6
	s_and_saveexec_b32 s6, s1
	s_cbranch_execnz .LBB22_53
.LBB22_25:                              ;   in Loop: Header=BB22_17 Depth=2
	s_or_b32 exec_lo, exec_lo, s6
	s_and_saveexec_b32 s6, s1
.LBB22_26:                              ;   in Loop: Header=BB22_17 Depth=2
	ds_store_b32 v36, v0
.LBB22_27:                              ;   in Loop: Header=BB22_17 Depth=2
	s_or_b32 exec_lo, exec_lo, s6
	ds_bpermute_b32 v32, v39, v33
	s_wait_dscnt 0x0
	s_barrier_signal -1
	s_barrier_wait -1
	v_add_f32_e32 v32, v33, v32
	ds_bpermute_b32 v33, v40, v32
	s_wait_dscnt 0x0
	v_add_f32_e32 v32, v32, v33
	ds_bpermute_b32 v33, v41, v32
	s_wait_dscnt 0x0
	;; [unrolled: 3-line block ×3, first 2 shown]
	v_add_f32_e32 v32, v32, v33
	ds_bpermute_b32 v33, v43, v32
	s_and_saveexec_b32 s6, s3
	s_cbranch_execz .LBB22_29
; %bb.28:                               ;   in Loop: Header=BB22_17 Depth=2
	s_wait_dscnt 0x0
	v_add_f32_e32 v32, v32, v33
	ds_store_b32 v37, v32
.LBB22_29:                              ;   in Loop: Header=BB22_17 Depth=2
	s_or_b32 exec_lo, exec_lo, s6
	v_mov_b32_e32 v32, 0
	s_wait_dscnt 0x0
	s_barrier_signal -1
	s_barrier_wait -1
	s_and_saveexec_b32 s6, s2
	s_cbranch_execnz .LBB22_54
; %bb.30:                               ;   in Loop: Header=BB22_17 Depth=2
	s_or_b32 exec_lo, exec_lo, s6
	s_and_saveexec_b32 s6, s1
	s_cbranch_execnz .LBB22_55
.LBB22_31:                              ;   in Loop: Header=BB22_17 Depth=2
	s_or_b32 exec_lo, exec_lo, s6
	s_and_saveexec_b32 s6, s1
.LBB22_32:                              ;   in Loop: Header=BB22_17 Depth=2
	ds_store_b32 v36, v0
.LBB22_33:                              ;   in Loop: Header=BB22_17 Depth=2
	s_or_b32 exec_lo, exec_lo, s6
	ds_bpermute_b32 v33, v39, v6
	s_wait_dscnt 0x0
	s_barrier_signal -1
	s_barrier_wait -1
	v_add_f32_e32 v6, v6, v33
	ds_bpermute_b32 v33, v40, v6
	s_wait_dscnt 0x0
	v_add_f32_e32 v6, v6, v33
	ds_bpermute_b32 v33, v41, v6
	s_wait_dscnt 0x0
	v_add_f32_e32 v6, v6, v33
	ds_bpermute_b32 v33, v42, v6
	s_wait_dscnt 0x0
	v_add_f32_e32 v6, v6, v33
	ds_bpermute_b32 v33, v43, v6
	s_and_saveexec_b32 s6, s3
	s_cbranch_execz .LBB22_35
; %bb.34:                               ;   in Loop: Header=BB22_17 Depth=2
	s_wait_dscnt 0x0
	v_add_f32_e32 v6, v6, v33
	ds_store_b32 v37, v6
.LBB22_35:                              ;   in Loop: Header=BB22_17 Depth=2
	s_or_b32 exec_lo, exec_lo, s6
	v_mov_b32_e32 v6, 0
	s_wait_dscnt 0x0
	s_barrier_signal -1
	s_barrier_wait -1
	s_and_saveexec_b32 s6, s2
	s_cbranch_execnz .LBB22_56
; %bb.36:                               ;   in Loop: Header=BB22_17 Depth=2
	s_or_b32 exec_lo, exec_lo, s6
	s_and_saveexec_b32 s6, s1
	s_cbranch_execnz .LBB22_57
.LBB22_37:                              ;   in Loop: Header=BB22_17 Depth=2
	s_or_b32 exec_lo, exec_lo, s6
	s_and_saveexec_b32 s6, s1
.LBB22_38:                              ;   in Loop: Header=BB22_17 Depth=2
	ds_store_b32 v36, v0
.LBB22_39:                              ;   in Loop: Header=BB22_17 Depth=2
	s_or_b32 exec_lo, exec_lo, s6
	ds_bpermute_b32 v33, v39, v7
	s_wait_dscnt 0x0
	s_barrier_signal -1
	s_barrier_wait -1
	v_add_f32_e32 v7, v7, v33
	ds_bpermute_b32 v33, v40, v7
	s_wait_dscnt 0x0
	v_add_f32_e32 v7, v7, v33
	ds_bpermute_b32 v33, v41, v7
	s_wait_dscnt 0x0
	;; [unrolled: 3-line block ×3, first 2 shown]
	v_add_f32_e32 v7, v7, v33
	ds_bpermute_b32 v33, v43, v7
	s_and_saveexec_b32 s6, s3
	s_cbranch_execz .LBB22_41
; %bb.40:                               ;   in Loop: Header=BB22_17 Depth=2
	s_wait_dscnt 0x0
	v_add_f32_e32 v7, v7, v33
	ds_store_b32 v37, v7
.LBB22_41:                              ;   in Loop: Header=BB22_17 Depth=2
	s_or_b32 exec_lo, exec_lo, s6
	v_mov_b32_e32 v7, 0
	s_wait_dscnt 0x0
	s_barrier_signal -1
	s_barrier_wait -1
	s_and_saveexec_b32 s6, s2
	s_cbranch_execnz .LBB22_58
; %bb.42:                               ;   in Loop: Header=BB22_17 Depth=2
	s_or_b32 exec_lo, exec_lo, s6
	s_and_saveexec_b32 s6, s1
	s_cbranch_execnz .LBB22_59
.LBB22_43:                              ;   in Loop: Header=BB22_17 Depth=2
	s_or_b32 exec_lo, exec_lo, s6
	s_and_saveexec_b32 s6, s0
	s_cbranch_execz .LBB22_16
	s_branch .LBB22_60
.LBB22_44:                              ;   in Loop: Header=BB22_17 Depth=2
	s_mul_i32 s8, s26, s28
	s_delay_alu instid0(SALU_CYCLE_1)
	s_ashr_i32 s9, s8, 31
	s_add_co_i32 s68, s8, s28
	s_wait_dscnt 0x0
	v_lshl_add_u64 v[6:7], s[8:9], 2, v[20:21]
	s_add_co_i32 s8, s68, s28
	s_ashr_i32 s69, s68, 31
	s_add_co_i32 s76, s8, s28
	s_ashr_i32 s9, s8, 31
	s_ashr_i32 s77, s76, 31
	v_lshl_add_u64 v[48:49], s[68:69], 2, v[20:21]
	v_lshl_add_u64 v[32:33], s[76:77], 2, v[20:21]
	;; [unrolled: 1-line block ×3, first 2 shown]
	s_clause 0x2
	global_load_b32 v2, v[22:23], off
	global_load_b32 v3, v[24:25], off
	;; [unrolled: 1-line block ×3, first 2 shown]
	s_clause 0x3
	global_load_b128 v[32:35], v[32:33], off
	global_load_b128 v[44:47], v[6:7], off
	global_load_b128 v[48:51], v[48:49], off
	global_load_b128 v[52:55], v[52:53], off
	global_load_b32 v4, v[26:27], off
	s_wait_loadcnt 0x5
	s_wait_xcnt 0x3
	v_dual_mov_b32 v6, v3 :: v_dual_mov_b32 v56, v5
	s_wait_loadcnt 0x4
	v_pk_mul_f32 v[32:33], v[2:3], v[32:33]
	s_wait_loadcnt 0x3
	v_dual_mov_b32 v58, v44 :: v_dual_mov_b32 v44, v46
	s_wait_loadcnt 0x1
	v_dual_mov_b32 v59, v48 :: v_dual_mul_f32 v60, v2, v52
	s_wait_xcnt 0x2
	v_dual_mov_b32 v61, v32 :: v_dual_mov_b32 v48, v45
	v_dual_mul_f32 v32, v3, v53 :: v_dual_mov_b32 v45, v50
	s_wait_loadcnt 0x0
	v_pk_mul_f32 v[34:35], v[4:5], v[34:35]
	s_wait_xcnt 0x1
	v_pk_add_f32 v[52:53], v[60:61], 0 op_sel_hi:[1,0]
	v_pk_fma_f32 v[58:59], v[2:3], v[58:59], 0 op_sel_hi:[0,1,0]
	v_dual_mul_f32 v60, v4, v54 :: v_dual_mov_b32 v50, v47
	v_mov_b32_e32 v61, v34
	s_delay_alu instid0(VALU_DEP_4) | instskip(NEXT) | instid1(VALU_DEP_4)
	v_pk_add_f32 v[32:33], v[52:53], v[32:33]
	v_pk_fma_f32 v[6:7], v[6:7], v[48:49], v[58:59] op_sel_hi:[0,1,1]
	v_mul_f32_e32 v34, v5, v55
	s_delay_alu instid0(VALU_DEP_3) | instskip(NEXT) | instid1(VALU_DEP_3)
	v_pk_add_f32 v[32:33], v[32:33], v[60:61]
	v_pk_fma_f32 v[44:45], v[4:5], v[44:45], v[6:7] op_sel_hi:[0,1,1]
	s_delay_alu instid0(VALU_DEP_2) | instskip(NEXT) | instid1(VALU_DEP_2)
	v_pk_add_f32 v[6:7], v[32:33], v[34:35]
	v_pk_fma_f32 v[32:33], v[56:57], v[50:51], v[44:45] op_sel_hi:[0,1,1]
	s_wait_xcnt 0x0
	s_and_not1_saveexec_b32 s9, s6
	s_cbranch_execz .LBB22_19
.LBB22_45:                              ;   in Loop: Header=BB22_17 Depth=2
	s_wait_dscnt 0x0
	v_dual_mov_b32 v7, 0 :: v_dual_mov_b32 v6, 0
	v_dual_mov_b32 v33, 0 :: v_dual_mov_b32 v32, 0
	s_and_saveexec_b32 s25, s5
	s_cbranch_execz .LBB22_62
; %bb.46:                               ;   in Loop: Header=BB22_17 Depth=2
	s_and_not1_b32 vcc_lo, exec_lo, s73
	s_cbranch_vccnz .LBB22_49
; %bb.47:                               ;   in Loop: Header=BB22_17 Depth=2
	v_mov_b32_e32 v1, v8
	s_mov_b64 s[68:69], 0
.LBB22_48:                              ;   Parent Loop BB22_3 Depth=1
                                        ;     Parent Loop BB22_17 Depth=2
                                        ; =>    This Inner Loop Header: Depth=3
	global_load_b32 v6, v1, s[56:57] scale_offset
	s_cmp_eq_u32 s68, 3
	s_cselect_b32 vcc_lo, -1, 0
	s_cmp_eq_u32 s68, 2
	s_wait_xcnt 0x0
	v_add_nc_u32_e32 v1, s10, v1
	s_cselect_b32 s6, -1, 0
	s_cmp_eq_u32 s68, 1
	s_cselect_b32 s7, -1, 0
	s_cmp_eq_u32 s68, 0
	s_add_nc_u64 s[68:69], s[68:69], 1
	s_cselect_b32 s8, -1, 0
	s_cmp_eq_u32 s71, s68
	s_wait_loadcnt 0x0
	v_dual_cndmask_b32 v5, v5, v6, vcc_lo :: v_dual_cndmask_b32 v4, v4, v6, s6
	v_dual_cndmask_b32 v3, v3, v6, s7 :: v_dual_cndmask_b32 v2, v2, v6, s8
	s_cbranch_scc0 .LBB22_48
.LBB22_49:                              ;   in Loop: Header=BB22_17 Depth=2
	s_and_not1_b32 vcc_lo, exec_lo, s73
	s_cbranch_vccnz .LBB22_61
; %bb.50:                               ;   in Loop: Header=BB22_17 Depth=2
	v_mov_b32_e32 v32, 0
	s_ashr_i32 s61, s60, 31
	s_mov_b64 s[6:7], 0
	v_lshl_add_u64 v[34:35], s[60:61], 2, v[30:31]
	s_delay_alu instid0(VALU_DEP_2)
	v_dual_mov_b32 v33, v32 :: v_dual_mov_b32 v6, v32
	v_mov_b32_e32 v7, v32
.LBB22_51:                              ;   Parent Loop BB22_3 Depth=1
                                        ;     Parent Loop BB22_17 Depth=2
                                        ; =>    This Inner Loop Header: Depth=3
	s_cmp_eq_u32 s6, 1
	s_cselect_b32 vcc_lo, -1, 0
	s_cmp_eq_u32 s6, 2
	v_cndmask_b32_e32 v1, v2, v3, vcc_lo
	s_cselect_b32 vcc_lo, -1, 0
	s_cmp_eq_u32 s6, 3
	s_delay_alu instid0(VALU_DEP_1)
	v_cndmask_b32_e32 v1, v1, v4, vcc_lo
	s_cselect_b32 vcc_lo, -1, 0
	s_add_co_i32 s76, s64, s6
	s_add_co_i32 s78, s62, s6
	;; [unrolled: 1-line block ×3, first 2 shown]
	s_ashr_i32 s77, s76, 31
	s_ashr_i32 s79, s78, 31
	;; [unrolled: 1-line block ×3, first 2 shown]
	v_lshl_add_u64 v[44:45], s[76:77], 2, v[20:21]
	v_lshl_add_u64 v[46:47], s[78:79], 2, v[20:21]
	s_wait_xcnt 0x0
	v_lshl_add_u64 v[48:49], s[68:69], 2, v[20:21]
	global_load_b32 v50, v[34:35], off
	s_clause 0x2
	global_load_b32 v44, v[44:45], off
	global_load_b32 v45, v[46:47], off
	;; [unrolled: 1-line block ×3, first 2 shown]
	s_wait_xcnt 0x1
	v_cndmask_b32_e32 v46, v1, v5, vcc_lo
	v_add_nc_u64_e32 v[34:35], 4, v[34:35]
	s_add_nc_u64 s[6:7], s[6:7], 1
	s_delay_alu instid0(SALU_CYCLE_1)
	s_cmp_lg_u32 s71, s6
	s_wait_loadcnt 0x1
	v_pk_fma_f32 v[6:7], v[46:47], v[44:45], v[6:7] op_sel_hi:[0,1,1]
	s_wait_loadcnt 0x0
	v_pk_fma_f32 v[32:33], v[46:47], v[50:51], v[32:33] op_sel_hi:[0,1,1]
	s_cbranch_scc1 .LBB22_51
	s_branch .LBB22_62
.LBB22_52:                              ;   in Loop: Header=BB22_17 Depth=2
	ds_load_b32 v1, v36
	s_or_b32 exec_lo, exec_lo, s6
	s_and_saveexec_b32 s6, s1
	s_cbranch_execz .LBB22_25
.LBB22_53:                              ;   in Loop: Header=BB22_17 Depth=2
	s_wait_dscnt 0x0
	ds_bpermute_b32 v32, v41, v1
	s_wait_dscnt 0x0
	v_add_f32_e32 v1, v1, v32
	ds_bpermute_b32 v32, v42, v1
	s_wait_dscnt 0x0
	v_add_f32_e32 v1, v1, v32
	;; [unrolled: 3-line block ×3, first 2 shown]
	s_or_b32 exec_lo, exec_lo, s6
	s_and_saveexec_b32 s6, s1
	s_cbranch_execnz .LBB22_26
	s_branch .LBB22_27
.LBB22_54:                              ;   in Loop: Header=BB22_17 Depth=2
	ds_load_b32 v32, v36
	s_or_b32 exec_lo, exec_lo, s6
	s_and_saveexec_b32 s6, s1
	s_cbranch_execz .LBB22_31
.LBB22_55:                              ;   in Loop: Header=BB22_17 Depth=2
	s_wait_dscnt 0x0
	ds_bpermute_b32 v33, v41, v32
	s_wait_dscnt 0x0
	v_add_f32_e32 v32, v32, v33
	ds_bpermute_b32 v33, v42, v32
	s_wait_dscnt 0x0
	v_add_f32_e32 v32, v32, v33
	;; [unrolled: 3-line block ×3, first 2 shown]
	s_or_b32 exec_lo, exec_lo, s6
	s_and_saveexec_b32 s6, s1
	s_cbranch_execnz .LBB22_32
	s_branch .LBB22_33
.LBB22_56:                              ;   in Loop: Header=BB22_17 Depth=2
	ds_load_b32 v6, v36
	s_or_b32 exec_lo, exec_lo, s6
	s_and_saveexec_b32 s6, s1
	s_cbranch_execz .LBB22_37
.LBB22_57:                              ;   in Loop: Header=BB22_17 Depth=2
	s_wait_dscnt 0x0
	ds_bpermute_b32 v33, v41, v6
	s_wait_dscnt 0x0
	v_add_f32_e32 v6, v6, v33
	ds_bpermute_b32 v33, v42, v6
	s_wait_dscnt 0x0
	v_add_f32_e32 v6, v6, v33
	ds_bpermute_b32 v33, v43, v6
	s_wait_dscnt 0x0
	v_add_f32_e32 v6, v6, v33
	s_or_b32 exec_lo, exec_lo, s6
	s_and_saveexec_b32 s6, s1
	s_cbranch_execnz .LBB22_38
	s_branch .LBB22_39
.LBB22_58:                              ;   in Loop: Header=BB22_17 Depth=2
	ds_load_b32 v7, v36
	s_or_b32 exec_lo, exec_lo, s6
	s_and_saveexec_b32 s6, s1
	s_cbranch_execz .LBB22_43
.LBB22_59:                              ;   in Loop: Header=BB22_17 Depth=2
	s_wait_dscnt 0x0
	ds_bpermute_b32 v33, v41, v7
	s_wait_dscnt 0x0
	v_add_f32_e32 v7, v7, v33
	ds_bpermute_b32 v33, v42, v7
	s_wait_dscnt 0x0
	v_add_f32_e32 v7, v7, v33
	;; [unrolled: 3-line block ×3, first 2 shown]
	s_or_b32 exec_lo, exec_lo, s6
	s_and_saveexec_b32 s6, s0
	s_cbranch_execz .LBB22_16
.LBB22_60:                              ;   in Loop: Header=BB22_17 Depth=2
	s_mul_i32 s7, s26, s30
	v_dual_mul_f32 v1, s22, v1 :: v_dual_mul_f32 v32, s22, v32
	s_add_co_i32 s7, s7, s34
	s_delay_alu instid0(SALU_CYCLE_1) | instskip(NEXT) | instid1(SALU_CYCLE_1)
	s_add_co_i32 s8, s7, s30
	v_dual_mov_b32 v33, s7 :: v_dual_mov_b32 v34, s8
	s_add_co_i32 s7, s8, s30
	s_delay_alu instid0(SALU_CYCLE_1)
	v_dual_mul_f32 v6, s22, v6 :: v_dual_mov_b32 v35, s7
	s_add_co_i32 s7, s7, s30
	s_wait_dscnt 0x0
	v_dual_mul_f32 v7, s22, v7 :: v_dual_mov_b32 v44, s7
	s_clause 0x3
	global_store_b32 v33, v1, s[58:59] scale_offset
	global_store_b32 v34, v32, s[58:59] scale_offset
	;; [unrolled: 1-line block ×4, first 2 shown]
	s_branch .LBB22_16
.LBB22_61:                              ;   in Loop: Header=BB22_17 Depth=2
	v_mov_b32_e32 v7, 0
	s_delay_alu instid0(VALU_DEP_1)
	v_dual_mov_b32 v6, v7 :: v_dual_mov_b32 v33, v7
	v_mov_b32_e32 v32, v7
.LBB22_62:                              ;   in Loop: Header=BB22_17 Depth=2
	s_wait_xcnt 0x0
	s_or_b32 exec_lo, exec_lo, s25
	s_delay_alu instid0(SALU_CYCLE_1)
	s_or_b32 exec_lo, exec_lo, s9
	s_and_saveexec_b32 s6, s1
	s_cbranch_execnz .LBB22_20
	s_branch .LBB22_21
.LBB22_63:                              ;   in Loop: Header=BB22_3 Depth=1
	v_dual_mov_b32 v1, v0 :: v_dual_mov_b32 v2, v0
	v_mov_b32_e32 v3, v0
	s_mov_b32 s26, 0
	s_delay_alu instid0(VALU_DEP_1) | instskip(NEXT) | instid1(VALU_DEP_3)
	v_mov_b64_e32 v[4:5], v[2:3]
	v_mov_b64_e32 v[2:3], v[0:1]
.LBB22_64:                              ;   in Loop: Header=BB22_3 Depth=1
	s_cmp_ge_i32 s26, s21
	s_cbranch_scc1 .LBB22_2
; %bb.65:                               ;   in Loop: Header=BB22_3 Depth=1
	v_cmp_gt_u32_e32 vcc_lo, 24, v38
	s_add_nc_u64 s[58:59], s[58:59], s[38:39]
	s_mul_i32 s60, s28, s26
	v_cndmask_b32_e64 v1, 0, 8, vcc_lo
	v_cmp_gt_u32_e32 vcc_lo, 28, v38
	s_delay_alu instid0(VALU_DEP_2) | instskip(SKIP_4) | instid1(VALU_DEP_2)
	v_add_lshl_u32 v1, v1, v38, 2
	s_wait_dscnt 0x0
	v_cndmask_b32_e64 v6, 0, 4, vcc_lo
	v_cmp_gt_u32_e32 vcc_lo, 30, v38
	s_wait_dscnt 0x0
	v_add_lshl_u32 v7, v6, v38, 2
	v_cndmask_b32_e64 v32, 0, 2, vcc_lo
	v_cmp_ne_u32_e32 vcc_lo, 31, v38
	s_delay_alu instid0(VALU_DEP_2) | instskip(SKIP_1) | instid1(VALU_DEP_1)
	v_add_lshl_u32 v34, v32, v38, 2
	v_add_co_ci_u32_e64 v33, null, 0, v38, vcc_lo
	v_lshlrev_b32_e32 v35, 2, v33
	s_branch .LBB22_67
.LBB22_66:                              ;   in Loop: Header=BB22_67 Depth=2
	s_wait_xcnt 0x0
	s_or_b32 exec_lo, exec_lo, s6
	s_add_co_i32 s26, s26, 1
	s_add_co_i32 s60, s60, s28
	s_cmp_ge_i32 s26, s21
	s_cbranch_scc1 .LBB22_2
.LBB22_67:                              ;   Parent Loop BB22_3 Depth=1
                                        ; =>  This Loop Header: Depth=2
                                        ;       Child Loop BB22_80 Depth 3
                                        ;       Child Loop BB22_83 Depth 3
	s_wait_dscnt 0x0
	v_mov_b32_e32 v6, s27
	s_and_saveexec_b32 s6, s4
	s_delay_alu instid0(SALU_CYCLE_1)
	s_xor_b32 s6, exec_lo, s6
	s_cbranch_execnz .LBB22_76
; %bb.68:                               ;   in Loop: Header=BB22_67 Depth=2
	s_and_not1_saveexec_b32 s9, s6
	s_cbranch_execnz .LBB22_77
.LBB22_69:                              ;   in Loop: Header=BB22_67 Depth=2
	s_or_b32 exec_lo, exec_lo, s9
	s_and_saveexec_b32 s6, s1
.LBB22_70:                              ;   in Loop: Header=BB22_67 Depth=2
	ds_store_b32 v36, v0
.LBB22_71:                              ;   in Loop: Header=BB22_67 Depth=2
	s_or_b32 exec_lo, exec_lo, s6
	ds_bpermute_b32 v32, v39, v6
	s_wait_storecnt_dscnt 0x0
	s_barrier_signal -1
	s_barrier_wait -1
	v_add_f32_e32 v6, v6, v32
	ds_bpermute_b32 v32, v1, v6
	s_wait_dscnt 0x0
	v_add_f32_e32 v6, v6, v32
	ds_bpermute_b32 v32, v7, v6
	s_wait_dscnt 0x0
	;; [unrolled: 3-line block ×3, first 2 shown]
	v_add_f32_e32 v6, v6, v32
	ds_bpermute_b32 v32, v35, v6
	s_and_saveexec_b32 s6, s3
	s_cbranch_execz .LBB22_73
; %bb.72:                               ;   in Loop: Header=BB22_67 Depth=2
	s_wait_dscnt 0x0
	v_add_f32_e32 v6, v6, v32
	ds_store_b32 v37, v6
.LBB22_73:                              ;   in Loop: Header=BB22_67 Depth=2
	s_or_b32 exec_lo, exec_lo, s6
	v_mov_b32_e32 v6, 0
	s_wait_dscnt 0x0
	s_barrier_signal -1
	s_barrier_wait -1
	s_and_saveexec_b32 s6, s2
	s_cbranch_execnz .LBB22_85
; %bb.74:                               ;   in Loop: Header=BB22_67 Depth=2
	s_or_b32 exec_lo, exec_lo, s6
	s_and_saveexec_b32 s6, s1
	s_cbranch_execnz .LBB22_86
.LBB22_75:                              ;   in Loop: Header=BB22_67 Depth=2
	s_or_b32 exec_lo, exec_lo, s6
	s_and_saveexec_b32 s6, s0
	s_cbranch_execz .LBB22_66
	s_branch .LBB22_87
.LBB22_76:                              ;   in Loop: Header=BB22_67 Depth=2
	s_mul_i32 s8, s26, s28
	s_delay_alu instid0(SALU_CYCLE_1) | instskip(NEXT) | instid1(SALU_CYCLE_1)
	s_ashr_i32 s9, s8, 31
	v_lshl_add_u64 v[2:3], s[8:9], 2, v[20:21]
	global_load_b128 v[40:43], v[2:3], off
	s_clause 0x3
	global_load_b32 v2, v[22:23], off
	global_load_b32 v3, v[24:25], off
	;; [unrolled: 1-line block ×4, first 2 shown]
	s_wait_loadcnt 0x2
	v_pk_mul_f32 v[32:33], v[2:3], v[40:41]
	s_delay_alu instid0(VALU_DEP_1) | instskip(NEXT) | instid1(VALU_DEP_1)
	v_add_f32_e32 v6, 0, v32
	v_add_f32_e32 v6, v6, v33
	s_wait_loadcnt 0x0
	v_pk_mul_f32 v[32:33], v[4:5], v[42:43]
	s_delay_alu instid0(VALU_DEP_1) | instskip(NEXT) | instid1(VALU_DEP_1)
	v_add_f32_e32 v6, v6, v32
	v_add_f32_e32 v6, v6, v33
	s_wait_xcnt 0x0
	s_and_not1_saveexec_b32 s9, s6
	s_cbranch_execz .LBB22_69
.LBB22_77:                              ;   in Loop: Header=BB22_67 Depth=2
	s_and_saveexec_b32 s25, s5
	s_cbranch_execz .LBB22_84
; %bb.78:                               ;   in Loop: Header=BB22_67 Depth=2
	s_and_not1_b32 vcc_lo, exec_lo, s73
	s_cbranch_vccnz .LBB22_81
; %bb.79:                               ;   in Loop: Header=BB22_67 Depth=2
	v_mov_b32_e32 v32, v8
	s_mov_b64 s[62:63], 0
.LBB22_80:                              ;   Parent Loop BB22_3 Depth=1
                                        ;     Parent Loop BB22_67 Depth=2
                                        ; =>    This Inner Loop Header: Depth=3
	global_load_b32 v33, v32, s[56:57] scale_offset
	s_cmp_eq_u32 s62, 3
	s_cselect_b32 vcc_lo, -1, 0
	s_cmp_eq_u32 s62, 2
	s_wait_xcnt 0x0
	v_add_nc_u32_e32 v32, s10, v32
	s_cselect_b32 s6, -1, 0
	s_cmp_eq_u32 s62, 1
	s_cselect_b32 s7, -1, 0
	s_cmp_eq_u32 s62, 0
	s_add_nc_u64 s[62:63], s[62:63], 1
	s_cselect_b32 s8, -1, 0
	s_cmp_eq_u32 s71, s62
	s_wait_loadcnt 0x0
	v_dual_cndmask_b32 v5, v5, v33, vcc_lo :: v_dual_cndmask_b32 v4, v4, v33, s6
	v_dual_cndmask_b32 v3, v3, v33, s7 :: v_dual_cndmask_b32 v2, v2, v33, s8
	s_cbranch_scc0 .LBB22_80
.LBB22_81:                              ;   in Loop: Header=BB22_67 Depth=2
	s_and_not1_b32 vcc_lo, exec_lo, s73
	s_cbranch_vccnz .LBB22_84
; %bb.82:                               ;   in Loop: Header=BB22_67 Depth=2
	s_ashr_i32 s61, s60, 31
	s_mov_b64 s[6:7], 0
	v_lshl_add_u64 v[32:33], s[60:61], 2, v[30:31]
.LBB22_83:                              ;   Parent Loop BB22_3 Depth=1
                                        ;     Parent Loop BB22_67 Depth=2
                                        ; =>    This Inner Loop Header: Depth=3
	global_load_b32 v40, v[32:33], off
	s_cmp_eq_u32 s6, 1
	s_wait_xcnt 0x0
	v_add_nc_u64_e32 v[32:33], 4, v[32:33]
	s_cselect_b32 vcc_lo, -1, 0
	s_cmp_eq_u32 s6, 2
	v_cndmask_b32_e32 v41, v2, v3, vcc_lo
	s_cselect_b32 vcc_lo, -1, 0
	s_cmp_eq_u32 s6, 3
	s_add_nc_u64 s[6:7], s[6:7], 1
	s_delay_alu instid0(VALU_DEP_1) | instskip(SKIP_2) | instid1(VALU_DEP_1)
	v_cndmask_b32_e32 v41, v41, v4, vcc_lo
	s_cselect_b32 vcc_lo, -1, 0
	s_cmp_lg_u32 s71, s6
	v_cndmask_b32_e32 v41, v41, v5, vcc_lo
	s_wait_loadcnt 0x0
	s_delay_alu instid0(VALU_DEP_1)
	v_fmac_f32_e32 v6, v41, v40
	s_cbranch_scc1 .LBB22_83
.LBB22_84:                              ;   in Loop: Header=BB22_67 Depth=2
	s_or_b32 exec_lo, exec_lo, s25
	s_delay_alu instid0(SALU_CYCLE_1)
	s_or_b32 exec_lo, exec_lo, s9
	s_and_saveexec_b32 s6, s1
	s_cbranch_execnz .LBB22_70
	s_branch .LBB22_71
.LBB22_85:                              ;   in Loop: Header=BB22_67 Depth=2
	ds_load_b32 v6, v36
	s_or_b32 exec_lo, exec_lo, s6
	s_and_saveexec_b32 s6, s1
	s_cbranch_execz .LBB22_75
.LBB22_86:                              ;   in Loop: Header=BB22_67 Depth=2
	s_wait_dscnt 0x0
	ds_bpermute_b32 v32, v7, v6
	s_wait_dscnt 0x0
	v_add_f32_e32 v6, v6, v32
	ds_bpermute_b32 v32, v34, v6
	s_wait_dscnt 0x0
	v_add_f32_e32 v6, v6, v32
	ds_bpermute_b32 v32, v35, v6
	s_wait_dscnt 0x0
	v_add_f32_e32 v6, v6, v32
	s_or_b32 exec_lo, exec_lo, s6
	s_and_saveexec_b32 s6, s0
	s_cbranch_execz .LBB22_66
.LBB22_87:                              ;   in Loop: Header=BB22_67 Depth=2
	s_mul_u64 s[8:9], s[26:27], s[30:31]
	s_wait_dscnt 0x0
	v_mul_f32_e32 v6, s22, v6
	s_lshl_b64 s[8:9], s[8:9], 2
	s_delay_alu instid0(SALU_CYCLE_1)
	s_add_nc_u64 s[8:9], s[58:59], s[8:9]
	global_store_b32 v0, v6, s[8:9]
	s_branch .LBB22_66
.LBB22_88:
	s_endpgm
	.section	.rodata,"a",@progbits
	.p2align	6, 0x0
	.amdhsa_kernel _ZL23rocblas_gemvt_sn_kernelILb0ELi256ELi4EifffEviiT4_lPKT3_lilS3_lilPT5_i
		.amdhsa_group_segment_fixed_size 128
		.amdhsa_private_segment_fixed_size 0
		.amdhsa_kernarg_size 360
		.amdhsa_user_sgpr_count 2
		.amdhsa_user_sgpr_dispatch_ptr 0
		.amdhsa_user_sgpr_queue_ptr 0
		.amdhsa_user_sgpr_kernarg_segment_ptr 1
		.amdhsa_user_sgpr_dispatch_id 0
		.amdhsa_user_sgpr_kernarg_preload_length 0
		.amdhsa_user_sgpr_kernarg_preload_offset 0
		.amdhsa_user_sgpr_private_segment_size 0
		.amdhsa_wavefront_size32 1
		.amdhsa_uses_dynamic_stack 0
		.amdhsa_enable_private_segment 0
		.amdhsa_system_sgpr_workgroup_id_x 1
		.amdhsa_system_sgpr_workgroup_id_y 0
		.amdhsa_system_sgpr_workgroup_id_z 1
		.amdhsa_system_sgpr_workgroup_info 0
		.amdhsa_system_vgpr_workitem_id 0
		.amdhsa_next_free_vgpr 62
		.amdhsa_next_free_sgpr 80
		.amdhsa_named_barrier_count 0
		.amdhsa_reserve_vcc 1
		.amdhsa_float_round_mode_32 0
		.amdhsa_float_round_mode_16_64 0
		.amdhsa_float_denorm_mode_32 3
		.amdhsa_float_denorm_mode_16_64 3
		.amdhsa_fp16_overflow 0
		.amdhsa_memory_ordered 1
		.amdhsa_forward_progress 1
		.amdhsa_inst_pref_size 31
		.amdhsa_round_robin_scheduling 0
		.amdhsa_exception_fp_ieee_invalid_op 0
		.amdhsa_exception_fp_denorm_src 0
		.amdhsa_exception_fp_ieee_div_zero 0
		.amdhsa_exception_fp_ieee_overflow 0
		.amdhsa_exception_fp_ieee_underflow 0
		.amdhsa_exception_fp_ieee_inexact 0
		.amdhsa_exception_int_div_zero 0
	.end_amdhsa_kernel
	.section	.text._ZL23rocblas_gemvt_sn_kernelILb0ELi256ELi4EifffEviiT4_lPKT3_lilS3_lilPT5_i,"axG",@progbits,_ZL23rocblas_gemvt_sn_kernelILb0ELi256ELi4EifffEviiT4_lPKT3_lilS3_lilPT5_i,comdat
.Lfunc_end22:
	.size	_ZL23rocblas_gemvt_sn_kernelILb0ELi256ELi4EifffEviiT4_lPKT3_lilS3_lilPT5_i, .Lfunc_end22-_ZL23rocblas_gemvt_sn_kernelILb0ELi256ELi4EifffEviiT4_lPKT3_lilS3_lilPT5_i
                                        ; -- End function
	.set _ZL23rocblas_gemvt_sn_kernelILb0ELi256ELi4EifffEviiT4_lPKT3_lilS3_lilPT5_i.num_vgpr, 62
	.set _ZL23rocblas_gemvt_sn_kernelILb0ELi256ELi4EifffEviiT4_lPKT3_lilS3_lilPT5_i.num_agpr, 0
	.set _ZL23rocblas_gemvt_sn_kernelILb0ELi256ELi4EifffEviiT4_lPKT3_lilS3_lilPT5_i.numbered_sgpr, 80
	.set _ZL23rocblas_gemvt_sn_kernelILb0ELi256ELi4EifffEviiT4_lPKT3_lilS3_lilPT5_i.num_named_barrier, 0
	.set _ZL23rocblas_gemvt_sn_kernelILb0ELi256ELi4EifffEviiT4_lPKT3_lilS3_lilPT5_i.private_seg_size, 0
	.set _ZL23rocblas_gemvt_sn_kernelILb0ELi256ELi4EifffEviiT4_lPKT3_lilS3_lilPT5_i.uses_vcc, 1
	.set _ZL23rocblas_gemvt_sn_kernelILb0ELi256ELi4EifffEviiT4_lPKT3_lilS3_lilPT5_i.uses_flat_scratch, 0
	.set _ZL23rocblas_gemvt_sn_kernelILb0ELi256ELi4EifffEviiT4_lPKT3_lilS3_lilPT5_i.has_dyn_sized_stack, 0
	.set _ZL23rocblas_gemvt_sn_kernelILb0ELi256ELi4EifffEviiT4_lPKT3_lilS3_lilPT5_i.has_recursion, 0
	.set _ZL23rocblas_gemvt_sn_kernelILb0ELi256ELi4EifffEviiT4_lPKT3_lilS3_lilPT5_i.has_indirect_call, 0
	.section	.AMDGPU.csdata,"",@progbits
; Kernel info:
; codeLenInByte = 3888
; TotalNumSgprs: 82
; NumVgprs: 62
; ScratchSize: 0
; MemoryBound: 0
; FloatMode: 240
; IeeeMode: 1
; LDSByteSize: 128 bytes/workgroup (compile time only)
; SGPRBlocks: 0
; VGPRBlocks: 3
; NumSGPRsForWavesPerEU: 82
; NumVGPRsForWavesPerEU: 62
; NamedBarCnt: 0
; Occupancy: 16
; WaveLimiterHint : 0
; COMPUTE_PGM_RSRC2:SCRATCH_EN: 0
; COMPUTE_PGM_RSRC2:USER_SGPR: 2
; COMPUTE_PGM_RSRC2:TRAP_HANDLER: 0
; COMPUTE_PGM_RSRC2:TGID_X_EN: 1
; COMPUTE_PGM_RSRC2:TGID_Y_EN: 0
; COMPUTE_PGM_RSRC2:TGID_Z_EN: 1
; COMPUTE_PGM_RSRC2:TIDIG_COMP_CNT: 0
	.section	.text._ZL23rocblas_gemvt_sn_kernelILb0ELi256ELi4ElfffEviiT4_lPKT3_lilS3_lilPT5_i,"axG",@progbits,_ZL23rocblas_gemvt_sn_kernelILb0ELi256ELi4ElfffEviiT4_lPKT3_lilS3_lilPT5_i,comdat
	.globl	_ZL23rocblas_gemvt_sn_kernelILb0ELi256ELi4ElfffEviiT4_lPKT3_lilS3_lilPT5_i ; -- Begin function _ZL23rocblas_gemvt_sn_kernelILb0ELi256ELi4ElfffEviiT4_lPKT3_lilS3_lilPT5_i
	.p2align	8
	.type	_ZL23rocblas_gemvt_sn_kernelILb0ELi256ELi4ElfffEviiT4_lPKT3_lilS3_lilPT5_i,@function
_ZL23rocblas_gemvt_sn_kernelILb0ELi256ELi4ElfffEviiT4_lPKT3_lilS3_lilPT5_i: ; @_ZL23rocblas_gemvt_sn_kernelILb0ELi256ELi4ElfffEviiT4_lPKT3_lilS3_lilPT5_i
; %bb.0:
	s_load_b32 s23, s[0:1], 0x60
	s_bfe_u32 s2, ttmp6, 0x40014
	s_lshr_b32 s3, ttmp7, 16
	s_add_co_i32 s2, s2, 1
	s_bfe_u32 s4, ttmp6, 0x40008
	s_mul_i32 s2, s3, s2
	s_getreg_b32 s25, hwreg(HW_REG_IB_STS2, 6, 4)
	s_add_co_i32 s4, s4, s2
	s_cmp_eq_u32 s25, 0
	s_mov_b32 s11, 0
	s_cselect_b32 s24, s3, s4
	s_wait_kmcnt 0x0
	s_cmp_ge_u32 s24, s23
	s_cbranch_scc1 .LBB23_88
; %bb.1:
	s_clause 0x6
	s_load_b32 s26, s[0:1], 0x28
	s_load_b96 s[8:10], s[0:1], 0x40
	s_load_b128 s[4:7], s[0:1], 0x18
	s_load_b96 s[20:22], s[0:1], 0x0
	s_load_b128 s[12:15], s[0:1], 0x30
	s_load_b128 s[16:19], s[0:1], 0x50
	s_load_b32 s28, s[0:1], 0x68
	s_wait_xcnt 0x0
	v_cmp_eq_u32_e64 s0, 0, v0
	v_dual_lshrrev_b32 v2, 3, v0 :: v_dual_bitop2_b32 v1, 31, v0 bitop3:0x40
	v_cmp_gt_u32_e64 s1, 32, v0
	v_cmp_gt_u32_e64 s2, 8, v0
	v_mbcnt_lo_u32_b32 v42, -1, 0
	s_delay_alu instid0(VALU_DEP_4)
	v_cmp_eq_u32_e64 s3, 0, v1
	v_dual_lshlrev_b32 v40, 2, v1 :: v_dual_bitop2_b32 v41, 28, v2 bitop3:0x40
	v_mov_b64_e32 v[20:21], 0
	s_mov_b32 s29, s11
	v_lshl_or_b32 v43, v42, 2, 64
	s_wait_kmcnt 0x0
	s_ashr_i32 s27, s26, 31
	s_ashr_i32 s47, s10, 31
	s_lshl_b64 s[8:9], s[8:9], 2
	s_lshl_b64 s[6:7], s[6:7], 2
	s_ashr_i32 s39, s21, 31
	s_cmp_eq_f32 s22, 0
	s_mov_b32 s46, s10
	s_add_nc_u64 s[14:15], s[14:15], s[8:9]
	s_add_nc_u64 s[4:5], s[4:5], s[6:7]
	s_cselect_b32 s33, -1, 0
	s_cmp_gt_i32 s21, 0
	s_mov_b32 s38, s21
	s_cselect_b32 s10, -1, 0
	s_bfe_u32 s30, ttmp6, 0x4000c
	s_and_b32 s8, ttmp6, 15
	s_add_co_i32 s30, s30, 1
	s_and_b32 s64, s0, s10
	s_mul_i32 s9, ttmp9, s30
	s_mul_u64 s[30:31], s[38:39], s[28:29]
	s_add_co_i32 s8, s8, s9
	s_cmp_eq_u32 s25, 0
	s_mul_u64 s[56:57], s[26:27], 12
	s_cselect_b32 s10, ttmp9, s8
	s_ashr_i32 s7, s20, 31
	s_lshl_b32 s6, s10, 10
	s_lshr_b32 s7, s7, 30
	v_lshl_or_b32 v0, v0, 2, s6
	s_add_co_i32 s7, s20, s7
	s_lshr_b32 s6, s39, 30
	s_and_b32 s7, s7, -4
	s_add_co_i32 s6, s21, s6
	s_sub_co_i32 s66, s20, s7
	v_dual_ashrrev_i32 v1, 31, v0 :: v_dual_add_nc_u32 v18, 4, v0
	v_dual_add_nc_u32 v19, s66, v0 :: v_dual_bitop2_b32 v2, 1, v0 bitop3:0x54
	v_or_b32_e32 v4, 2, v0
	v_or_b32_e32 v6, 3, v0
	s_delay_alu instid0(VALU_DEP_4) | instskip(NEXT) | instid1(VALU_DEP_4)
	v_mul_u64_e32 v[8:9], s[46:47], v[0:1]
	v_ashrrev_i32_e32 v3, 31, v2
	v_lshl_add_u64 v[16:17], v[0:1], 2, s[4:5]
	v_dual_mov_b32 v0, 0 :: v_dual_ashrrev_i32 v5, 31, v4
	v_ashrrev_i32_e32 v7, 31, v6
	s_delay_alu instid0(VALU_DEP_4)
	v_mul_u64_e32 v[10:11], s[46:47], v[2:3]
	s_and_b32 s65, s6, -4
	v_cmp_ge_i32_e64 s4, s20, v18
	v_mul_u64_e32 v[12:13], s[46:47], v[4:5]
	v_mul_u64_e32 v[14:15], s[46:47], v[6:7]
	s_cmp_gt_i32 s65, 0
	s_cselect_b32 s67, -1, 0
	s_cmp_gt_i32 s66, 0
	s_cselect_b32 s68, -1, 0
	s_cmp_gt_u32 s21, 1
	s_cselect_b32 s5, -1, 0
	s_cmp_eq_u32 s28, 1
	s_cselect_b32 s6, -1, 0
	s_and_b32 s69, s21, 0x7ffffffe
	s_and_b32 s70, s5, s6
	s_cmp_lg_u32 s21, s69
	v_cmp_ge_i32_e64 s5, s20, v19
	s_cselect_b32 s20, -1, 0
	s_lshl_b64 s[34:35], s[10:11], 2
	s_lshl_b64 s[36:37], s[30:31], 2
	;; [unrolled: 1-line block ×4, first 2 shown]
	v_lshl_add_u64 v[18:19], v[8:9], 2, s[14:15]
	s_lshl_b64 s[42:43], s[16:17], 2
	s_add_nc_u64 s[44:45], s[18:19], s[34:35]
	s_lshl_b64 s[46:47], s[46:47], 2
	s_lshl_b64 s[48:49], s[12:13], 2
	;; [unrolled: 1-line block ×5, first 2 shown]
	s_branch .LBB23_3
.LBB23_2:                               ;   in Loop: Header=BB23_3 Depth=1
	s_add_co_i32 s24, s24, 0x10000
	s_delay_alu instid0(SALU_CYCLE_1)
	s_cmp_lt_u32 s24, s23
	s_cbranch_scc0 .LBB23_88
.LBB23_3:                               ; =>This Loop Header: Depth=1
                                        ;     Child Loop BB23_7 Depth 2
                                        ;     Child Loop BB23_11 Depth 2
	;; [unrolled: 1-line block ×3, first 2 shown]
                                        ;       Child Loop BB23_48 Depth 3
                                        ;       Child Loop BB23_51 Depth 3
                                        ;     Child Loop BB23_67 Depth 2
                                        ;       Child Loop BB23_80 Depth 3
                                        ;       Child Loop BB23_83 Depth 3
	s_mov_b32 s25, s11
	s_and_not1_b32 vcc_lo, exec_lo, s33
	s_mov_b32 s6, -1
	s_cbranch_vccnz .LBB23_13
; %bb.4:                                ;   in Loop: Header=BB23_3 Depth=1
	s_and_saveexec_b32 s8, s64
	s_cbranch_execz .LBB23_12
; %bb.5:                                ;   in Loop: Header=BB23_3 Depth=1
	s_and_not1_b32 vcc_lo, exec_lo, s70
	s_cbranch_vccnz .LBB23_9
; %bb.6:                                ;   in Loop: Header=BB23_3 Depth=1
	s_mul_u64 s[6:7], s[36:37], s[24:25]
	s_mov_b32 s9, s69
	s_add_nc_u64 s[6:7], s[44:45], s[6:7]
.LBB23_7:                               ;   Parent Loop BB23_3 Depth=1
                                        ; =>  This Inner Loop Header: Depth=2
	s_add_co_i32 s9, s9, -2
	global_store_b64 v0, v[20:21], s[6:7]
	s_wait_xcnt 0x0
	s_add_nc_u64 s[6:7], s[6:7], 8
	s_mov_b32 s10, s69
	s_cmp_lg_u32 s9, 0
	s_mov_b32 s58, s20
	s_cbranch_scc1 .LBB23_7
; %bb.8:                                ;   in Loop: Header=BB23_3 Depth=1
	s_and_b32 vcc_lo, exec_lo, s58
	s_cbranch_vccnz .LBB23_10
	s_branch .LBB23_12
.LBB23_9:                               ;   in Loop: Header=BB23_3 Depth=1
	s_mov_b32 s10, 0
	s_cbranch_execz .LBB23_12
.LBB23_10:                              ;   in Loop: Header=BB23_3 Depth=1
	s_mul_u64 s[6:7], s[38:39], s[24:25]
	s_lshl_b64 s[58:59], s[10:11], 2
	s_sub_co_i32 s9, s21, s10
	s_add_nc_u64 s[6:7], s[6:7], s[58:59]
	s_delay_alu instid0(SALU_CYCLE_1) | instskip(NEXT) | instid1(SALU_CYCLE_1)
	s_mul_u64 s[6:7], s[28:29], s[6:7]
	s_add_nc_u64 s[6:7], s[44:45], s[6:7]
.LBB23_11:                              ;   Parent Loop BB23_3 Depth=1
                                        ; =>  This Inner Loop Header: Depth=2
	s_add_co_i32 s9, s9, -1
	global_store_b32 v0, v0, s[6:7]
	s_cmp_eq_u32 s9, 0
	s_wait_xcnt 0x0
	s_add_nc_u64 s[6:7], s[6:7], s[40:41]
	s_cbranch_scc0 .LBB23_11
.LBB23_12:                              ;   in Loop: Header=BB23_3 Depth=1
	s_or_b32 exec_lo, exec_lo, s8
	s_mov_b32 s6, 0
.LBB23_13:                              ;   in Loop: Header=BB23_3 Depth=1
	s_delay_alu instid0(SALU_CYCLE_1)
	s_and_not1_b32 vcc_lo, exec_lo, s6
	s_cbranch_vccnz .LBB23_2
; %bb.14:                               ;   in Loop: Header=BB23_3 Depth=1
	v_mad_nc_u64_u32 v[22:23], s42, s24, v[18:19]
	s_mul_u64 s[6:7], s[16:17], s[24:25]
	s_mul_u64 s[8:9], s[30:31], s[24:25]
	s_lshl_b64 s[6:7], s[6:7], 2
	s_mul_u64 s[58:59], s[12:13], s[24:25]
	s_add_nc_u64 s[6:7], s[14:15], s[6:7]
	s_lshl_b64 s[62:63], s[8:9], 2
	v_lshl_add_u64 v[24:25], s[58:59], 2, v[16:17]
	v_lshl_add_u64 v[26:27], v[8:9], 2, s[6:7]
	;; [unrolled: 1-line block ×4, first 2 shown]
	v_mad_u32 v23, s43, s24, v23
	v_lshl_add_u64 v[32:33], v[14:15], 2, s[6:7]
	v_cmp_gt_u32_e64 s9, 24, v42
	v_cmp_gt_u32_e64 s8, 28, v42
	;; [unrolled: 1-line block ×3, first 2 shown]
	v_cmp_ne_u32_e64 s6, 31, v42
	s_add_nc_u64 s[58:59], s[18:19], s[62:63]
	s_mul_u64 s[60:61], s[48:49], s[24:25]
	s_and_not1_b32 vcc_lo, exec_lo, s67
	s_add_nc_u64 s[58:59], s[58:59], s[34:35]
	s_cbranch_vccnz .LBB23_63
; %bb.15:                               ;   in Loop: Header=BB23_3 Depth=1
	v_cndmask_b32_e64 v4, 0, 8, s9
	v_cndmask_b32_e64 v5, 0, 4, s8
	s_wait_dscnt 0x0
	v_add_co_ci_u32_e64 v35, null, 0, v42, s6
	v_dual_mov_b32 v1, v0 :: v_dual_mov_b32 v2, v0
	s_delay_alu instid0(VALU_DEP_2) | instskip(SKIP_3) | instid1(VALU_DEP_4)
	v_dual_mov_b32 v3, v0 :: v_dual_lshlrev_b32 v47, 2, v35
	v_cndmask_b32_e64 v34, 0, 2, s7
	v_add_lshl_u32 v44, v4, v42, 2
	v_add_lshl_u32 v45, v5, v42, 2
	v_mov_b64_e32 v[4:5], v[2:3]
	v_add_nc_u64_e32 v[6:7], s[60:61], v[16:17]
	v_mov_b64_e32 v[2:3], v[0:1]
	v_add_lshl_u32 v46, v34, v42, 2
	s_mov_b32 s10, 0
	s_branch .LBB23_17
.LBB23_16:                              ;   in Loop: Header=BB23_17 Depth=2
	s_wait_xcnt 0x0
	s_or_b32 exec_lo, exec_lo, s6
	v_add_nc_u64_e32 v[6:7], s[50:51], v[6:7]
	s_add_co_i32 s10, s10, 4
	s_delay_alu instid0(SALU_CYCLE_1)
	s_cmp_ge_i32 s10, s65
	s_cbranch_scc1 .LBB23_64
.LBB23_17:                              ;   Parent Loop BB23_3 Depth=1
                                        ; =>  This Loop Header: Depth=2
                                        ;       Child Loop BB23_48 Depth 3
                                        ;       Child Loop BB23_51 Depth 3
                                        ; implicit-def: $vgpr35
                                        ; implicit-def: $vgpr37
	s_and_saveexec_b32 s6, s4
	s_delay_alu instid0(SALU_CYCLE_1)
	s_xor_b32 s6, exec_lo, s6
	s_cbranch_execnz .LBB23_44
; %bb.18:                               ;   in Loop: Header=BB23_17 Depth=2
	s_and_not1_saveexec_b32 s9, s6
	s_cbranch_execnz .LBB23_45
.LBB23_19:                              ;   in Loop: Header=BB23_17 Depth=2
	s_or_b32 exec_lo, exec_lo, s9
	s_and_saveexec_b32 s6, s1
.LBB23_20:                              ;   in Loop: Header=BB23_17 Depth=2
	ds_store_b32 v40, v0
.LBB23_21:                              ;   in Loop: Header=BB23_17 Depth=2
	s_or_b32 exec_lo, exec_lo, s6
	ds_bpermute_b32 v1, v43, v36
	s_wait_storecnt_dscnt 0x0
	s_barrier_signal -1
	s_barrier_wait -1
	v_add_f32_e32 v1, v36, v1
	ds_bpermute_b32 v36, v44, v1
	s_wait_dscnt 0x0
	v_add_f32_e32 v1, v1, v36
	ds_bpermute_b32 v36, v45, v1
	s_wait_dscnt 0x0
	;; [unrolled: 3-line block ×3, first 2 shown]
	v_add_f32_e32 v1, v1, v36
	ds_bpermute_b32 v36, v47, v1
	s_and_saveexec_b32 s6, s3
	s_cbranch_execz .LBB23_23
; %bb.22:                               ;   in Loop: Header=BB23_17 Depth=2
	s_wait_dscnt 0x0
	v_add_f32_e32 v1, v1, v36
	ds_store_b32 v41, v1
.LBB23_23:                              ;   in Loop: Header=BB23_17 Depth=2
	s_or_b32 exec_lo, exec_lo, s6
	v_mov_b32_e32 v1, 0
	s_wait_dscnt 0x0
	s_barrier_signal -1
	s_barrier_wait -1
	s_and_saveexec_b32 s6, s2
	s_cbranch_execnz .LBB23_52
; %bb.24:                               ;   in Loop: Header=BB23_17 Depth=2
	s_or_b32 exec_lo, exec_lo, s6
	s_and_saveexec_b32 s6, s1
	s_cbranch_execnz .LBB23_53
.LBB23_25:                              ;   in Loop: Header=BB23_17 Depth=2
	s_or_b32 exec_lo, exec_lo, s6
	s_and_saveexec_b32 s6, s1
.LBB23_26:                              ;   in Loop: Header=BB23_17 Depth=2
	ds_store_b32 v40, v0
.LBB23_27:                              ;   in Loop: Header=BB23_17 Depth=2
	s_or_b32 exec_lo, exec_lo, s6
	ds_bpermute_b32 v36, v43, v37
	s_wait_dscnt 0x0
	s_barrier_signal -1
	s_barrier_wait -1
	v_add_f32_e32 v36, v37, v36
	ds_bpermute_b32 v37, v44, v36
	s_wait_dscnt 0x0
	v_add_f32_e32 v36, v36, v37
	ds_bpermute_b32 v37, v45, v36
	s_wait_dscnt 0x0
	;; [unrolled: 3-line block ×3, first 2 shown]
	v_add_f32_e32 v36, v36, v37
	ds_bpermute_b32 v37, v47, v36
	s_and_saveexec_b32 s6, s3
	s_cbranch_execz .LBB23_29
; %bb.28:                               ;   in Loop: Header=BB23_17 Depth=2
	s_wait_dscnt 0x0
	v_add_f32_e32 v36, v36, v37
	ds_store_b32 v41, v36
.LBB23_29:                              ;   in Loop: Header=BB23_17 Depth=2
	s_or_b32 exec_lo, exec_lo, s6
	v_mov_b32_e32 v36, 0
	s_wait_dscnt 0x0
	s_barrier_signal -1
	s_barrier_wait -1
	s_and_saveexec_b32 s6, s2
	s_cbranch_execnz .LBB23_54
; %bb.30:                               ;   in Loop: Header=BB23_17 Depth=2
	s_or_b32 exec_lo, exec_lo, s6
	s_and_saveexec_b32 s6, s1
	s_cbranch_execnz .LBB23_55
.LBB23_31:                              ;   in Loop: Header=BB23_17 Depth=2
	s_or_b32 exec_lo, exec_lo, s6
	s_and_saveexec_b32 s6, s1
.LBB23_32:                              ;   in Loop: Header=BB23_17 Depth=2
	ds_store_b32 v40, v0
.LBB23_33:                              ;   in Loop: Header=BB23_17 Depth=2
	s_or_b32 exec_lo, exec_lo, s6
	ds_bpermute_b32 v37, v43, v34
	s_wait_dscnt 0x0
	s_barrier_signal -1
	s_barrier_wait -1
	v_add_f32_e32 v34, v34, v37
	ds_bpermute_b32 v37, v44, v34
	s_wait_dscnt 0x0
	v_add_f32_e32 v34, v34, v37
	ds_bpermute_b32 v37, v45, v34
	s_wait_dscnt 0x0
	;; [unrolled: 3-line block ×3, first 2 shown]
	v_add_f32_e32 v34, v34, v37
	ds_bpermute_b32 v37, v47, v34
	s_and_saveexec_b32 s6, s3
	s_cbranch_execz .LBB23_35
; %bb.34:                               ;   in Loop: Header=BB23_17 Depth=2
	s_wait_dscnt 0x0
	v_add_f32_e32 v34, v34, v37
	ds_store_b32 v41, v34
.LBB23_35:                              ;   in Loop: Header=BB23_17 Depth=2
	s_or_b32 exec_lo, exec_lo, s6
	v_mov_b32_e32 v34, 0
	s_wait_dscnt 0x0
	s_barrier_signal -1
	s_barrier_wait -1
	s_and_saveexec_b32 s6, s2
	s_cbranch_execnz .LBB23_56
; %bb.36:                               ;   in Loop: Header=BB23_17 Depth=2
	s_or_b32 exec_lo, exec_lo, s6
	s_and_saveexec_b32 s6, s1
	s_cbranch_execnz .LBB23_57
.LBB23_37:                              ;   in Loop: Header=BB23_17 Depth=2
	s_or_b32 exec_lo, exec_lo, s6
	s_and_saveexec_b32 s6, s1
.LBB23_38:                              ;   in Loop: Header=BB23_17 Depth=2
	ds_store_b32 v40, v0
.LBB23_39:                              ;   in Loop: Header=BB23_17 Depth=2
	s_or_b32 exec_lo, exec_lo, s6
	ds_bpermute_b32 v37, v43, v35
	s_wait_dscnt 0x0
	s_barrier_signal -1
	s_barrier_wait -1
	v_add_f32_e32 v35, v35, v37
	ds_bpermute_b32 v37, v44, v35
	s_wait_dscnt 0x0
	v_add_f32_e32 v35, v35, v37
	ds_bpermute_b32 v37, v45, v35
	s_wait_dscnt 0x0
	v_add_f32_e32 v35, v35, v37
	ds_bpermute_b32 v37, v46, v35
	s_wait_dscnt 0x0
	v_add_f32_e32 v35, v35, v37
	ds_bpermute_b32 v37, v47, v35
	s_and_saveexec_b32 s6, s3
	s_cbranch_execz .LBB23_41
; %bb.40:                               ;   in Loop: Header=BB23_17 Depth=2
	s_wait_dscnt 0x0
	v_add_f32_e32 v35, v35, v37
	ds_store_b32 v41, v35
.LBB23_41:                              ;   in Loop: Header=BB23_17 Depth=2
	s_or_b32 exec_lo, exec_lo, s6
	v_mov_b32_e32 v35, 0
	s_wait_dscnt 0x0
	s_barrier_signal -1
	s_barrier_wait -1
	s_and_saveexec_b32 s6, s2
	s_cbranch_execnz .LBB23_58
; %bb.42:                               ;   in Loop: Header=BB23_17 Depth=2
	s_or_b32 exec_lo, exec_lo, s6
	s_and_saveexec_b32 s6, s1
	s_cbranch_execnz .LBB23_59
.LBB23_43:                              ;   in Loop: Header=BB23_17 Depth=2
	s_or_b32 exec_lo, exec_lo, s6
	s_and_saveexec_b32 s6, s0
	s_cbranch_execz .LBB23_16
	s_branch .LBB23_60
.LBB23_44:                              ;   in Loop: Header=BB23_17 Depth=2
	s_or_b32 s62, s10, 3
	s_mov_b32 s63, s11
	s_mul_u64 s[8:9], s[10:11], s[26:27]
	s_or_b32 s72, s10, 2
	s_mul_u64 s[62:63], s[62:63], s[26:27]
	s_mov_b32 s73, s11
	v_lshl_add_u64 v[38:39], s[8:9], 2, v[24:25]
	s_or_b32 s8, s10, 1
	s_mov_b32 s9, s11
	s_wait_dscnt 0x0
	v_lshl_add_u64 v[34:35], s[62:63], 2, v[24:25]
	s_mul_u64 s[62:63], s[72:73], s[26:27]
	s_mul_u64 s[8:9], s[8:9], s[26:27]
	s_clause 0x2
	global_load_b32 v2, v[26:27], off
	global_load_b32 v3, v[28:29], off
	;; [unrolled: 1-line block ×3, first 2 shown]
	v_lshl_add_u64 v[52:53], s[62:63], 2, v[24:25]
	v_lshl_add_u64 v[56:57], s[8:9], 2, v[24:25]
	s_clause 0x3
	global_load_b128 v[34:37], v[34:35], off
	global_load_b128 v[48:51], v[38:39], off
	;; [unrolled: 1-line block ×4, first 2 shown]
	global_load_b32 v4, v[30:31], off
	s_wait_loadcnt 0x5
	s_wait_xcnt 0x3
	v_dual_mov_b32 v38, v3 :: v_dual_mov_b32 v60, v5
	s_wait_loadcnt 0x4
	v_pk_mul_f32 v[34:35], v[2:3], v[34:35]
	s_wait_loadcnt 0x3
	v_dual_mov_b32 v62, v48 :: v_dual_mov_b32 v48, v50
	s_wait_loadcnt 0x2
	s_wait_xcnt 0x2
	v_dual_mul_f32 v52, v2, v52 :: v_dual_mul_f32 v64, v3, v53
	s_wait_loadcnt 0x1
	v_dual_mov_b32 v53, v34 :: v_dual_mov_b32 v63, v56
	s_wait_xcnt 0x1
	v_dual_mov_b32 v56, v49 :: v_dual_mov_b32 v65, v35
	s_wait_loadcnt 0x0
	v_pk_mul_f32 v[36:37], v[4:5], v[36:37]
	v_pk_add_f32 v[34:35], v[52:53], 0 op_sel_hi:[1,0]
	v_pk_fma_f32 v[52:53], v[2:3], v[62:63], 0 op_sel_hi:[0,1,0]
	v_dual_mul_f32 v62, v4, v54 :: v_dual_mov_b32 v49, v58
	s_delay_alu instid0(VALU_DEP_4) | instskip(NEXT) | instid1(VALU_DEP_4)
	v_dual_mov_b32 v63, v36 :: v_dual_mov_b32 v58, v51
	v_pk_add_f32 v[34:35], v[34:35], v[64:65]
	s_delay_alu instid0(VALU_DEP_4) | instskip(SKIP_1) | instid1(VALU_DEP_3)
	v_pk_fma_f32 v[38:39], v[38:39], v[56:57], v[52:53] op_sel_hi:[0,1,1]
	v_mul_f32_e32 v36, v5, v55
	v_pk_add_f32 v[34:35], v[34:35], v[62:63]
	s_delay_alu instid0(VALU_DEP_3) | instskip(NEXT) | instid1(VALU_DEP_2)
	v_pk_fma_f32 v[38:39], v[4:5], v[48:49], v[38:39] op_sel_hi:[0,1,1]
	v_pk_add_f32 v[34:35], v[34:35], v[36:37]
	s_delay_alu instid0(VALU_DEP_2)
	v_pk_fma_f32 v[36:37], v[60:61], v[58:59], v[38:39] op_sel_hi:[0,1,1]
	s_wait_xcnt 0x0
	s_and_not1_saveexec_b32 s9, s6
	s_cbranch_execz .LBB23_19
.LBB23_45:                              ;   in Loop: Header=BB23_17 Depth=2
	s_wait_dscnt 0x0
	v_dual_mov_b32 v35, 0 :: v_dual_mov_b32 v34, 0
	v_dual_mov_b32 v37, 0 :: v_dual_mov_b32 v36, 0
	s_and_saveexec_b32 s25, s5
	s_cbranch_execz .LBB23_62
; %bb.46:                               ;   in Loop: Header=BB23_17 Depth=2
	s_and_not1_b32 vcc_lo, exec_lo, s68
	s_cbranch_vccnz .LBB23_49
; %bb.47:                               ;   in Loop: Header=BB23_17 Depth=2
	v_mov_b64_e32 v[34:35], v[22:23]
	s_mov_b64 s[62:63], 0
.LBB23_48:                              ;   Parent Loop BB23_3 Depth=1
                                        ;     Parent Loop BB23_17 Depth=2
                                        ; =>    This Inner Loop Header: Depth=3
	global_load_b32 v1, v[34:35], off
	s_cmp_eq_u32 s62, 3
	s_wait_xcnt 0x0
	v_add_nc_u64_e32 v[34:35], s[46:47], v[34:35]
	s_cselect_b32 vcc_lo, -1, 0
	s_cmp_eq_u32 s62, 2
	s_cselect_b32 s6, -1, 0
	s_cmp_eq_u32 s62, 1
	s_cselect_b32 s7, -1, 0
	s_cmp_eq_u32 s62, 0
	s_add_nc_u64 s[62:63], s[62:63], 1
	s_cselect_b32 s8, -1, 0
	s_cmp_eq_u32 s66, s62
	s_wait_loadcnt 0x0
	v_dual_cndmask_b32 v5, v5, v1, vcc_lo :: v_dual_cndmask_b32 v4, v4, v1, s6
	v_dual_cndmask_b32 v3, v3, v1, s7 :: v_dual_cndmask_b32 v2, v2, v1, s8
	s_cbranch_scc0 .LBB23_48
.LBB23_49:                              ;   in Loop: Header=BB23_17 Depth=2
	s_and_not1_b32 vcc_lo, exec_lo, s68
	s_cbranch_vccnz .LBB23_61
; %bb.50:                               ;   in Loop: Header=BB23_17 Depth=2
	v_mov_b32_e32 v36, 0
	v_mov_b64_e32 v[38:39], v[6:7]
	s_mov_b64 s[6:7], 0
	s_delay_alu instid0(VALU_DEP_2)
	v_dual_mov_b32 v37, v36 :: v_dual_mov_b32 v34, v36
	v_mov_b32_e32 v35, v36
.LBB23_51:                              ;   Parent Loop BB23_3 Depth=1
                                        ;     Parent Loop BB23_17 Depth=2
                                        ; =>    This Inner Loop Header: Depth=3
	s_delay_alu instid0(VALU_DEP_3)
	v_add_nc_u64_e32 v[48:49], s[54:55], v[38:39]
	v_add_nc_u64_e32 v[50:51], s[56:57], v[38:39]
	s_wait_xcnt 0x0
	v_add_nc_u64_e32 v[52:53], s[52:53], v[38:39]
	s_cmp_eq_u32 s6, 1
	s_clause 0x3
	global_load_b32 v54, v[38:39], off
	global_load_b32 v48, v[48:49], off
	;; [unrolled: 1-line block ×4, first 2 shown]
	s_cselect_b32 vcc_lo, -1, 0
	s_cmp_eq_u32 s6, 2
	v_cndmask_b32_e32 v1, v2, v3, vcc_lo
	s_cselect_b32 vcc_lo, -1, 0
	s_cmp_eq_u32 s6, 3
	v_add_nc_u64_e32 v[38:39], 4, v[38:39]
	s_add_nc_u64 s[6:7], s[6:7], 1
	v_cndmask_b32_e32 v1, v1, v4, vcc_lo
	s_cselect_b32 vcc_lo, -1, 0
	s_cmp_lg_u32 s66, s6
	s_wait_xcnt 0x1
	s_delay_alu instid0(VALU_DEP_1) | instskip(SKIP_1) | instid1(VALU_DEP_1)
	v_cndmask_b32_e32 v50, v1, v5, vcc_lo
	s_wait_loadcnt 0x1
	v_pk_fma_f32 v[34:35], v[50:51], v[48:49], v[34:35] op_sel_hi:[0,1,1]
	s_wait_loadcnt 0x0
	v_pk_fma_f32 v[36:37], v[50:51], v[54:55], v[36:37] op_sel_hi:[0,1,1]
	s_cbranch_scc1 .LBB23_51
	s_branch .LBB23_62
.LBB23_52:                              ;   in Loop: Header=BB23_17 Depth=2
	ds_load_b32 v1, v40
	s_or_b32 exec_lo, exec_lo, s6
	s_and_saveexec_b32 s6, s1
	s_cbranch_execz .LBB23_25
.LBB23_53:                              ;   in Loop: Header=BB23_17 Depth=2
	s_wait_dscnt 0x0
	ds_bpermute_b32 v36, v45, v1
	s_wait_dscnt 0x0
	v_add_f32_e32 v1, v1, v36
	ds_bpermute_b32 v36, v46, v1
	s_wait_dscnt 0x0
	v_add_f32_e32 v1, v1, v36
	;; [unrolled: 3-line block ×3, first 2 shown]
	s_or_b32 exec_lo, exec_lo, s6
	s_and_saveexec_b32 s6, s1
	s_cbranch_execnz .LBB23_26
	s_branch .LBB23_27
.LBB23_54:                              ;   in Loop: Header=BB23_17 Depth=2
	ds_load_b32 v36, v40
	s_or_b32 exec_lo, exec_lo, s6
	s_and_saveexec_b32 s6, s1
	s_cbranch_execz .LBB23_31
.LBB23_55:                              ;   in Loop: Header=BB23_17 Depth=2
	s_wait_dscnt 0x0
	ds_bpermute_b32 v37, v45, v36
	s_wait_dscnt 0x0
	v_add_f32_e32 v36, v36, v37
	ds_bpermute_b32 v37, v46, v36
	s_wait_dscnt 0x0
	v_add_f32_e32 v36, v36, v37
	;; [unrolled: 3-line block ×3, first 2 shown]
	s_or_b32 exec_lo, exec_lo, s6
	s_and_saveexec_b32 s6, s1
	s_cbranch_execnz .LBB23_32
	s_branch .LBB23_33
.LBB23_56:                              ;   in Loop: Header=BB23_17 Depth=2
	ds_load_b32 v34, v40
	s_or_b32 exec_lo, exec_lo, s6
	s_and_saveexec_b32 s6, s1
	s_cbranch_execz .LBB23_37
.LBB23_57:                              ;   in Loop: Header=BB23_17 Depth=2
	s_wait_dscnt 0x0
	ds_bpermute_b32 v37, v45, v34
	s_wait_dscnt 0x0
	v_add_f32_e32 v34, v34, v37
	ds_bpermute_b32 v37, v46, v34
	s_wait_dscnt 0x0
	v_add_f32_e32 v34, v34, v37
	;; [unrolled: 3-line block ×3, first 2 shown]
	s_or_b32 exec_lo, exec_lo, s6
	s_and_saveexec_b32 s6, s1
	s_cbranch_execnz .LBB23_38
	s_branch .LBB23_39
.LBB23_58:                              ;   in Loop: Header=BB23_17 Depth=2
	ds_load_b32 v35, v40
	s_or_b32 exec_lo, exec_lo, s6
	s_and_saveexec_b32 s6, s1
	s_cbranch_execz .LBB23_43
.LBB23_59:                              ;   in Loop: Header=BB23_17 Depth=2
	s_wait_dscnt 0x0
	ds_bpermute_b32 v37, v45, v35
	s_wait_dscnt 0x0
	v_add_f32_e32 v35, v35, v37
	ds_bpermute_b32 v37, v46, v35
	s_wait_dscnt 0x0
	v_add_f32_e32 v35, v35, v37
	;; [unrolled: 3-line block ×3, first 2 shown]
	s_or_b32 exec_lo, exec_lo, s6
	s_and_saveexec_b32 s6, s0
	s_cbranch_execz .LBB23_16
.LBB23_60:                              ;   in Loop: Header=BB23_17 Depth=2
	s_or_b32 s62, s10, 1
	s_mov_b32 s63, s11
	s_mul_u64 s[8:9], s[10:11], s[28:29]
	v_dual_mul_f32 v1, s22, v1 :: v_dual_mul_f32 v36, s22, v36
	s_mul_u64 s[62:63], s[62:63], s[28:29]
	s_lshl_b64 s[8:9], s[8:9], 2
	s_lshl_b64 s[62:63], s[62:63], 2
	s_add_nc_u64 s[8:9], s[58:59], s[8:9]
	s_add_nc_u64 s[62:63], s[58:59], s[62:63]
	s_clause 0x1
	global_store_b32 v0, v1, s[8:9]
	global_store_b32 v0, v36, s[62:63]
	s_wait_xcnt 0x1
	s_or_b32 s8, s10, 2
	s_mov_b32 s9, s11
	s_wait_xcnt 0x0
	s_or_b32 s62, s10, 3
	s_mov_b32 s63, s11
	s_mul_u64 s[8:9], s[8:9], s[28:29]
	s_wait_dscnt 0x0
	v_dual_mul_f32 v1, s22, v34 :: v_dual_mul_f32 v34, s22, v35
	s_mul_u64 s[62:63], s[62:63], s[28:29]
	s_lshl_b64 s[8:9], s[8:9], 2
	s_lshl_b64 s[62:63], s[62:63], 2
	s_add_nc_u64 s[8:9], s[58:59], s[8:9]
	s_add_nc_u64 s[62:63], s[58:59], s[62:63]
	s_clause 0x1
	global_store_b32 v0, v1, s[8:9]
	global_store_b32 v0, v34, s[62:63]
	s_branch .LBB23_16
.LBB23_61:                              ;   in Loop: Header=BB23_17 Depth=2
	v_mov_b32_e32 v35, 0
	s_delay_alu instid0(VALU_DEP_1)
	v_dual_mov_b32 v34, v35 :: v_dual_mov_b32 v37, v35
	v_mov_b32_e32 v36, v35
.LBB23_62:                              ;   in Loop: Header=BB23_17 Depth=2
	s_wait_xcnt 0x0
	s_or_b32 exec_lo, exec_lo, s25
	s_delay_alu instid0(SALU_CYCLE_1)
	s_or_b32 exec_lo, exec_lo, s9
	s_and_saveexec_b32 s6, s1
	s_cbranch_execnz .LBB23_20
	s_branch .LBB23_21
.LBB23_63:                              ;   in Loop: Header=BB23_3 Depth=1
	v_dual_mov_b32 v1, v0 :: v_dual_mov_b32 v2, v0
	v_mov_b32_e32 v3, v0
	s_mov_b32 s10, 0
	s_delay_alu instid0(VALU_DEP_1) | instskip(NEXT) | instid1(VALU_DEP_3)
	v_mov_b64_e32 v[4:5], v[2:3]
	v_mov_b64_e32 v[2:3], v[0:1]
.LBB23_64:                              ;   in Loop: Header=BB23_3 Depth=1
	s_cmp_ge_i32 s10, s21
	s_cbranch_scc1 .LBB23_2
; %bb.65:                               ;   in Loop: Header=BB23_3 Depth=1
	v_cmp_gt_u32_e32 vcc_lo, 24, v42
	s_mul_u64 s[6:7], s[52:53], s[10:11]
	s_delay_alu instid0(SALU_CYCLE_1) | instskip(SKIP_4) | instid1(VALU_DEP_2)
	s_add_nc_u64 s[6:7], s[6:7], s[60:61]
	s_wait_dscnt 0x0
	v_add_nc_u64_e32 v[34:35], s[6:7], v[16:17]
	v_cndmask_b32_e64 v1, 0, 8, vcc_lo
	v_cmp_gt_u32_e32 vcc_lo, 28, v42
	v_add_lshl_u32 v1, v1, v42, 2
	v_cndmask_b32_e64 v6, 0, 4, vcc_lo
	v_cmp_gt_u32_e32 vcc_lo, 30, v42
	s_delay_alu instid0(VALU_DEP_2) | instskip(SKIP_2) | instid1(VALU_DEP_2)
	v_add_lshl_u32 v7, v6, v42, 2
	v_cndmask_b32_e64 v36, 0, 2, vcc_lo
	v_cmp_ne_u32_e32 vcc_lo, 31, v42
	v_add_lshl_u32 v38, v36, v42, 2
	v_add_co_ci_u32_e64 v37, null, 0, v42, vcc_lo
	s_delay_alu instid0(VALU_DEP_1)
	v_lshlrev_b32_e32 v39, 2, v37
	s_branch .LBB23_67
.LBB23_66:                              ;   in Loop: Header=BB23_67 Depth=2
	s_wait_xcnt 0x0
	s_or_b32 exec_lo, exec_lo, s6
	v_add_nc_u64_e32 v[34:35], s[52:53], v[34:35]
	s_add_co_i32 s10, s10, 1
	s_delay_alu instid0(SALU_CYCLE_1)
	s_cmp_ge_i32 s10, s21
	s_cbranch_scc1 .LBB23_2
.LBB23_67:                              ;   Parent Loop BB23_3 Depth=1
                                        ; =>  This Loop Header: Depth=2
                                        ;       Child Loop BB23_80 Depth 3
                                        ;       Child Loop BB23_83 Depth 3
	s_wait_dscnt 0x0
	v_mov_b32_e32 v6, s11
	s_and_saveexec_b32 s6, s4
	s_delay_alu instid0(SALU_CYCLE_1)
	s_xor_b32 s6, exec_lo, s6
	s_cbranch_execnz .LBB23_76
; %bb.68:                               ;   in Loop: Header=BB23_67 Depth=2
	s_and_not1_saveexec_b32 s9, s6
	s_cbranch_execnz .LBB23_77
.LBB23_69:                              ;   in Loop: Header=BB23_67 Depth=2
	s_or_b32 exec_lo, exec_lo, s9
	s_and_saveexec_b32 s6, s1
.LBB23_70:                              ;   in Loop: Header=BB23_67 Depth=2
	ds_store_b32 v40, v0
.LBB23_71:                              ;   in Loop: Header=BB23_67 Depth=2
	s_or_b32 exec_lo, exec_lo, s6
	ds_bpermute_b32 v36, v43, v6
	s_wait_storecnt_dscnt 0x0
	s_barrier_signal -1
	s_barrier_wait -1
	v_add_f32_e32 v6, v6, v36
	ds_bpermute_b32 v36, v1, v6
	s_wait_dscnt 0x0
	v_add_f32_e32 v6, v6, v36
	ds_bpermute_b32 v36, v7, v6
	s_wait_dscnt 0x0
	v_add_f32_e32 v6, v6, v36
	ds_bpermute_b32 v36, v38, v6
	s_wait_dscnt 0x0
	v_add_f32_e32 v6, v6, v36
	ds_bpermute_b32 v36, v39, v6
	s_and_saveexec_b32 s6, s3
	s_cbranch_execz .LBB23_73
; %bb.72:                               ;   in Loop: Header=BB23_67 Depth=2
	s_wait_dscnt 0x0
	v_add_f32_e32 v6, v6, v36
	ds_store_b32 v41, v6
.LBB23_73:                              ;   in Loop: Header=BB23_67 Depth=2
	s_or_b32 exec_lo, exec_lo, s6
	v_mov_b32_e32 v6, 0
	s_wait_dscnt 0x0
	s_barrier_signal -1
	s_barrier_wait -1
	s_and_saveexec_b32 s6, s2
	s_cbranch_execnz .LBB23_85
; %bb.74:                               ;   in Loop: Header=BB23_67 Depth=2
	s_or_b32 exec_lo, exec_lo, s6
	s_and_saveexec_b32 s6, s1
	s_cbranch_execnz .LBB23_86
.LBB23_75:                              ;   in Loop: Header=BB23_67 Depth=2
	s_or_b32 exec_lo, exec_lo, s6
	s_and_saveexec_b32 s6, s0
	s_cbranch_execz .LBB23_66
	s_branch .LBB23_87
.LBB23_76:                              ;   in Loop: Header=BB23_67 Depth=2
	s_mul_u64 s[8:9], s[10:11], s[26:27]
	s_delay_alu instid0(SALU_CYCLE_1)
	v_lshl_add_u64 v[2:3], s[8:9], 2, v[24:25]
	global_load_b128 v[44:47], v[2:3], off
	s_clause 0x3
	global_load_b32 v2, v[26:27], off
	global_load_b32 v3, v[28:29], off
	;; [unrolled: 1-line block ×4, first 2 shown]
	s_wait_loadcnt 0x2
	v_pk_mul_f32 v[36:37], v[2:3], v[44:45]
	s_delay_alu instid0(VALU_DEP_1) | instskip(NEXT) | instid1(VALU_DEP_1)
	v_add_f32_e32 v6, 0, v36
	v_add_f32_e32 v6, v6, v37
	s_wait_loadcnt 0x0
	v_pk_mul_f32 v[36:37], v[4:5], v[46:47]
	s_delay_alu instid0(VALU_DEP_1) | instskip(NEXT) | instid1(VALU_DEP_1)
	v_add_f32_e32 v6, v6, v36
	v_add_f32_e32 v6, v6, v37
	s_wait_xcnt 0x0
	s_and_not1_saveexec_b32 s9, s6
	s_cbranch_execz .LBB23_69
.LBB23_77:                              ;   in Loop: Header=BB23_67 Depth=2
	s_and_saveexec_b32 s25, s5
	s_cbranch_execz .LBB23_84
; %bb.78:                               ;   in Loop: Header=BB23_67 Depth=2
	s_and_not1_b32 vcc_lo, exec_lo, s68
	s_cbranch_vccnz .LBB23_81
; %bb.79:                               ;   in Loop: Header=BB23_67 Depth=2
	v_mov_b64_e32 v[36:37], v[22:23]
	s_mov_b64 s[60:61], 0
.LBB23_80:                              ;   Parent Loop BB23_3 Depth=1
                                        ;     Parent Loop BB23_67 Depth=2
                                        ; =>    This Inner Loop Header: Depth=3
	global_load_b32 v44, v[36:37], off
	s_cmp_eq_u32 s60, 3
	s_wait_xcnt 0x0
	v_add_nc_u64_e32 v[36:37], s[46:47], v[36:37]
	s_cselect_b32 vcc_lo, -1, 0
	s_cmp_eq_u32 s60, 2
	s_cselect_b32 s6, -1, 0
	s_cmp_eq_u32 s60, 1
	s_cselect_b32 s7, -1, 0
	s_cmp_eq_u32 s60, 0
	s_add_nc_u64 s[60:61], s[60:61], 1
	s_cselect_b32 s8, -1, 0
	s_cmp_eq_u32 s66, s60
	s_wait_loadcnt 0x0
	v_dual_cndmask_b32 v5, v5, v44, vcc_lo :: v_dual_cndmask_b32 v4, v4, v44, s6
	v_dual_cndmask_b32 v3, v3, v44, s7 :: v_dual_cndmask_b32 v2, v2, v44, s8
	s_cbranch_scc0 .LBB23_80
.LBB23_81:                              ;   in Loop: Header=BB23_67 Depth=2
	s_and_not1_b32 vcc_lo, exec_lo, s68
	s_cbranch_vccnz .LBB23_84
; %bb.82:                               ;   in Loop: Header=BB23_67 Depth=2
	v_mov_b64_e32 v[36:37], v[34:35]
	s_mov_b64 s[6:7], 0
.LBB23_83:                              ;   Parent Loop BB23_3 Depth=1
                                        ;     Parent Loop BB23_67 Depth=2
                                        ; =>    This Inner Loop Header: Depth=3
	global_load_b32 v44, v[36:37], off
	s_cmp_eq_u32 s6, 1
	s_wait_xcnt 0x0
	v_add_nc_u64_e32 v[36:37], 4, v[36:37]
	s_cselect_b32 vcc_lo, -1, 0
	s_cmp_eq_u32 s6, 2
	v_cndmask_b32_e32 v45, v2, v3, vcc_lo
	s_cselect_b32 vcc_lo, -1, 0
	s_cmp_eq_u32 s6, 3
	s_add_nc_u64 s[6:7], s[6:7], 1
	s_delay_alu instid0(VALU_DEP_1) | instskip(SKIP_2) | instid1(VALU_DEP_1)
	v_cndmask_b32_e32 v45, v45, v4, vcc_lo
	s_cselect_b32 vcc_lo, -1, 0
	s_cmp_lg_u32 s66, s6
	v_cndmask_b32_e32 v45, v45, v5, vcc_lo
	s_wait_loadcnt 0x0
	s_delay_alu instid0(VALU_DEP_1)
	v_fmac_f32_e32 v6, v45, v44
	s_cbranch_scc1 .LBB23_83
.LBB23_84:                              ;   in Loop: Header=BB23_67 Depth=2
	s_or_b32 exec_lo, exec_lo, s25
	s_delay_alu instid0(SALU_CYCLE_1)
	s_or_b32 exec_lo, exec_lo, s9
	s_and_saveexec_b32 s6, s1
	s_cbranch_execnz .LBB23_70
	s_branch .LBB23_71
.LBB23_85:                              ;   in Loop: Header=BB23_67 Depth=2
	ds_load_b32 v6, v40
	s_or_b32 exec_lo, exec_lo, s6
	s_and_saveexec_b32 s6, s1
	s_cbranch_execz .LBB23_75
.LBB23_86:                              ;   in Loop: Header=BB23_67 Depth=2
	s_wait_dscnt 0x0
	ds_bpermute_b32 v36, v7, v6
	s_wait_dscnt 0x0
	v_add_f32_e32 v6, v6, v36
	ds_bpermute_b32 v36, v38, v6
	s_wait_dscnt 0x0
	v_add_f32_e32 v6, v6, v36
	;; [unrolled: 3-line block ×3, first 2 shown]
	s_or_b32 exec_lo, exec_lo, s6
	s_and_saveexec_b32 s6, s0
	s_cbranch_execz .LBB23_66
.LBB23_87:                              ;   in Loop: Header=BB23_67 Depth=2
	s_mul_u64 s[8:9], s[10:11], s[28:29]
	s_wait_dscnt 0x0
	v_mul_f32_e32 v6, s22, v6
	s_lshl_b64 s[8:9], s[8:9], 2
	s_delay_alu instid0(SALU_CYCLE_1)
	s_add_nc_u64 s[8:9], s[58:59], s[8:9]
	global_store_b32 v0, v6, s[8:9]
	s_branch .LBB23_66
.LBB23_88:
	s_sendmsg sendmsg(MSG_DEALLOC_VGPRS)
	s_endpgm
	.section	.rodata,"a",@progbits
	.p2align	6, 0x0
	.amdhsa_kernel _ZL23rocblas_gemvt_sn_kernelILb0ELi256ELi4ElfffEviiT4_lPKT3_lilS3_lilPT5_i
		.amdhsa_group_segment_fixed_size 128
		.amdhsa_private_segment_fixed_size 0
		.amdhsa_kernarg_size 360
		.amdhsa_user_sgpr_count 2
		.amdhsa_user_sgpr_dispatch_ptr 0
		.amdhsa_user_sgpr_queue_ptr 0
		.amdhsa_user_sgpr_kernarg_segment_ptr 1
		.amdhsa_user_sgpr_dispatch_id 0
		.amdhsa_user_sgpr_kernarg_preload_length 0
		.amdhsa_user_sgpr_kernarg_preload_offset 0
		.amdhsa_user_sgpr_private_segment_size 0
		.amdhsa_wavefront_size32 1
		.amdhsa_uses_dynamic_stack 0
		.amdhsa_enable_private_segment 0
		.amdhsa_system_sgpr_workgroup_id_x 1
		.amdhsa_system_sgpr_workgroup_id_y 0
		.amdhsa_system_sgpr_workgroup_id_z 1
		.amdhsa_system_sgpr_workgroup_info 0
		.amdhsa_system_vgpr_workitem_id 0
		.amdhsa_next_free_vgpr 66
		.amdhsa_next_free_sgpr 74
		.amdhsa_named_barrier_count 0
		.amdhsa_reserve_vcc 1
		.amdhsa_float_round_mode_32 0
		.amdhsa_float_round_mode_16_64 0
		.amdhsa_float_denorm_mode_32 3
		.amdhsa_float_denorm_mode_16_64 3
		.amdhsa_fp16_overflow 0
		.amdhsa_memory_ordered 1
		.amdhsa_forward_progress 1
		.amdhsa_inst_pref_size 31
		.amdhsa_round_robin_scheduling 0
		.amdhsa_exception_fp_ieee_invalid_op 0
		.amdhsa_exception_fp_denorm_src 0
		.amdhsa_exception_fp_ieee_div_zero 0
		.amdhsa_exception_fp_ieee_overflow 0
		.amdhsa_exception_fp_ieee_underflow 0
		.amdhsa_exception_fp_ieee_inexact 0
		.amdhsa_exception_int_div_zero 0
	.end_amdhsa_kernel
	.section	.text._ZL23rocblas_gemvt_sn_kernelILb0ELi256ELi4ElfffEviiT4_lPKT3_lilS3_lilPT5_i,"axG",@progbits,_ZL23rocblas_gemvt_sn_kernelILb0ELi256ELi4ElfffEviiT4_lPKT3_lilS3_lilPT5_i,comdat
.Lfunc_end23:
	.size	_ZL23rocblas_gemvt_sn_kernelILb0ELi256ELi4ElfffEviiT4_lPKT3_lilS3_lilPT5_i, .Lfunc_end23-_ZL23rocblas_gemvt_sn_kernelILb0ELi256ELi4ElfffEviiT4_lPKT3_lilS3_lilPT5_i
                                        ; -- End function
	.set _ZL23rocblas_gemvt_sn_kernelILb0ELi256ELi4ElfffEviiT4_lPKT3_lilS3_lilPT5_i.num_vgpr, 66
	.set _ZL23rocblas_gemvt_sn_kernelILb0ELi256ELi4ElfffEviiT4_lPKT3_lilS3_lilPT5_i.num_agpr, 0
	.set _ZL23rocblas_gemvt_sn_kernelILb0ELi256ELi4ElfffEviiT4_lPKT3_lilS3_lilPT5_i.numbered_sgpr, 74
	.set _ZL23rocblas_gemvt_sn_kernelILb0ELi256ELi4ElfffEviiT4_lPKT3_lilS3_lilPT5_i.num_named_barrier, 0
	.set _ZL23rocblas_gemvt_sn_kernelILb0ELi256ELi4ElfffEviiT4_lPKT3_lilS3_lilPT5_i.private_seg_size, 0
	.set _ZL23rocblas_gemvt_sn_kernelILb0ELi256ELi4ElfffEviiT4_lPKT3_lilS3_lilPT5_i.uses_vcc, 1
	.set _ZL23rocblas_gemvt_sn_kernelILb0ELi256ELi4ElfffEviiT4_lPKT3_lilS3_lilPT5_i.uses_flat_scratch, 0
	.set _ZL23rocblas_gemvt_sn_kernelILb0ELi256ELi4ElfffEviiT4_lPKT3_lilS3_lilPT5_i.has_dyn_sized_stack, 0
	.set _ZL23rocblas_gemvt_sn_kernelILb0ELi256ELi4ElfffEviiT4_lPKT3_lilS3_lilPT5_i.has_recursion, 0
	.set _ZL23rocblas_gemvt_sn_kernelILb0ELi256ELi4ElfffEviiT4_lPKT3_lilS3_lilPT5_i.has_indirect_call, 0
	.section	.AMDGPU.csdata,"",@progbits
; Kernel info:
; codeLenInByte = 3912
; TotalNumSgprs: 76
; NumVgprs: 66
; ScratchSize: 0
; MemoryBound: 0
; FloatMode: 240
; IeeeMode: 1
; LDSByteSize: 128 bytes/workgroup (compile time only)
; SGPRBlocks: 0
; VGPRBlocks: 4
; NumSGPRsForWavesPerEU: 76
; NumVGPRsForWavesPerEU: 66
; NamedBarCnt: 0
; Occupancy: 12
; WaveLimiterHint : 0
; COMPUTE_PGM_RSRC2:SCRATCH_EN: 0
; COMPUTE_PGM_RSRC2:USER_SGPR: 2
; COMPUTE_PGM_RSRC2:TRAP_HANDLER: 0
; COMPUTE_PGM_RSRC2:TGID_X_EN: 1
; COMPUTE_PGM_RSRC2:TGID_Y_EN: 0
; COMPUTE_PGM_RSRC2:TGID_Z_EN: 1
; COMPUTE_PGM_RSRC2:TIDIG_COMP_CNT: 0
	.section	.text._ZL36rocblas_gemvt_double_buffered_kernelILb0ELi128ELi8ELi8EfPKffEviiT4_lPKT3_lilS5_lilPT5_lili,"axG",@progbits,_ZL36rocblas_gemvt_double_buffered_kernelILb0ELi128ELi8ELi8EfPKffEviiT4_lPKT3_lilS5_lilPT5_lili,comdat
	.globl	_ZL36rocblas_gemvt_double_buffered_kernelILb0ELi128ELi8ELi8EfPKffEviiT4_lPKT3_lilS5_lilPT5_lili ; -- Begin function _ZL36rocblas_gemvt_double_buffered_kernelILb0ELi128ELi8ELi8EfPKffEviiT4_lPKT3_lilS5_lilPT5_lili
	.p2align	8
	.type	_ZL36rocblas_gemvt_double_buffered_kernelILb0ELi128ELi8ELi8EfPKffEviiT4_lPKT3_lilS5_lilPT5_lili,@function
_ZL36rocblas_gemvt_double_buffered_kernelILb0ELi128ELi8ELi8EfPKffEviiT4_lPKT3_lilS5_lilPT5_lili: ; @_ZL36rocblas_gemvt_double_buffered_kernelILb0ELi128ELi8ELi8EfPKffEviiT4_lPKT3_lilS5_lilPT5_lili
; %bb.0:
	s_load_b32 s33, s[0:1], 0x78
	s_bfe_u32 s2, ttmp6, 0x40014
	s_lshr_b32 s3, ttmp7, 16
	s_add_co_i32 s2, s2, 1
	s_bfe_u32 s4, ttmp6, 0x40008
	s_mul_i32 s2, s3, s2
	s_getreg_b32 s28, hwreg(HW_REG_IB_STS2, 6, 4)
	s_add_co_i32 s4, s4, s2
	s_cmp_eq_u32 s28, 0
	s_cselect_b32 s2, s3, s4
	s_mov_b32 s3, 0
	s_wait_kmcnt 0x0
	s_cmp_ge_u32 s2, s33
	s_cbranch_scc1 .LBB24_15
; %bb.1:
	s_clause 0x7
	s_load_b32 s24, s[0:1], 0x28
	s_load_b96 s[20:22], s[0:1], 0x40
	s_load_b96 s[36:38], s[0:1], 0x60
	s_load_b32 s29, s[0:1], 0x0
	s_load_b256 s[4:11], s[0:1], 0x8
	s_load_b128 s[16:19], s[0:1], 0x50
	s_load_b128 s[12:15], s[0:1], 0x30
	s_load_b64 s[26:27], s[0:1], 0x70
	v_and_b32_e32 v8, 0x3ff, v0
	v_bfe_u32 v1, v0, 10, 10
	s_bfe_u32 s23, ttmp6, 0x4000c
	s_bfe_u32 s25, ttmp6, 0x40010
	s_and_b32 s40, ttmp7, 0xffff
	s_add_co_i32 s41, s23, 1
	v_lshl_add_u32 v6, v1, 7, v8
	s_add_co_i32 s42, s25, 1
	s_and_b32 s39, ttmp6, 15
	v_dual_mov_b32 v3, 0 :: v_dual_bitop2_b32 v2, 63, v0 bitop3:0x40
	s_delay_alu instid0(VALU_DEP_2)
	v_lshrrev_b32_e32 v7, 3, v6
	s_wait_kmcnt 0x0
	s_ashr_i32 s25, s24, 31
	s_ashr_i32 s23, s22, 31
	s_lshl_b64 s[30:31], s[36:37], 2
	s_ashr_i32 s36, s29, 31
	v_and_b32_e32 v9, 0x7ff8, v7
	s_lshl_b64 s[10:11], s[10:11], 2
	s_lshr_b32 s36, s36, 25
	s_ashr_i32 s35, s38, 31
	s_add_co_i32 s29, s29, s36
	s_add_nc_u64 s[36:37], s[8:9], s[10:11]
	s_mul_i32 s9, ttmp9, s41
	s_mul_i32 s10, s40, s42
	s_bfe_u32 s11, ttmp6, 0x40004
	s_ashr_i32 s8, s29, 7
	s_add_co_i32 s39, s39, s9
	s_add_co_i32 s9, s11, s10
	v_lshlrev_b32_e32 v24, 8, v9
	v_lshl_or_b32 v25, v7, 8, 0x700
	v_add_nc_u32_e32 v7, 1, v8
	s_cmp_eq_u32 s28, 0
	s_add_nc_u64 s[10:11], s[0:1], 0x80
	s_cselect_b32 s0, ttmp9, s39
	s_mov_b32 s34, s38
	s_cselect_b32 s1, s40, s9
	s_lshl_b32 s38, s0, 7
	v_mad_nc_i64_i32 v[4:5], s24, v9, v[2:3]
	v_dual_add_nc_u32 v9, 2, v8 :: v_dual_add_nc_u32 v10, 3, v8
	v_cmp_eq_u32_e64 s0, 0, v1
	v_dual_lshlrev_b32 v1, 8, v8 :: v_dual_bitop2_b32 v7, 63, v7 bitop3:0x40
	s_delay_alu instid0(VALU_DEP_3) | instskip(NEXT) | instid1(VALU_DEP_4)
	v_dual_add_nc_u32 v11, 4, v8 :: v_dual_bitop2_b32 v9, 63, v9 bitop3:0x40
	v_dual_add_nc_u32 v12, 5, v8 :: v_dual_bitop2_b32 v10, 63, v10 bitop3:0x40
	s_delay_alu instid0(VALU_DEP_3)
	v_lshl_or_b32 v7, v7, 2, v1
	v_lshrrev_b32_e32 v6, 1, v6
	v_lshlrev_b32_e32 v2, 2, v2
	s_ashr_i32 s39, s38, 31
	v_bitop3_b32 v0, v0, 32, 63 bitop3:0x6c
	scratch_store_b32 off, v7, off          ; 4-byte Folded Spill
	s_wait_xcnt 0x0
	v_lshl_or_b32 v7, v9, 2, v1
	v_lshl_or_b32 v9, v10, 2, v1
	v_add_nc_u32_e32 v10, 6, v8
	v_and_b32_e32 v6, 0x1ffe0, v6
	v_lshl_or_b32 v100, v0, 2, v1
	scratch_store_b32 off, v7, off offset:4 ; 4-byte Folded Spill
	s_wait_xcnt 0x0
	v_dual_add_nc_u32 v11, 7, v8 :: v_dual_bitop2_b32 v7, 63, v11 bitop3:0x40
	v_dual_add_nc_u32 v0, 36, v8 :: v_dual_add_nc_u32 v35, 59, v8
	v_add_nc_u32_e32 v36, 60, v8
	s_delay_alu instid0(VALU_DEP_3)
	v_lshl_or_b32 v7, v7, 2, v1
	scratch_store_b32 off, v9, off offset:8 ; 4-byte Folded Spill
	s_wait_xcnt 0x0
	v_and_b32_e32 v9, 63, v12
	v_dual_add_nc_u32 v12, 10, v8 :: v_dual_add_nc_u32 v37, 61, v8
	v_add_nc_u32_e32 v38, 62, v8
	s_mul_u64 s[28:29], s[34:35], s[38:39]
	s_delay_alu instid0(VALU_DEP_3)
	v_lshl_or_b32 v9, v9, 2, v1
	scratch_store_b32 off, v7, off offset:12 ; 4-byte Folded Spill
	s_wait_xcnt 0x0
	v_add_nc_u32_e32 v7, 8, v8
	s_add_nc_u64 s[30:31], s[18:19], s[30:31]
	s_lshl_b64 s[28:29], s[28:29], 2
	v_or_b32_e32 v73, v1, v2
	s_add_nc_u64 s[30:31], s[30:31], s[28:29]
	v_and_b32_e32 v7, 63, v7
	s_mul_u64 s[18:19], s[24:25], s[38:39]
	s_lshl_b64 s[28:29], s[22:23], 9
	s_lshl_b64 s[18:19], s[18:19], 2
	s_mov_b32 s9, s3
	v_lshl_or_b32 v7, v7, 2, v1
	scratch_store_b32 off, v9, off offset:16 ; 4-byte Folded Spill
	s_wait_xcnt 0x0
	v_and_b32_e32 v9, 63, v10
	v_dual_add_nc_u32 v11, 9, v8 :: v_dual_bitop2_b32 v10, 63, v11 bitop3:0x40
	scratch_store_b32 off, v7, off offset:28 ; 4-byte Folded Spill
	s_wait_xcnt 0x0
	v_and_b32_e32 v7, 63, v12
	v_lshl_or_b32 v9, v9, 2, v1
	v_add_nc_u32_e32 v12, 15, v8
	s_add_nc_u64 s[18:19], s[36:37], s[18:19]
	s_lshl_b64 s[16:17], s[16:17], 2
	v_lshl_or_b32 v7, v7, 2, v1
	scratch_store_b32 off, v9, off offset:20 ; 4-byte Folded Spill
	s_wait_xcnt 0x0
	v_lshl_or_b32 v9, v10, 2, v1
	v_dual_add_nc_u32 v10, 11, v8 :: v_dual_add_nc_u32 v33, 29, v8
	scratch_store_b32 off, v7, off offset:36 ; 4-byte Folded Spill
	v_dual_add_nc_u32 v31, 28, v8 :: v_dual_add_nc_u32 v16, 27, v8
	s_wait_xcnt 0x0
	v_dual_add_nc_u32 v34, 58, v8 :: v_dual_bitop2_b32 v7, 63, v10 bitop3:0x40
	s_delay_alu instid0(VALU_DEP_2) | instskip(SKIP_1) | instid1(VALU_DEP_3)
	v_dual_add_nc_u32 v75, v2, v25 :: v_dual_bitop2_b32 v31, 63, v31 bitop3:0x40
	v_add_nc_u32_e32 v74, v2, v24
	v_lshl_or_b32 v7, v7, 2, v1
	scratch_store_b32 off, v9, off offset:24 ; 4-byte Folded Spill
	s_wait_xcnt 0x0
	v_dual_add_nc_u32 v11, 12, v8 :: v_dual_bitop2_b32 v9, 63, v11 bitop3:0x40
	scratch_store_b32 off, v7, off offset:40 ; 4-byte Folded Spill
	v_lshl_or_b32 v9, v9, 2, v1
	v_dual_add_nc_u32 v11, 14, v8 :: v_dual_bitop2_b32 v10, 63, v11 bitop3:0x40
	s_wait_xcnt 0x0
	s_delay_alu instid0(VALU_DEP_1) | instskip(SKIP_3) | instid1(VALU_DEP_1)
	v_lshl_or_b32 v7, v10, 2, v1
	scratch_store_b32 off, v9, off offset:32 ; 4-byte Folded Spill
	s_wait_xcnt 0x0
	v_dual_add_nc_u32 v9, 13, v8 :: v_dual_add_nc_u32 v10, 16, v8
	v_and_b32_e32 v9, 63, v9
	s_delay_alu instid0(VALU_DEP_1) | instskip(SKIP_3) | instid1(VALU_DEP_1)
	v_lshl_or_b32 v9, v9, 2, v1
	scratch_store_b32 off, v7, off offset:44 ; 4-byte Folded Spill
	s_wait_xcnt 0x0
	v_dual_add_nc_u32 v11, 17, v8 :: v_dual_bitop2_b32 v7, 63, v11 bitop3:0x40
	v_lshl_or_b32 v7, v7, 2, v1
	scratch_store_b32 off, v9, off offset:48 ; 4-byte Folded Spill
	s_wait_xcnt 0x0
	v_and_b32_e32 v9, 63, v12
	v_add_nc_u32_e32 v12, 20, v8
	s_delay_alu instid0(VALU_DEP_2)
	v_lshl_or_b32 v9, v9, 2, v1
	scratch_store_b32 off, v7, off offset:52 ; 4-byte Folded Spill
	s_wait_xcnt 0x0
	v_add_nc_u32_e32 v7, 18, v8
	scratch_store_b32 off, v9, off offset:56 ; 4-byte Folded Spill
	s_wait_xcnt 0x0
	v_and_b32_e32 v9, 63, v10
	v_dual_add_nc_u32 v11, 19, v8 :: v_dual_bitop2_b32 v10, 63, v11 bitop3:0x40
	v_and_b32_e32 v7, 63, v7
	s_delay_alu instid0(VALU_DEP_3) | instskip(NEXT) | instid1(VALU_DEP_3)
	v_lshl_or_b32 v9, v9, 2, v1
	v_lshl_or_b32 v85, v10, 2, v1
	v_add_nc_u32_e32 v10, 21, v8
	s_delay_alu instid0(VALU_DEP_4)
	v_lshl_or_b32 v86, v7, 2, v1
	v_and_b32_e32 v7, 63, v12
	scratch_store_b32 off, v9, off offset:60 ; 4-byte Folded Spill
	s_wait_xcnt 0x0
	v_dual_add_nc_u32 v11, 22, v8 :: v_dual_bitop2_b32 v9, 63, v11 bitop3:0x40
	v_add_nc_u32_e32 v12, 24, v8
	v_lshl_or_b32 v88, v7, 2, v1
	v_mov_b32_e32 v7, v3
	s_delay_alu instid0(VALU_DEP_4) | instskip(SKIP_2) | instid1(VALU_DEP_4)
	v_lshl_or_b32 v87, v9, 2, v1
	v_and_b32_e32 v9, 63, v10
	v_dual_add_nc_u32 v11, 23, v8 :: v_dual_bitop2_b32 v10, 63, v11 bitop3:0x40
	v_lshl_add_u64 v[22:23], s[38:39], 2, v[6:7]
	v_add_nc_u32_e32 v7, 25, v8
	s_delay_alu instid0(VALU_DEP_4) | instskip(NEXT) | instid1(VALU_DEP_4)
	v_lshl_or_b32 v89, v9, 2, v1
	v_lshl_or_b32 v90, v10, 2, v1
	v_and_b32_e32 v9, 63, v11
	v_mul_lo_u32 v26, v23, s24
	v_and_b32_e32 v6, 63, v12
	v_and_b32_e32 v12, 63, v7
	v_or_b32_e32 v28, 20, v22
	v_and_b32_e32 v29, 63, v16
	v_add_nc_u32_e32 v10, 26, v8
	v_lshl_or_b32 v91, v9, 2, v1
	v_or_b32_e32 v9, 4, v22
	v_mad_nc_u64_u32 v[16:17], v28, s24, s[36:37]
	v_or_b32_e32 v27, 16, v22
	v_or_b32_e32 v20, 8, v22
	v_lshl_or_b32 v92, v6, 2, v1
	v_mad_nc_u64_u32 v[6:7], v22, s24, s[36:37]
	v_lshl_or_b32 v93, v12, 2, v1
	v_or_b32_e32 v32, 28, v22
	v_dual_add_nc_u32 v17, v26, v17 :: v_dual_bitop2_b32 v30, 24, v22 bitop3:0x54
	v_mad_nc_u64_u32 v[18:19], v27, s24, s[36:37]
	v_dual_add_nc_u32 v7, v26, v7 :: v_dual_bitop2_b32 v23, 12, v22 bitop3:0x54
	s_delay_alu instid0(VALU_DEP_3) | instskip(SKIP_1) | instid1(VALU_DEP_3)
	v_mad_u32 v17, v28, s25, v17
	v_add_nc_u32_e32 v28, 31, v8
	v_mad_nc_u64_u32 v[14:15], v23, s24, s[36:37]
	v_and_b32_e32 v13, 63, v10
	v_mad_nc_u64_u32 v[10:11], v9, s24, s[36:37]
	v_mad_u32 v7, v22, s25, v7
	v_add_nc_u64_e32 v[16:17], 0x200, v[16:17]
	v_add_nc_u32_e32 v15, v26, v15
	v_lshl_or_b32 v94, v13, 2, v1
	v_mad_nc_u64_u32 v[12:13], v20, s24, s[36:37]
	v_add_nc_u32_e32 v11, v26, v11
	s_delay_alu instid0(VALU_DEP_1) | instskip(NEXT) | instid1(VALU_DEP_3)
	v_mad_u32 v11, v9, s25, v11
	v_add_nc_u32_e32 v9, v26, v13
	s_delay_alu instid0(VALU_DEP_1) | instskip(SKIP_3) | instid1(VALU_DEP_3)
	v_mad_u32 v13, v20, s25, v9
	v_add_nc_u32_e32 v9, v26, v19
	v_mad_u32 v15, v23, s25, v15
	v_mad_nc_u64_u32 v[22:23], v32, s24, s[36:37]
	v_mad_u32 v19, v27, s25, v9
	v_add_nc_u32_e32 v9, 30, v8
	v_mad_nc_u64_u32 v[20:21], v30, s24, s[36:37]
	v_dual_add_nc_u32 v33, 57, v8 :: v_dual_bitop2_b32 v27, 63, v33 bitop3:0x40
	s_delay_alu instid0(VALU_DEP_3) | instskip(NEXT) | instid1(VALU_DEP_2)
	v_dual_add_nc_u32 v23, v26, v23 :: v_dual_bitop2_b32 v9, 63, v9 bitop3:0x40
	v_lshl_or_b32 v97, v27, 2, v1
	v_add_nc_u32_e32 v27, 33, v8
	v_lshl_or_b32 v96, v31, 2, v1
	v_dual_add_nc_u32 v31, 55, v8 :: v_dual_add_nc_u32 v21, v26, v21
	v_lshl_or_b32 v95, v29, 2, v1
	s_delay_alu instid0(VALU_DEP_4) | instskip(SKIP_3) | instid1(VALU_DEP_4)
	v_dual_add_nc_u32 v27, 34, v8 :: v_dual_bitop2_b32 v26, 63, v27 bitop3:0x40
	v_lshl_or_b32 v98, v9, 2, v1
	v_and_b32_e32 v9, 63, v28
	v_add_nc_u32_e32 v28, 35, v8
	v_lshl_or_b32 v101, v26, 2, v1
	v_dual_add_nc_u32 v26, 38, v8 :: v_dual_bitop2_b32 v27, 63, v27 bitop3:0x40
	s_delay_alu instid0(VALU_DEP_4) | instskip(SKIP_2) | instid1(VALU_DEP_4)
	v_lshl_or_b32 v99, v9, 2, v1
	v_add_nc_u32_e32 v9, 37, v8
	v_and_b32_e32 v0, 63, v0
	v_and_b32_e32 v26, 63, v26
	v_lshl_or_b32 v102, v27, 2, v1
	s_delay_alu instid0(VALU_DEP_4) | instskip(NEXT) | instid1(VALU_DEP_4)
	v_dual_add_nc_u32 v27, 42, v8 :: v_dual_bitop2_b32 v9, 63, v9 bitop3:0x40
	v_lshl_or_b32 v104, v0, 2, v1
	v_add_nc_u32_e32 v0, 39, v8
	v_and_b32_e32 v28, 63, v28
	s_delay_alu instid0(VALU_DEP_4)
	v_and_b32_e32 v27, 63, v27
	v_lshl_or_b32 v105, v9, 2, v1
	v_add_nc_u32_e32 v9, 40, v8
	v_lshl_or_b32 v106, v26, 2, v1
	v_add_nc_u32_e32 v26, 41, v8
	v_and_b32_e32 v0, 63, v0
	v_mad_u32 v21, v30, s25, v21
	v_and_b32_e32 v9, 63, v9
	v_mad_u32 v23, v32, s25, v23
	v_and_b32_e32 v26, 63, v26
	v_lshl_or_b32 v107, v0, 2, v1
	v_add_nc_u32_e32 v0, 44, v8
	v_lshl_or_b32 v108, v9, 2, v1
	v_add_nc_u32_e32 v9, 45, v8
	v_lshl_or_b32 v109, v26, 2, v1
	v_lshl_or_b32 v110, v27, 2, v1
	v_and_b32_e32 v0, 63, v0
	v_dual_add_nc_u32 v26, 46, v8 :: v_dual_add_nc_u32 v27, 47, v8
	v_dual_add_nc_u32 v29, 53, v8 :: v_dual_bitop2_b32 v9, 63, v9 bitop3:0x40
	v_add_nc_u32_e32 v30, 54, v8
	s_delay_alu instid0(VALU_DEP_4) | instskip(SKIP_1) | instid1(VALU_DEP_4)
	v_lshl_or_b32 v112, v0, 2, v1
	v_add_nc_u32_e32 v0, 49, v8
	v_lshl_or_b32 v113, v9, 2, v1
	v_mov_b32_e32 v9, v3
	v_lshl_or_b32 v103, v28, 2, v1
	v_dual_add_nc_u32 v28, 43, v8 :: v_dual_bitop2_b32 v26, 63, v26 bitop3:0x40
	v_dual_add_nc_u32 v32, 56, v8 :: v_dual_bitop2_b32 v27, 63, v27 bitop3:0x40
	v_and_b32_e32 v0, 63, v0
	s_delay_alu instid0(VALU_DEP_3) | instskip(NEXT) | instid1(VALU_DEP_4)
	v_and_b32_e32 v28, 63, v28
	v_lshl_or_b32 v114, v26, 2, v1
	v_add_nc_u32_e32 v26, 50, v8
	v_lshl_or_b32 v115, v27, 2, v1
	v_add_nc_u32_e32 v27, 51, v8
	v_lshl_or_b32 v111, v28, 2, v1
	v_dual_add_nc_u32 v28, 48, v8 :: v_dual_add_nc_u32 v39, -1, v8
	v_and_b32_e32 v26, 63, v26
	v_and_b32_e32 v29, 63, v29
	v_lshl_or_b32 v117, v0, 2, v1
	s_delay_alu instid0(VALU_DEP_4)
	v_and_b32_e32 v28, 63, v28
	v_and_b32_e32 v0, 63, v30
	v_lshl_or_b32 v118, v26, 2, v1
	v_lshl_or_b32 v121, v29, 2, v1
	v_and_b32_e32 v26, 63, v31
	v_lshl_or_b32 v116, v28, 2, v1
	v_add_nc_u32_e32 v28, 52, v8
	v_mul_u64_e32 v[8:9], s[34:35], v[8:9]
	v_and_b32_e32 v27, 63, v27
	v_and_b32_e32 v29, 63, v34
	v_lshl_or_b32 v122, v0, 2, v1
	v_and_b32_e32 v28, 63, v28
	v_lshl_or_b32 v123, v26, 2, v1
	v_lshl_or_b32 v119, v27, 2, v1
	v_and_b32_e32 v27, 63, v32
	v_lshl_or_b32 v126, v29, 2, v1
	v_lshl_or_b32 v120, v28, 2, v1
	v_and_b32_e32 v28, 63, v33
	v_and_b32_e32 v0, 63, v35
	v_lshl_or_b32 v124, v27, 2, v1
	v_and_b32_e32 v26, 63, v36
	v_and_b32_e32 v27, 63, v37
	;; [unrolled: 3-line block ×3, first 2 shown]
	v_lshl_or_b32 v127, v0, 2, v1
	v_lshl_or_b32 v67, v26, 2, v1
	;; [unrolled: 1-line block ×5, first 2 shown]
	s_lshl_b64 s[34:35], s[20:21], 2
	s_lshl_b64 s[20:21], s[12:13], 2
	s_add_nc_u64 s[14:15], s[14:15], s[34:35]
	v_lshl_add_u64 v[0:1], v[8:9], 2, s[30:31]
	v_add_nc_u64_e32 v[8:9], 0x200, v[10:11]
	v_add_nc_u64_e32 v[10:11], 0x200, v[12:13]
	;; [unrolled: 1-line block ×6, first 2 shown]
	s_lshl_b64 s[30:31], s[24:25], 2
	s_branch .LBB24_4
.LBB24_2:                               ;   in Loop: Header=BB24_4 Depth=1
	s_wait_xcnt 0x0
	s_or_b32 exec_lo, exec_lo, s34
.LBB24_3:                               ;   in Loop: Header=BB24_4 Depth=1
	s_add_co_i32 s2, s2, 0x10000
	s_delay_alu instid0(SALU_CYCLE_1)
	s_cmp_lt_u32 s2, s33
	s_cbranch_scc0 .LBB24_15
.LBB24_4:                               ; =>This Loop Header: Depth=1
                                        ;     Child Loop BB24_8 Depth 2
	s_wait_xcnt 0x0
	s_mul_u64 s[34:35], s[6:7], s[2:3]
	s_delay_alu instid0(SALU_CYCLE_1) | instskip(NEXT) | instid1(SALU_CYCLE_1)
	s_lshl_b64 s[34:35], s[34:35], 2
	s_add_nc_u64 s[34:35], s[4:5], s[34:35]
	global_load_b32 v76, v3, s[34:35]
	s_wait_loadcnt 0x0
	v_cmp_eq_f32_e32 vcc_lo, 0, v76
	s_cbranch_vccnz .LBB24_3
; %bb.5:                                ;   in Loop: Header=BB24_4 Depth=1
	s_load_b32 s36, s[10:11], 0x4
	s_wait_kmcnt 0x0
	s_cvt_f32_u32 s34, s36
	s_sub_co_i32 s35, 0, s36
	s_delay_alu instid0(SALU_CYCLE_2) | instskip(SKIP_1) | instid1(TRANS32_DEP_1)
	v_rcp_iflag_f32_e32 v22, s34
	v_nop
	v_readfirstlane_b32 s34, v22
	s_mul_f32 s34, s34, 0x4f7ffffe
	s_delay_alu instid0(SALU_CYCLE_3) | instskip(NEXT) | instid1(SALU_CYCLE_3)
	s_cvt_u32_f32 s34, s34
	s_mul_i32 s35, s35, s34
	s_delay_alu instid0(SALU_CYCLE_1) | instskip(NEXT) | instid1(SALU_CYCLE_1)
	s_mul_hi_u32 s35, s34, s35
	s_add_co_i32 s34, s34, s35
	s_mov_b32 s35, s3
	s_delay_alu instid0(SALU_CYCLE_1) | instskip(NEXT) | instid1(SALU_CYCLE_1)
	s_mul_u64 s[34:35], s[8:9], s[34:35]
	s_mul_i32 s34, s35, s36
	s_add_co_i32 s37, s35, 1
	s_sub_co_i32 s34, s8, s34
	s_delay_alu instid0(SALU_CYCLE_1)
	s_sub_co_i32 s38, s34, s36
	s_cmp_ge_u32 s34, s36
	s_cselect_b32 s35, s37, s35
	s_cselect_b32 s34, s38, s34
	s_add_co_i32 s37, s35, 1
	s_cmp_ge_u32 s34, s36
	s_cselect_b32 s34, s37, s35
	s_delay_alu instid0(SALU_CYCLE_1) | instskip(NEXT) | instid1(SALU_CYCLE_1)
	s_mul_i32 s35, s34, s36
	s_sub_co_i32 s35, s8, s35
	s_delay_alu instid0(SALU_CYCLE_1) | instskip(SKIP_1) | instid1(SALU_CYCLE_1)
	s_cmp_lt_u32 s1, s35
	s_cselect_b32 s36, -1, 0
	s_cmp_lg_u32 s36, 0
	s_add_co_ci_u32 s36, s34, 0
	s_delay_alu instid0(SALU_CYCLE_1)
	s_cmp_eq_u32 s36, 0
	s_cbranch_scc1 .LBB24_3
; %bb.6:                                ;   in Loop: Header=BB24_4 Depth=1
	s_cmp_lt_i32 s36, 1
	s_cbranch_scc1 .LBB24_12
; %bb.7:                                ;   in Loop: Header=BB24_4 Depth=1
	v_cvt_f64_i32_e32 v[22:23], s1
	v_cvt_f64_u32_e32 v[24:25], s35
	s_mul_i32 s34, s34, s1
	v_mov_b32_e32 v44, 0
	v_cvt_f64_u32_e32 v[26:27], s34
	s_mul_u64 s[34:35], s[12:13], s[2:3]
	s_delay_alu instid0(SALU_CYCLE_1) | instskip(NEXT) | instid1(VALU_DEP_2)
	s_lshl_b64 s[34:35], s[34:35], 2
	v_dual_mov_b32 v45, v44 :: v_dual_mov_b32 v54, v44
	s_add_nc_u64 s[34:35], s[18:19], s[34:35]
	v_dual_mov_b32 v55, v44 :: v_dual_mov_b32 v46, v44
	v_dual_mov_b32 v47, v44 :: v_dual_mov_b32 v42, v44
	v_dual_max_num_f64 v[22:23], v[22:23], v[22:23] :: v_dual_mov_b32 v43, v44
	s_delay_alu instid0(VALU_DEP_1) | instskip(NEXT) | instid1(VALU_DEP_1)
	v_min_num_f64_e32 v[22:23], v[22:23], v[24:25]
	v_add_f64_e32 v[22:23], v[22:23], v[26:27]
	s_delay_alu instid0(VALU_DEP_1) | instskip(NEXT) | instid1(VALU_DEP_1)
	v_cvt_i32_f64_e32 v22, v[22:23]
	v_readfirstlane_b32 s37, v22
	s_lshl_b32 s38, s37, 7
	s_add_co_i32 s37, s36, -1
	s_ashr_i32 s39, s38, 31
	s_delay_alu instid0(SALU_CYCLE_1) | instskip(NEXT) | instid1(SALU_CYCLE_1)
	s_lshl_b64 s[38:39], s[38:39], 2
	s_add_nc_u64 s[34:35], s[34:35], s[38:39]
	s_delay_alu instid0(SALU_CYCLE_1) | instskip(SKIP_1) | instid1(SALU_CYCLE_1)
	v_lshl_add_u64 v[22:23], v[4:5], 2, s[34:35]
	s_mul_u64 s[34:35], s[20:21], s[2:3]
	s_add_nc_u64 s[34:35], s[34:35], s[38:39]
	s_delay_alu instid0(VALU_DEP_1) | instskip(SKIP_2) | instid1(VALU_DEP_3)
	v_lshl_add_u64 v[24:25], s[24:25], 2, v[22:23]
	v_add_nc_u64_e32 v[38:39], s[34:35], v[18:19]
	v_add_nc_u64_e32 v[40:41], s[34:35], v[20:21]
	;; [unrolled: 1-line block ×3, first 2 shown]
	s_delay_alu instid0(VALU_DEP_1) | instskip(NEXT) | instid1(VALU_DEP_1)
	v_add_nc_u64_e32 v[28:29], s[30:31], v[26:27]
	v_add_nc_u64_e32 v[30:31], s[30:31], v[28:29]
	s_delay_alu instid0(VALU_DEP_1) | instskip(NEXT) | instid1(VALU_DEP_1)
	v_add_nc_u64_e32 v[32:33], s[30:31], v[30:31]
	v_add_nc_u64_e32 v[34:35], s[30:31], v[32:33]
	s_delay_alu instid0(VALU_DEP_1)
	v_add_nc_u64_e32 v[36:37], s[30:31], v[34:35]
	s_clause 0x5
	global_load_b32 v56, v[22:23], off
	global_load_b32 v57, v[24:25], off
	;; [unrolled: 1-line block ×8, first 2 shown]
	s_wait_xcnt 0x7
	v_or_b32_e32 v22, 0x100, v2
	s_wait_xcnt 0x6
	v_dual_mov_b32 v25, s39 :: v_dual_bitop2_b32 v24, s38, v2 bitop3:0x54
	s_wait_xcnt 0x5
	v_mov_b32_e32 v27, s39
	s_wait_xcnt 0x4
	v_add_nc_u64_e32 v[28:29], s[34:35], v[8:9]
	v_or_b32_e32 v26, s38, v22
	s_wait_xcnt 0x3
	v_add_nc_u64_e32 v[30:31], s[34:35], v[10:11]
	v_mul_u64_e32 v[22:23], s[22:23], v[24:25]
	s_wait_xcnt 0x2
	v_add_nc_u64_e32 v[32:33], s[34:35], v[12:13]
	s_wait_xcnt 0x1
	v_add_nc_u64_e32 v[34:35], s[34:35], v[14:15]
	v_mul_u64_e32 v[24:25], s[22:23], v[26:27]
	v_add_nc_u64_e32 v[26:27], s[34:35], v[6:7]
	s_wait_xcnt 0x0
	v_add_nc_u64_e32 v[36:37], s[34:35], v[16:17]
	s_mul_u64 s[38:39], s[16:17], s[2:3]
	s_delay_alu instid0(SALU_CYCLE_1)
	s_add_nc_u64 s[34:35], s[14:15], s[38:39]
	s_mov_b32 s38, 0
.LBB24_8:                               ;   Parent Loop BB24_4 Depth=1
                                        ; =>  This Inner Loop Header: Depth=2
	s_wait_xcnt 0x0
	v_add_nc_u64_e32 v[68:69], v[26:27], v[2:3]
	s_wait_loadcnt 0x3
	v_dual_mov_b32 v77, v56 :: v_dual_mov_b32 v81, v50
	s_wait_loadcnt 0x1
	v_dual_mov_b32 v82, v51 :: v_dual_mov_b32 v83, v48
	s_wait_loadcnt 0x0
	v_mov_b32_e32 v84, v49
	s_cmp_lg_u32 s37, s38
	v_add_nc_u64_e32 v[60:61], 0x100, v[68:69]
	global_load_b32 v58, v[68:69], off offset:256
	v_mov_b32_e32 v80, v53
	v_add_nc_u64_e32 v[60:61], s[30:31], v[60:61]
	s_delay_alu instid0(VALU_DEP_1)
	v_add_nc_u64_e32 v[62:63], s[30:31], v[60:61]
	s_clause 0x1
	global_load_b32 v59, v[60:61], off
	global_load_b32 v60, v[62:63], off
	s_wait_xcnt 0x0
	v_add_nc_u64_e32 v[62:63], s[30:31], v[62:63]
	s_delay_alu instid0(VALU_DEP_1)
	v_add_nc_u64_e32 v[64:65], s[30:31], v[62:63]
	s_clause 0x1
	global_load_b32 v61, v[62:63], off
	global_load_b32 v62, v[64:65], off
	s_wait_xcnt 0x0
	;; [unrolled: 7-line block ×3, first 2 shown]
	v_add_nc_u64_e32 v[78:79], s[30:31], v[78:79]
	global_load_b32 v65, v[78:79], off
	s_wait_xcnt 0x0
	v_add_nc_u64_e32 v[78:79], s[34:35], v[22:23]
	global_load_b32 v66, v[78:79], off
	s_wait_xcnt 0x0
	v_dual_mov_b32 v78, v57 :: v_dual_mov_b32 v79, v52
	s_cbranch_scc0 .LBB24_10
; %bb.9:                                ;   in Loop: Header=BB24_8 Depth=2
	global_load_b32 v77, v[68:69], off offset:512
	s_wait_xcnt 0x0
	v_add_nc_u64_e32 v[68:69], v[28:29], v[2:3]
	global_load_b32 v78, v[68:69], off
	s_wait_xcnt 0x0
	v_add_nc_u64_e32 v[68:69], v[30:31], v[2:3]
	global_load_b32 v79, v[68:69], off
	s_wait_xcnt 0x0
	v_add_nc_u64_e32 v[68:69], v[32:33], v[2:3]
	global_load_b32 v80, v[68:69], off
	s_wait_xcnt 0x0
	v_add_nc_u64_e32 v[68:69], v[34:35], v[2:3]
	global_load_b32 v81, v[68:69], off
	s_wait_xcnt 0x0
	v_add_nc_u64_e32 v[68:69], v[36:37], v[2:3]
	global_load_b32 v82, v[68:69], off
	s_wait_xcnt 0x0
	v_add_nc_u64_e32 v[68:69], v[38:39], v[2:3]
	global_load_b32 v83, v[68:69], off
	s_wait_xcnt 0x0
	v_add_nc_u64_e32 v[68:69], v[40:41], v[2:3]
	global_load_b32 v84, v[68:69], off
.LBB24_10:                              ;   in Loop: Header=BB24_8 Depth=2
	s_wait_xcnt 0x0
	v_add_nc_u64_e32 v[68:69], s[34:35], v[24:25]
	s_wait_loadcnt 0x0
	v_pk_fma_f32 v[44:45], v[56:57], v[66:67], v[44:45] op_sel_hi:[1,0,1]
	v_pk_fma_f32 v[52:53], v[52:53], v[66:67], v[54:55] op_sel_hi:[1,0,1]
	;; [unrolled: 1-line block ×4, first 2 shown]
	v_add_nc_u64_e32 v[26:27], 0x200, v[26:27]
	v_add_nc_u64_e32 v[28:29], 0x200, v[28:29]
	global_load_b32 v68, v[68:69], off
	v_add_nc_u64_e32 v[30:31], 0x200, v[30:31]
	v_add_nc_u64_e32 v[32:33], 0x200, v[32:33]
	;; [unrolled: 1-line block ×6, first 2 shown]
	s_add_co_i32 s38, s38, 1
	s_add_nc_u64 s[34:35], s[34:35], s[28:29]
	s_cmp_ge_i32 s38, s36
	s_wait_loadcnt 0x0
	v_pk_fma_f32 v[42:43], v[64:65], v[68:69], v[42:43] op_sel_hi:[1,0,1]
	v_pk_fma_f32 v[46:47], v[62:63], v[68:69], v[46:47] op_sel_hi:[1,0,1]
	;; [unrolled: 1-line block ×4, first 2 shown]
	s_cbranch_scc1 .LBB24_13
; %bb.11:                               ;   in Loop: Header=BB24_8 Depth=2
	v_dual_mov_b32 v56, v77 :: v_dual_mov_b32 v57, v78
	v_dual_mov_b32 v52, v79 :: v_dual_mov_b32 v53, v80
	;; [unrolled: 1-line block ×4, first 2 shown]
	s_branch .LBB24_8
.LBB24_12:                              ;   in Loop: Header=BB24_4 Depth=1
	v_mov_b32_e32 v43, 0
	s_delay_alu instid0(VALU_DEP_1)
	v_dual_mov_b32 v42, v43 :: v_dual_mov_b32 v47, v43
	v_dual_mov_b32 v46, v43 :: v_dual_mov_b32 v55, v43
	;; [unrolled: 1-line block ×3, first 2 shown]
	v_mov_b32_e32 v44, v43
.LBB24_13:                              ;   in Loop: Header=BB24_4 Depth=1
	ds_store_2addr_stride64_b32 v74, v44, v45 offset1:1
	ds_store_2addr_stride64_b32 v74, v54, v55 offset0:2 offset1:3
	ds_store_2addr_stride64_b32 v74, v46, v47 offset0:4 offset1:5
	ds_store_b32 v74, v42 offset:1536
	ds_store_b32 v75, v43
	s_wait_storecnt_dscnt 0x0
	s_barrier_signal -1
	s_barrier_wait -1
	s_wait_xcnt 0x0
	s_and_saveexec_b32 s34, s0
	s_cbranch_execz .LBB24_2
; %bb.14:                               ;   in Loop: Header=BB24_4 Depth=1
	s_clause 0x7
	scratch_load_b32 v23, off, off
	scratch_load_b32 v24, off, off offset:4
	scratch_load_b32 v25, off, off offset:8
	;; [unrolled: 1-line block ×7, first 2 shown]
	ds_load_b32 v22, v73
	s_mul_u64 s[36:37], s[26:27], s[2:3]
	s_wait_loadcnt 0x7
	ds_load_b32 v23, v23
	s_wait_loadcnt 0x6
	ds_load_b32 v24, v24
	;; [unrolled: 2-line block ×7, first 2 shown]
	s_wait_dscnt 0x7
	v_add_f32_e32 v22, 0, v22
	s_wait_loadcnt 0x0
	ds_load_b32 v30, v30
	s_wait_dscnt 0x7
	v_add_f32_e32 v22, v22, v23
	scratch_load_b32 v23, off, off offset:28 ; 4-byte Folded Reload
	s_wait_dscnt 0x6
	v_add_f32_e32 v22, v22, v24
	scratch_load_b32 v24, off, off offset:32 ; 4-byte Folded Reload
	;; [unrolled: 3-line block ×7, first 2 shown]
	s_wait_loadcnt 0x6
	ds_load_b32 v23, v23
	s_wait_loadcnt 0x5
	ds_load_b32 v24, v24
	;; [unrolled: 2-line block ×6, first 2 shown]
	s_wait_dscnt 0x5
	v_add_f32_e32 v22, v22, v23
	scratch_load_b32 v23, off, off offset:60 ; 4-byte Folded Reload
	s_wait_loadcnt 0x1
	ds_load_b32 v29, v29
	s_wait_dscnt 0x5
	v_add_f32_e32 v22, v22, v24
	ds_load_b32 v24, v85
	s_wait_loadcnt 0x0
	ds_load_b32 v23, v23
	s_wait_dscnt 0x6
	v_add_f32_e32 v22, v22, v25
	ds_load_b32 v25, v86
	s_wait_dscnt 0x6
	v_add_f32_e32 v22, v22, v26
	s_wait_dscnt 0x5
	s_delay_alu instid0(VALU_DEP_1) | instskip(SKIP_1) | instid1(VALU_DEP_1)
	v_add_f32_e32 v22, v22, v27
	s_wait_dscnt 0x4
	v_add_f32_e32 v22, v22, v28
	s_wait_dscnt 0x3
	s_delay_alu instid0(VALU_DEP_1) | instskip(NEXT) | instid1(VALU_DEP_1)
	v_add_f32_e32 v22, v22, v29
	v_add_f32_e32 v22, v22, v30
	ds_load_b32 v26, v87
	ds_load_b32 v27, v88
	;; [unrolled: 1-line block ×5, first 2 shown]
	s_wait_dscnt 0x6
	v_add_f32_e32 v22, v22, v23
	ds_load_b32 v23, v92
	v_add_f32_e32 v22, v22, v24
	ds_load_b32 v24, v93
	s_wait_dscnt 0x7
	v_add_f32_e32 v22, v22, v25
	ds_load_b32 v25, v94
	s_wait_dscnt 0x7
	v_add_f32_e32 v22, v22, v26
	s_wait_dscnt 0x6
	s_delay_alu instid0(VALU_DEP_1) | instskip(SKIP_1) | instid1(VALU_DEP_1)
	v_add_f32_e32 v22, v22, v27
	s_wait_dscnt 0x5
	v_add_f32_e32 v22, v22, v28
	s_wait_dscnt 0x4
	s_delay_alu instid0(VALU_DEP_1) | instskip(SKIP_1) | instid1(VALU_DEP_1)
	v_add_f32_e32 v22, v22, v29
	s_wait_dscnt 0x3
	v_add_f32_e32 v22, v22, v30
	ds_load_b32 v26, v95
	ds_load_b32 v27, v96
	ds_load_b32 v28, v97
	ds_load_b32 v29, v98
	ds_load_b32 v30, v99
	s_wait_dscnt 0x7
	v_add_f32_e32 v22, v22, v23
	ds_load_b32 v23, v100
	s_wait_dscnt 0x7
	v_add_f32_e32 v22, v22, v24
	ds_load_b32 v24, v101
	s_wait_dscnt 0x7
	v_add_f32_e32 v22, v22, v25
	ds_load_b32 v25, v102
	s_wait_dscnt 0x7
	v_add_f32_e32 v22, v22, v26
	s_wait_dscnt 0x6
	s_delay_alu instid0(VALU_DEP_1) | instskip(SKIP_1) | instid1(VALU_DEP_1)
	v_add_f32_e32 v22, v22, v27
	s_wait_dscnt 0x5
	v_add_f32_e32 v22, v22, v28
	s_wait_dscnt 0x4
	s_delay_alu instid0(VALU_DEP_1) | instskip(SKIP_1) | instid1(VALU_DEP_1)
	v_add_f32_e32 v22, v22, v29
	s_wait_dscnt 0x3
	v_add_f32_e32 v22, v22, v30
	ds_load_b32 v26, v103
	ds_load_b32 v27, v104
	ds_load_b32 v28, v105
	ds_load_b32 v29, v106
	ds_load_b32 v30, v107
	s_wait_dscnt 0x7
	v_add_f32_e32 v22, v22, v23
	ds_load_b32 v23, v108
	s_wait_dscnt 0x7
	;; [unrolled: 26-line block ×4, first 2 shown]
	v_add_f32_e32 v22, v22, v24
	ds_load_b32 v24, v125
	s_wait_dscnt 0x7
	v_add_f32_e32 v22, v22, v25
	ds_load_b32 v25, v126
	s_wait_dscnt 0x7
	v_add_f32_e32 v22, v22, v26
	s_wait_dscnt 0x6
	s_delay_alu instid0(VALU_DEP_1) | instskip(SKIP_1) | instid1(VALU_DEP_1)
	v_add_f32_e32 v22, v22, v27
	s_wait_dscnt 0x5
	v_add_f32_e32 v22, v22, v28
	s_wait_dscnt 0x4
	s_delay_alu instid0(VALU_DEP_1) | instskip(SKIP_1) | instid1(VALU_DEP_1)
	v_add_f32_e32 v22, v22, v29
	s_wait_dscnt 0x3
	v_add_f32_e32 v22, v22, v30
	ds_load_b32 v26, v127
	ds_load_b32 v27, v67
	;; [unrolled: 1-line block ×5, first 2 shown]
	s_wait_dscnt 0x7
	v_add_f32_e32 v22, v22, v23
	s_wait_dscnt 0x6
	s_delay_alu instid0(VALU_DEP_1) | instskip(SKIP_1) | instid1(VALU_DEP_1)
	v_add_f32_e32 v22, v22, v24
	s_wait_dscnt 0x5
	v_add_f32_e32 v22, v22, v25
	s_wait_dscnt 0x4
	s_delay_alu instid0(VALU_DEP_1) | instskip(SKIP_1) | instid1(VALU_DEP_1)
	v_add_f32_e32 v22, v22, v26
	;; [unrolled: 5-line block ×3, first 2 shown]
	s_wait_dscnt 0x1
	v_add_f32_e32 v22, v22, v29
	s_wait_dscnt 0x0
	s_delay_alu instid0(VALU_DEP_1) | instskip(SKIP_1) | instid1(VALU_DEP_2)
	v_add_f32_e32 v24, v22, v30
	v_lshl_add_u64 v[22:23], s[36:37], 2, v[0:1]
	v_mul_f32_e32 v24, v76, v24
	global_atomic_add_f32 v[22:23], v24, off scope:SCOPE_DEV
	s_branch .LBB24_2
.LBB24_15:
	s_sendmsg sendmsg(MSG_DEALLOC_VGPRS)
	s_endpgm
	.section	.rodata,"a",@progbits
	.p2align	6, 0x0
	.amdhsa_kernel _ZL36rocblas_gemvt_double_buffered_kernelILb0ELi128ELi8ELi8EfPKffEviiT4_lPKT3_lilS5_lilPT5_lili
		.amdhsa_group_segment_fixed_size 32768
		.amdhsa_private_segment_fixed_size 68
		.amdhsa_kernarg_size 384
		.amdhsa_user_sgpr_count 2
		.amdhsa_user_sgpr_dispatch_ptr 0
		.amdhsa_user_sgpr_queue_ptr 0
		.amdhsa_user_sgpr_kernarg_segment_ptr 1
		.amdhsa_user_sgpr_dispatch_id 0
		.amdhsa_user_sgpr_kernarg_preload_length 0
		.amdhsa_user_sgpr_kernarg_preload_offset 0
		.amdhsa_user_sgpr_private_segment_size 0
		.amdhsa_wavefront_size32 1
		.amdhsa_uses_dynamic_stack 0
		.amdhsa_enable_private_segment 1
		.amdhsa_system_sgpr_workgroup_id_x 1
		.amdhsa_system_sgpr_workgroup_id_y 1
		.amdhsa_system_sgpr_workgroup_id_z 1
		.amdhsa_system_sgpr_workgroup_info 0
		.amdhsa_system_vgpr_workitem_id 1
		.amdhsa_next_free_vgpr 128
		.amdhsa_next_free_sgpr 43
		.amdhsa_named_barrier_count 0
		.amdhsa_reserve_vcc 1
		.amdhsa_float_round_mode_32 0
		.amdhsa_float_round_mode_16_64 0
		.amdhsa_float_denorm_mode_32 3
		.amdhsa_float_denorm_mode_16_64 3
		.amdhsa_fp16_overflow 0
		.amdhsa_memory_ordered 1
		.amdhsa_forward_progress 1
		.amdhsa_inst_pref_size 39
		.amdhsa_round_robin_scheduling 0
		.amdhsa_exception_fp_ieee_invalid_op 0
		.amdhsa_exception_fp_denorm_src 0
		.amdhsa_exception_fp_ieee_div_zero 0
		.amdhsa_exception_fp_ieee_overflow 0
		.amdhsa_exception_fp_ieee_underflow 0
		.amdhsa_exception_fp_ieee_inexact 0
		.amdhsa_exception_int_div_zero 0
	.end_amdhsa_kernel
	.section	.text._ZL36rocblas_gemvt_double_buffered_kernelILb0ELi128ELi8ELi8EfPKffEviiT4_lPKT3_lilS5_lilPT5_lili,"axG",@progbits,_ZL36rocblas_gemvt_double_buffered_kernelILb0ELi128ELi8ELi8EfPKffEviiT4_lPKT3_lilS5_lilPT5_lili,comdat
.Lfunc_end24:
	.size	_ZL36rocblas_gemvt_double_buffered_kernelILb0ELi128ELi8ELi8EfPKffEviiT4_lPKT3_lilS5_lilPT5_lili, .Lfunc_end24-_ZL36rocblas_gemvt_double_buffered_kernelILb0ELi128ELi8ELi8EfPKffEviiT4_lPKT3_lilS5_lilPT5_lili
                                        ; -- End function
	.set _ZL36rocblas_gemvt_double_buffered_kernelILb0ELi128ELi8ELi8EfPKffEviiT4_lPKT3_lilS5_lilPT5_lili.num_vgpr, 128
	.set _ZL36rocblas_gemvt_double_buffered_kernelILb0ELi128ELi8ELi8EfPKffEviiT4_lPKT3_lilS5_lilPT5_lili.num_agpr, 0
	.set _ZL36rocblas_gemvt_double_buffered_kernelILb0ELi128ELi8ELi8EfPKffEviiT4_lPKT3_lilS5_lilPT5_lili.numbered_sgpr, 43
	.set _ZL36rocblas_gemvt_double_buffered_kernelILb0ELi128ELi8ELi8EfPKffEviiT4_lPKT3_lilS5_lilPT5_lili.num_named_barrier, 0
	.set _ZL36rocblas_gemvt_double_buffered_kernelILb0ELi128ELi8ELi8EfPKffEviiT4_lPKT3_lilS5_lilPT5_lili.private_seg_size, 68
	.set _ZL36rocblas_gemvt_double_buffered_kernelILb0ELi128ELi8ELi8EfPKffEviiT4_lPKT3_lilS5_lilPT5_lili.uses_vcc, 1
	.set _ZL36rocblas_gemvt_double_buffered_kernelILb0ELi128ELi8ELi8EfPKffEviiT4_lPKT3_lilS5_lilPT5_lili.uses_flat_scratch, 1
	.set _ZL36rocblas_gemvt_double_buffered_kernelILb0ELi128ELi8ELi8EfPKffEviiT4_lPKT3_lilS5_lilPT5_lili.has_dyn_sized_stack, 0
	.set _ZL36rocblas_gemvt_double_buffered_kernelILb0ELi128ELi8ELi8EfPKffEviiT4_lPKT3_lilS5_lilPT5_lili.has_recursion, 0
	.set _ZL36rocblas_gemvt_double_buffered_kernelILb0ELi128ELi8ELi8EfPKffEviiT4_lPKT3_lilS5_lilPT5_lili.has_indirect_call, 0
	.section	.AMDGPU.csdata,"",@progbits
; Kernel info:
; codeLenInByte = 4960
; TotalNumSgprs: 45
; NumVgprs: 128
; ScratchSize: 68
; MemoryBound: 0
; FloatMode: 240
; IeeeMode: 1
; LDSByteSize: 32768 bytes/workgroup (compile time only)
; SGPRBlocks: 0
; VGPRBlocks: 7
; NumSGPRsForWavesPerEU: 45
; NumVGPRsForWavesPerEU: 128
; NamedBarCnt: 0
; Occupancy: 8
; WaveLimiterHint : 0
; COMPUTE_PGM_RSRC2:SCRATCH_EN: 1
; COMPUTE_PGM_RSRC2:USER_SGPR: 2
; COMPUTE_PGM_RSRC2:TRAP_HANDLER: 0
; COMPUTE_PGM_RSRC2:TGID_X_EN: 1
; COMPUTE_PGM_RSRC2:TGID_Y_EN: 1
; COMPUTE_PGM_RSRC2:TGID_Z_EN: 1
; COMPUTE_PGM_RSRC2:TIDIG_COMP_CNT: 1
	.section	.text._ZL36rocblas_gemvt_double_buffered_kernelILb0ELi128ELi8ELi8EfffEviiT4_lPKT3_lilS3_lilPT5_lili,"axG",@progbits,_ZL36rocblas_gemvt_double_buffered_kernelILb0ELi128ELi8ELi8EfffEviiT4_lPKT3_lilS3_lilPT5_lili,comdat
	.globl	_ZL36rocblas_gemvt_double_buffered_kernelILb0ELi128ELi8ELi8EfffEviiT4_lPKT3_lilS3_lilPT5_lili ; -- Begin function _ZL36rocblas_gemvt_double_buffered_kernelILb0ELi128ELi8ELi8EfffEviiT4_lPKT3_lilS3_lilPT5_lili
	.p2align	8
	.type	_ZL36rocblas_gemvt_double_buffered_kernelILb0ELi128ELi8ELi8EfffEviiT4_lPKT3_lilS3_lilPT5_lili,@function
_ZL36rocblas_gemvt_double_buffered_kernelILb0ELi128ELi8ELi8EfffEviiT4_lPKT3_lilS3_lilPT5_lili: ; @_ZL36rocblas_gemvt_double_buffered_kernelILb0ELi128ELi8ELi8EfffEviiT4_lPKT3_lilS3_lilPT5_lili
; %bb.0:
	s_load_b32 s33, s[0:1], 0x78
	s_bfe_u32 s2, ttmp6, 0x40014
	s_lshr_b32 s3, ttmp7, 16
	s_add_co_i32 s2, s2, 1
	s_bfe_u32 s4, ttmp6, 0x40008
	s_mul_i32 s2, s3, s2
	s_getreg_b32 s20, hwreg(HW_REG_IB_STS2, 6, 4)
	s_add_co_i32 s4, s4, s2
	s_cmp_eq_u32 s20, 0
	s_cselect_b32 s2, s3, s4
	s_mov_b32 s3, 0
	s_wait_kmcnt 0x0
	s_cmp_ge_u32 s2, s33
	s_cbranch_scc1 .LBB25_15
; %bb.1:
	s_clause 0x8
	s_load_b32 s16, s[0:1], 0x28
	s_load_b96 s[12:14], s[0:1], 0x40
	s_load_b96 s[24:26], s[0:1], 0x60
	s_load_b128 s[28:31], s[0:1], 0x18
	s_load_b32 s36, s[0:1], 0x8
	s_load_b128 s[8:11], s[0:1], 0x50
	s_load_b32 s21, s[0:1], 0x0
	s_load_b128 s[4:7], s[0:1], 0x30
	s_load_b64 s[18:19], s[0:1], 0x70
	v_and_b32_e32 v8, 0x3ff, v0
	v_bfe_u32 v1, v0, 10, 10
	v_dual_mov_b32 v3, 0 :: v_dual_bitop2_b32 v2, 63, v0 bitop3:0x40
	v_bitop3_b32 v0, v0, 32, 63 bitop3:0x6c
	s_delay_alu instid0(VALU_DEP_4) | instskip(NEXT) | instid1(VALU_DEP_4)
	v_dual_add_nc_u32 v35, 59, v8 :: v_dual_add_nc_u32 v36, 60, v8
	v_lshl_add_u32 v6, v1, 7, v8
	v_dual_add_nc_u32 v37, 61, v8 :: v_dual_add_nc_u32 v38, 62, v8
	v_add_nc_u32_e32 v10, 3, v8
	s_wait_kmcnt 0x0
	s_ashr_i32 s17, s16, 31
	s_ashr_i32 s15, s14, 31
	s_ashr_i32 s27, s26, 31
	s_lshl_b64 s[22:23], s[24:25], 2
	s_lshl_b64 s[24:25], s[30:31], 2
	s_cmp_neq_f32 s36, 0
	v_lshrrev_b32_e32 v7, 3, v6
	s_add_nc_u64 s[38:39], s[10:11], s[22:23]
	s_add_nc_u64 s[30:31], s[28:29], s[24:25]
	s_cselect_b32 s37, -1, 0
	s_ashr_i32 s10, s21, 31
	s_bfe_u32 s22, ttmp6, 0x4000c
	s_bfe_u32 s24, ttmp6, 0x40010
	s_lshr_b32 s10, s10, 25
	v_and_b32_e32 v9, 0x7ff8, v7
	s_and_b32 s23, ttmp7, 0xffff
	s_add_co_i32 s22, s22, 1
	s_add_co_i32 s24, s24, 1
	;; [unrolled: 1-line block ×3, first 2 shown]
	s_and_b32 s11, ttmp6, 15
	s_mul_i32 s22, ttmp9, s22
	s_mul_i32 s24, s23, s24
	s_ashr_i32 s10, s21, 7
	s_bfe_u32 s21, ttmp6, 0x40004
	s_add_co_i32 s11, s11, s22
	s_add_co_i32 s22, s21, s24
	v_lshlrev_b32_e32 v24, 8, v9
	v_lshl_or_b32 v25, v7, 8, 0x700
	v_add_nc_u32_e32 v7, 1, v8
	s_cmp_eq_u32 s20, 0
	s_add_nc_u64 s[20:21], s[0:1], 0x80
	s_cselect_b32 s0, ttmp9, s11
	s_cselect_b32 s1, s23, s22
	s_lshl_b32 s34, s0, 7
	v_mad_nc_i64_i32 v[4:5], s16, v9, v[2:3]
	v_add_nc_u32_e32 v9, 2, v8
	v_cmp_eq_u32_e64 s0, 0, v1
	v_dual_lshlrev_b32 v1, 8, v8 :: v_dual_bitop2_b32 v7, 63, v7 bitop3:0x40
	s_delay_alu instid0(VALU_DEP_3) | instskip(SKIP_1) | instid1(VALU_DEP_3)
	v_dual_add_nc_u32 v11, 4, v8 :: v_dual_bitop2_b32 v9, 63, v9 bitop3:0x40
	v_dual_add_nc_u32 v12, 5, v8 :: v_dual_bitop2_b32 v10, 63, v10 bitop3:0x40
	v_lshl_or_b32 v7, v7, 2, v1
	v_lshrrev_b32_e32 v6, 1, v6
	v_lshlrev_b32_e32 v2, 2, v2
	s_ashr_i32 s35, s34, 31
	v_lshl_or_b32 v100, v0, 2, v1
	scratch_store_b32 off, v7, off          ; 4-byte Folded Spill
	s_wait_xcnt 0x0
	v_lshl_or_b32 v7, v9, 2, v1
	v_lshl_or_b32 v9, v10, 2, v1
	v_add_nc_u32_e32 v10, 6, v8
	v_and_b32_e32 v6, 0x1ffe0, v6
	v_add_nc_u32_e32 v0, 36, v8
	scratch_store_b32 off, v7, off offset:4 ; 4-byte Folded Spill
	s_wait_xcnt 0x0
	v_dual_add_nc_u32 v11, 7, v8 :: v_dual_bitop2_b32 v7, 63, v11 bitop3:0x40
	s_mul_u64 s[24:25], s[26:27], s[34:35]
	v_or_b32_e32 v73, v1, v2
	s_lshl_b64 s[24:25], s[24:25], 2
	s_delay_alu instid0(VALU_DEP_2)
	v_lshl_or_b32 v7, v7, 2, v1
	scratch_store_b32 off, v9, off offset:8 ; 4-byte Folded Spill
	s_wait_xcnt 0x0
	v_and_b32_e32 v9, 63, v12
	v_add_nc_u32_e32 v12, 10, v8
	s_add_nc_u64 s[28:29], s[38:39], s[24:25]
	s_mul_u64 s[22:23], s[16:17], s[34:35]
	s_lshl_b64 s[24:25], s[14:15], 9
	v_lshl_or_b32 v9, v9, 2, v1
	scratch_store_b32 off, v7, off offset:12 ; 4-byte Folded Spill
	s_wait_xcnt 0x0
	v_add_nc_u32_e32 v7, 8, v8
	s_lshl_b64 s[22:23], s[22:23], 2
	s_mov_b32 s11, s3
	s_add_nc_u64 s[22:23], s[30:31], s[22:23]
	s_lshl_b64 s[8:9], s[8:9], 2
	v_dual_add_nc_u32 v16, 27, v8 :: v_dual_bitop2_b32 v7, 63, v7 bitop3:0x40
	v_dual_add_nc_u32 v33, 29, v8 :: v_dual_add_nc_u32 v31, 28, v8
	v_add_nc_u32_e32 v34, 58, v8
	s_delay_alu instid0(VALU_DEP_3)
	v_lshl_or_b32 v7, v7, 2, v1
	scratch_store_b32 off, v9, off offset:16 ; 4-byte Folded Spill
	s_wait_xcnt 0x0
	v_and_b32_e32 v9, 63, v10
	v_dual_add_nc_u32 v11, 9, v8 :: v_dual_bitop2_b32 v10, 63, v11 bitop3:0x40
	scratch_store_b32 off, v7, off offset:28 ; 4-byte Folded Spill
	s_wait_xcnt 0x0
	v_and_b32_e32 v7, 63, v12
	v_lshl_or_b32 v9, v9, 2, v1
	v_dual_add_nc_u32 v12, 15, v8 :: v_dual_bitop2_b32 v31, 63, v31 bitop3:0x40
	v_add_nc_u32_e32 v75, v2, v25
	s_delay_alu instid0(VALU_DEP_4)
	v_lshl_or_b32 v7, v7, 2, v1
	scratch_store_b32 off, v9, off offset:20 ; 4-byte Folded Spill
	s_wait_xcnt 0x0
	v_lshl_or_b32 v9, v10, 2, v1
	v_add_nc_u32_e32 v10, 11, v8
	v_add_nc_u32_e32 v74, v2, v24
	scratch_store_b32 off, v7, off offset:36 ; 4-byte Folded Spill
	s_wait_xcnt 0x0
	v_and_b32_e32 v7, 63, v10
	s_delay_alu instid0(VALU_DEP_1)
	v_lshl_or_b32 v7, v7, 2, v1
	scratch_store_b32 off, v9, off offset:24 ; 4-byte Folded Spill
	s_wait_xcnt 0x0
	v_dual_add_nc_u32 v11, 12, v8 :: v_dual_bitop2_b32 v9, 63, v11 bitop3:0x40
	scratch_store_b32 off, v7, off offset:40 ; 4-byte Folded Spill
	v_lshl_or_b32 v9, v9, 2, v1
	v_dual_add_nc_u32 v11, 14, v8 :: v_dual_bitop2_b32 v10, 63, v11 bitop3:0x40
	s_wait_xcnt 0x0
	s_delay_alu instid0(VALU_DEP_1) | instskip(SKIP_3) | instid1(VALU_DEP_1)
	v_lshl_or_b32 v7, v10, 2, v1
	scratch_store_b32 off, v9, off offset:32 ; 4-byte Folded Spill
	s_wait_xcnt 0x0
	v_dual_add_nc_u32 v9, 13, v8 :: v_dual_add_nc_u32 v10, 16, v8
	v_and_b32_e32 v9, 63, v9
	s_delay_alu instid0(VALU_DEP_1) | instskip(SKIP_3) | instid1(VALU_DEP_1)
	v_lshl_or_b32 v9, v9, 2, v1
	scratch_store_b32 off, v7, off offset:44 ; 4-byte Folded Spill
	s_wait_xcnt 0x0
	v_dual_add_nc_u32 v11, 17, v8 :: v_dual_bitop2_b32 v7, 63, v11 bitop3:0x40
	v_lshl_or_b32 v7, v7, 2, v1
	scratch_store_b32 off, v9, off offset:48 ; 4-byte Folded Spill
	s_wait_xcnt 0x0
	v_and_b32_e32 v9, 63, v12
	v_add_nc_u32_e32 v12, 20, v8
	s_delay_alu instid0(VALU_DEP_2)
	v_lshl_or_b32 v9, v9, 2, v1
	scratch_store_b32 off, v7, off offset:52 ; 4-byte Folded Spill
	s_wait_xcnt 0x0
	v_add_nc_u32_e32 v7, 18, v8
	scratch_store_b32 off, v9, off offset:56 ; 4-byte Folded Spill
	s_wait_xcnt 0x0
	v_and_b32_e32 v9, 63, v10
	v_dual_add_nc_u32 v11, 19, v8 :: v_dual_bitop2_b32 v10, 63, v11 bitop3:0x40
	v_and_b32_e32 v7, 63, v7
	s_delay_alu instid0(VALU_DEP_3) | instskip(NEXT) | instid1(VALU_DEP_3)
	v_lshl_or_b32 v84, v9, 2, v1
	v_lshl_or_b32 v85, v10, 2, v1
	s_delay_alu instid0(VALU_DEP_4) | instskip(SKIP_3) | instid1(VALU_DEP_4)
	v_dual_add_nc_u32 v11, 22, v8 :: v_dual_bitop2_b32 v9, 63, v11 bitop3:0x40
	v_add_nc_u32_e32 v10, 21, v8
	v_lshl_or_b32 v86, v7, 2, v1
	v_and_b32_e32 v7, 63, v12
	v_lshl_or_b32 v87, v9, 2, v1
	s_delay_alu instid0(VALU_DEP_4) | instskip(SKIP_1) | instid1(VALU_DEP_4)
	v_dual_add_nc_u32 v12, 24, v8 :: v_dual_bitop2_b32 v9, 63, v10 bitop3:0x40
	v_and_b32_e32 v10, 63, v11
	v_lshl_or_b32 v88, v7, 2, v1
	v_dual_add_nc_u32 v11, 23, v8 :: v_dual_mov_b32 v7, v3
	s_delay_alu instid0(VALU_DEP_4) | instskip(NEXT) | instid1(VALU_DEP_4)
	v_lshl_or_b32 v89, v9, 2, v1
	v_lshl_or_b32 v90, v10, 2, v1
	s_delay_alu instid0(VALU_DEP_3) | instskip(NEXT) | instid1(VALU_DEP_4)
	v_and_b32_e32 v9, 63, v11
	v_lshl_add_u64 v[22:23], s[34:35], 2, v[6:7]
	v_dual_add_nc_u32 v7, 25, v8 :: v_dual_add_nc_u32 v10, 26, v8
	s_delay_alu instid0(VALU_DEP_3) | instskip(NEXT) | instid1(VALU_DEP_3)
	v_lshl_or_b32 v91, v9, 2, v1
	v_mul_lo_u32 v26, v23, s16
	v_and_b32_e32 v6, 63, v12
	s_delay_alu instid0(VALU_DEP_4)
	v_and_b32_e32 v12, 63, v7
	v_or_b32_e32 v28, 20, v22
	v_and_b32_e32 v29, 63, v16
	v_or_b32_e32 v9, 4, v22
	v_or_b32_e32 v20, 8, v22
	v_lshl_or_b32 v92, v6, 2, v1
	v_mad_nc_u64_u32 v[16:17], v28, s16, s[30:31]
	v_or_b32_e32 v27, 16, v22
	v_mad_nc_u64_u32 v[6:7], v22, s16, s[30:31]
	v_lshl_or_b32 v93, v12, 2, v1
	v_or_b32_e32 v32, 28, v22
	v_dual_add_nc_u32 v17, v26, v17 :: v_dual_bitop2_b32 v30, 24, v22 bitop3:0x54
	v_mad_nc_u64_u32 v[18:19], v27, s16, s[30:31]
	v_dual_add_nc_u32 v7, v26, v7 :: v_dual_bitop2_b32 v23, 12, v22 bitop3:0x54
	s_delay_alu instid0(VALU_DEP_3) | instskip(SKIP_1) | instid1(VALU_DEP_3)
	v_mad_u32 v17, v28, s17, v17
	v_add_nc_u32_e32 v28, 31, v8
	v_mad_nc_u64_u32 v[14:15], v23, s16, s[30:31]
	v_and_b32_e32 v13, 63, v10
	v_mad_nc_u64_u32 v[10:11], v9, s16, s[30:31]
	v_mad_u32 v7, v22, s17, v7
	v_add_nc_u64_e32 v[16:17], 0x200, v[16:17]
	v_add_nc_u32_e32 v15, v26, v15
	v_lshl_or_b32 v94, v13, 2, v1
	v_mad_nc_u64_u32 v[12:13], v20, s16, s[30:31]
	v_add_nc_u32_e32 v11, v26, v11
	s_delay_alu instid0(VALU_DEP_1) | instskip(NEXT) | instid1(VALU_DEP_3)
	v_mad_u32 v11, v9, s17, v11
	v_add_nc_u32_e32 v9, v26, v13
	s_delay_alu instid0(VALU_DEP_1) | instskip(SKIP_3) | instid1(VALU_DEP_3)
	v_mad_u32 v13, v20, s17, v9
	v_add_nc_u32_e32 v9, v26, v19
	v_mad_u32 v15, v23, s17, v15
	v_mad_nc_u64_u32 v[22:23], v32, s16, s[30:31]
	v_mad_u32 v19, v27, s17, v9
	v_add_nc_u32_e32 v9, 30, v8
	v_mad_nc_u64_u32 v[20:21], v30, s16, s[30:31]
	v_dual_add_nc_u32 v33, 57, v8 :: v_dual_bitop2_b32 v27, 63, v33 bitop3:0x40
	s_delay_alu instid0(VALU_DEP_3) | instskip(NEXT) | instid1(VALU_DEP_2)
	v_dual_add_nc_u32 v23, v26, v23 :: v_dual_bitop2_b32 v9, 63, v9 bitop3:0x40
	v_lshl_or_b32 v97, v27, 2, v1
	v_add_nc_u32_e32 v27, 33, v8
	v_lshl_or_b32 v96, v31, 2, v1
	v_dual_add_nc_u32 v31, 55, v8 :: v_dual_add_nc_u32 v21, v26, v21
	v_lshl_or_b32 v95, v29, 2, v1
	s_delay_alu instid0(VALU_DEP_4) | instskip(SKIP_3) | instid1(VALU_DEP_4)
	v_dual_add_nc_u32 v27, 34, v8 :: v_dual_bitop2_b32 v26, 63, v27 bitop3:0x40
	v_lshl_or_b32 v98, v9, 2, v1
	v_and_b32_e32 v9, 63, v28
	v_add_nc_u32_e32 v28, 35, v8
	v_lshl_or_b32 v101, v26, 2, v1
	v_dual_add_nc_u32 v26, 38, v8 :: v_dual_bitop2_b32 v27, 63, v27 bitop3:0x40
	s_delay_alu instid0(VALU_DEP_4) | instskip(SKIP_2) | instid1(VALU_DEP_4)
	v_lshl_or_b32 v99, v9, 2, v1
	v_add_nc_u32_e32 v9, 37, v8
	v_and_b32_e32 v0, 63, v0
	v_and_b32_e32 v26, 63, v26
	v_lshl_or_b32 v102, v27, 2, v1
	s_delay_alu instid0(VALU_DEP_4) | instskip(NEXT) | instid1(VALU_DEP_4)
	v_dual_add_nc_u32 v27, 42, v8 :: v_dual_bitop2_b32 v9, 63, v9 bitop3:0x40
	v_lshl_or_b32 v104, v0, 2, v1
	v_add_nc_u32_e32 v0, 39, v8
	v_and_b32_e32 v28, 63, v28
	s_delay_alu instid0(VALU_DEP_4)
	v_and_b32_e32 v27, 63, v27
	v_lshl_or_b32 v105, v9, 2, v1
	v_add_nc_u32_e32 v9, 40, v8
	v_lshl_or_b32 v106, v26, 2, v1
	v_add_nc_u32_e32 v26, 41, v8
	v_and_b32_e32 v0, 63, v0
	v_mad_u32 v21, v30, s17, v21
	v_and_b32_e32 v9, 63, v9
	v_mad_u32 v23, v32, s17, v23
	v_and_b32_e32 v26, 63, v26
	v_lshl_or_b32 v107, v0, 2, v1
	v_add_nc_u32_e32 v0, 44, v8
	v_lshl_or_b32 v108, v9, 2, v1
	v_add_nc_u32_e32 v9, 45, v8
	v_lshl_or_b32 v109, v26, 2, v1
	v_lshl_or_b32 v110, v27, 2, v1
	v_and_b32_e32 v0, 63, v0
	v_dual_add_nc_u32 v26, 46, v8 :: v_dual_add_nc_u32 v27, 47, v8
	v_dual_add_nc_u32 v29, 53, v8 :: v_dual_bitop2_b32 v9, 63, v9 bitop3:0x40
	v_add_nc_u32_e32 v30, 54, v8
	s_delay_alu instid0(VALU_DEP_4) | instskip(SKIP_1) | instid1(VALU_DEP_4)
	v_lshl_or_b32 v112, v0, 2, v1
	v_add_nc_u32_e32 v0, 49, v8
	v_lshl_or_b32 v113, v9, 2, v1
	v_mov_b32_e32 v9, v3
	v_lshl_or_b32 v103, v28, 2, v1
	v_dual_add_nc_u32 v28, 43, v8 :: v_dual_bitop2_b32 v26, 63, v26 bitop3:0x40
	v_dual_add_nc_u32 v32, 56, v8 :: v_dual_bitop2_b32 v27, 63, v27 bitop3:0x40
	v_and_b32_e32 v0, 63, v0
	s_delay_alu instid0(VALU_DEP_3) | instskip(NEXT) | instid1(VALU_DEP_4)
	v_and_b32_e32 v28, 63, v28
	v_lshl_or_b32 v114, v26, 2, v1
	v_add_nc_u32_e32 v26, 50, v8
	v_lshl_or_b32 v115, v27, 2, v1
	v_add_nc_u32_e32 v27, 51, v8
	v_lshl_or_b32 v111, v28, 2, v1
	v_dual_add_nc_u32 v28, 48, v8 :: v_dual_add_nc_u32 v39, -1, v8
	v_and_b32_e32 v26, 63, v26
	v_and_b32_e32 v29, 63, v29
	v_lshl_or_b32 v117, v0, 2, v1
	s_delay_alu instid0(VALU_DEP_4)
	v_and_b32_e32 v28, 63, v28
	v_and_b32_e32 v0, 63, v30
	v_lshl_or_b32 v118, v26, 2, v1
	v_lshl_or_b32 v121, v29, 2, v1
	v_and_b32_e32 v26, 63, v31
	v_lshl_or_b32 v116, v28, 2, v1
	v_add_nc_u32_e32 v28, 52, v8
	v_mul_u64_e32 v[8:9], s[26:27], v[8:9]
	v_and_b32_e32 v27, 63, v27
	v_and_b32_e32 v29, 63, v34
	v_lshl_or_b32 v122, v0, 2, v1
	v_and_b32_e32 v28, 63, v28
	v_lshl_or_b32 v123, v26, 2, v1
	v_lshl_or_b32 v119, v27, 2, v1
	v_and_b32_e32 v27, 63, v32
	v_lshl_or_b32 v126, v29, 2, v1
	v_lshl_or_b32 v120, v28, 2, v1
	v_and_b32_e32 v28, 63, v33
	v_and_b32_e32 v0, 63, v35
	v_lshl_or_b32 v124, v27, 2, v1
	v_and_b32_e32 v26, 63, v36
	v_and_b32_e32 v27, 63, v37
	;; [unrolled: 3-line block ×3, first 2 shown]
	v_lshl_or_b32 v127, v0, 2, v1
	v_lshl_or_b32 v67, v26, 2, v1
	;; [unrolled: 1-line block ×5, first 2 shown]
	s_lshl_b64 s[26:27], s[16:17], 2
	v_lshl_add_u64 v[0:1], v[8:9], 2, s[28:29]
	v_add_nc_u64_e32 v[8:9], 0x200, v[10:11]
	v_add_nc_u64_e32 v[10:11], 0x200, v[12:13]
	;; [unrolled: 1-line block ×6, first 2 shown]
	s_lshl_b64 s[28:29], s[12:13], 2
	s_lshl_b64 s[12:13], s[4:5], 2
	s_add_nc_u64 s[6:7], s[6:7], s[28:29]
	s_branch .LBB25_4
.LBB25_2:                               ;   in Loop: Header=BB25_4 Depth=1
	s_wait_xcnt 0x0
	s_or_b32 exec_lo, exec_lo, s28
.LBB25_3:                               ;   in Loop: Header=BB25_4 Depth=1
	s_add_co_i32 s2, s2, 0x10000
	s_delay_alu instid0(SALU_CYCLE_1)
	s_cmp_lt_u32 s2, s33
	s_cbranch_scc0 .LBB25_15
.LBB25_4:                               ; =>This Loop Header: Depth=1
                                        ;     Child Loop BB25_8 Depth 2
	s_and_not1_b32 vcc_lo, exec_lo, s37
	s_cbranch_vccnz .LBB25_3
; %bb.5:                                ;   in Loop: Header=BB25_4 Depth=1
	s_load_b32 s30, s[20:21], 0x4
	s_wait_kmcnt 0x0
	s_cvt_f32_u32 s28, s30
	s_sub_co_i32 s29, 0, s30
	s_delay_alu instid0(SALU_CYCLE_2) | instskip(SKIP_1) | instid1(TRANS32_DEP_1)
	v_rcp_iflag_f32_e32 v22, s28
	v_nop
	v_readfirstlane_b32 s28, v22
	s_mul_f32 s28, s28, 0x4f7ffffe
	s_delay_alu instid0(SALU_CYCLE_3) | instskip(NEXT) | instid1(SALU_CYCLE_3)
	s_cvt_u32_f32 s28, s28
	s_mul_i32 s29, s29, s28
	s_delay_alu instid0(SALU_CYCLE_1) | instskip(NEXT) | instid1(SALU_CYCLE_1)
	s_mul_hi_u32 s29, s28, s29
	s_add_co_i32 s28, s28, s29
	s_mov_b32 s29, s3
	s_delay_alu instid0(SALU_CYCLE_1) | instskip(NEXT) | instid1(SALU_CYCLE_1)
	s_mul_u64 s[28:29], s[10:11], s[28:29]
	s_mul_i32 s28, s29, s30
	s_add_co_i32 s31, s29, 1
	s_sub_co_i32 s28, s10, s28
	s_delay_alu instid0(SALU_CYCLE_1)
	s_sub_co_i32 s34, s28, s30
	s_cmp_ge_u32 s28, s30
	s_cselect_b32 s29, s31, s29
	s_cselect_b32 s28, s34, s28
	s_add_co_i32 s31, s29, 1
	s_cmp_ge_u32 s28, s30
	s_cselect_b32 s28, s31, s29
	s_delay_alu instid0(SALU_CYCLE_1) | instskip(NEXT) | instid1(SALU_CYCLE_1)
	s_mul_i32 s29, s28, s30
	s_sub_co_i32 s29, s10, s29
	s_delay_alu instid0(SALU_CYCLE_1) | instskip(SKIP_1) | instid1(SALU_CYCLE_1)
	s_cmp_lt_u32 s1, s29
	s_cselect_b32 s30, -1, 0
	s_cmp_lg_u32 s30, 0
	s_add_co_ci_u32 s30, s28, 0
	s_delay_alu instid0(SALU_CYCLE_1)
	s_cmp_eq_u32 s30, 0
	s_cbranch_scc1 .LBB25_3
; %bb.6:                                ;   in Loop: Header=BB25_4 Depth=1
	s_cmp_lt_i32 s30, 1
	s_cbranch_scc1 .LBB25_12
; %bb.7:                                ;   in Loop: Header=BB25_4 Depth=1
	v_cvt_f64_i32_e32 v[22:23], s1
	v_cvt_f64_u32_e32 v[24:25], s29
	s_mul_i32 s28, s28, s1
	v_mov_b32_e32 v44, 0
	v_cvt_f64_u32_e32 v[26:27], s28
	s_mul_u64 s[28:29], s[4:5], s[2:3]
	s_delay_alu instid0(SALU_CYCLE_1) | instskip(NEXT) | instid1(VALU_DEP_2)
	s_lshl_b64 s[28:29], s[28:29], 2
	v_dual_mov_b32 v45, v44 :: v_dual_mov_b32 v54, v44
	s_add_nc_u64 s[28:29], s[22:23], s[28:29]
	v_dual_mov_b32 v55, v44 :: v_dual_mov_b32 v46, v44
	v_dual_mov_b32 v47, v44 :: v_dual_mov_b32 v42, v44
	v_dual_max_num_f64 v[22:23], v[22:23], v[22:23] :: v_dual_mov_b32 v43, v44
	s_delay_alu instid0(VALU_DEP_1) | instskip(NEXT) | instid1(VALU_DEP_1)
	v_min_num_f64_e32 v[22:23], v[22:23], v[24:25]
	v_add_f64_e32 v[22:23], v[22:23], v[26:27]
	s_delay_alu instid0(VALU_DEP_1) | instskip(NEXT) | instid1(VALU_DEP_1)
	v_cvt_i32_f64_e32 v22, v[22:23]
	v_readfirstlane_b32 s31, v22
	s_lshl_b32 s34, s31, 7
	s_add_co_i32 s31, s30, -1
	s_ashr_i32 s35, s34, 31
	s_delay_alu instid0(SALU_CYCLE_1) | instskip(NEXT) | instid1(SALU_CYCLE_1)
	s_lshl_b64 s[34:35], s[34:35], 2
	s_add_nc_u64 s[28:29], s[28:29], s[34:35]
	s_delay_alu instid0(SALU_CYCLE_1) | instskip(SKIP_1) | instid1(SALU_CYCLE_1)
	v_lshl_add_u64 v[22:23], v[4:5], 2, s[28:29]
	s_mul_u64 s[28:29], s[12:13], s[2:3]
	s_add_nc_u64 s[28:29], s[28:29], s[34:35]
	s_delay_alu instid0(VALU_DEP_1) | instskip(SKIP_2) | instid1(VALU_DEP_3)
	v_lshl_add_u64 v[24:25], s[16:17], 2, v[22:23]
	v_add_nc_u64_e32 v[38:39], s[28:29], v[18:19]
	v_add_nc_u64_e32 v[40:41], s[28:29], v[20:21]
	;; [unrolled: 1-line block ×3, first 2 shown]
	s_delay_alu instid0(VALU_DEP_1) | instskip(NEXT) | instid1(VALU_DEP_1)
	v_add_nc_u64_e32 v[28:29], s[26:27], v[26:27]
	v_add_nc_u64_e32 v[30:31], s[26:27], v[28:29]
	s_delay_alu instid0(VALU_DEP_1) | instskip(NEXT) | instid1(VALU_DEP_1)
	v_add_nc_u64_e32 v[32:33], s[26:27], v[30:31]
	v_add_nc_u64_e32 v[34:35], s[26:27], v[32:33]
	s_delay_alu instid0(VALU_DEP_1)
	v_add_nc_u64_e32 v[36:37], s[26:27], v[34:35]
	s_clause 0x5
	global_load_b32 v56, v[22:23], off
	global_load_b32 v57, v[24:25], off
	;; [unrolled: 1-line block ×8, first 2 shown]
	s_wait_xcnt 0x7
	v_or_b32_e32 v22, 0x100, v2
	s_wait_xcnt 0x6
	v_dual_mov_b32 v25, s35 :: v_dual_bitop2_b32 v24, s34, v2 bitop3:0x54
	s_wait_xcnt 0x5
	v_mov_b32_e32 v27, s35
	s_wait_xcnt 0x4
	v_add_nc_u64_e32 v[28:29], s[28:29], v[8:9]
	v_or_b32_e32 v26, s34, v22
	s_wait_xcnt 0x3
	v_add_nc_u64_e32 v[30:31], s[28:29], v[10:11]
	v_mul_u64_e32 v[22:23], s[14:15], v[24:25]
	s_wait_xcnt 0x2
	v_add_nc_u64_e32 v[32:33], s[28:29], v[12:13]
	s_wait_xcnt 0x1
	v_add_nc_u64_e32 v[34:35], s[28:29], v[14:15]
	v_mul_u64_e32 v[24:25], s[14:15], v[26:27]
	v_add_nc_u64_e32 v[26:27], s[28:29], v[6:7]
	s_wait_xcnt 0x0
	v_add_nc_u64_e32 v[36:37], s[28:29], v[16:17]
	s_mul_u64 s[34:35], s[8:9], s[2:3]
	s_delay_alu instid0(SALU_CYCLE_1)
	s_add_nc_u64 s[28:29], s[6:7], s[34:35]
	s_mov_b32 s34, 0
.LBB25_8:                               ;   Parent Loop BB25_4 Depth=1
                                        ; =>  This Inner Loop Header: Depth=2
	s_wait_xcnt 0x0
	v_add_nc_u64_e32 v[68:69], v[26:27], v[2:3]
	s_wait_loadcnt 0x4
	v_dual_mov_b32 v78, v52 :: v_dual_mov_b32 v79, v53
	s_wait_loadcnt 0x2
	v_dual_mov_b32 v80, v50 :: v_dual_mov_b32 v81, v51
	;; [unrolled: 2-line block ×3, first 2 shown]
	v_add_nc_u64_e32 v[60:61], 0x100, v[68:69]
	global_load_b32 v58, v[68:69], off offset:256
	s_cmp_lg_u32 s31, s34
	v_add_nc_u64_e32 v[60:61], s[26:27], v[60:61]
	s_delay_alu instid0(VALU_DEP_1)
	v_add_nc_u64_e32 v[62:63], s[26:27], v[60:61]
	s_clause 0x1
	global_load_b32 v59, v[60:61], off
	global_load_b32 v60, v[62:63], off
	s_wait_xcnt 0x0
	v_add_nc_u64_e32 v[62:63], s[26:27], v[62:63]
	s_delay_alu instid0(VALU_DEP_1)
	v_add_nc_u64_e32 v[64:65], s[26:27], v[62:63]
	s_clause 0x1
	global_load_b32 v61, v[62:63], off
	global_load_b32 v62, v[64:65], off
	s_wait_xcnt 0x0
	;; [unrolled: 7-line block ×3, first 2 shown]
	v_add_nc_u64_e32 v[76:77], s[26:27], v[76:77]
	global_load_b32 v65, v[76:77], off
	s_wait_xcnt 0x0
	v_add_nc_u64_e32 v[76:77], s[28:29], v[22:23]
	global_load_b32 v66, v[76:77], off
	s_wait_xcnt 0x0
	v_dual_mov_b32 v76, v56 :: v_dual_mov_b32 v77, v57
	s_cbranch_scc0 .LBB25_10
; %bb.9:                                ;   in Loop: Header=BB25_8 Depth=2
	global_load_b32 v76, v[68:69], off offset:512
	s_wait_xcnt 0x0
	v_add_nc_u64_e32 v[68:69], v[28:29], v[2:3]
	global_load_b32 v77, v[68:69], off
	s_wait_xcnt 0x0
	v_add_nc_u64_e32 v[68:69], v[30:31], v[2:3]
	global_load_b32 v78, v[68:69], off
	s_wait_xcnt 0x0
	v_add_nc_u64_e32 v[68:69], v[32:33], v[2:3]
	global_load_b32 v79, v[68:69], off
	s_wait_xcnt 0x0
	v_add_nc_u64_e32 v[68:69], v[34:35], v[2:3]
	global_load_b32 v80, v[68:69], off
	s_wait_xcnt 0x0
	v_add_nc_u64_e32 v[68:69], v[36:37], v[2:3]
	global_load_b32 v81, v[68:69], off
	s_wait_xcnt 0x0
	v_add_nc_u64_e32 v[68:69], v[38:39], v[2:3]
	global_load_b32 v82, v[68:69], off
	s_wait_xcnt 0x0
	v_add_nc_u64_e32 v[68:69], v[40:41], v[2:3]
	global_load_b32 v83, v[68:69], off
.LBB25_10:                              ;   in Loop: Header=BB25_8 Depth=2
	s_wait_xcnt 0x0
	v_add_nc_u64_e32 v[68:69], s[28:29], v[24:25]
	s_wait_loadcnt 0x0
	v_pk_fma_f32 v[44:45], v[56:57], v[66:67], v[44:45] op_sel_hi:[1,0,1]
	v_pk_fma_f32 v[52:53], v[52:53], v[66:67], v[54:55] op_sel_hi:[1,0,1]
	;; [unrolled: 1-line block ×4, first 2 shown]
	v_add_nc_u64_e32 v[26:27], 0x200, v[26:27]
	v_add_nc_u64_e32 v[28:29], 0x200, v[28:29]
	global_load_b32 v68, v[68:69], off
	v_add_nc_u64_e32 v[30:31], 0x200, v[30:31]
	v_add_nc_u64_e32 v[32:33], 0x200, v[32:33]
	;; [unrolled: 1-line block ×6, first 2 shown]
	s_add_co_i32 s34, s34, 1
	s_add_nc_u64 s[28:29], s[28:29], s[24:25]
	s_cmp_ge_i32 s34, s30
	s_wait_loadcnt 0x0
	v_pk_fma_f32 v[42:43], v[64:65], v[68:69], v[42:43] op_sel_hi:[1,0,1]
	v_pk_fma_f32 v[46:47], v[62:63], v[68:69], v[46:47] op_sel_hi:[1,0,1]
	;; [unrolled: 1-line block ×4, first 2 shown]
	s_cbranch_scc1 .LBB25_13
; %bb.11:                               ;   in Loop: Header=BB25_8 Depth=2
	v_dual_mov_b32 v56, v76 :: v_dual_mov_b32 v57, v77
	v_dual_mov_b32 v52, v78 :: v_dual_mov_b32 v53, v79
	;; [unrolled: 1-line block ×4, first 2 shown]
	s_branch .LBB25_8
.LBB25_12:                              ;   in Loop: Header=BB25_4 Depth=1
	v_mov_b32_e32 v43, 0
	s_delay_alu instid0(VALU_DEP_1)
	v_dual_mov_b32 v42, v43 :: v_dual_mov_b32 v47, v43
	v_dual_mov_b32 v46, v43 :: v_dual_mov_b32 v55, v43
	;; [unrolled: 1-line block ×3, first 2 shown]
	v_mov_b32_e32 v44, v43
.LBB25_13:                              ;   in Loop: Header=BB25_4 Depth=1
	ds_store_2addr_stride64_b32 v74, v44, v45 offset1:1
	ds_store_2addr_stride64_b32 v74, v54, v55 offset0:2 offset1:3
	ds_store_2addr_stride64_b32 v74, v46, v47 offset0:4 offset1:5
	ds_store_b32 v74, v42 offset:1536
	ds_store_b32 v75, v43
	s_wait_storecnt_dscnt 0x0
	s_barrier_signal -1
	s_barrier_wait -1
	s_wait_xcnt 0x0
	s_and_saveexec_b32 s28, s0
	s_cbranch_execz .LBB25_2
; %bb.14:                               ;   in Loop: Header=BB25_4 Depth=1
	s_clause 0x7
	scratch_load_b32 v23, off, off
	scratch_load_b32 v24, off, off offset:4
	scratch_load_b32 v25, off, off offset:8
	;; [unrolled: 1-line block ×7, first 2 shown]
	ds_load_b32 v22, v73
	s_mul_u64 s[30:31], s[18:19], s[2:3]
	s_wait_dscnt 0x0
	v_add_f32_e32 v22, 0, v22
	s_wait_loadcnt 0x7
	ds_load_b32 v23, v23
	s_wait_loadcnt 0x6
	ds_load_b32 v24, v24
	;; [unrolled: 2-line block ×8, first 2 shown]
	s_wait_dscnt 0x7
	v_add_f32_e32 v22, v22, v23
	scratch_load_b32 v23, off, off offset:28 ; 4-byte Folded Reload
	s_wait_dscnt 0x6
	v_add_f32_e32 v22, v22, v24
	scratch_load_b32 v24, off, off offset:32 ; 4-byte Folded Reload
	;; [unrolled: 3-line block ×7, first 2 shown]
	s_wait_loadcnt 0x6
	ds_load_b32 v23, v23
	s_wait_loadcnt 0x5
	ds_load_b32 v24, v24
	;; [unrolled: 2-line block ×7, first 2 shown]
	s_wait_dscnt 0x6
	v_add_f32_e32 v22, v22, v23
	ds_load_b32 v23, v84
	s_wait_dscnt 0x6
	v_add_f32_e32 v22, v22, v24
	ds_load_b32 v24, v85
	;; [unrolled: 3-line block ×3, first 2 shown]
	s_wait_dscnt 0x6
	v_add_f32_e32 v22, v22, v26
	s_wait_dscnt 0x5
	s_delay_alu instid0(VALU_DEP_1) | instskip(SKIP_1) | instid1(VALU_DEP_1)
	v_add_f32_e32 v22, v22, v27
	s_wait_dscnt 0x4
	v_add_f32_e32 v22, v22, v28
	s_wait_dscnt 0x3
	s_delay_alu instid0(VALU_DEP_1) | instskip(NEXT) | instid1(VALU_DEP_1)
	v_add_f32_e32 v22, v22, v29
	v_add_f32_e32 v22, v22, v30
	ds_load_b32 v26, v87
	ds_load_b32 v27, v88
	ds_load_b32 v28, v89
	ds_load_b32 v29, v90
	ds_load_b32 v30, v91
	s_wait_dscnt 0x7
	v_add_f32_e32 v22, v22, v23
	ds_load_b32 v23, v92
	s_wait_dscnt 0x7
	v_add_f32_e32 v22, v22, v24
	ds_load_b32 v24, v93
	s_wait_dscnt 0x7
	v_add_f32_e32 v22, v22, v25
	ds_load_b32 v25, v94
	s_wait_dscnt 0x7
	v_add_f32_e32 v22, v22, v26
	s_wait_dscnt 0x6
	s_delay_alu instid0(VALU_DEP_1) | instskip(SKIP_1) | instid1(VALU_DEP_1)
	v_add_f32_e32 v22, v22, v27
	s_wait_dscnt 0x5
	v_add_f32_e32 v22, v22, v28
	s_wait_dscnt 0x4
	s_delay_alu instid0(VALU_DEP_1) | instskip(SKIP_1) | instid1(VALU_DEP_1)
	v_add_f32_e32 v22, v22, v29
	s_wait_dscnt 0x3
	v_add_f32_e32 v22, v22, v30
	ds_load_b32 v26, v95
	ds_load_b32 v27, v96
	ds_load_b32 v28, v97
	ds_load_b32 v29, v98
	ds_load_b32 v30, v99
	s_wait_dscnt 0x7
	v_add_f32_e32 v22, v22, v23
	ds_load_b32 v23, v100
	s_wait_dscnt 0x7
	v_add_f32_e32 v22, v22, v24
	ds_load_b32 v24, v101
	s_wait_dscnt 0x7
	v_add_f32_e32 v22, v22, v25
	ds_load_b32 v25, v102
	s_wait_dscnt 0x7
	v_add_f32_e32 v22, v22, v26
	s_wait_dscnt 0x6
	s_delay_alu instid0(VALU_DEP_1) | instskip(SKIP_1) | instid1(VALU_DEP_1)
	v_add_f32_e32 v22, v22, v27
	s_wait_dscnt 0x5
	v_add_f32_e32 v22, v22, v28
	s_wait_dscnt 0x4
	s_delay_alu instid0(VALU_DEP_1) | instskip(SKIP_1) | instid1(VALU_DEP_1)
	v_add_f32_e32 v22, v22, v29
	s_wait_dscnt 0x3
	;; [unrolled: 26-line block ×5, first 2 shown]
	v_add_f32_e32 v22, v22, v30
	ds_load_b32 v26, v127
	ds_load_b32 v27, v67
	;; [unrolled: 1-line block ×5, first 2 shown]
	s_wait_dscnt 0x7
	v_add_f32_e32 v22, v22, v23
	s_wait_dscnt 0x6
	s_delay_alu instid0(VALU_DEP_1) | instskip(SKIP_1) | instid1(VALU_DEP_1)
	v_add_f32_e32 v22, v22, v24
	s_wait_dscnt 0x5
	v_add_f32_e32 v22, v22, v25
	s_wait_dscnt 0x4
	s_delay_alu instid0(VALU_DEP_1) | instskip(SKIP_1) | instid1(VALU_DEP_1)
	v_add_f32_e32 v22, v22, v26
	;; [unrolled: 5-line block ×3, first 2 shown]
	s_wait_dscnt 0x1
	v_add_f32_e32 v22, v22, v29
	s_wait_dscnt 0x0
	s_delay_alu instid0(VALU_DEP_1) | instskip(SKIP_1) | instid1(VALU_DEP_2)
	v_add_f32_e32 v24, v22, v30
	v_lshl_add_u64 v[22:23], s[30:31], 2, v[0:1]
	v_mul_f32_e32 v24, s36, v24
	global_atomic_add_f32 v[22:23], v24, off scope:SCOPE_DEV
	s_branch .LBB25_2
.LBB25_15:
	s_sendmsg sendmsg(MSG_DEALLOC_VGPRS)
	s_endpgm
	.section	.rodata,"a",@progbits
	.p2align	6, 0x0
	.amdhsa_kernel _ZL36rocblas_gemvt_double_buffered_kernelILb0ELi128ELi8ELi8EfffEviiT4_lPKT3_lilS3_lilPT5_lili
		.amdhsa_group_segment_fixed_size 32768
		.amdhsa_private_segment_fixed_size 64
		.amdhsa_kernarg_size 384
		.amdhsa_user_sgpr_count 2
		.amdhsa_user_sgpr_dispatch_ptr 0
		.amdhsa_user_sgpr_queue_ptr 0
		.amdhsa_user_sgpr_kernarg_segment_ptr 1
		.amdhsa_user_sgpr_dispatch_id 0
		.amdhsa_user_sgpr_kernarg_preload_length 0
		.amdhsa_user_sgpr_kernarg_preload_offset 0
		.amdhsa_user_sgpr_private_segment_size 0
		.amdhsa_wavefront_size32 1
		.amdhsa_uses_dynamic_stack 0
		.amdhsa_enable_private_segment 1
		.amdhsa_system_sgpr_workgroup_id_x 1
		.amdhsa_system_sgpr_workgroup_id_y 1
		.amdhsa_system_sgpr_workgroup_id_z 1
		.amdhsa_system_sgpr_workgroup_info 0
		.amdhsa_system_vgpr_workitem_id 1
		.amdhsa_next_free_vgpr 128
		.amdhsa_next_free_sgpr 40
		.amdhsa_named_barrier_count 0
		.amdhsa_reserve_vcc 1
		.amdhsa_float_round_mode_32 0
		.amdhsa_float_round_mode_16_64 0
		.amdhsa_float_denorm_mode_32 3
		.amdhsa_float_denorm_mode_16_64 3
		.amdhsa_fp16_overflow 0
		.amdhsa_memory_ordered 1
		.amdhsa_forward_progress 1
		.amdhsa_inst_pref_size 39
		.amdhsa_round_robin_scheduling 0
		.amdhsa_exception_fp_ieee_invalid_op 0
		.amdhsa_exception_fp_denorm_src 0
		.amdhsa_exception_fp_ieee_div_zero 0
		.amdhsa_exception_fp_ieee_overflow 0
		.amdhsa_exception_fp_ieee_underflow 0
		.amdhsa_exception_fp_ieee_inexact 0
		.amdhsa_exception_int_div_zero 0
	.end_amdhsa_kernel
	.section	.text._ZL36rocblas_gemvt_double_buffered_kernelILb0ELi128ELi8ELi8EfffEviiT4_lPKT3_lilS3_lilPT5_lili,"axG",@progbits,_ZL36rocblas_gemvt_double_buffered_kernelILb0ELi128ELi8ELi8EfffEviiT4_lPKT3_lilS3_lilPT5_lili,comdat
.Lfunc_end25:
	.size	_ZL36rocblas_gemvt_double_buffered_kernelILb0ELi128ELi8ELi8EfffEviiT4_lPKT3_lilS3_lilPT5_lili, .Lfunc_end25-_ZL36rocblas_gemvt_double_buffered_kernelILb0ELi128ELi8ELi8EfffEviiT4_lPKT3_lilS3_lilPT5_lili
                                        ; -- End function
	.set _ZL36rocblas_gemvt_double_buffered_kernelILb0ELi128ELi8ELi8EfffEviiT4_lPKT3_lilS3_lilPT5_lili.num_vgpr, 128
	.set _ZL36rocblas_gemvt_double_buffered_kernelILb0ELi128ELi8ELi8EfffEviiT4_lPKT3_lilS3_lilPT5_lili.num_agpr, 0
	.set _ZL36rocblas_gemvt_double_buffered_kernelILb0ELi128ELi8ELi8EfffEviiT4_lPKT3_lilS3_lilPT5_lili.numbered_sgpr, 40
	.set _ZL36rocblas_gemvt_double_buffered_kernelILb0ELi128ELi8ELi8EfffEviiT4_lPKT3_lilS3_lilPT5_lili.num_named_barrier, 0
	.set _ZL36rocblas_gemvt_double_buffered_kernelILb0ELi128ELi8ELi8EfffEviiT4_lPKT3_lilS3_lilPT5_lili.private_seg_size, 64
	.set _ZL36rocblas_gemvt_double_buffered_kernelILb0ELi128ELi8ELi8EfffEviiT4_lPKT3_lilS3_lilPT5_lili.uses_vcc, 1
	.set _ZL36rocblas_gemvt_double_buffered_kernelILb0ELi128ELi8ELi8EfffEviiT4_lPKT3_lilS3_lilPT5_lili.uses_flat_scratch, 1
	.set _ZL36rocblas_gemvt_double_buffered_kernelILb0ELi128ELi8ELi8EfffEviiT4_lPKT3_lilS3_lilPT5_lili.has_dyn_sized_stack, 0
	.set _ZL36rocblas_gemvt_double_buffered_kernelILb0ELi128ELi8ELi8EfffEviiT4_lPKT3_lilS3_lilPT5_lili.has_recursion, 0
	.set _ZL36rocblas_gemvt_double_buffered_kernelILb0ELi128ELi8ELi8EfffEviiT4_lPKT3_lilS3_lilPT5_lili.has_indirect_call, 0
	.section	.AMDGPU.csdata,"",@progbits
; Kernel info:
; codeLenInByte = 4916
; TotalNumSgprs: 42
; NumVgprs: 128
; ScratchSize: 64
; MemoryBound: 0
; FloatMode: 240
; IeeeMode: 1
; LDSByteSize: 32768 bytes/workgroup (compile time only)
; SGPRBlocks: 0
; VGPRBlocks: 7
; NumSGPRsForWavesPerEU: 42
; NumVGPRsForWavesPerEU: 128
; NamedBarCnt: 0
; Occupancy: 8
; WaveLimiterHint : 0
; COMPUTE_PGM_RSRC2:SCRATCH_EN: 1
; COMPUTE_PGM_RSRC2:USER_SGPR: 2
; COMPUTE_PGM_RSRC2:TRAP_HANDLER: 0
; COMPUTE_PGM_RSRC2:TGID_X_EN: 1
; COMPUTE_PGM_RSRC2:TGID_Y_EN: 1
; COMPUTE_PGM_RSRC2:TGID_Z_EN: 1
; COMPUTE_PGM_RSRC2:TIDIG_COMP_CNT: 1
	.section	.text._ZL32rocblas_gemvt_warp_reduce_kernelILb0ELi256EifPKffEviiT3_lPKT2_lT1_lS5_lS6_lS2_lPT4_lS6_li,"axG",@progbits,_ZL32rocblas_gemvt_warp_reduce_kernelILb0ELi256EifPKffEviiT3_lPKT2_lT1_lS5_lS6_lS2_lPT4_lS6_li,comdat
	.globl	_ZL32rocblas_gemvt_warp_reduce_kernelILb0ELi256EifPKffEviiT3_lPKT2_lT1_lS5_lS6_lS2_lPT4_lS6_li ; -- Begin function _ZL32rocblas_gemvt_warp_reduce_kernelILb0ELi256EifPKffEviiT3_lPKT2_lT1_lS5_lS6_lS2_lPT4_lS6_li
	.p2align	8
	.type	_ZL32rocblas_gemvt_warp_reduce_kernelILb0ELi256EifPKffEviiT3_lPKT2_lT1_lS5_lS6_lS2_lPT4_lS6_li,@function
_ZL32rocblas_gemvt_warp_reduce_kernelILb0ELi256EifPKffEviiT3_lPKT2_lT1_lS5_lS6_lS2_lPT4_lS6_li: ; @_ZL32rocblas_gemvt_warp_reduce_kernelILb0ELi256EifPKffEviiT3_lPKT2_lT1_lS5_lS6_lS2_lPT4_lS6_li
; %bb.0:
	s_load_b32 s33, s[0:1], 0x88
	s_bfe_u32 s2, ttmp6, 0x40014
	s_lshr_b32 s3, ttmp7, 16
	s_add_co_i32 s2, s2, 1
	s_bfe_u32 s5, ttmp6, 0x40008
	s_mul_i32 s4, s3, s2
	s_getreg_b32 s2, hwreg(HW_REG_IB_STS2, 6, 4)
	s_add_co_i32 s5, s5, s4
	s_cmp_eq_u32 s2, 0
	s_mov_b32 s35, 0
	s_cselect_b32 s34, s3, s5
	s_wait_kmcnt 0x0
	s_cmp_ge_u32 s34, s33
	s_cbranch_scc1 .LBB26_34
; %bb.1:
	s_clause 0x7
	s_load_b96 s[4:6], s[0:1], 0x40
	s_load_b96 s[28:30], s[0:1], 0x70
	s_load_b256 s[8:15], s[0:1], 0x8
	s_load_b32 s7, s[0:1], 0x0
	s_load_b32 s3, s[0:1], 0x28
	s_load_b128 s[24:27], s[0:1], 0x30
	s_load_b256 s[16:23], s[0:1], 0x50
	s_load_b64 s[36:37], s[0:1], 0x80
	s_wait_xcnt 0x0
	s_bfe_u32 s1, ttmp6, 0x4000c
	s_and_b32 s31, ttmp6, 15
	s_add_co_i32 s1, s1, 1
	v_dual_mov_b32 v3, 0 :: v_dual_bitop2_b32 v2, 31, v0 bitop3:0x40
	s_mul_i32 s1, ttmp9, s1
	v_lshrrev_b32_e32 v8, 3, v0
	s_add_co_i32 s31, s31, s1
	v_mbcnt_lo_u32_b32 v13, -1, 0
	v_lshlrev_b32_e32 v1, 2, v2
	v_cmp_eq_u32_e64 s0, 0, v0
	v_and_b32_e32 v14, 28, v8
	s_wait_kmcnt 0x0
	s_lshl_b64 s[4:5], s[4:5], 2
	s_lshl_b64 s[28:29], s[28:29], 2
	s_lshl_b64 s[38:39], s[14:15], 2
	s_cmp_eq_u32 s2, 0
	v_cmp_gt_i32_e32 vcc_lo, s7, v0
	s_cselect_b32 s15, ttmp9, s31
	s_ashr_i32 s2, s7, 31
	s_add_nc_u64 s[26:27], s[26:27], s[4:5]
	s_lshr_b32 s2, s2, 24
	s_add_nc_u64 s[4:5], s[12:13], s[38:39]
	s_add_co_i32 s2, s7, s2
	s_add_nc_u64 s[22:23], s[22:23], s[28:29]
	s_and_b32 s14, s2, 0xffffff00
	s_delay_alu instid0(SALU_CYCLE_1)
	v_dual_cndmask_b32 v4, 0, v0, vcc_lo :: v_dual_bitop2_b32 v5, s14, v0 bitop3:0x54
	v_cmp_eq_u32_e64 s2, 0, v2
	s_mul_i32 s28, s30, s15
	s_mul_i32 s30, s3, s15
	v_lshlrev_b32_e32 v2, 2, v4
	v_mul_lo_u32 v4, s6, v5
	s_ashr_i32 s31, s30, 31
	v_mul_lo_u32 v12, v0, s6
	s_lshl_b64 s[30:31], s[30:31], 2
	v_add_nc_u64_e32 v[6:7], s[4:5], v[2:3]
	v_cmp_gt_i32_e64 s4, s7, v5
	v_cmp_gt_u32_e64 s1, 32, v0
	v_cmp_gt_i32_e64 s3, s14, v0
	v_cmp_gt_u32_e64 s5, 8, v0
	s_ashr_i32 s29, s28, 31
	s_ashr_i32 s15, s14, 31
	v_add_nc_u64_e32 v[6:7], s[30:31], v[6:7]
	s_add_nc_u64 s[30:31], s[38:39], s[30:31]
	v_ashrrev_i32_e32 v5, 31, v4
	s_add_nc_u64 s[12:13], s[12:13], s[30:31]
	s_lshl_b32 s38, s6, 8
	v_add_nc_u64_e32 v[8:9], s[12:13], v[2:3]
	v_lshl_or_b32 v2, v13, 2, 64
	s_lshl_b64 s[12:13], s[24:25], 2
	s_lshl_b64 s[28:29], s[28:29], 2
	s_branch .LBB26_4
.LBB26_2:                               ;   in Loop: Header=BB26_4 Depth=1
	s_wait_xcnt 0x0
	s_or_b32 exec_lo, exec_lo, s30
.LBB26_3:                               ;   in Loop: Header=BB26_4 Depth=1
	s_add_co_i32 s34, s34, 0x10000
	s_delay_alu instid0(SALU_CYCLE_1)
	s_cmp_lt_u32 s34, s33
	s_cbranch_scc0 .LBB26_34
.LBB26_4:                               ; =>This Loop Header: Depth=1
                                        ;     Child Loop BB26_23 Depth 2
	s_mul_u64 s[6:7], s[10:11], s[34:35]
	s_wait_xcnt 0x0
	s_mul_u64 s[30:31], s[20:21], s[34:35]
	s_lshl_b64 s[6:7], s[6:7], 2
	s_lshl_b64 s[30:31], s[30:31], 2
	s_add_nc_u64 s[6:7], s[8:9], s[6:7]
	s_add_nc_u64 s[30:31], s[18:19], s[30:31]
	s_clause 0x1
	global_load_b32 v15, v3, s[6:7]
	global_load_b32 v10, v3, s[30:31]
	s_wait_loadcnt 0x1
	v_cmp_eq_f32_e32 vcc_lo, 0, v15
	s_wait_loadcnt 0x0
	s_wait_xcnt 0x1
	v_cmp_eq_f32_e64 s6, 1.0, v10
	v_readfirstlane_b32 s39, v10
	s_and_b32 s6, vcc_lo, s6
	s_delay_alu instid0(SALU_CYCLE_1)
	s_and_b32 vcc_lo, exec_lo, s6
	s_cbranch_vccnz .LBB26_3
; %bb.5:                                ;   in Loop: Header=BB26_4 Depth=1
	v_cmp_neq_f32_e32 vcc_lo, 0, v15
	s_mul_u64 s[6:7], s[36:37], s[34:35]
	s_delay_alu instid0(SALU_CYCLE_1) | instskip(NEXT) | instid1(SALU_CYCLE_1)
	s_lshl_b64 s[6:7], s[6:7], 2
	s_add_nc_u64 s[6:7], s[22:23], s[6:7]
	s_cbranch_vccnz .LBB26_9
; %bb.6:                                ;   in Loop: Header=BB26_4 Depth=1
	s_wait_xcnt 0x0
	s_mov_b32 s30, 0
	s_mov_b32 s40, 0
                                        ; implicit-def: $vgpr10
	s_and_saveexec_b32 s31, s0
	s_cbranch_execz .LBB26_10
; %bb.7:                                ;   in Loop: Header=BB26_4 Depth=1
	s_cmp_eq_f32 s39, 0
	s_cbranch_scc1 .LBB26_11
; %bb.8:                                ;   in Loop: Header=BB26_4 Depth=1
	s_add_nc_u64 s[40:41], s[6:7], s[28:29]
	global_load_b32 v10, v3, s[40:41]
	s_wait_loadcnt 0x0
	v_mul_f32_e32 v10, s39, v10
	s_branch .LBB26_12
.LBB26_9:                               ;   in Loop: Header=BB26_4 Depth=1
	s_wait_xcnt 0x0
	s_mov_b32 s40, 0
                                        ; implicit-def: $vgpr10
	s_cbranch_execnz .LBB26_13
	s_branch .LBB26_32
.LBB26_10:                              ;   in Loop: Header=BB26_4 Depth=1
	s_or_b32 exec_lo, exec_lo, s31
	s_delay_alu instid0(SALU_CYCLE_1)
	s_and_b32 vcc_lo, exec_lo, s30
	s_cbranch_vccnz .LBB26_13
	s_branch .LBB26_32
.LBB26_11:                              ;   in Loop: Header=BB26_4 Depth=1
	v_mov_b32_e32 v10, 0
.LBB26_12:                              ;   in Loop: Header=BB26_4 Depth=1
	s_wait_xcnt 0x0
	s_mov_b32 s40, exec_lo
	s_or_b32 exec_lo, exec_lo, s31
	s_delay_alu instid0(SALU_CYCLE_1)
	s_and_b32 vcc_lo, exec_lo, s30
	s_cbranch_vccz .LBB26_32
.LBB26_13:                              ;   in Loop: Header=BB26_4 Depth=1
	s_mul_u64 s[30:31], s[16:17], s[34:35]
	v_mov_b32_e32 v16, 0
	s_lshl_b64 s[30:31], s[30:31], 2
	s_delay_alu instid0(SALU_CYCLE_1)
	s_add_nc_u64 s[30:31], s[26:27], s[30:31]
	s_and_saveexec_b32 s41, s3
	s_cbranch_execnz .LBB26_22
; %bb.14:                               ;   in Loop: Header=BB26_4 Depth=1
	s_or_b32 exec_lo, exec_lo, s41
	s_and_saveexec_b32 s41, s4
	s_cbranch_execnz .LBB26_25
.LBB26_15:                              ;   in Loop: Header=BB26_4 Depth=1
	s_or_b32 exec_lo, exec_lo, s41
	s_and_saveexec_b32 s30, s1
.LBB26_16:                              ;   in Loop: Header=BB26_4 Depth=1
	ds_store_b32 v1, v3
.LBB26_17:                              ;   in Loop: Header=BB26_4 Depth=1
	s_or_b32 exec_lo, exec_lo, s30
	ds_bpermute_b32 v10, v2, v16
	v_cmp_gt_u32_e32 vcc_lo, 24, v13
	s_wait_dscnt 0x0
	s_barrier_signal -1
	s_barrier_wait -1
	v_cndmask_b32_e64 v11, 0, 8, vcc_lo
	v_cmp_gt_u32_e32 vcc_lo, 28, v13
	s_delay_alu instid0(VALU_DEP_2)
	v_add_lshl_u32 v11, v11, v13, 2
	v_add_f32_e32 v16, v16, v10
	v_cndmask_b32_e64 v10, 0, 4, vcc_lo
	v_cmp_gt_u32_e32 vcc_lo, 30, v13
	ds_bpermute_b32 v11, v11, v16
	v_add_lshl_u32 v10, v10, v13, 2
	s_wait_dscnt 0x0
	v_add_f32_e32 v16, v16, v11
	v_cndmask_b32_e64 v11, 0, 2, vcc_lo
	v_cmp_ne_u32_e32 vcc_lo, 31, v13
	ds_bpermute_b32 v17, v10, v16
	v_add_lshl_u32 v11, v11, v13, 2
	v_add_co_ci_u32_e64 v18, null, 0, v13, vcc_lo
	s_wait_dscnt 0x0
	v_add_f32_e32 v16, v16, v17
	ds_bpermute_b32 v17, v11, v16
	s_wait_dscnt 0x0
	v_dual_add_f32 v17, v16, v17 :: v_dual_lshlrev_b32 v16, 2, v18
	ds_bpermute_b32 v18, v16, v17
	s_and_saveexec_b32 s30, s2
	s_cbranch_execz .LBB26_19
; %bb.18:                               ;   in Loop: Header=BB26_4 Depth=1
	s_wait_dscnt 0x0
	v_add_f32_e32 v17, v17, v18
	ds_store_b32 v14, v17
.LBB26_19:                              ;   in Loop: Header=BB26_4 Depth=1
	s_or_b32 exec_lo, exec_lo, s30
	v_mov_b32_e32 v17, 0
	s_wait_dscnt 0x0
	s_barrier_signal -1
	s_barrier_wait -1
	s_and_saveexec_b32 s30, s5
	s_cbranch_execnz .LBB26_26
; %bb.20:                               ;   in Loop: Header=BB26_4 Depth=1
	s_or_b32 exec_lo, exec_lo, s30
	s_and_saveexec_b32 s30, s1
	s_cbranch_execnz .LBB26_27
.LBB26_21:                              ;   in Loop: Header=BB26_4 Depth=1
	s_or_b32 exec_lo, exec_lo, s30
                                        ; implicit-def: $vgpr10
	s_and_saveexec_b32 s30, s0
	s_cbranch_execnz .LBB26_28
	s_branch .LBB26_31
.LBB26_22:                              ;   in Loop: Header=BB26_4 Depth=1
	v_mad_nc_u64_u32 v[10:11], s12, s34, v[8:9]
	s_wait_dscnt 0x0
	v_dual_mov_b32 v16, 0 :: v_dual_mov_b32 v17, v12
	v_mov_b32_e32 v18, v0
	s_mov_b32 s42, 0
	s_delay_alu instid0(VALU_DEP_3)
	v_mad_u32 v11, s13, s34, v11
.LBB26_23:                              ;   Parent Loop BB26_4 Depth=1
                                        ; =>  This Inner Loop Header: Depth=2
	global_load_b32 v19, v[10:11], off
	global_load_b32 v20, v17, s[30:31] scale_offset
	v_add_nc_u32_e32 v18, 0x100, v18
	s_wait_xcnt 0x1
	v_add_nc_u64_e32 v[10:11], 0x400, v[10:11]
	s_wait_xcnt 0x0
	v_add_nc_u32_e32 v17, s38, v17
	v_cmp_le_i32_e32 vcc_lo, s14, v18
	s_or_b32 s42, vcc_lo, s42
	s_wait_loadcnt 0x0
	v_fmac_f32_e32 v16, v19, v20
	s_and_not1_b32 exec_lo, exec_lo, s42
	s_cbranch_execnz .LBB26_23
; %bb.24:                               ;   in Loop: Header=BB26_4 Depth=1
	s_or_b32 exec_lo, exec_lo, s42
	s_delay_alu instid0(SALU_CYCLE_1)
	s_or_b32 exec_lo, exec_lo, s41
	s_and_saveexec_b32 s41, s4
	s_cbranch_execz .LBB26_15
.LBB26_25:                              ;   in Loop: Header=BB26_4 Depth=1
	s_mul_u64 s[42:43], s[24:25], s[34:35]
	v_lshl_add_u64 v[18:19], v[4:5], 2, s[30:31]
	v_lshl_add_u64 v[10:11], s[42:43], 2, v[6:7]
	s_delay_alu instid0(VALU_DEP_1)
	v_lshl_add_u64 v[10:11], s[14:15], 2, v[10:11]
	s_wait_dscnt 0x0
	global_load_b32 v17, v[10:11], off
	global_load_b32 v20, v[18:19], off
	s_wait_loadcnt 0x0
	v_fmac_f32_e32 v16, v17, v20
	s_wait_xcnt 0x0
	s_or_b32 exec_lo, exec_lo, s41
	s_and_saveexec_b32 s30, s1
	s_cbranch_execnz .LBB26_16
	s_branch .LBB26_17
.LBB26_26:                              ;   in Loop: Header=BB26_4 Depth=1
	ds_load_b32 v17, v1
	s_or_b32 exec_lo, exec_lo, s30
	s_and_saveexec_b32 s30, s1
	s_cbranch_execz .LBB26_21
.LBB26_27:                              ;   in Loop: Header=BB26_4 Depth=1
	s_wait_dscnt 0x0
	ds_bpermute_b32 v10, v10, v17
	s_wait_dscnt 0x0
	v_add_f32_e32 v10, v17, v10
	ds_bpermute_b32 v11, v11, v10
	s_wait_dscnt 0x0
	v_add_f32_e32 v10, v10, v11
	;; [unrolled: 3-line block ×3, first 2 shown]
	s_or_b32 exec_lo, exec_lo, s30
                                        ; implicit-def: $vgpr10
	s_and_saveexec_b32 s30, s0
	s_cbranch_execz .LBB26_31
.LBB26_28:                              ;   in Loop: Header=BB26_4 Depth=1
	s_wait_dscnt 0x0
	v_mul_f32_e32 v10, v15, v17
	s_cmp_eq_f32 s39, 0
	s_cbranch_scc1 .LBB26_30
; %bb.29:                               ;   in Loop: Header=BB26_4 Depth=1
	s_add_nc_u64 s[42:43], s[6:7], s[28:29]
	global_load_b32 v11, v3, s[42:43]
	s_wait_loadcnt 0x0
	v_fmac_f32_e32 v10, s39, v11
.LBB26_30:                              ;   in Loop: Header=BB26_4 Depth=1
	s_or_b32 s40, s40, exec_lo
.LBB26_31:                              ;   in Loop: Header=BB26_4 Depth=1
	s_wait_xcnt 0x0
	s_or_b32 exec_lo, exec_lo, s30
.LBB26_32:                              ;   in Loop: Header=BB26_4 Depth=1
	s_and_saveexec_b32 s30, s40
	s_cbranch_execz .LBB26_2
; %bb.33:                               ;   in Loop: Header=BB26_4 Depth=1
	s_add_nc_u64 s[6:7], s[6:7], s[28:29]
	global_store_b32 v3, v10, s[6:7]
	s_branch .LBB26_2
.LBB26_34:
	s_endpgm
	.section	.rodata,"a",@progbits
	.p2align	6, 0x0
	.amdhsa_kernel _ZL32rocblas_gemvt_warp_reduce_kernelILb0ELi256EifPKffEviiT3_lPKT2_lT1_lS5_lS6_lS2_lPT4_lS6_li
		.amdhsa_group_segment_fixed_size 128
		.amdhsa_private_segment_fixed_size 0
		.amdhsa_kernarg_size 140
		.amdhsa_user_sgpr_count 2
		.amdhsa_user_sgpr_dispatch_ptr 0
		.amdhsa_user_sgpr_queue_ptr 0
		.amdhsa_user_sgpr_kernarg_segment_ptr 1
		.amdhsa_user_sgpr_dispatch_id 0
		.amdhsa_user_sgpr_kernarg_preload_length 0
		.amdhsa_user_sgpr_kernarg_preload_offset 0
		.amdhsa_user_sgpr_private_segment_size 0
		.amdhsa_wavefront_size32 1
		.amdhsa_uses_dynamic_stack 0
		.amdhsa_enable_private_segment 0
		.amdhsa_system_sgpr_workgroup_id_x 1
		.amdhsa_system_sgpr_workgroup_id_y 0
		.amdhsa_system_sgpr_workgroup_id_z 1
		.amdhsa_system_sgpr_workgroup_info 0
		.amdhsa_system_vgpr_workitem_id 0
		.amdhsa_next_free_vgpr 21
		.amdhsa_next_free_sgpr 44
		.amdhsa_named_barrier_count 0
		.amdhsa_reserve_vcc 1
		.amdhsa_float_round_mode_32 0
		.amdhsa_float_round_mode_16_64 0
		.amdhsa_float_denorm_mode_32 3
		.amdhsa_float_denorm_mode_16_64 3
		.amdhsa_fp16_overflow 0
		.amdhsa_memory_ordered 1
		.amdhsa_forward_progress 1
		.amdhsa_inst_pref_size 11
		.amdhsa_round_robin_scheduling 0
		.amdhsa_exception_fp_ieee_invalid_op 0
		.amdhsa_exception_fp_denorm_src 0
		.amdhsa_exception_fp_ieee_div_zero 0
		.amdhsa_exception_fp_ieee_overflow 0
		.amdhsa_exception_fp_ieee_underflow 0
		.amdhsa_exception_fp_ieee_inexact 0
		.amdhsa_exception_int_div_zero 0
	.end_amdhsa_kernel
	.section	.text._ZL32rocblas_gemvt_warp_reduce_kernelILb0ELi256EifPKffEviiT3_lPKT2_lT1_lS5_lS6_lS2_lPT4_lS6_li,"axG",@progbits,_ZL32rocblas_gemvt_warp_reduce_kernelILb0ELi256EifPKffEviiT3_lPKT2_lT1_lS5_lS6_lS2_lPT4_lS6_li,comdat
.Lfunc_end26:
	.size	_ZL32rocblas_gemvt_warp_reduce_kernelILb0ELi256EifPKffEviiT3_lPKT2_lT1_lS5_lS6_lS2_lPT4_lS6_li, .Lfunc_end26-_ZL32rocblas_gemvt_warp_reduce_kernelILb0ELi256EifPKffEviiT3_lPKT2_lT1_lS5_lS6_lS2_lPT4_lS6_li
                                        ; -- End function
	.set _ZL32rocblas_gemvt_warp_reduce_kernelILb0ELi256EifPKffEviiT3_lPKT2_lT1_lS5_lS6_lS2_lPT4_lS6_li.num_vgpr, 21
	.set _ZL32rocblas_gemvt_warp_reduce_kernelILb0ELi256EifPKffEviiT3_lPKT2_lT1_lS5_lS6_lS2_lPT4_lS6_li.num_agpr, 0
	.set _ZL32rocblas_gemvt_warp_reduce_kernelILb0ELi256EifPKffEviiT3_lPKT2_lT1_lS5_lS6_lS2_lPT4_lS6_li.numbered_sgpr, 44
	.set _ZL32rocblas_gemvt_warp_reduce_kernelILb0ELi256EifPKffEviiT3_lPKT2_lT1_lS5_lS6_lS2_lPT4_lS6_li.num_named_barrier, 0
	.set _ZL32rocblas_gemvt_warp_reduce_kernelILb0ELi256EifPKffEviiT3_lPKT2_lT1_lS5_lS6_lS2_lPT4_lS6_li.private_seg_size, 0
	.set _ZL32rocblas_gemvt_warp_reduce_kernelILb0ELi256EifPKffEviiT3_lPKT2_lT1_lS5_lS6_lS2_lPT4_lS6_li.uses_vcc, 1
	.set _ZL32rocblas_gemvt_warp_reduce_kernelILb0ELi256EifPKffEviiT3_lPKT2_lT1_lS5_lS6_lS2_lPT4_lS6_li.uses_flat_scratch, 0
	.set _ZL32rocblas_gemvt_warp_reduce_kernelILb0ELi256EifPKffEviiT3_lPKT2_lT1_lS5_lS6_lS2_lPT4_lS6_li.has_dyn_sized_stack, 0
	.set _ZL32rocblas_gemvt_warp_reduce_kernelILb0ELi256EifPKffEviiT3_lPKT2_lT1_lS5_lS6_lS2_lPT4_lS6_li.has_recursion, 0
	.set _ZL32rocblas_gemvt_warp_reduce_kernelILb0ELi256EifPKffEviiT3_lPKT2_lT1_lS5_lS6_lS2_lPT4_lS6_li.has_indirect_call, 0
	.section	.AMDGPU.csdata,"",@progbits
; Kernel info:
; codeLenInByte = 1376
; TotalNumSgprs: 46
; NumVgprs: 21
; ScratchSize: 0
; MemoryBound: 0
; FloatMode: 240
; IeeeMode: 1
; LDSByteSize: 128 bytes/workgroup (compile time only)
; SGPRBlocks: 0
; VGPRBlocks: 1
; NumSGPRsForWavesPerEU: 46
; NumVGPRsForWavesPerEU: 21
; NamedBarCnt: 0
; Occupancy: 16
; WaveLimiterHint : 0
; COMPUTE_PGM_RSRC2:SCRATCH_EN: 0
; COMPUTE_PGM_RSRC2:USER_SGPR: 2
; COMPUTE_PGM_RSRC2:TRAP_HANDLER: 0
; COMPUTE_PGM_RSRC2:TGID_X_EN: 1
; COMPUTE_PGM_RSRC2:TGID_Y_EN: 0
; COMPUTE_PGM_RSRC2:TGID_Z_EN: 1
; COMPUTE_PGM_RSRC2:TIDIG_COMP_CNT: 0
	.section	.text._ZL32rocblas_gemvt_warp_reduce_kernelILb0ELi256ElfPKffEviiT3_lPKT2_lT1_lS5_lS6_lS2_lPT4_lS6_li,"axG",@progbits,_ZL32rocblas_gemvt_warp_reduce_kernelILb0ELi256ElfPKffEviiT3_lPKT2_lT1_lS5_lS6_lS2_lPT4_lS6_li,comdat
	.globl	_ZL32rocblas_gemvt_warp_reduce_kernelILb0ELi256ElfPKffEviiT3_lPKT2_lT1_lS5_lS6_lS2_lPT4_lS6_li ; -- Begin function _ZL32rocblas_gemvt_warp_reduce_kernelILb0ELi256ElfPKffEviiT3_lPKT2_lT1_lS5_lS6_lS2_lPT4_lS6_li
	.p2align	8
	.type	_ZL32rocblas_gemvt_warp_reduce_kernelILb0ELi256ElfPKffEviiT3_lPKT2_lT1_lS5_lS6_lS2_lPT4_lS6_li,@function
_ZL32rocblas_gemvt_warp_reduce_kernelILb0ELi256ElfPKffEviiT3_lPKT2_lT1_lS5_lS6_lS2_lPT4_lS6_li: ; @_ZL32rocblas_gemvt_warp_reduce_kernelILb0ELi256ElfPKffEviiT3_lPKT2_lT1_lS5_lS6_lS2_lPT4_lS6_li
; %bb.0:
	s_load_b32 s30, s[0:1], 0x88
	s_bfe_u32 s2, ttmp6, 0x40014
	s_lshr_b32 s3, ttmp7, 16
	s_add_co_i32 s2, s2, 1
	s_bfe_u32 s5, ttmp6, 0x40008
	s_mul_i32 s4, s3, s2
	s_getreg_b32 s2, hwreg(HW_REG_IB_STS2, 6, 4)
	s_add_co_i32 s5, s5, s4
	s_cmp_eq_u32 s2, 0
	s_mov_b32 s25, 0
	s_cselect_b32 s24, s3, s5
	s_wait_kmcnt 0x0
	s_cmp_ge_u32 s24, s30
	s_cbranch_scc1 .LBB27_34
; %bb.1:
	s_clause 0x2
	s_load_b512 s[8:23], s[0:1], 0x8
	s_load_b512 s[36:51], s[0:1], 0x48
	s_load_b32 s26, s[0:1], 0x0
	s_wait_xcnt 0x0
	s_bfe_u32 s0, ttmp6, 0x4000c
	s_and_b32 s1, ttmp6, 15
	s_add_co_i32 s0, s0, 1
	v_mbcnt_lo_u32_b32 v17, -1, 0
	s_mul_i32 s0, ttmp9, s0
	s_delay_alu instid0(SALU_CYCLE_1)
	s_add_co_i32 s3, s1, s0
	s_wait_kmcnt 0x0
	s_lshl_b64 s[0:1], s[22:23], 2
	s_lshl_b64 s[4:5], s[46:47], 2
	;; [unrolled: 1-line block ×3, first 2 shown]
	s_cmp_eq_u32 s2, 0
	v_cmp_gt_i32_e32 vcc_lo, s26, v0
	s_cselect_b32 s2, ttmp9, s3
	s_ashr_i32 s3, s26, 31
	s_add_nc_u64 s[22:23], s[12:13], s[6:7]
	s_lshr_b32 s3, s3, 24
	s_add_nc_u64 s[20:21], s[20:21], s[0:1]
	s_add_co_i32 s3, s26, s3
	v_cmp_eq_u32_e64 s0, 0, v0
	s_and_b32 s14, s3, 0xffffff00
	s_delay_alu instid0(SALU_CYCLE_1) | instskip(SKIP_3) | instid1(VALU_DEP_3)
	v_dual_mov_b32 v3, 0 :: v_dual_bitop2_b32 v8, s14, v0 bitop3:0x54
	v_cndmask_b32_e32 v2, 0, v0, vcc_lo
	s_ashr_i32 s3, s2, 31
	v_cmp_gt_i32_e64 s1, s14, v0
	v_dual_mov_b32 v1, v3 :: v_dual_ashrrev_i32 v9, 31, v8
	s_delay_alu instid0(VALU_DEP_3) | instskip(SKIP_2) | instid1(VALU_DEP_2)
	v_lshlrev_b32_e32 v2, 2, v2
	s_mul_u64 s[28:29], s[48:49], s[2:3]
	s_ashr_i32 s15, s14, 31
	v_mul_u64_e32 v[10:11], s[36:37], v[0:1]
	v_mul_u64_e32 v[4:5], s[36:37], v[8:9]
	v_add_nc_u64_e32 v[6:7], s[22:23], v[2:3]
	s_add_nc_u64 s[22:23], s[44:45], s[4:5]
	s_mul_u64 s[4:5], s[16:17], s[2:3]
	v_and_b32_e32 v9, 31, v0
	s_lshl_b64 s[16:17], s[4:5], 2
	v_cmp_gt_i32_e64 s2, s26, v8
	v_lshrrev_b32_e32 v8, 3, v0
	s_add_nc_u64 s[6:7], s[16:17], s[6:7]
	v_add_nc_u64_e32 v[6:7], s[16:17], v[6:7]
	s_add_nc_u64 s[6:7], s[12:13], s[6:7]
	s_delay_alu instid0(VALU_DEP_2)
	v_dual_lshlrev_b32 v1, 2, v9 :: v_dual_bitop2_b32 v16, 28, v8 bitop3:0x40
	v_cmp_eq_u32_e64 s4, 0, v9
	v_add_nc_u64_e32 v[8:9], s[6:7], v[2:3]
	v_cmp_gt_u32_e64 s3, 32, v0
	v_cmp_gt_u32_e64 s5, 8, v0
	v_lshl_or_b32 v2, v17, 2, 64
	s_lshl_b64 s[12:13], s[18:19], 2
	s_lshl_b64 s[16:17], s[38:39], 2
	;; [unrolled: 1-line block ×4, first 2 shown]
	v_lshl_add_u64 v[10:11], v[10:11], 2, s[20:21]
	s_branch .LBB27_4
.LBB27_2:                               ;   in Loop: Header=BB27_4 Depth=1
	s_wait_xcnt 0x0
	s_or_b32 exec_lo, exec_lo, s31
.LBB27_3:                               ;   in Loop: Header=BB27_4 Depth=1
	s_add_co_i32 s24, s24, 0x10000
	s_delay_alu instid0(SALU_CYCLE_1)
	s_cmp_lt_u32 s24, s30
	s_cbranch_scc0 .LBB27_34
.LBB27_4:                               ; =>This Loop Header: Depth=1
                                        ;     Child Loop BB27_23 Depth 2
	s_mul_u64 s[6:7], s[10:11], s[24:25]
	s_wait_xcnt 0x0
	s_mul_u64 s[34:35], s[42:43], s[24:25]
	s_lshl_b64 s[6:7], s[6:7], 2
	s_lshl_b64 s[34:35], s[34:35], 2
	s_add_nc_u64 s[6:7], s[8:9], s[6:7]
	s_add_nc_u64 s[34:35], s[40:41], s[34:35]
	s_clause 0x1
	global_load_b32 v18, v3, s[6:7]
	global_load_b32 v12, v3, s[34:35]
	s_wait_loadcnt 0x1
	v_cmp_eq_f32_e32 vcc_lo, 0, v18
	s_wait_loadcnt 0x0
	s_wait_xcnt 0x1
	v_cmp_eq_f32_e64 s6, 1.0, v12
	v_readfirstlane_b32 s31, v12
	s_and_b32 s6, vcc_lo, s6
	s_delay_alu instid0(SALU_CYCLE_1)
	s_and_b32 vcc_lo, exec_lo, s6
	s_cbranch_vccnz .LBB27_3
; %bb.5:                                ;   in Loop: Header=BB27_4 Depth=1
	v_cmp_neq_f32_e32 vcc_lo, 0, v18
	s_mul_u64 s[6:7], s[50:51], s[24:25]
	s_delay_alu instid0(SALU_CYCLE_1) | instskip(NEXT) | instid1(SALU_CYCLE_1)
	s_lshl_b64 s[6:7], s[6:7], 2
	s_add_nc_u64 s[6:7], s[22:23], s[6:7]
	s_cbranch_vccnz .LBB27_9
; %bb.6:                                ;   in Loop: Header=BB27_4 Depth=1
	s_wait_xcnt 0x0
	s_mov_b32 s34, 0
	s_mov_b32 s33, 0
                                        ; implicit-def: $vgpr12
	s_and_saveexec_b32 s35, s0
	s_cbranch_execz .LBB27_10
; %bb.7:                                ;   in Loop: Header=BB27_4 Depth=1
	s_cmp_eq_f32 s31, 0
	s_cbranch_scc1 .LBB27_11
; %bb.8:                                ;   in Loop: Header=BB27_4 Depth=1
	s_add_nc_u64 s[36:37], s[6:7], s[28:29]
	global_load_b32 v12, v3, s[36:37]
	s_wait_loadcnt 0x0
	v_mul_f32_e32 v12, s31, v12
	s_branch .LBB27_12
.LBB27_9:                               ;   in Loop: Header=BB27_4 Depth=1
	s_wait_xcnt 0x0
	s_mov_b32 s33, 0
                                        ; implicit-def: $vgpr12
	s_cbranch_execnz .LBB27_13
	s_branch .LBB27_32
.LBB27_10:                              ;   in Loop: Header=BB27_4 Depth=1
	s_or_b32 exec_lo, exec_lo, s35
	s_delay_alu instid0(SALU_CYCLE_1)
	s_and_b32 vcc_lo, exec_lo, s34
	s_cbranch_vccnz .LBB27_13
	s_branch .LBB27_32
.LBB27_11:                              ;   in Loop: Header=BB27_4 Depth=1
	v_mov_b32_e32 v12, 0
.LBB27_12:                              ;   in Loop: Header=BB27_4 Depth=1
	s_mov_b32 s33, exec_lo
	s_wait_xcnt 0x0
	s_or_b32 exec_lo, exec_lo, s35
	s_delay_alu instid0(SALU_CYCLE_1)
	s_and_b32 vcc_lo, exec_lo, s34
	s_cbranch_vccz .LBB27_32
.LBB27_13:                              ;   in Loop: Header=BB27_4 Depth=1
	v_mov_b32_e32 v19, 0
	s_and_saveexec_b32 s34, s1
	s_cbranch_execnz .LBB27_22
; %bb.14:                               ;   in Loop: Header=BB27_4 Depth=1
	s_or_b32 exec_lo, exec_lo, s34
	s_and_saveexec_b32 s34, s2
	s_cbranch_execnz .LBB27_25
.LBB27_15:                              ;   in Loop: Header=BB27_4 Depth=1
	s_or_b32 exec_lo, exec_lo, s34
	s_and_saveexec_b32 s34, s3
.LBB27_16:                              ;   in Loop: Header=BB27_4 Depth=1
	ds_store_b32 v1, v3
.LBB27_17:                              ;   in Loop: Header=BB27_4 Depth=1
	s_or_b32 exec_lo, exec_lo, s34
	ds_bpermute_b32 v12, v2, v19
	v_cmp_gt_u32_e32 vcc_lo, 24, v17
	s_wait_dscnt 0x0
	s_barrier_signal -1
	s_barrier_wait -1
	v_cndmask_b32_e64 v13, 0, 8, vcc_lo
	v_cmp_gt_u32_e32 vcc_lo, 28, v17
	s_delay_alu instid0(VALU_DEP_2)
	v_add_lshl_u32 v13, v13, v17, 2
	v_add_f32_e32 v14, v19, v12
	v_cndmask_b32_e64 v12, 0, 4, vcc_lo
	v_cmp_gt_u32_e32 vcc_lo, 30, v17
	ds_bpermute_b32 v13, v13, v14
	v_add_lshl_u32 v12, v12, v17, 2
	s_wait_dscnt 0x0
	v_add_f32_e32 v14, v14, v13
	v_cndmask_b32_e64 v13, 0, 2, vcc_lo
	v_cmp_ne_u32_e32 vcc_lo, 31, v17
	ds_bpermute_b32 v15, v12, v14
	v_add_lshl_u32 v13, v13, v17, 2
	v_add_co_ci_u32_e64 v19, null, 0, v17, vcc_lo
	s_wait_dscnt 0x0
	v_add_f32_e32 v14, v14, v15
	ds_bpermute_b32 v15, v13, v14
	s_wait_dscnt 0x0
	v_add_f32_e32 v15, v14, v15
	v_lshlrev_b32_e32 v14, 2, v19
	ds_bpermute_b32 v19, v14, v15
	s_and_saveexec_b32 s34, s4
	s_cbranch_execz .LBB27_19
; %bb.18:                               ;   in Loop: Header=BB27_4 Depth=1
	s_wait_dscnt 0x0
	v_add_f32_e32 v15, v15, v19
	ds_store_b32 v16, v15
.LBB27_19:                              ;   in Loop: Header=BB27_4 Depth=1
	s_or_b32 exec_lo, exec_lo, s34
	v_mov_b32_e32 v15, 0
	s_wait_dscnt 0x0
	s_barrier_signal -1
	s_barrier_wait -1
	s_and_saveexec_b32 s34, s5
	s_cbranch_execnz .LBB27_26
; %bb.20:                               ;   in Loop: Header=BB27_4 Depth=1
	s_or_b32 exec_lo, exec_lo, s34
	s_and_saveexec_b32 s34, s3
	s_cbranch_execnz .LBB27_27
.LBB27_21:                              ;   in Loop: Header=BB27_4 Depth=1
	s_or_b32 exec_lo, exec_lo, s34
                                        ; implicit-def: $vgpr12
	s_and_saveexec_b32 s34, s0
	s_cbranch_execnz .LBB27_28
	s_branch .LBB27_31
.LBB27_22:                              ;   in Loop: Header=BB27_4 Depth=1
	v_mad_nc_u64_u32 v[12:13], s12, s24, v[8:9]
	s_wait_dscnt 0x0
	v_mad_nc_u64_u32 v[14:15], s16, s24, v[10:11]
	v_dual_mov_b32 v19, 0 :: v_dual_mov_b32 v20, v0
	s_mov_b32 s35, 0
	s_delay_alu instid0(VALU_DEP_3) | instskip(NEXT) | instid1(VALU_DEP_3)
	v_mad_u32 v13, s13, s24, v13
	v_mad_u32 v15, s17, s24, v15
.LBB27_23:                              ;   Parent Loop BB27_4 Depth=1
                                        ; =>  This Inner Loop Header: Depth=2
	global_load_b32 v21, v[12:13], off
	global_load_b32 v22, v[14:15], off
	v_add_nc_u32_e32 v20, 0x100, v20
	s_wait_xcnt 0x1
	v_add_nc_u64_e32 v[12:13], 0x400, v[12:13]
	s_wait_xcnt 0x0
	v_add_nc_u64_e32 v[14:15], s[26:27], v[14:15]
	s_wait_loadcnt 0x0
	v_fmac_f32_e32 v19, v21, v22
	v_cmp_le_i32_e32 vcc_lo, s14, v20
	s_or_b32 s35, vcc_lo, s35
	s_delay_alu instid0(SALU_CYCLE_1)
	s_and_not1_b32 exec_lo, exec_lo, s35
	s_cbranch_execnz .LBB27_23
; %bb.24:                               ;   in Loop: Header=BB27_4 Depth=1
	s_or_b32 exec_lo, exec_lo, s35
	s_delay_alu instid0(SALU_CYCLE_1)
	s_or_b32 exec_lo, exec_lo, s34
	s_and_saveexec_b32 s34, s2
	s_cbranch_execz .LBB27_15
.LBB27_25:                              ;   in Loop: Header=BB27_4 Depth=1
	s_mul_u64 s[36:37], s[18:19], s[24:25]
	s_mul_u64 s[44:45], s[38:39], s[24:25]
	v_lshl_add_u64 v[12:13], s[36:37], 2, v[6:7]
	s_lshl_b64 s[36:37], s[44:45], 2
	s_delay_alu instid0(SALU_CYCLE_1)
	s_add_nc_u64 s[36:37], s[20:21], s[36:37]
	s_wait_dscnt 0x0
	v_lshl_add_u64 v[14:15], v[4:5], 2, s[36:37]
	v_lshl_add_u64 v[12:13], s[14:15], 2, v[12:13]
	global_load_b32 v20, v[12:13], off
	global_load_b32 v21, v[14:15], off
	s_wait_loadcnt 0x0
	v_fmac_f32_e32 v19, v20, v21
	s_wait_xcnt 0x0
	s_or_b32 exec_lo, exec_lo, s34
	s_and_saveexec_b32 s34, s3
	s_cbranch_execnz .LBB27_16
	s_branch .LBB27_17
.LBB27_26:                              ;   in Loop: Header=BB27_4 Depth=1
	ds_load_b32 v15, v1
	s_or_b32 exec_lo, exec_lo, s34
	s_and_saveexec_b32 s34, s3
	s_cbranch_execz .LBB27_21
.LBB27_27:                              ;   in Loop: Header=BB27_4 Depth=1
	s_wait_dscnt 0x0
	ds_bpermute_b32 v12, v12, v15
	s_wait_dscnt 0x0
	v_add_f32_e32 v12, v15, v12
	ds_bpermute_b32 v13, v13, v12
	s_wait_dscnt 0x0
	v_add_f32_e32 v12, v12, v13
	;; [unrolled: 3-line block ×3, first 2 shown]
	s_or_b32 exec_lo, exec_lo, s34
                                        ; implicit-def: $vgpr12
	s_and_saveexec_b32 s34, s0
	s_cbranch_execz .LBB27_31
.LBB27_28:                              ;   in Loop: Header=BB27_4 Depth=1
	s_wait_dscnt 0x0
	v_mul_f32_e32 v12, v18, v15
	s_cmp_eq_f32 s31, 0
	s_cbranch_scc1 .LBB27_30
; %bb.29:                               ;   in Loop: Header=BB27_4 Depth=1
	s_add_nc_u64 s[36:37], s[6:7], s[28:29]
	global_load_b32 v13, v3, s[36:37]
	s_wait_loadcnt 0x0
	v_fmac_f32_e32 v12, s31, v13
.LBB27_30:                              ;   in Loop: Header=BB27_4 Depth=1
	s_or_b32 s33, s33, exec_lo
.LBB27_31:                              ;   in Loop: Header=BB27_4 Depth=1
	s_wait_xcnt 0x0
	s_or_b32 exec_lo, exec_lo, s34
.LBB27_32:                              ;   in Loop: Header=BB27_4 Depth=1
	s_and_saveexec_b32 s31, s33
	s_cbranch_execz .LBB27_2
; %bb.33:                               ;   in Loop: Header=BB27_4 Depth=1
	s_add_nc_u64 s[6:7], s[6:7], s[28:29]
	global_store_b32 v3, v12, s[6:7]
	s_branch .LBB27_2
.LBB27_34:
	s_endpgm
	.section	.rodata,"a",@progbits
	.p2align	6, 0x0
	.amdhsa_kernel _ZL32rocblas_gemvt_warp_reduce_kernelILb0ELi256ElfPKffEviiT3_lPKT2_lT1_lS5_lS6_lS2_lPT4_lS6_li
		.amdhsa_group_segment_fixed_size 128
		.amdhsa_private_segment_fixed_size 0
		.amdhsa_kernarg_size 140
		.amdhsa_user_sgpr_count 2
		.amdhsa_user_sgpr_dispatch_ptr 0
		.amdhsa_user_sgpr_queue_ptr 0
		.amdhsa_user_sgpr_kernarg_segment_ptr 1
		.amdhsa_user_sgpr_dispatch_id 0
		.amdhsa_user_sgpr_kernarg_preload_length 0
		.amdhsa_user_sgpr_kernarg_preload_offset 0
		.amdhsa_user_sgpr_private_segment_size 0
		.amdhsa_wavefront_size32 1
		.amdhsa_uses_dynamic_stack 0
		.amdhsa_enable_private_segment 0
		.amdhsa_system_sgpr_workgroup_id_x 1
		.amdhsa_system_sgpr_workgroup_id_y 0
		.amdhsa_system_sgpr_workgroup_id_z 1
		.amdhsa_system_sgpr_workgroup_info 0
		.amdhsa_system_vgpr_workitem_id 0
		.amdhsa_next_free_vgpr 23
		.amdhsa_next_free_sgpr 52
		.amdhsa_named_barrier_count 0
		.amdhsa_reserve_vcc 1
		.amdhsa_float_round_mode_32 0
		.amdhsa_float_round_mode_16_64 0
		.amdhsa_float_denorm_mode_32 3
		.amdhsa_float_denorm_mode_16_64 3
		.amdhsa_fp16_overflow 0
		.amdhsa_memory_ordered 1
		.amdhsa_forward_progress 1
		.amdhsa_inst_pref_size 11
		.amdhsa_round_robin_scheduling 0
		.amdhsa_exception_fp_ieee_invalid_op 0
		.amdhsa_exception_fp_denorm_src 0
		.amdhsa_exception_fp_ieee_div_zero 0
		.amdhsa_exception_fp_ieee_overflow 0
		.amdhsa_exception_fp_ieee_underflow 0
		.amdhsa_exception_fp_ieee_inexact 0
		.amdhsa_exception_int_div_zero 0
	.end_amdhsa_kernel
	.section	.text._ZL32rocblas_gemvt_warp_reduce_kernelILb0ELi256ElfPKffEviiT3_lPKT2_lT1_lS5_lS6_lS2_lPT4_lS6_li,"axG",@progbits,_ZL32rocblas_gemvt_warp_reduce_kernelILb0ELi256ElfPKffEviiT3_lPKT2_lT1_lS5_lS6_lS2_lPT4_lS6_li,comdat
.Lfunc_end27:
	.size	_ZL32rocblas_gemvt_warp_reduce_kernelILb0ELi256ElfPKffEviiT3_lPKT2_lT1_lS5_lS6_lS2_lPT4_lS6_li, .Lfunc_end27-_ZL32rocblas_gemvt_warp_reduce_kernelILb0ELi256ElfPKffEviiT3_lPKT2_lT1_lS5_lS6_lS2_lPT4_lS6_li
                                        ; -- End function
	.set _ZL32rocblas_gemvt_warp_reduce_kernelILb0ELi256ElfPKffEviiT3_lPKT2_lT1_lS5_lS6_lS2_lPT4_lS6_li.num_vgpr, 23
	.set _ZL32rocblas_gemvt_warp_reduce_kernelILb0ELi256ElfPKffEviiT3_lPKT2_lT1_lS5_lS6_lS2_lPT4_lS6_li.num_agpr, 0
	.set _ZL32rocblas_gemvt_warp_reduce_kernelILb0ELi256ElfPKffEviiT3_lPKT2_lT1_lS5_lS6_lS2_lPT4_lS6_li.numbered_sgpr, 52
	.set _ZL32rocblas_gemvt_warp_reduce_kernelILb0ELi256ElfPKffEviiT3_lPKT2_lT1_lS5_lS6_lS2_lPT4_lS6_li.num_named_barrier, 0
	.set _ZL32rocblas_gemvt_warp_reduce_kernelILb0ELi256ElfPKffEviiT3_lPKT2_lT1_lS5_lS6_lS2_lPT4_lS6_li.private_seg_size, 0
	.set _ZL32rocblas_gemvt_warp_reduce_kernelILb0ELi256ElfPKffEviiT3_lPKT2_lT1_lS5_lS6_lS2_lPT4_lS6_li.uses_vcc, 1
	.set _ZL32rocblas_gemvt_warp_reduce_kernelILb0ELi256ElfPKffEviiT3_lPKT2_lT1_lS5_lS6_lS2_lPT4_lS6_li.uses_flat_scratch, 0
	.set _ZL32rocblas_gemvt_warp_reduce_kernelILb0ELi256ElfPKffEviiT3_lPKT2_lT1_lS5_lS6_lS2_lPT4_lS6_li.has_dyn_sized_stack, 0
	.set _ZL32rocblas_gemvt_warp_reduce_kernelILb0ELi256ElfPKffEviiT3_lPKT2_lT1_lS5_lS6_lS2_lPT4_lS6_li.has_recursion, 0
	.set _ZL32rocblas_gemvt_warp_reduce_kernelILb0ELi256ElfPKffEviiT3_lPKT2_lT1_lS5_lS6_lS2_lPT4_lS6_li.has_indirect_call, 0
	.section	.AMDGPU.csdata,"",@progbits
; Kernel info:
; codeLenInByte = 1368
; TotalNumSgprs: 54
; NumVgprs: 23
; ScratchSize: 0
; MemoryBound: 0
; FloatMode: 240
; IeeeMode: 1
; LDSByteSize: 128 bytes/workgroup (compile time only)
; SGPRBlocks: 0
; VGPRBlocks: 1
; NumSGPRsForWavesPerEU: 54
; NumVGPRsForWavesPerEU: 23
; NamedBarCnt: 0
; Occupancy: 16
; WaveLimiterHint : 0
; COMPUTE_PGM_RSRC2:SCRATCH_EN: 0
; COMPUTE_PGM_RSRC2:USER_SGPR: 2
; COMPUTE_PGM_RSRC2:TRAP_HANDLER: 0
; COMPUTE_PGM_RSRC2:TGID_X_EN: 1
; COMPUTE_PGM_RSRC2:TGID_Y_EN: 0
; COMPUTE_PGM_RSRC2:TGID_Z_EN: 1
; COMPUTE_PGM_RSRC2:TIDIG_COMP_CNT: 0
	.section	.text._ZL32rocblas_gemvt_warp_reduce_kernelILb0ELi256EifffEviiT3_lPKT2_lT1_lS3_lS4_lS0_lPT4_lS4_li,"axG",@progbits,_ZL32rocblas_gemvt_warp_reduce_kernelILb0ELi256EifffEviiT3_lPKT2_lT1_lS3_lS4_lS0_lPT4_lS4_li,comdat
	.globl	_ZL32rocblas_gemvt_warp_reduce_kernelILb0ELi256EifffEviiT3_lPKT2_lT1_lS3_lS4_lS0_lPT4_lS4_li ; -- Begin function _ZL32rocblas_gemvt_warp_reduce_kernelILb0ELi256EifffEviiT3_lPKT2_lT1_lS3_lS4_lS0_lPT4_lS4_li
	.p2align	8
	.type	_ZL32rocblas_gemvt_warp_reduce_kernelILb0ELi256EifffEviiT3_lPKT2_lT1_lS3_lS4_lS0_lPT4_lS4_li,@function
_ZL32rocblas_gemvt_warp_reduce_kernelILb0ELi256EifffEviiT3_lPKT2_lT1_lS3_lS4_lS0_lPT4_lS4_li: ; @_ZL32rocblas_gemvt_warp_reduce_kernelILb0ELi256EifffEviiT3_lPKT2_lT1_lS3_lS4_lS0_lPT4_lS4_li
; %bb.0:
	s_load_b32 s19, s[0:1], 0x88
	s_bfe_u32 s2, ttmp6, 0x40014
	s_lshr_b32 s3, ttmp7, 16
	s_add_co_i32 s2, s2, 1
	s_bfe_u32 s4, ttmp6, 0x40008
	s_mul_i32 s2, s3, s2
	s_getreg_b32 s23, hwreg(HW_REG_IB_STS2, 6, 4)
	s_add_co_i32 s4, s4, s2
	s_cmp_eq_u32 s23, 0
	s_mov_b32 s25, 0
	s_cselect_b32 s24, s3, s4
	s_wait_kmcnt 0x0
	s_cmp_ge_u32 s24, s19
	s_cbranch_scc1 .LBB28_34
; %bb.1:
	s_clause 0x7
	s_load_b96 s[20:22], s[0:1], 0x40
	s_load_b128 s[4:7], s[0:1], 0x68
	s_load_b128 s[12:15], s[0:1], 0x18
	s_load_b32 s30, s[0:1], 0x8
	s_load_b96 s[16:18], s[0:1], 0x50
	s_load_b128 s[8:11], s[0:1], 0x30
	s_load_b32 s35, s[0:1], 0x0
	s_load_b32 s36, s[0:1], 0x28
	v_dual_mov_b32 v3, 0 :: v_dual_bitop2_b32 v2, 31, v0 bitop3:0x40
	v_lshrrev_b32_e32 v4, 3, v0
	v_mbcnt_lo_u32_b32 v1, -1, 0
	v_cmp_gt_u32_e64 s2, 8, v0
	s_delay_alu instid0(VALU_DEP_4)
	v_lshlrev_b32_e32 v12, 2, v2
	v_cmp_eq_u32_e64 s3, 0, v2
	s_wait_kmcnt 0x0
	s_lshl_b64 s[20:21], s[20:21], 2
	s_lshl_b64 s[28:29], s[6:7], 2
	;; [unrolled: 1-line block ×3, first 2 shown]
	s_cmp_eq_f32 s30, 0
	s_clause 0x1
	s_load_b32 s37, s[0:1], 0x78
	s_load_b64 s[6:7], s[0:1], 0x80
	s_add_nc_u64 s[10:11], s[10:11], s[20:21]
	v_cmp_gt_i32_e32 vcc_lo, s35, v0
	s_cselect_b32 s31, -1, 0
	s_cmp_neq_f32 s30, 0
	v_mul_lo_u32 v14, v0, s22
	s_wait_xcnt 0x0
	v_cmp_eq_u32_e64 s0, 0, v0
	v_cmp_gt_u32_e64 s1, 32, v0
	s_cselect_b32 s14, -1, 0
	s_cmp_neq_f32 s18, 1.0
	s_cselect_b32 s15, -1, 0
	s_delay_alu instid0(SALU_CYCLE_1)
	s_or_b32 s33, s14, s15
	s_cmp_neq_f32 s18, 0
	s_cselect_b32 s34, -1, 0
	s_bfe_u32 s14, ttmp6, 0x4000c
	s_and_b32 s15, ttmp6, 15
	s_add_co_i32 s14, s14, 1
	s_delay_alu instid0(SALU_CYCLE_1) | instskip(NEXT) | instid1(SALU_CYCLE_1)
	s_mul_i32 s14, ttmp9, s14
	s_add_co_i32 s20, s15, s14
	s_cmp_eq_u32 s23, 0
	s_add_nc_u64 s[14:15], s[4:5], s[28:29]
	s_cselect_b32 s21, ttmp9, s20
	s_ashr_i32 s4, s35, 31
	s_wait_kmcnt 0x0
	s_mul_i32 s28, s37, s21
	s_lshr_b32 s20, s4, 24
	s_add_nc_u64 s[4:5], s[12:13], s[26:27]
	s_add_co_i32 s20, s35, s20
	s_ashr_i32 s29, s28, 31
	s_and_b32 s20, s20, 0xffffff00
	s_delay_alu instid0(SALU_CYCLE_1) | instskip(NEXT) | instid1(VALU_DEP_1)
	v_dual_cndmask_b32 v2, 0, v0, vcc_lo :: v_dual_bitop2_b32 v5, s20, v0 bitop3:0x54
	v_dual_lshlrev_b32 v2, 2, v2 :: v_dual_bitop2_b32 v13, 28, v4 bitop3:0x40
	s_delay_alu instid0(VALU_DEP_2) | instskip(NEXT) | instid1(VALU_DEP_2)
	v_mul_lo_u32 v4, s22, v5
	v_add_nc_u64_e32 v[6:7], s[4:5], v[2:3]
	s_mul_i32 s4, s36, s21
	s_ashr_i32 s21, s20, 31
	s_ashr_i32 s5, s4, 31
	s_delay_alu instid0(SALU_CYCLE_1) | instskip(NEXT) | instid1(SALU_CYCLE_1)
	s_lshl_b64 s[4:5], s[4:5], 2
	s_add_nc_u64 s[26:27], s[26:27], s[4:5]
	s_delay_alu instid0(VALU_DEP_1)
	v_add_nc_u64_e32 v[6:7], s[4:5], v[6:7]
	s_add_nc_u64 s[12:13], s[12:13], s[26:27]
	v_cmp_gt_i32_e64 s4, s20, v0
	v_add_nc_u64_e32 v[8:9], s[12:13], v[2:3]
	v_cmp_gt_i32_e64 s5, s35, v5
	v_ashrrev_i32_e32 v5, 31, v4
	v_lshl_or_b32 v2, v1, 2, 64
	s_lshl_b64 s[12:13], s[8:9], 2
	s_lshl_b32 s35, s22, 8
	s_lshl_b64 s[22:23], s[28:29], 2
	s_branch .LBB28_4
.LBB28_2:                               ;   in Loop: Header=BB28_4 Depth=1
	s_wait_xcnt 0x0
	s_or_b32 exec_lo, exec_lo, s28
.LBB28_3:                               ;   in Loop: Header=BB28_4 Depth=1
	s_add_co_i32 s24, s24, 0x10000
	s_delay_alu instid0(SALU_CYCLE_1)
	s_cmp_lt_u32 s24, s19
	s_cbranch_scc0 .LBB28_34
.LBB28_4:                               ; =>This Loop Header: Depth=1
                                        ;     Child Loop BB28_23 Depth 2
	s_and_not1_b32 vcc_lo, exec_lo, s33
	s_cbranch_vccnz .LBB28_3
; %bb.5:                                ;   in Loop: Header=BB28_4 Depth=1
	s_mul_u64 s[26:27], s[6:7], s[24:25]
	s_and_not1_b32 vcc_lo, exec_lo, s31
	s_lshl_b64 s[26:27], s[26:27], 2
	s_delay_alu instid0(SALU_CYCLE_1)
	s_add_nc_u64 s[26:27], s[14:15], s[26:27]
	s_cbranch_vccnz .LBB28_9
; %bb.6:                                ;   in Loop: Header=BB28_4 Depth=1
	s_mov_b32 s28, 0
	s_mov_b32 s36, 0
                                        ; implicit-def: $vgpr10
	s_and_saveexec_b32 s29, s0
	s_cbranch_execz .LBB28_10
; %bb.7:                                ;   in Loop: Header=BB28_4 Depth=1
	s_and_not1_b32 vcc_lo, exec_lo, s34
	s_cbranch_vccnz .LBB28_11
; %bb.8:                                ;   in Loop: Header=BB28_4 Depth=1
	s_add_nc_u64 s[36:37], s[26:27], s[22:23]
	global_load_b32 v10, v3, s[36:37]
	s_wait_loadcnt 0x0
	v_mul_f32_e32 v10, s18, v10
	s_branch .LBB28_12
.LBB28_9:                               ;   in Loop: Header=BB28_4 Depth=1
	s_mov_b32 s36, 0
                                        ; implicit-def: $vgpr10
	s_cbranch_execnz .LBB28_13
	s_branch .LBB28_32
.LBB28_10:                              ;   in Loop: Header=BB28_4 Depth=1
	s_or_b32 exec_lo, exec_lo, s29
	s_delay_alu instid0(SALU_CYCLE_1)
	s_and_b32 vcc_lo, exec_lo, s28
	s_cbranch_vccnz .LBB28_13
	s_branch .LBB28_32
.LBB28_11:                              ;   in Loop: Header=BB28_4 Depth=1
	v_mov_b32_e32 v10, 0
.LBB28_12:                              ;   in Loop: Header=BB28_4 Depth=1
	s_wait_xcnt 0x0
	s_mov_b32 s36, exec_lo
	s_or_b32 exec_lo, exec_lo, s29
	s_delay_alu instid0(SALU_CYCLE_1)
	s_and_b32 vcc_lo, exec_lo, s28
	s_cbranch_vccz .LBB28_32
.LBB28_13:                              ;   in Loop: Header=BB28_4 Depth=1
	s_mul_u64 s[28:29], s[16:17], s[24:25]
	v_mov_b32_e32 v15, 0
	s_lshl_b64 s[28:29], s[28:29], 2
	s_delay_alu instid0(SALU_CYCLE_1)
	s_add_nc_u64 s[28:29], s[10:11], s[28:29]
	s_and_saveexec_b32 s37, s4
	s_cbranch_execnz .LBB28_22
; %bb.14:                               ;   in Loop: Header=BB28_4 Depth=1
	s_or_b32 exec_lo, exec_lo, s37
	s_and_saveexec_b32 s37, s5
	s_cbranch_execnz .LBB28_25
.LBB28_15:                              ;   in Loop: Header=BB28_4 Depth=1
	s_or_b32 exec_lo, exec_lo, s37
	s_and_saveexec_b32 s28, s1
.LBB28_16:                              ;   in Loop: Header=BB28_4 Depth=1
	ds_store_b32 v12, v3
.LBB28_17:                              ;   in Loop: Header=BB28_4 Depth=1
	s_or_b32 exec_lo, exec_lo, s28
	ds_bpermute_b32 v10, v2, v15
	v_cmp_gt_u32_e32 vcc_lo, 24, v1
	s_wait_dscnt 0x0
	s_barrier_signal -1
	s_barrier_wait -1
	v_cndmask_b32_e64 v11, 0, 8, vcc_lo
	v_cmp_gt_u32_e32 vcc_lo, 28, v1
	s_delay_alu instid0(VALU_DEP_2)
	v_add_lshl_u32 v11, v11, v1, 2
	v_add_f32_e32 v15, v15, v10
	v_cndmask_b32_e64 v10, 0, 4, vcc_lo
	v_cmp_gt_u32_e32 vcc_lo, 30, v1
	ds_bpermute_b32 v11, v11, v15
	v_add_lshl_u32 v10, v10, v1, 2
	s_wait_dscnt 0x0
	v_add_f32_e32 v15, v15, v11
	v_cndmask_b32_e64 v11, 0, 2, vcc_lo
	v_cmp_ne_u32_e32 vcc_lo, 31, v1
	ds_bpermute_b32 v16, v10, v15
	v_add_lshl_u32 v11, v11, v1, 2
	v_add_co_ci_u32_e64 v17, null, 0, v1, vcc_lo
	s_wait_dscnt 0x0
	v_add_f32_e32 v15, v15, v16
	ds_bpermute_b32 v16, v11, v15
	s_wait_dscnt 0x0
	v_dual_add_f32 v16, v15, v16 :: v_dual_lshlrev_b32 v15, 2, v17
	ds_bpermute_b32 v17, v15, v16
	s_and_saveexec_b32 s28, s3
	s_cbranch_execz .LBB28_19
; %bb.18:                               ;   in Loop: Header=BB28_4 Depth=1
	s_wait_dscnt 0x0
	v_add_f32_e32 v16, v16, v17
	ds_store_b32 v13, v16
.LBB28_19:                              ;   in Loop: Header=BB28_4 Depth=1
	s_or_b32 exec_lo, exec_lo, s28
	v_mov_b32_e32 v16, 0
	s_wait_dscnt 0x0
	s_barrier_signal -1
	s_barrier_wait -1
	s_and_saveexec_b32 s28, s2
	s_cbranch_execnz .LBB28_26
; %bb.20:                               ;   in Loop: Header=BB28_4 Depth=1
	s_or_b32 exec_lo, exec_lo, s28
	s_and_saveexec_b32 s28, s1
	s_cbranch_execnz .LBB28_27
.LBB28_21:                              ;   in Loop: Header=BB28_4 Depth=1
	s_or_b32 exec_lo, exec_lo, s28
                                        ; implicit-def: $vgpr10
	s_and_saveexec_b32 s28, s0
	s_cbranch_execnz .LBB28_28
	s_branch .LBB28_31
.LBB28_22:                              ;   in Loop: Header=BB28_4 Depth=1
	v_mad_nc_u64_u32 v[10:11], s12, s24, v[8:9]
	s_wait_dscnt 0x0
	v_dual_mov_b32 v15, 0 :: v_dual_mov_b32 v16, v14
	v_mov_b32_e32 v17, v0
	s_mov_b32 s38, 0
	s_delay_alu instid0(VALU_DEP_3)
	v_mad_u32 v11, s13, s24, v11
.LBB28_23:                              ;   Parent Loop BB28_4 Depth=1
                                        ; =>  This Inner Loop Header: Depth=2
	global_load_b32 v18, v[10:11], off
	global_load_b32 v19, v16, s[28:29] scale_offset
	v_add_nc_u32_e32 v17, 0x100, v17
	s_wait_xcnt 0x1
	v_add_nc_u64_e32 v[10:11], 0x400, v[10:11]
	s_wait_xcnt 0x0
	v_add_nc_u32_e32 v16, s35, v16
	v_cmp_le_i32_e32 vcc_lo, s20, v17
	s_or_b32 s38, vcc_lo, s38
	s_wait_loadcnt 0x0
	v_fmac_f32_e32 v15, v18, v19
	s_and_not1_b32 exec_lo, exec_lo, s38
	s_cbranch_execnz .LBB28_23
; %bb.24:                               ;   in Loop: Header=BB28_4 Depth=1
	s_or_b32 exec_lo, exec_lo, s38
	s_delay_alu instid0(SALU_CYCLE_1)
	s_or_b32 exec_lo, exec_lo, s37
	s_and_saveexec_b32 s37, s5
	s_cbranch_execz .LBB28_15
.LBB28_25:                              ;   in Loop: Header=BB28_4 Depth=1
	s_mul_u64 s[38:39], s[8:9], s[24:25]
	s_wait_dscnt 0x0
	v_lshl_add_u64 v[16:17], v[4:5], 2, s[28:29]
	v_lshl_add_u64 v[10:11], s[38:39], 2, v[6:7]
	s_delay_alu instid0(VALU_DEP_1)
	v_lshl_add_u64 v[10:11], s[20:21], 2, v[10:11]
	global_load_b32 v18, v[10:11], off
	global_load_b32 v19, v[16:17], off
	s_wait_loadcnt 0x0
	v_fmac_f32_e32 v15, v18, v19
	s_wait_xcnt 0x0
	s_or_b32 exec_lo, exec_lo, s37
	s_and_saveexec_b32 s28, s1
	s_cbranch_execnz .LBB28_16
	s_branch .LBB28_17
.LBB28_26:                              ;   in Loop: Header=BB28_4 Depth=1
	ds_load_b32 v16, v12
	s_or_b32 exec_lo, exec_lo, s28
	s_and_saveexec_b32 s28, s1
	s_cbranch_execz .LBB28_21
.LBB28_27:                              ;   in Loop: Header=BB28_4 Depth=1
	s_wait_dscnt 0x0
	ds_bpermute_b32 v10, v10, v16
	s_wait_dscnt 0x0
	v_add_f32_e32 v10, v16, v10
	ds_bpermute_b32 v11, v11, v10
	s_wait_dscnt 0x0
	v_add_f32_e32 v10, v10, v11
	;; [unrolled: 3-line block ×3, first 2 shown]
	s_or_b32 exec_lo, exec_lo, s28
                                        ; implicit-def: $vgpr10
	s_and_saveexec_b32 s28, s0
	s_cbranch_execz .LBB28_31
.LBB28_28:                              ;   in Loop: Header=BB28_4 Depth=1
	s_wait_dscnt 0x0
	v_mul_f32_e32 v10, s30, v16
	s_and_not1_b32 vcc_lo, exec_lo, s34
	s_cbranch_vccnz .LBB28_30
; %bb.29:                               ;   in Loop: Header=BB28_4 Depth=1
	s_add_nc_u64 s[38:39], s[26:27], s[22:23]
	global_load_b32 v11, v3, s[38:39]
	s_wait_loadcnt 0x0
	v_fmac_f32_e32 v10, s18, v11
.LBB28_30:                              ;   in Loop: Header=BB28_4 Depth=1
	s_or_b32 s36, s36, exec_lo
.LBB28_31:                              ;   in Loop: Header=BB28_4 Depth=1
	s_wait_xcnt 0x0
	s_or_b32 exec_lo, exec_lo, s28
.LBB28_32:                              ;   in Loop: Header=BB28_4 Depth=1
	s_and_saveexec_b32 s28, s36
	s_cbranch_execz .LBB28_2
; %bb.33:                               ;   in Loop: Header=BB28_4 Depth=1
	s_add_nc_u64 s[26:27], s[26:27], s[22:23]
	global_store_b32 v3, v10, s[26:27]
	s_branch .LBB28_2
.LBB28_34:
	s_endpgm
	.section	.rodata,"a",@progbits
	.p2align	6, 0x0
	.amdhsa_kernel _ZL32rocblas_gemvt_warp_reduce_kernelILb0ELi256EifffEviiT3_lPKT2_lT1_lS3_lS4_lS0_lPT4_lS4_li
		.amdhsa_group_segment_fixed_size 128
		.amdhsa_private_segment_fixed_size 0
		.amdhsa_kernarg_size 140
		.amdhsa_user_sgpr_count 2
		.amdhsa_user_sgpr_dispatch_ptr 0
		.amdhsa_user_sgpr_queue_ptr 0
		.amdhsa_user_sgpr_kernarg_segment_ptr 1
		.amdhsa_user_sgpr_dispatch_id 0
		.amdhsa_user_sgpr_kernarg_preload_length 0
		.amdhsa_user_sgpr_kernarg_preload_offset 0
		.amdhsa_user_sgpr_private_segment_size 0
		.amdhsa_wavefront_size32 1
		.amdhsa_uses_dynamic_stack 0
		.amdhsa_enable_private_segment 0
		.amdhsa_system_sgpr_workgroup_id_x 1
		.amdhsa_system_sgpr_workgroup_id_y 0
		.amdhsa_system_sgpr_workgroup_id_z 1
		.amdhsa_system_sgpr_workgroup_info 0
		.amdhsa_system_vgpr_workitem_id 0
		.amdhsa_next_free_vgpr 20
		.amdhsa_next_free_sgpr 40
		.amdhsa_named_barrier_count 0
		.amdhsa_reserve_vcc 1
		.amdhsa_float_round_mode_32 0
		.amdhsa_float_round_mode_16_64 0
		.amdhsa_float_denorm_mode_32 3
		.amdhsa_float_denorm_mode_16_64 3
		.amdhsa_fp16_overflow 0
		.amdhsa_memory_ordered 1
		.amdhsa_forward_progress 1
		.amdhsa_inst_pref_size 11
		.amdhsa_round_robin_scheduling 0
		.amdhsa_exception_fp_ieee_invalid_op 0
		.amdhsa_exception_fp_denorm_src 0
		.amdhsa_exception_fp_ieee_div_zero 0
		.amdhsa_exception_fp_ieee_overflow 0
		.amdhsa_exception_fp_ieee_underflow 0
		.amdhsa_exception_fp_ieee_inexact 0
		.amdhsa_exception_int_div_zero 0
	.end_amdhsa_kernel
	.section	.text._ZL32rocblas_gemvt_warp_reduce_kernelILb0ELi256EifffEviiT3_lPKT2_lT1_lS3_lS4_lS0_lPT4_lS4_li,"axG",@progbits,_ZL32rocblas_gemvt_warp_reduce_kernelILb0ELi256EifffEviiT3_lPKT2_lT1_lS3_lS4_lS0_lPT4_lS4_li,comdat
.Lfunc_end28:
	.size	_ZL32rocblas_gemvt_warp_reduce_kernelILb0ELi256EifffEviiT3_lPKT2_lT1_lS3_lS4_lS0_lPT4_lS4_li, .Lfunc_end28-_ZL32rocblas_gemvt_warp_reduce_kernelILb0ELi256EifffEviiT3_lPKT2_lT1_lS3_lS4_lS0_lPT4_lS4_li
                                        ; -- End function
	.set _ZL32rocblas_gemvt_warp_reduce_kernelILb0ELi256EifffEviiT3_lPKT2_lT1_lS3_lS4_lS0_lPT4_lS4_li.num_vgpr, 20
	.set _ZL32rocblas_gemvt_warp_reduce_kernelILb0ELi256EifffEviiT3_lPKT2_lT1_lS3_lS4_lS0_lPT4_lS4_li.num_agpr, 0
	.set _ZL32rocblas_gemvt_warp_reduce_kernelILb0ELi256EifffEviiT3_lPKT2_lT1_lS3_lS4_lS0_lPT4_lS4_li.numbered_sgpr, 40
	.set _ZL32rocblas_gemvt_warp_reduce_kernelILb0ELi256EifffEviiT3_lPKT2_lT1_lS3_lS4_lS0_lPT4_lS4_li.num_named_barrier, 0
	.set _ZL32rocblas_gemvt_warp_reduce_kernelILb0ELi256EifffEviiT3_lPKT2_lT1_lS3_lS4_lS0_lPT4_lS4_li.private_seg_size, 0
	.set _ZL32rocblas_gemvt_warp_reduce_kernelILb0ELi256EifffEviiT3_lPKT2_lT1_lS3_lS4_lS0_lPT4_lS4_li.uses_vcc, 1
	.set _ZL32rocblas_gemvt_warp_reduce_kernelILb0ELi256EifffEviiT3_lPKT2_lT1_lS3_lS4_lS0_lPT4_lS4_li.uses_flat_scratch, 0
	.set _ZL32rocblas_gemvt_warp_reduce_kernelILb0ELi256EifffEviiT3_lPKT2_lT1_lS3_lS4_lS0_lPT4_lS4_li.has_dyn_sized_stack, 0
	.set _ZL32rocblas_gemvt_warp_reduce_kernelILb0ELi256EifffEviiT3_lPKT2_lT1_lS3_lS4_lS0_lPT4_lS4_li.has_recursion, 0
	.set _ZL32rocblas_gemvt_warp_reduce_kernelILb0ELi256EifffEviiT3_lPKT2_lT1_lS3_lS4_lS0_lPT4_lS4_li.has_indirect_call, 0
	.section	.AMDGPU.csdata,"",@progbits
; Kernel info:
; codeLenInByte = 1364
; TotalNumSgprs: 42
; NumVgprs: 20
; ScratchSize: 0
; MemoryBound: 0
; FloatMode: 240
; IeeeMode: 1
; LDSByteSize: 128 bytes/workgroup (compile time only)
; SGPRBlocks: 0
; VGPRBlocks: 1
; NumSGPRsForWavesPerEU: 42
; NumVGPRsForWavesPerEU: 20
; NamedBarCnt: 0
; Occupancy: 16
; WaveLimiterHint : 0
; COMPUTE_PGM_RSRC2:SCRATCH_EN: 0
; COMPUTE_PGM_RSRC2:USER_SGPR: 2
; COMPUTE_PGM_RSRC2:TRAP_HANDLER: 0
; COMPUTE_PGM_RSRC2:TGID_X_EN: 1
; COMPUTE_PGM_RSRC2:TGID_Y_EN: 0
; COMPUTE_PGM_RSRC2:TGID_Z_EN: 1
; COMPUTE_PGM_RSRC2:TIDIG_COMP_CNT: 0
	.section	.text._ZL32rocblas_gemvt_warp_reduce_kernelILb0ELi256ElfffEviiT3_lPKT2_lT1_lS3_lS4_lS0_lPT4_lS4_li,"axG",@progbits,_ZL32rocblas_gemvt_warp_reduce_kernelILb0ELi256ElfffEviiT3_lPKT2_lT1_lS3_lS4_lS0_lPT4_lS4_li,comdat
	.globl	_ZL32rocblas_gemvt_warp_reduce_kernelILb0ELi256ElfffEviiT3_lPKT2_lT1_lS3_lS4_lS0_lPT4_lS4_li ; -- Begin function _ZL32rocblas_gemvt_warp_reduce_kernelILb0ELi256ElfffEviiT3_lPKT2_lT1_lS3_lS4_lS0_lPT4_lS4_li
	.p2align	8
	.type	_ZL32rocblas_gemvt_warp_reduce_kernelILb0ELi256ElfffEviiT3_lPKT2_lT1_lS3_lS4_lS0_lPT4_lS4_li,@function
_ZL32rocblas_gemvt_warp_reduce_kernelILb0ELi256ElfffEviiT3_lPKT2_lT1_lS3_lS4_lS0_lPT4_lS4_li: ; @_ZL32rocblas_gemvt_warp_reduce_kernelILb0ELi256ElfffEviiT3_lPKT2_lT1_lS3_lS4_lS0_lPT4_lS4_li
; %bb.0:
	s_load_b32 s33, s[0:1], 0x88
	s_bfe_u32 s2, ttmp6, 0x40014
	s_lshr_b32 s3, ttmp7, 16
	s_add_co_i32 s2, s2, 1
	s_bfe_u32 s5, ttmp6, 0x40008
	s_mul_i32 s4, s3, s2
	s_getreg_b32 s2, hwreg(HW_REG_IB_STS2, 6, 4)
	s_add_co_i32 s5, s5, s4
	s_cmp_eq_u32 s2, 0
	s_mov_b32 s7, 0
	s_cselect_b32 s6, s3, s5
	s_wait_kmcnt 0x0
	s_cmp_ge_u32 s6, s33
	s_cbranch_scc1 .LBB29_34
; %bb.1:
	s_clause 0x3
	s_load_b512 s[8:23], s[0:1], 0x18
	s_load_b256 s[24:31], s[0:1], 0x68
	s_load_b32 s34, s[0:1], 0x8
	s_load_b32 s35, s[0:1], 0x58
	s_wait_kmcnt 0x0
	s_lshl_b64 s[4:5], s[18:19], 2
	s_lshl_b64 s[18:19], s[26:27], 2
	;; [unrolled: 1-line block ×3, first 2 shown]
	s_cmp_eq_f32 s34, 0
	s_load_b32 s11, s[0:1], 0x0
	s_add_nc_u64 s[16:17], s[16:17], s[4:5]
	s_add_nc_u64 s[18:19], s[24:25], s[18:19]
	s_cselect_b32 s36, -1, 0
	s_cmp_neq_f32 s34, 0
	s_cselect_b32 s3, -1, 0
	s_cmp_neq_f32 s35, 1.0
	s_wait_xcnt 0x0
	s_cselect_b32 s0, -1, 0
	s_delay_alu instid0(SALU_CYCLE_1)
	s_or_b32 s37, s3, s0
	s_cmp_neq_f32 s35, 0
	s_cselect_b32 s38, -1, 0
	s_bfe_u32 s0, ttmp6, 0x4000c
	s_and_b32 s1, ttmp6, 15
	s_add_co_i32 s0, s0, 1
	s_wait_kmcnt 0x0
	v_cmp_gt_i32_e32 vcc_lo, s11, v0
	s_mul_i32 s0, ttmp9, s0
	v_mov_b32_e32 v3, 0
	s_add_co_i32 s1, s1, s0
	s_cmp_eq_u32 s2, 0
	v_cndmask_b32_e32 v2, 0, v0, vcc_lo
	s_cselect_b32 s2, ttmp9, s1
	s_ashr_i32 s0, s11, 31
	s_ashr_i32 s3, s2, 31
	s_lshr_b32 s0, s0, 24
	s_mul_u64 s[4:5], s[12:13], s[2:3]
	s_add_co_i32 s0, s11, s0
	s_lshl_b64 s[12:13], s[4:5], 2
	s_and_b32 s10, s0, 0xffffff00
	s_delay_alu instid0(SALU_CYCLE_1) | instskip(SKIP_3) | instid1(VALU_DEP_2)
	v_dual_mov_b32 v1, v3 :: v_dual_bitop2_b32 v8, s10, v0 bitop3:0x54
	v_lshlrev_b32_e32 v2, 2, v2
	s_add_nc_u64 s[0:1], s[8:9], s[26:27]
	s_mul_u64 s[24:25], s[28:29], s[2:3]
	v_mul_u64_e32 v[10:11], s[20:21], v[0:1]
	v_ashrrev_i32_e32 v9, 31, v8
	v_add_nc_u64_e32 v[6:7], s[0:1], v[2:3]
	v_cmp_gt_i32_e64 s2, s11, v8
	v_cmp_eq_u32_e64 s0, 0, v0
	v_cmp_gt_i32_e64 s1, s10, v0
	v_mul_u64_e32 v[4:5], s[20:21], v[8:9]
	v_dual_lshrrev_b32 v8, 3, v0 :: v_dual_bitop2_b32 v9, 31, v0 bitop3:0x40
	v_add_nc_u64_e32 v[6:7], s[12:13], v[6:7]
	s_add_nc_u64 s[12:13], s[12:13], s[26:27]
	v_cmp_gt_u32_e64 s3, 32, v0
	s_add_nc_u64 s[8:9], s[8:9], s[12:13]
	v_dual_lshlrev_b32 v1, 2, v9 :: v_dual_bitop2_b32 v16, 28, v8 bitop3:0x40
	v_cmp_eq_u32_e64 s4, 0, v9
	v_add_nc_u64_e32 v[8:9], s[8:9], v[2:3]
	v_mbcnt_lo_u32_b32 v2, -1, 0
	v_cmp_gt_u32_e64 s5, 8, v0
	s_ashr_i32 s11, s10, 31
	s_lshl_b64 s[8:9], s[14:15], 2
	s_lshl_b64 s[12:13], s[22:23], 2
	v_lshl_or_b32 v17, v2, 2, 64
	s_lshl_b64 s[20:21], s[20:21], 10
	s_lshl_b64 s[24:25], s[24:25], 2
	v_lshl_add_u64 v[10:11], v[10:11], 2, s[16:17]
	s_branch .LBB29_4
.LBB29_2:                               ;   in Loop: Header=BB29_4 Depth=1
	s_wait_xcnt 0x0
	s_or_b32 exec_lo, exec_lo, s29
.LBB29_3:                               ;   in Loop: Header=BB29_4 Depth=1
	s_add_co_i32 s6, s6, 0x10000
	s_delay_alu instid0(SALU_CYCLE_1)
	s_cmp_lt_u32 s6, s33
	s_cbranch_scc0 .LBB29_34
.LBB29_4:                               ; =>This Loop Header: Depth=1
                                        ;     Child Loop BB29_23 Depth 2
	s_and_not1_b32 vcc_lo, exec_lo, s37
	s_cbranch_vccnz .LBB29_3
; %bb.5:                                ;   in Loop: Header=BB29_4 Depth=1
	s_mul_u64 s[26:27], s[30:31], s[6:7]
	s_and_not1_b32 vcc_lo, exec_lo, s36
	s_lshl_b64 s[26:27], s[26:27], 2
	s_delay_alu instid0(SALU_CYCLE_1)
	s_add_nc_u64 s[26:27], s[18:19], s[26:27]
	s_cbranch_vccnz .LBB29_9
; %bb.6:                                ;   in Loop: Header=BB29_4 Depth=1
	s_mov_b32 s29, 0
	s_mov_b32 s28, 0
                                        ; implicit-def: $vgpr12
	s_and_saveexec_b32 s39, s0
	s_cbranch_execz .LBB29_10
; %bb.7:                                ;   in Loop: Header=BB29_4 Depth=1
	s_and_not1_b32 vcc_lo, exec_lo, s38
	s_cbranch_vccnz .LBB29_11
; %bb.8:                                ;   in Loop: Header=BB29_4 Depth=1
	s_add_nc_u64 s[40:41], s[26:27], s[24:25]
	global_load_b32 v12, v3, s[40:41]
	s_wait_loadcnt 0x0
	v_mul_f32_e32 v12, s35, v12
	s_branch .LBB29_12
.LBB29_9:                               ;   in Loop: Header=BB29_4 Depth=1
	s_mov_b32 s28, 0
                                        ; implicit-def: $vgpr12
	s_cbranch_execnz .LBB29_13
	s_branch .LBB29_32
.LBB29_10:                              ;   in Loop: Header=BB29_4 Depth=1
	s_or_b32 exec_lo, exec_lo, s39
	s_delay_alu instid0(SALU_CYCLE_1)
	s_and_b32 vcc_lo, exec_lo, s29
	s_cbranch_vccnz .LBB29_13
	s_branch .LBB29_32
.LBB29_11:                              ;   in Loop: Header=BB29_4 Depth=1
	v_mov_b32_e32 v12, 0
.LBB29_12:                              ;   in Loop: Header=BB29_4 Depth=1
	s_mov_b32 s28, exec_lo
	s_wait_xcnt 0x0
	s_or_b32 exec_lo, exec_lo, s39
	s_delay_alu instid0(SALU_CYCLE_1)
	s_and_b32 vcc_lo, exec_lo, s29
	s_cbranch_vccz .LBB29_32
.LBB29_13:                              ;   in Loop: Header=BB29_4 Depth=1
	v_mov_b32_e32 v18, 0
	s_and_saveexec_b32 s29, s1
	s_cbranch_execnz .LBB29_22
; %bb.14:                               ;   in Loop: Header=BB29_4 Depth=1
	s_or_b32 exec_lo, exec_lo, s29
	s_and_saveexec_b32 s29, s2
	s_cbranch_execnz .LBB29_25
.LBB29_15:                              ;   in Loop: Header=BB29_4 Depth=1
	s_or_b32 exec_lo, exec_lo, s29
	s_and_saveexec_b32 s29, s3
.LBB29_16:                              ;   in Loop: Header=BB29_4 Depth=1
	ds_store_b32 v1, v3
.LBB29_17:                              ;   in Loop: Header=BB29_4 Depth=1
	s_or_b32 exec_lo, exec_lo, s29
	ds_bpermute_b32 v12, v17, v18
	v_cmp_gt_u32_e32 vcc_lo, 24, v2
	s_wait_dscnt 0x0
	s_barrier_signal -1
	s_barrier_wait -1
	v_cndmask_b32_e64 v13, 0, 8, vcc_lo
	v_cmp_gt_u32_e32 vcc_lo, 28, v2
	s_delay_alu instid0(VALU_DEP_2)
	v_add_lshl_u32 v13, v13, v2, 2
	v_add_f32_e32 v14, v18, v12
	v_cndmask_b32_e64 v12, 0, 4, vcc_lo
	v_cmp_gt_u32_e32 vcc_lo, 30, v2
	ds_bpermute_b32 v13, v13, v14
	v_add_lshl_u32 v12, v12, v2, 2
	s_wait_dscnt 0x0
	v_add_f32_e32 v14, v14, v13
	v_cndmask_b32_e64 v13, 0, 2, vcc_lo
	v_cmp_ne_u32_e32 vcc_lo, 31, v2
	ds_bpermute_b32 v15, v12, v14
	v_add_lshl_u32 v13, v13, v2, 2
	v_add_co_ci_u32_e64 v18, null, 0, v2, vcc_lo
	s_wait_dscnt 0x0
	v_add_f32_e32 v14, v14, v15
	ds_bpermute_b32 v15, v13, v14
	s_wait_dscnt 0x0
	v_dual_add_f32 v15, v14, v15 :: v_dual_lshlrev_b32 v14, 2, v18
	ds_bpermute_b32 v18, v14, v15
	s_and_saveexec_b32 s29, s4
	s_cbranch_execz .LBB29_19
; %bb.18:                               ;   in Loop: Header=BB29_4 Depth=1
	s_wait_dscnt 0x0
	v_add_f32_e32 v15, v15, v18
	ds_store_b32 v16, v15
.LBB29_19:                              ;   in Loop: Header=BB29_4 Depth=1
	s_or_b32 exec_lo, exec_lo, s29
	v_mov_b32_e32 v15, 0
	s_wait_dscnt 0x0
	s_barrier_signal -1
	s_barrier_wait -1
	s_and_saveexec_b32 s29, s5
	s_cbranch_execnz .LBB29_26
; %bb.20:                               ;   in Loop: Header=BB29_4 Depth=1
	s_or_b32 exec_lo, exec_lo, s29
	s_and_saveexec_b32 s29, s3
	s_cbranch_execnz .LBB29_27
.LBB29_21:                              ;   in Loop: Header=BB29_4 Depth=1
	s_or_b32 exec_lo, exec_lo, s29
                                        ; implicit-def: $vgpr12
	s_and_saveexec_b32 s29, s0
	s_cbranch_execnz .LBB29_28
	s_branch .LBB29_31
.LBB29_22:                              ;   in Loop: Header=BB29_4 Depth=1
	v_mad_nc_u64_u32 v[12:13], s8, s6, v[8:9]
	s_wait_dscnt 0x0
	v_mad_nc_u64_u32 v[14:15], s12, s6, v[10:11]
	v_dual_mov_b32 v18, 0 :: v_dual_mov_b32 v19, v0
	s_mov_b32 s39, 0
	s_delay_alu instid0(VALU_DEP_3) | instskip(NEXT) | instid1(VALU_DEP_3)
	v_mad_u32 v13, s9, s6, v13
	v_mad_u32 v15, s13, s6, v15
.LBB29_23:                              ;   Parent Loop BB29_4 Depth=1
                                        ; =>  This Inner Loop Header: Depth=2
	global_load_b32 v20, v[12:13], off
	global_load_b32 v21, v[14:15], off
	v_add_nc_u32_e32 v19, 0x100, v19
	s_wait_xcnt 0x1
	v_add_nc_u64_e32 v[12:13], 0x400, v[12:13]
	s_wait_xcnt 0x0
	v_add_nc_u64_e32 v[14:15], s[20:21], v[14:15]
	s_wait_loadcnt 0x0
	v_fmac_f32_e32 v18, v20, v21
	v_cmp_le_i32_e32 vcc_lo, s10, v19
	s_or_b32 s39, vcc_lo, s39
	s_delay_alu instid0(SALU_CYCLE_1)
	s_and_not1_b32 exec_lo, exec_lo, s39
	s_cbranch_execnz .LBB29_23
; %bb.24:                               ;   in Loop: Header=BB29_4 Depth=1
	s_or_b32 exec_lo, exec_lo, s39
	s_delay_alu instid0(SALU_CYCLE_1)
	s_or_b32 exec_lo, exec_lo, s29
	s_and_saveexec_b32 s29, s2
	s_cbranch_execz .LBB29_15
.LBB29_25:                              ;   in Loop: Header=BB29_4 Depth=1
	s_mul_u64 s[40:41], s[14:15], s[6:7]
	s_mul_u64 s[42:43], s[22:23], s[6:7]
	v_lshl_add_u64 v[12:13], s[40:41], 2, v[6:7]
	s_lshl_b64 s[40:41], s[42:43], 2
	s_delay_alu instid0(SALU_CYCLE_1)
	s_add_nc_u64 s[40:41], s[16:17], s[40:41]
	s_wait_dscnt 0x0
	v_lshl_add_u64 v[14:15], v[4:5], 2, s[40:41]
	v_lshl_add_u64 v[12:13], s[10:11], 2, v[12:13]
	global_load_b32 v19, v[12:13], off
	global_load_b32 v20, v[14:15], off
	s_wait_loadcnt 0x0
	v_fmac_f32_e32 v18, v19, v20
	s_wait_xcnt 0x0
	s_or_b32 exec_lo, exec_lo, s29
	s_and_saveexec_b32 s29, s3
	s_cbranch_execnz .LBB29_16
	s_branch .LBB29_17
.LBB29_26:                              ;   in Loop: Header=BB29_4 Depth=1
	ds_load_b32 v15, v1
	s_or_b32 exec_lo, exec_lo, s29
	s_and_saveexec_b32 s29, s3
	s_cbranch_execz .LBB29_21
.LBB29_27:                              ;   in Loop: Header=BB29_4 Depth=1
	s_wait_dscnt 0x0
	ds_bpermute_b32 v12, v12, v15
	s_wait_dscnt 0x0
	v_add_f32_e32 v12, v15, v12
	ds_bpermute_b32 v13, v13, v12
	s_wait_dscnt 0x0
	v_add_f32_e32 v12, v12, v13
	;; [unrolled: 3-line block ×3, first 2 shown]
	s_or_b32 exec_lo, exec_lo, s29
                                        ; implicit-def: $vgpr12
	s_and_saveexec_b32 s29, s0
	s_cbranch_execz .LBB29_31
.LBB29_28:                              ;   in Loop: Header=BB29_4 Depth=1
	s_wait_dscnt 0x0
	v_mul_f32_e32 v12, s34, v15
	s_and_not1_b32 vcc_lo, exec_lo, s38
	s_cbranch_vccnz .LBB29_30
; %bb.29:                               ;   in Loop: Header=BB29_4 Depth=1
	s_add_nc_u64 s[40:41], s[26:27], s[24:25]
	global_load_b32 v13, v3, s[40:41]
	s_wait_loadcnt 0x0
	v_fmac_f32_e32 v12, s35, v13
.LBB29_30:                              ;   in Loop: Header=BB29_4 Depth=1
	s_or_b32 s28, s28, exec_lo
.LBB29_31:                              ;   in Loop: Header=BB29_4 Depth=1
	s_wait_xcnt 0x0
	s_or_b32 exec_lo, exec_lo, s29
.LBB29_32:                              ;   in Loop: Header=BB29_4 Depth=1
	s_and_saveexec_b32 s29, s28
	s_cbranch_execz .LBB29_2
; %bb.33:                               ;   in Loop: Header=BB29_4 Depth=1
	s_add_nc_u64 s[26:27], s[26:27], s[24:25]
	global_store_b32 v3, v12, s[26:27]
	s_branch .LBB29_2
.LBB29_34:
	s_endpgm
	.section	.rodata,"a",@progbits
	.p2align	6, 0x0
	.amdhsa_kernel _ZL32rocblas_gemvt_warp_reduce_kernelILb0ELi256ElfffEviiT3_lPKT2_lT1_lS3_lS4_lS0_lPT4_lS4_li
		.amdhsa_group_segment_fixed_size 128
		.amdhsa_private_segment_fixed_size 0
		.amdhsa_kernarg_size 140
		.amdhsa_user_sgpr_count 2
		.amdhsa_user_sgpr_dispatch_ptr 0
		.amdhsa_user_sgpr_queue_ptr 0
		.amdhsa_user_sgpr_kernarg_segment_ptr 1
		.amdhsa_user_sgpr_dispatch_id 0
		.amdhsa_user_sgpr_kernarg_preload_length 0
		.amdhsa_user_sgpr_kernarg_preload_offset 0
		.amdhsa_user_sgpr_private_segment_size 0
		.amdhsa_wavefront_size32 1
		.amdhsa_uses_dynamic_stack 0
		.amdhsa_enable_private_segment 0
		.amdhsa_system_sgpr_workgroup_id_x 1
		.amdhsa_system_sgpr_workgroup_id_y 0
		.amdhsa_system_sgpr_workgroup_id_z 1
		.amdhsa_system_sgpr_workgroup_info 0
		.amdhsa_system_vgpr_workitem_id 0
		.amdhsa_next_free_vgpr 22
		.amdhsa_next_free_sgpr 44
		.amdhsa_named_barrier_count 0
		.amdhsa_reserve_vcc 1
		.amdhsa_float_round_mode_32 0
		.amdhsa_float_round_mode_16_64 0
		.amdhsa_float_denorm_mode_32 3
		.amdhsa_float_denorm_mode_16_64 3
		.amdhsa_fp16_overflow 0
		.amdhsa_memory_ordered 1
		.amdhsa_forward_progress 1
		.amdhsa_inst_pref_size 11
		.amdhsa_round_robin_scheduling 0
		.amdhsa_exception_fp_ieee_invalid_op 0
		.amdhsa_exception_fp_denorm_src 0
		.amdhsa_exception_fp_ieee_div_zero 0
		.amdhsa_exception_fp_ieee_overflow 0
		.amdhsa_exception_fp_ieee_underflow 0
		.amdhsa_exception_fp_ieee_inexact 0
		.amdhsa_exception_int_div_zero 0
	.end_amdhsa_kernel
	.section	.text._ZL32rocblas_gemvt_warp_reduce_kernelILb0ELi256ElfffEviiT3_lPKT2_lT1_lS3_lS4_lS0_lPT4_lS4_li,"axG",@progbits,_ZL32rocblas_gemvt_warp_reduce_kernelILb0ELi256ElfffEviiT3_lPKT2_lT1_lS3_lS4_lS0_lPT4_lS4_li,comdat
.Lfunc_end29:
	.size	_ZL32rocblas_gemvt_warp_reduce_kernelILb0ELi256ElfffEviiT3_lPKT2_lT1_lS3_lS4_lS0_lPT4_lS4_li, .Lfunc_end29-_ZL32rocblas_gemvt_warp_reduce_kernelILb0ELi256ElfffEviiT3_lPKT2_lT1_lS3_lS4_lS0_lPT4_lS4_li
                                        ; -- End function
	.set _ZL32rocblas_gemvt_warp_reduce_kernelILb0ELi256ElfffEviiT3_lPKT2_lT1_lS3_lS4_lS0_lPT4_lS4_li.num_vgpr, 22
	.set _ZL32rocblas_gemvt_warp_reduce_kernelILb0ELi256ElfffEviiT3_lPKT2_lT1_lS3_lS4_lS0_lPT4_lS4_li.num_agpr, 0
	.set _ZL32rocblas_gemvt_warp_reduce_kernelILb0ELi256ElfffEviiT3_lPKT2_lT1_lS3_lS4_lS0_lPT4_lS4_li.numbered_sgpr, 44
	.set _ZL32rocblas_gemvt_warp_reduce_kernelILb0ELi256ElfffEviiT3_lPKT2_lT1_lS3_lS4_lS0_lPT4_lS4_li.num_named_barrier, 0
	.set _ZL32rocblas_gemvt_warp_reduce_kernelILb0ELi256ElfffEviiT3_lPKT2_lT1_lS3_lS4_lS0_lPT4_lS4_li.private_seg_size, 0
	.set _ZL32rocblas_gemvt_warp_reduce_kernelILb0ELi256ElfffEviiT3_lPKT2_lT1_lS3_lS4_lS0_lPT4_lS4_li.uses_vcc, 1
	.set _ZL32rocblas_gemvt_warp_reduce_kernelILb0ELi256ElfffEviiT3_lPKT2_lT1_lS3_lS4_lS0_lPT4_lS4_li.uses_flat_scratch, 0
	.set _ZL32rocblas_gemvt_warp_reduce_kernelILb0ELi256ElfffEviiT3_lPKT2_lT1_lS3_lS4_lS0_lPT4_lS4_li.has_dyn_sized_stack, 0
	.set _ZL32rocblas_gemvt_warp_reduce_kernelILb0ELi256ElfffEviiT3_lPKT2_lT1_lS3_lS4_lS0_lPT4_lS4_li.has_recursion, 0
	.set _ZL32rocblas_gemvt_warp_reduce_kernelILb0ELi256ElfffEviiT3_lPKT2_lT1_lS3_lS4_lS0_lPT4_lS4_li.has_indirect_call, 0
	.section	.AMDGPU.csdata,"",@progbits
; Kernel info:
; codeLenInByte = 1316
; TotalNumSgprs: 46
; NumVgprs: 22
; ScratchSize: 0
; MemoryBound: 0
; FloatMode: 240
; IeeeMode: 1
; LDSByteSize: 128 bytes/workgroup (compile time only)
; SGPRBlocks: 0
; VGPRBlocks: 1
; NumSGPRsForWavesPerEU: 46
; NumVGPRsForWavesPerEU: 22
; NamedBarCnt: 0
; Occupancy: 16
; WaveLimiterHint : 0
; COMPUTE_PGM_RSRC2:SCRATCH_EN: 0
; COMPUTE_PGM_RSRC2:USER_SGPR: 2
; COMPUTE_PGM_RSRC2:TRAP_HANDLER: 0
; COMPUTE_PGM_RSRC2:TGID_X_EN: 1
; COMPUTE_PGM_RSRC2:TGID_Y_EN: 0
; COMPUTE_PGM_RSRC2:TGID_Z_EN: 1
; COMPUTE_PGM_RSRC2:TIDIG_COMP_CNT: 0
	.section	.text._ZL20rocblas_gemvt_kernelILb0ELi256EfPKffEviiT2_lPKT1_lilS5_lilS2_lPT3_lili,"axG",@progbits,_ZL20rocblas_gemvt_kernelILb0ELi256EfPKffEviiT2_lPKT1_lilS5_lilS2_lPT3_lili,comdat
	.globl	_ZL20rocblas_gemvt_kernelILb0ELi256EfPKffEviiT2_lPKT1_lilS5_lilS2_lPT3_lili ; -- Begin function _ZL20rocblas_gemvt_kernelILb0ELi256EfPKffEviiT2_lPKT1_lilS5_lilS2_lPT3_lili
	.p2align	8
	.type	_ZL20rocblas_gemvt_kernelILb0ELi256EfPKffEviiT2_lPKT1_lilS5_lilS2_lPT3_lili,@function
_ZL20rocblas_gemvt_kernelILb0ELi256EfPKffEviiT2_lPKT1_lilS5_lilS2_lPT3_lili: ; @_ZL20rocblas_gemvt_kernelILb0ELi256EfPKffEviiT2_lPKT1_lilS5_lilS2_lPT3_lili
; %bb.0:
	s_load_b32 s33, s[0:1], 0x88
	s_bfe_u32 s2, ttmp6, 0x40014
	s_lshr_b32 s3, ttmp7, 16
	s_add_co_i32 s2, s2, 1
	s_bfe_u32 s4, ttmp6, 0x40008
	s_mul_i32 s2, s3, s2
	s_getreg_b32 s7, hwreg(HW_REG_IB_STS2, 6, 4)
	s_add_co_i32 s4, s4, s2
	s_cmp_eq_u32 s7, 0
	s_mov_b32 s35, 0
	s_cselect_b32 s34, s3, s4
	s_wait_kmcnt 0x0
	s_cmp_ge_u32 s34, s33
	s_cbranch_scc1 .LBB30_41
; %bb.1:
	s_clause 0x4
	s_load_b32 s2, s[0:1], 0x28
	s_load_b96 s[4:6], s[0:1], 0x40
	s_load_b96 s[8:10], s[0:1], 0x70
	s_load_b256 s[12:19], s[0:1], 0x8
	s_load_b32 s46, s[0:1], 0x0
	s_bfe_u32 s3, ttmp6, 0x4000c
	s_and_b32 s11, ttmp6, 15
	s_add_co_i32 s3, s3, 1
	s_load_b128 s[28:31], s[0:1], 0x30
	s_mul_i32 s3, ttmp9, s3
	s_load_b64 s[36:37], s[0:1], 0x80
	s_add_co_i32 s11, s11, s3
	s_load_b256 s[20:27], s[0:1], 0x50
	v_lshlrev_b32_e32 v14, 2, v0
	s_wait_kmcnt 0x0
	s_ashr_i32 s3, s2, 31
	s_ashr_i32 s39, s6, 31
	;; [unrolled: 1-line block ×3, first 2 shown]
	s_lshl_b64 s[4:5], s[4:5], 2
	s_lshl_b64 s[8:9], s[8:9], 2
	;; [unrolled: 1-line block ×3, first 2 shown]
	s_cmp_eq_u32 s7, 0
	s_mov_b32 s38, s6
	s_cselect_b32 s44, ttmp9, s11
	s_ashr_i32 s7, s46, 31
	v_cmp_gt_i32_e32 vcc_lo, s46, v0
	s_lshr_b32 s0, s7, 24
	s_ashr_i32 s45, s44, 31
	s_add_co_i32 s0, s46, s0
	s_mul_u64 s[2:3], s[2:3], s[44:45]
	s_and_b32 s18, s0, 0xffffff00
	s_delay_alu instid0(SALU_CYCLE_1) | instskip(SKIP_3) | instid1(VALU_DEP_1)
	v_dual_mov_b32 v3, 0 :: v_dual_bitop2_b32 v8, s18, v0 bitop3:0x54
	s_add_nc_u64 s[0:1], s[16:17], s[42:43]
	s_add_nc_u64 s[26:27], s[26:27], s[8:9]
	s_lshl_b64 s[8:9], s[2:3], 2
	v_dual_mov_b32 v1, v3 :: v_dual_ashrrev_i32 v9, 31, v8
	s_mov_b32 s40, s10
	s_add_nc_u64 s[10:11], s[30:31], s[4:5]
	s_add_nc_u64 s[30:31], s[8:9], s[42:43]
	s_delay_alu instid0(VALU_DEP_1)
	v_mul_u64_e32 v[10:11], s[38:39], v[0:1]
	v_mul_u64_e32 v[4:5], s[38:39], v[8:9]
	v_cndmask_b32_e32 v1, 0, v0, vcc_lo
	s_add_nc_u64 s[16:17], s[16:17], s[30:31]
	v_cmp_gt_u32_e64 s2, 0x80, v0
	v_cmp_gt_u32_e64 s3, 64, v0
	;; [unrolled: 1-line block ×3, first 2 shown]
	v_lshlrev_b32_e32 v2, 2, v1
	v_cmp_gt_u32_e64 s5, 16, v0
	v_cmp_gt_u32_e64 s6, 8, v0
	;; [unrolled: 1-line block ×3, first 2 shown]
	s_mul_u64 s[40:41], s[40:41], s[44:45]
	v_add_nc_u64_e32 v[6:7], s[0:1], v[2:3]
	v_cmp_gt_i32_e64 s1, s46, v8
	v_add_nc_u64_e32 v[8:9], s[16:17], v[2:3]
	v_cmp_eq_u32_e64 s0, 0, v0
	s_cmp_gt_i32 s46, 0xff
	s_cselect_b32 s44, -1, 0
	v_add_nc_u64_e32 v[6:7], s[8:9], v[6:7]
	v_cmp_gt_u32_e64 s8, 2, v0
	s_ashr_i32 s19, s18, 31
	s_lshl_b64 s[16:17], s[20:21], 2
	s_lshl_b64 s[30:31], s[38:39], 10
	;; [unrolled: 1-line block ×4, first 2 shown]
	v_lshl_add_u64 v[0:1], v[10:11], 2, s[10:11]
	s_branch .LBB30_4
.LBB30_2:                               ;   in Loop: Header=BB30_4 Depth=1
	s_wait_xcnt 0x0
	s_or_b32 exec_lo, exec_lo, s45
.LBB30_3:                               ;   in Loop: Header=BB30_4 Depth=1
	s_add_co_i32 s34, s34, 0x10000
	s_delay_alu instid0(SALU_CYCLE_1)
	s_cmp_lt_u32 s34, s33
	s_cbranch_scc0 .LBB30_41
.LBB30_4:                               ; =>This Loop Header: Depth=1
                                        ;     Child Loop BB30_15 Depth 2
	s_wait_xcnt 0x1
	s_mul_u64 s[42:43], s[14:15], s[34:35]
	s_wait_xcnt 0x0
	s_mul_u64 s[46:47], s[24:25], s[34:35]
	s_lshl_b64 s[42:43], s[42:43], 2
	s_lshl_b64 s[46:47], s[46:47], 2
	s_add_nc_u64 s[42:43], s[12:13], s[42:43]
	s_add_nc_u64 s[46:47], s[22:23], s[46:47]
	s_clause 0x1
	global_load_b32 v15, v3, s[42:43]
	global_load_b32 v2, v3, s[46:47]
	s_wait_loadcnt 0x1
	v_cmp_eq_f32_e32 vcc_lo, 0, v15
	s_wait_loadcnt 0x0
	v_cmp_eq_f32_e64 s9, 1.0, v2
	s_and_b32 s9, vcc_lo, s9
	s_delay_alu instid0(SALU_CYCLE_1)
	s_and_b32 vcc_lo, exec_lo, s9
	s_cbranch_vccnz .LBB30_3
; %bb.5:                                ;   in Loop: Header=BB30_4 Depth=1
	v_cmp_neq_f32_e32 vcc_lo, 0, v15
	s_wait_xcnt 0x1
	s_mul_u64 s[42:43], s[36:37], s[34:35]
	s_delay_alu instid0(SALU_CYCLE_1) | instskip(NEXT) | instid1(SALU_CYCLE_1)
	s_lshl_b64 s[42:43], s[42:43], 2
	s_add_nc_u64 s[42:43], s[26:27], s[42:43]
	s_cbranch_vccnz .LBB30_9
; %bb.6:                                ;   in Loop: Header=BB30_4 Depth=1
	s_mov_b32 s45, 0
	s_mov_b32 s9, 0
                                        ; implicit-def: $vgpr10
	s_wait_xcnt 0x0
	s_and_saveexec_b32 s46, s0
	s_cbranch_execz .LBB30_10
; %bb.7:                                ;   in Loop: Header=BB30_4 Depth=1
	v_cmp_eq_f32_e32 vcc_lo, 0, v2
	s_cbranch_vccnz .LBB30_11
; %bb.8:                                ;   in Loop: Header=BB30_4 Depth=1
	s_add_nc_u64 s[48:49], s[42:43], s[40:41]
	global_load_b32 v10, v3, s[48:49]
	s_wait_loadcnt 0x0
	v_mul_f32_e32 v10, v2, v10
	s_branch .LBB30_12
.LBB30_9:                               ;   in Loop: Header=BB30_4 Depth=1
	s_mov_b32 s9, 0
                                        ; implicit-def: $vgpr10
	s_cbranch_execnz .LBB30_13
	s_branch .LBB30_39
.LBB30_10:                              ;   in Loop: Header=BB30_4 Depth=1
	s_or_b32 exec_lo, exec_lo, s46
	s_delay_alu instid0(SALU_CYCLE_1)
	s_and_b32 vcc_lo, exec_lo, s45
	s_cbranch_vccnz .LBB30_13
	s_branch .LBB30_39
.LBB30_11:                              ;   in Loop: Header=BB30_4 Depth=1
	v_mov_b32_e32 v10, 0
.LBB30_12:                              ;   in Loop: Header=BB30_4 Depth=1
	s_mov_b32 s9, exec_lo
	s_wait_xcnt 0x0
	s_or_b32 exec_lo, exec_lo, s46
	s_delay_alu instid0(SALU_CYCLE_1)
	s_and_b32 vcc_lo, exec_lo, s45
	s_cbranch_vccz .LBB30_39
.LBB30_13:                              ;   in Loop: Header=BB30_4 Depth=1
	v_mov_b32_e32 v16, 0
	s_and_not1_b32 vcc_lo, exec_lo, s44
	s_cbranch_vccnz .LBB30_16
; %bb.14:                               ;   in Loop: Header=BB30_4 Depth=1
	v_mad_nc_u64_u32 v[10:11], s16, s34, v[0:1]
	v_mad_nc_u64_u32 v[12:13], s38, s34, v[8:9]
	v_mov_b32_e32 v16, 0
	s_mov_b32 s45, 0
	s_delay_alu instid0(VALU_DEP_3) | instskip(NEXT) | instid1(VALU_DEP_3)
	v_mad_u32 v11, s17, s34, v11
	v_mad_u32 v13, s39, s34, v13
.LBB30_15:                              ;   Parent Loop BB30_4 Depth=1
                                        ; =>  This Inner Loop Header: Depth=2
	global_load_b32 v17, v[12:13], off
	global_load_b32 v18, v[10:11], off
	s_wait_xcnt 0x0
	v_add_nc_u64_e32 v[10:11], s[30:31], v[10:11]
	v_add_nc_u64_e32 v[12:13], 0x400, v[12:13]
	s_addk_co_i32 s45, 0x100
	s_delay_alu instid0(SALU_CYCLE_1)
	s_cmp_ge_i32 s45, s18
	s_wait_loadcnt 0x0
	v_fmac_f32_e32 v16, v17, v18
	s_cbranch_scc0 .LBB30_15
.LBB30_16:                              ;   in Loop: Header=BB30_4 Depth=1
	s_wait_xcnt 0x0
	s_and_saveexec_b32 s45, s1
	s_cbranch_execz .LBB30_18
; %bb.17:                               ;   in Loop: Header=BB30_4 Depth=1
	s_mul_u64 s[46:47], s[28:29], s[34:35]
	s_mul_u64 s[48:49], s[20:21], s[34:35]
	v_lshl_add_u64 v[10:11], s[46:47], 2, v[6:7]
	s_lshl_b64 s[46:47], s[48:49], 2
	s_delay_alu instid0(SALU_CYCLE_1) | instskip(NEXT) | instid1(SALU_CYCLE_1)
	s_add_nc_u64 s[46:47], s[10:11], s[46:47]
	v_lshl_add_u64 v[12:13], v[4:5], 2, s[46:47]
	s_delay_alu instid0(VALU_DEP_2)
	v_lshl_add_u64 v[10:11], s[18:19], 2, v[10:11]
	global_load_b32 v17, v[10:11], off
	global_load_b32 v18, v[12:13], off
	s_wait_loadcnt 0x0
	v_fmac_f32_e32 v16, v17, v18
.LBB30_18:                              ;   in Loop: Header=BB30_4 Depth=1
	s_wait_xcnt 0x0
	s_or_b32 exec_lo, exec_lo, s45
	ds_store_b32 v14, v16
	s_wait_dscnt 0x0
	s_barrier_signal -1
	s_barrier_wait -1
	s_and_saveexec_b32 s45, s2
	s_cbranch_execz .LBB30_20
; %bb.19:                               ;   in Loop: Header=BB30_4 Depth=1
	ds_load_2addr_stride64_b32 v[10:11], v14 offset1:2
	s_wait_dscnt 0x0
	v_add_f32_e32 v10, v11, v10
	ds_store_b32 v14, v10
.LBB30_20:                              ;   in Loop: Header=BB30_4 Depth=1
	s_or_b32 exec_lo, exec_lo, s45
	s_wait_dscnt 0x0
	s_barrier_signal -1
	s_barrier_wait -1
	s_and_saveexec_b32 s45, s3
	s_cbranch_execz .LBB30_22
; %bb.21:                               ;   in Loop: Header=BB30_4 Depth=1
	ds_load_2addr_stride64_b32 v[10:11], v14 offset1:1
	s_wait_dscnt 0x0
	v_add_f32_e32 v10, v11, v10
	ds_store_b32 v14, v10
.LBB30_22:                              ;   in Loop: Header=BB30_4 Depth=1
	s_or_b32 exec_lo, exec_lo, s45
	s_wait_dscnt 0x0
	s_barrier_signal -1
	s_barrier_wait -1
	s_and_saveexec_b32 s45, s4
	s_cbranch_execz .LBB30_24
; %bb.23:                               ;   in Loop: Header=BB30_4 Depth=1
	ds_load_2addr_b32 v[10:11], v14 offset1:32
	s_wait_dscnt 0x0
	v_add_f32_e32 v10, v11, v10
	ds_store_b32 v14, v10
.LBB30_24:                              ;   in Loop: Header=BB30_4 Depth=1
	s_or_b32 exec_lo, exec_lo, s45
	s_wait_dscnt 0x0
	s_barrier_signal -1
	s_barrier_wait -1
	s_and_saveexec_b32 s45, s5
	s_cbranch_execz .LBB30_26
; %bb.25:                               ;   in Loop: Header=BB30_4 Depth=1
	ds_load_2addr_b32 v[10:11], v14 offset1:16
	s_wait_dscnt 0x0
	v_add_f32_e32 v10, v11, v10
	ds_store_b32 v14, v10
.LBB30_26:                              ;   in Loop: Header=BB30_4 Depth=1
	;; [unrolled: 12-line block ×5, first 2 shown]
	s_or_b32 exec_lo, exec_lo, s45
	s_wait_dscnt 0x0
	s_barrier_signal -1
	s_barrier_wait -1
	s_and_saveexec_b32 s45, s0
	s_cbranch_execz .LBB30_34
; %bb.33:                               ;   in Loop: Header=BB30_4 Depth=1
	ds_load_b64 v[10:11], v3
	s_wait_dscnt 0x0
	v_add_f32_e32 v10, v11, v10
	ds_store_b32 v3, v10
.LBB30_34:                              ;   in Loop: Header=BB30_4 Depth=1
	s_or_b32 exec_lo, exec_lo, s45
	s_wait_dscnt 0x0
	s_barrier_signal -1
	s_barrier_wait -1
                                        ; implicit-def: $vgpr10
	s_and_saveexec_b32 s45, s0
	s_cbranch_execz .LBB30_38
; %bb.35:                               ;   in Loop: Header=BB30_4 Depth=1
	ds_load_b32 v10, v3
	v_cmp_eq_f32_e32 vcc_lo, 0, v2
	s_wait_dscnt 0x0
	v_mul_f32_e32 v10, v15, v10
	s_cbranch_vccnz .LBB30_37
; %bb.36:                               ;   in Loop: Header=BB30_4 Depth=1
	s_add_nc_u64 s[46:47], s[42:43], s[40:41]
	global_load_b32 v11, v3, s[46:47]
	s_wait_loadcnt 0x0
	v_fmac_f32_e32 v10, v2, v11
.LBB30_37:                              ;   in Loop: Header=BB30_4 Depth=1
	s_or_b32 s9, s9, exec_lo
.LBB30_38:                              ;   in Loop: Header=BB30_4 Depth=1
	s_wait_xcnt 0x0
	s_or_b32 exec_lo, exec_lo, s45
.LBB30_39:                              ;   in Loop: Header=BB30_4 Depth=1
	s_wait_xcnt 0x0
	s_and_saveexec_b32 s45, s9
	s_cbranch_execz .LBB30_2
; %bb.40:                               ;   in Loop: Header=BB30_4 Depth=1
	s_add_nc_u64 s[42:43], s[42:43], s[40:41]
	global_store_b32 v3, v10, s[42:43]
	s_branch .LBB30_2
.LBB30_41:
	s_endpgm
	.section	.rodata,"a",@progbits
	.p2align	6, 0x0
	.amdhsa_kernel _ZL20rocblas_gemvt_kernelILb0ELi256EfPKffEviiT2_lPKT1_lilS5_lilS2_lPT3_lili
		.amdhsa_group_segment_fixed_size 1024
		.amdhsa_private_segment_fixed_size 0
		.amdhsa_kernarg_size 140
		.amdhsa_user_sgpr_count 2
		.amdhsa_user_sgpr_dispatch_ptr 0
		.amdhsa_user_sgpr_queue_ptr 0
		.amdhsa_user_sgpr_kernarg_segment_ptr 1
		.amdhsa_user_sgpr_dispatch_id 0
		.amdhsa_user_sgpr_kernarg_preload_length 0
		.amdhsa_user_sgpr_kernarg_preload_offset 0
		.amdhsa_user_sgpr_private_segment_size 0
		.amdhsa_wavefront_size32 1
		.amdhsa_uses_dynamic_stack 0
		.amdhsa_enable_private_segment 0
		.amdhsa_system_sgpr_workgroup_id_x 1
		.amdhsa_system_sgpr_workgroup_id_y 0
		.amdhsa_system_sgpr_workgroup_id_z 1
		.amdhsa_system_sgpr_workgroup_info 0
		.amdhsa_system_vgpr_workitem_id 0
		.amdhsa_next_free_vgpr 19
		.amdhsa_next_free_sgpr 50
		.amdhsa_named_barrier_count 0
		.amdhsa_reserve_vcc 1
		.amdhsa_float_round_mode_32 0
		.amdhsa_float_round_mode_16_64 0
		.amdhsa_float_denorm_mode_32 3
		.amdhsa_float_denorm_mode_16_64 3
		.amdhsa_fp16_overflow 0
		.amdhsa_memory_ordered 1
		.amdhsa_forward_progress 1
		.amdhsa_inst_pref_size 12
		.amdhsa_round_robin_scheduling 0
		.amdhsa_exception_fp_ieee_invalid_op 0
		.amdhsa_exception_fp_denorm_src 0
		.amdhsa_exception_fp_ieee_div_zero 0
		.amdhsa_exception_fp_ieee_overflow 0
		.amdhsa_exception_fp_ieee_underflow 0
		.amdhsa_exception_fp_ieee_inexact 0
		.amdhsa_exception_int_div_zero 0
	.end_amdhsa_kernel
	.section	.text._ZL20rocblas_gemvt_kernelILb0ELi256EfPKffEviiT2_lPKT1_lilS5_lilS2_lPT3_lili,"axG",@progbits,_ZL20rocblas_gemvt_kernelILb0ELi256EfPKffEviiT2_lPKT1_lilS5_lilS2_lPT3_lili,comdat
.Lfunc_end30:
	.size	_ZL20rocblas_gemvt_kernelILb0ELi256EfPKffEviiT2_lPKT1_lilS5_lilS2_lPT3_lili, .Lfunc_end30-_ZL20rocblas_gemvt_kernelILb0ELi256EfPKffEviiT2_lPKT1_lilS5_lilS2_lPT3_lili
                                        ; -- End function
	.set _ZL20rocblas_gemvt_kernelILb0ELi256EfPKffEviiT2_lPKT1_lilS5_lilS2_lPT3_lili.num_vgpr, 19
	.set _ZL20rocblas_gemvt_kernelILb0ELi256EfPKffEviiT2_lPKT1_lilS5_lilS2_lPT3_lili.num_agpr, 0
	.set _ZL20rocblas_gemvt_kernelILb0ELi256EfPKffEviiT2_lPKT1_lilS5_lilS2_lPT3_lili.numbered_sgpr, 50
	.set _ZL20rocblas_gemvt_kernelILb0ELi256EfPKffEviiT2_lPKT1_lilS5_lilS2_lPT3_lili.num_named_barrier, 0
	.set _ZL20rocblas_gemvt_kernelILb0ELi256EfPKffEviiT2_lPKT1_lilS5_lilS2_lPT3_lili.private_seg_size, 0
	.set _ZL20rocblas_gemvt_kernelILb0ELi256EfPKffEviiT2_lPKT1_lilS5_lilS2_lPT3_lili.uses_vcc, 1
	.set _ZL20rocblas_gemvt_kernelILb0ELi256EfPKffEviiT2_lPKT1_lilS5_lilS2_lPT3_lili.uses_flat_scratch, 0
	.set _ZL20rocblas_gemvt_kernelILb0ELi256EfPKffEviiT2_lPKT1_lilS5_lilS2_lPT3_lili.has_dyn_sized_stack, 0
	.set _ZL20rocblas_gemvt_kernelILb0ELi256EfPKffEviiT2_lPKT1_lilS5_lilS2_lPT3_lili.has_recursion, 0
	.set _ZL20rocblas_gemvt_kernelILb0ELi256EfPKffEviiT2_lPKT1_lilS5_lilS2_lPT3_lili.has_indirect_call, 0
	.section	.AMDGPU.csdata,"",@progbits
; Kernel info:
; codeLenInByte = 1444
; TotalNumSgprs: 52
; NumVgprs: 19
; ScratchSize: 0
; MemoryBound: 0
; FloatMode: 240
; IeeeMode: 1
; LDSByteSize: 1024 bytes/workgroup (compile time only)
; SGPRBlocks: 0
; VGPRBlocks: 1
; NumSGPRsForWavesPerEU: 52
; NumVGPRsForWavesPerEU: 19
; NamedBarCnt: 0
; Occupancy: 16
; WaveLimiterHint : 0
; COMPUTE_PGM_RSRC2:SCRATCH_EN: 0
; COMPUTE_PGM_RSRC2:USER_SGPR: 2
; COMPUTE_PGM_RSRC2:TRAP_HANDLER: 0
; COMPUTE_PGM_RSRC2:TGID_X_EN: 1
; COMPUTE_PGM_RSRC2:TGID_Y_EN: 0
; COMPUTE_PGM_RSRC2:TGID_Z_EN: 1
; COMPUTE_PGM_RSRC2:TIDIG_COMP_CNT: 0
	.section	.text._ZL20rocblas_gemvt_kernelILb0ELi256EfffEviiT2_lPKT1_lilS3_lilS0_lPT3_lili,"axG",@progbits,_ZL20rocblas_gemvt_kernelILb0ELi256EfffEviiT2_lPKT1_lilS3_lilS0_lPT3_lili,comdat
	.globl	_ZL20rocblas_gemvt_kernelILb0ELi256EfffEviiT2_lPKT1_lilS3_lilS0_lPT3_lili ; -- Begin function _ZL20rocblas_gemvt_kernelILb0ELi256EfffEviiT2_lPKT1_lilS3_lilS0_lPT3_lili
	.p2align	8
	.type	_ZL20rocblas_gemvt_kernelILb0ELi256EfffEviiT2_lPKT1_lilS3_lilS0_lPT3_lili,@function
_ZL20rocblas_gemvt_kernelILb0ELi256EfffEviiT2_lPKT1_lilS3_lilS0_lPT3_lili: ; @_ZL20rocblas_gemvt_kernelILb0ELi256EfffEviiT2_lPKT1_lilS3_lilS0_lPT3_lili
; %bb.0:
	s_load_b32 s23, s[0:1], 0x88
	s_bfe_u32 s2, ttmp6, 0x40014
	s_lshr_b32 s3, ttmp7, 16
	s_add_co_i32 s2, s2, 1
	s_bfe_u32 s4, ttmp6, 0x40008
	s_mul_i32 s2, s3, s2
	s_getreg_b32 s11, hwreg(HW_REG_IB_STS2, 6, 4)
	s_add_co_i32 s4, s4, s2
	s_cmp_eq_u32 s11, 0
	s_mov_b32 s25, 0
	s_cselect_b32 s24, s3, s4
	s_wait_kmcnt 0x0
	s_cmp_ge_u32 s24, s23
	s_cbranch_scc1 .LBB31_41
; %bb.1:
	s_clause 0x8
	s_load_b32 s2, s[0:1], 0x28
	s_load_b96 s[8:10], s[0:1], 0x40
	s_load_b32 s30, s[0:1], 0x78
	s_load_b128 s[4:7], s[0:1], 0x68
	s_load_b128 s[16:19], s[0:1], 0x18
	s_load_b32 s33, s[0:1], 0x8
	s_load_b96 s[20:22], s[0:1], 0x50
	s_load_b64 s[26:27], s[0:1], 0x80
	s_load_b32 s42, s[0:1], 0x0
	v_lshlrev_b32_e32 v14, 2, v0
	s_wait_kmcnt 0x0
	s_ashr_i32 s3, s2, 31
	s_ashr_i32 s29, s10, 31
	;; [unrolled: 1-line block ×3, first 2 shown]
	s_lshl_b64 s[34:35], s[8:9], 2
	s_lshl_b64 s[6:7], s[6:7], 2
	;; [unrolled: 1-line block ×3, first 2 shown]
	s_cmp_eq_f32 s33, 0
	s_mov_b32 s28, s10
	s_cselect_b32 s9, -1, 0
	s_cmp_neq_f32 s33, 0
	s_cselect_b32 s8, -1, 0
	s_cmp_neq_f32 s22, 1.0
	s_cselect_b32 s12, -1, 0
	s_delay_alu instid0(SALU_CYCLE_1)
	s_or_b32 s38, s8, s12
	s_cmp_neq_f32 s22, 0
	s_load_b128 s[12:15], s[0:1], 0x30
	v_cmp_gt_i32_e32 vcc_lo, s42, v0
	v_mov_b32_e32 v3, 0
	s_cselect_b32 s39, -1, 0
	s_bfe_u32 s8, ttmp6, 0x4000c
	s_and_b32 s18, ttmp6, 15
	s_add_co_i32 s8, s8, 1
	s_delay_alu instid0(SALU_CYCLE_1) | instskip(NEXT) | instid1(SALU_CYCLE_1)
	s_mul_i32 s8, ttmp9, s8
	s_add_co_i32 s18, s18, s8
	s_cmp_eq_u32 s11, 0
	v_cmp_gt_u32_e64 s8, 2, v0
	s_cselect_b32 s40, ttmp9, s18
	s_wait_xcnt 0x0
	s_ashr_i32 s0, s42, 31
	s_ashr_i32 s41, s40, 31
	s_lshr_b32 s0, s0, 24
	s_mul_u64 s[2:3], s[2:3], s[40:41]
	s_add_co_i32 s0, s42, s0
	s_add_nc_u64 s[18:19], s[4:5], s[6:7]
	s_and_b32 s10, s0, 0xffffff00
	s_delay_alu instid0(SALU_CYCLE_1)
	v_dual_mov_b32 v1, v3 :: v_dual_bitop2_b32 v10, s10, v0 bitop3:0x54
	s_add_nc_u64 s[0:1], s[16:17], s[36:37]
	s_wait_kmcnt 0x0
	s_add_nc_u64 s[14:15], s[14:15], s[34:35]
	s_mul_u64 s[34:35], s[30:31], s[40:41]
	v_mul_u64_e32 v[8:9], s[28:29], v[0:1]
	v_dual_cndmask_b32 v1, 0, v0, vcc_lo :: v_dual_ashrrev_i32 v11, 31, v10
	s_lshl_b64 s[30:31], s[2:3], 2
	v_cmp_gt_u32_e64 s2, 0x80, v0
	v_cmp_gt_u32_e64 s3, 64, v0
	s_delay_alu instid0(VALU_DEP_3)
	v_lshlrev_b32_e32 v2, 2, v1
	v_mul_u64_e32 v[4:5], s[28:29], v[10:11]
	v_cmp_gt_u32_e64 s4, 32, v0
	v_cmp_gt_u32_e64 s5, 16, v0
	;; [unrolled: 1-line block ×3, first 2 shown]
	v_add_nc_u64_e32 v[6:7], s[0:1], v[2:3]
	v_cmp_eq_u32_e64 s0, 0, v0
	v_cmp_gt_u32_e64 s7, 4, v0
	v_cmp_gt_i32_e64 s1, s42, v10
	s_cmp_gt_i32 s42, 0xff
	s_cselect_b32 s40, -1, 0
	v_add_nc_u64_e32 v[6:7], s[30:31], v[6:7]
	s_add_nc_u64 s[30:31], s[30:31], s[36:37]
	s_ashr_i32 s11, s10, 31
	s_add_nc_u64 s[30:31], s[16:17], s[30:31]
	s_lshl_b64 s[16:17], s[20:21], 2
	s_lshl_b64 s[28:29], s[28:29], 10
	s_lshl_b64 s[34:35], s[34:35], 2
	v_lshl_add_u64 v[0:1], v[8:9], 2, s[14:15]
	v_add_nc_u64_e32 v[8:9], s[30:31], v[2:3]
	s_lshl_b64 s[30:31], s[12:13], 2
	s_branch .LBB31_4
.LBB31_2:                               ;   in Loop: Header=BB31_4 Depth=1
	s_wait_xcnt 0x0
	s_or_b32 exec_lo, exec_lo, s42
.LBB31_3:                               ;   in Loop: Header=BB31_4 Depth=1
	s_add_co_i32 s24, s24, 0x10000
	s_delay_alu instid0(SALU_CYCLE_1)
	s_cmp_lt_u32 s24, s23
	s_cbranch_scc0 .LBB31_41
.LBB31_4:                               ; =>This Loop Header: Depth=1
                                        ;     Child Loop BB31_15 Depth 2
	s_and_not1_b32 vcc_lo, exec_lo, s38
	s_cbranch_vccnz .LBB31_3
; %bb.5:                                ;   in Loop: Header=BB31_4 Depth=1
	s_mul_u64 s[36:37], s[26:27], s[24:25]
	s_and_not1_b32 vcc_lo, exec_lo, s9
	s_lshl_b64 s[36:37], s[36:37], 2
	s_delay_alu instid0(SALU_CYCLE_1)
	s_add_nc_u64 s[36:37], s[18:19], s[36:37]
	s_cbranch_vccnz .LBB31_9
; %bb.6:                                ;   in Loop: Header=BB31_4 Depth=1
	s_mov_b32 s42, 0
	s_mov_b32 s41, 0
                                        ; implicit-def: $vgpr2
	s_and_saveexec_b32 s43, s0
	s_cbranch_execz .LBB31_10
; %bb.7:                                ;   in Loop: Header=BB31_4 Depth=1
	s_and_not1_b32 vcc_lo, exec_lo, s39
	s_cbranch_vccnz .LBB31_11
; %bb.8:                                ;   in Loop: Header=BB31_4 Depth=1
	s_add_nc_u64 s[44:45], s[36:37], s[34:35]
	global_load_b32 v2, v3, s[44:45]
	s_wait_loadcnt 0x0
	v_mul_f32_e32 v2, s22, v2
	s_branch .LBB31_12
.LBB31_9:                               ;   in Loop: Header=BB31_4 Depth=1
	s_mov_b32 s41, 0
                                        ; implicit-def: $vgpr2
	s_cbranch_execnz .LBB31_13
	s_branch .LBB31_39
.LBB31_10:                              ;   in Loop: Header=BB31_4 Depth=1
	s_or_b32 exec_lo, exec_lo, s43
	s_delay_alu instid0(SALU_CYCLE_1)
	s_and_b32 vcc_lo, exec_lo, s42
	s_cbranch_vccnz .LBB31_13
	s_branch .LBB31_39
.LBB31_11:                              ;   in Loop: Header=BB31_4 Depth=1
	v_mov_b32_e32 v2, 0
.LBB31_12:                              ;   in Loop: Header=BB31_4 Depth=1
	s_mov_b32 s41, exec_lo
	s_wait_xcnt 0x0
	s_or_b32 exec_lo, exec_lo, s43
	s_delay_alu instid0(SALU_CYCLE_1)
	s_and_b32 vcc_lo, exec_lo, s42
	s_cbranch_vccz .LBB31_39
.LBB31_13:                              ;   in Loop: Header=BB31_4 Depth=1
	v_mov_b32_e32 v2, 0
	s_and_not1_b32 vcc_lo, exec_lo, s40
	s_cbranch_vccnz .LBB31_16
; %bb.14:                               ;   in Loop: Header=BB31_4 Depth=1
	v_mad_nc_u64_u32 v[10:11], s16, s24, v[0:1]
	v_mad_nc_u64_u32 v[12:13], s30, s24, v[8:9]
	v_mov_b32_e32 v2, 0
	s_mov_b32 s42, 0
	s_delay_alu instid0(VALU_DEP_3) | instskip(NEXT) | instid1(VALU_DEP_3)
	v_mad_u32 v11, s17, s24, v11
	v_mad_u32 v13, s31, s24, v13
.LBB31_15:                              ;   Parent Loop BB31_4 Depth=1
                                        ; =>  This Inner Loop Header: Depth=2
	global_load_b32 v15, v[12:13], off
	global_load_b32 v16, v[10:11], off
	s_wait_xcnt 0x0
	v_add_nc_u64_e32 v[10:11], s[28:29], v[10:11]
	v_add_nc_u64_e32 v[12:13], 0x400, v[12:13]
	s_addk_co_i32 s42, 0x100
	s_delay_alu instid0(SALU_CYCLE_1)
	s_cmp_ge_i32 s42, s10
	s_wait_loadcnt 0x0
	v_fmac_f32_e32 v2, v15, v16
	s_cbranch_scc0 .LBB31_15
.LBB31_16:                              ;   in Loop: Header=BB31_4 Depth=1
	s_and_saveexec_b32 s42, s1
	s_cbranch_execz .LBB31_18
; %bb.17:                               ;   in Loop: Header=BB31_4 Depth=1
	s_mul_u64 s[44:45], s[12:13], s[24:25]
	s_mul_u64 s[46:47], s[20:21], s[24:25]
	v_lshl_add_u64 v[10:11], s[44:45], 2, v[6:7]
	s_lshl_b64 s[44:45], s[46:47], 2
	s_delay_alu instid0(SALU_CYCLE_1) | instskip(NEXT) | instid1(SALU_CYCLE_1)
	s_add_nc_u64 s[44:45], s[14:15], s[44:45]
	v_lshl_add_u64 v[12:13], v[4:5], 2, s[44:45]
	s_delay_alu instid0(VALU_DEP_2)
	v_lshl_add_u64 v[10:11], s[10:11], 2, v[10:11]
	global_load_b32 v15, v[10:11], off
	global_load_b32 v16, v[12:13], off
	s_wait_loadcnt 0x0
	v_fmac_f32_e32 v2, v15, v16
.LBB31_18:                              ;   in Loop: Header=BB31_4 Depth=1
	s_wait_xcnt 0x0
	s_or_b32 exec_lo, exec_lo, s42
	ds_store_b32 v14, v2
	s_wait_dscnt 0x0
	s_barrier_signal -1
	s_barrier_wait -1
	s_and_saveexec_b32 s42, s2
	s_cbranch_execz .LBB31_20
; %bb.19:                               ;   in Loop: Header=BB31_4 Depth=1
	ds_load_2addr_stride64_b32 v[10:11], v14 offset1:2
	s_wait_dscnt 0x0
	v_add_f32_e32 v2, v11, v10
	ds_store_b32 v14, v2
.LBB31_20:                              ;   in Loop: Header=BB31_4 Depth=1
	s_or_b32 exec_lo, exec_lo, s42
	s_wait_dscnt 0x0
	s_barrier_signal -1
	s_barrier_wait -1
	s_and_saveexec_b32 s42, s3
	s_cbranch_execz .LBB31_22
; %bb.21:                               ;   in Loop: Header=BB31_4 Depth=1
	ds_load_2addr_stride64_b32 v[10:11], v14 offset1:1
	s_wait_dscnt 0x0
	v_add_f32_e32 v2, v11, v10
	ds_store_b32 v14, v2
.LBB31_22:                              ;   in Loop: Header=BB31_4 Depth=1
	s_or_b32 exec_lo, exec_lo, s42
	s_wait_dscnt 0x0
	s_barrier_signal -1
	s_barrier_wait -1
	s_and_saveexec_b32 s42, s4
	s_cbranch_execz .LBB31_24
; %bb.23:                               ;   in Loop: Header=BB31_4 Depth=1
	ds_load_2addr_b32 v[10:11], v14 offset1:32
	s_wait_dscnt 0x0
	v_add_f32_e32 v2, v11, v10
	ds_store_b32 v14, v2
.LBB31_24:                              ;   in Loop: Header=BB31_4 Depth=1
	s_or_b32 exec_lo, exec_lo, s42
	s_wait_dscnt 0x0
	s_barrier_signal -1
	s_barrier_wait -1
	s_and_saveexec_b32 s42, s5
	s_cbranch_execz .LBB31_26
; %bb.25:                               ;   in Loop: Header=BB31_4 Depth=1
	ds_load_2addr_b32 v[10:11], v14 offset1:16
	s_wait_dscnt 0x0
	v_add_f32_e32 v2, v11, v10
	ds_store_b32 v14, v2
.LBB31_26:                              ;   in Loop: Header=BB31_4 Depth=1
	;; [unrolled: 12-line block ×5, first 2 shown]
	s_or_b32 exec_lo, exec_lo, s42
	s_wait_dscnt 0x0
	s_barrier_signal -1
	s_barrier_wait -1
	s_and_saveexec_b32 s42, s0
	s_cbranch_execz .LBB31_34
; %bb.33:                               ;   in Loop: Header=BB31_4 Depth=1
	ds_load_b64 v[10:11], v3
	s_wait_dscnt 0x0
	v_add_f32_e32 v2, v11, v10
	ds_store_b32 v3, v2
.LBB31_34:                              ;   in Loop: Header=BB31_4 Depth=1
	s_or_b32 exec_lo, exec_lo, s42
	s_wait_dscnt 0x0
	s_barrier_signal -1
	s_barrier_wait -1
                                        ; implicit-def: $vgpr2
	s_and_saveexec_b32 s42, s0
	s_cbranch_execz .LBB31_38
; %bb.35:                               ;   in Loop: Header=BB31_4 Depth=1
	ds_load_b32 v2, v3
	s_and_not1_b32 vcc_lo, exec_lo, s39
	s_wait_dscnt 0x0
	v_mul_f32_e32 v2, s33, v2
	s_cbranch_vccnz .LBB31_37
; %bb.36:                               ;   in Loop: Header=BB31_4 Depth=1
	s_add_nc_u64 s[44:45], s[36:37], s[34:35]
	global_load_b32 v10, v3, s[44:45]
	s_wait_loadcnt 0x0
	v_fmac_f32_e32 v2, s22, v10
.LBB31_37:                              ;   in Loop: Header=BB31_4 Depth=1
	s_or_b32 s41, s41, exec_lo
.LBB31_38:                              ;   in Loop: Header=BB31_4 Depth=1
	s_wait_xcnt 0x0
	s_or_b32 exec_lo, exec_lo, s42
.LBB31_39:                              ;   in Loop: Header=BB31_4 Depth=1
	s_and_saveexec_b32 s42, s41
	s_cbranch_execz .LBB31_2
; %bb.40:                               ;   in Loop: Header=BB31_4 Depth=1
	s_add_nc_u64 s[36:37], s[36:37], s[34:35]
	global_store_b32 v3, v2, s[36:37]
	s_branch .LBB31_2
.LBB31_41:
	s_endpgm
	.section	.rodata,"a",@progbits
	.p2align	6, 0x0
	.amdhsa_kernel _ZL20rocblas_gemvt_kernelILb0ELi256EfffEviiT2_lPKT1_lilS3_lilS0_lPT3_lili
		.amdhsa_group_segment_fixed_size 1024
		.amdhsa_private_segment_fixed_size 0
		.amdhsa_kernarg_size 140
		.amdhsa_user_sgpr_count 2
		.amdhsa_user_sgpr_dispatch_ptr 0
		.amdhsa_user_sgpr_queue_ptr 0
		.amdhsa_user_sgpr_kernarg_segment_ptr 1
		.amdhsa_user_sgpr_dispatch_id 0
		.amdhsa_user_sgpr_kernarg_preload_length 0
		.amdhsa_user_sgpr_kernarg_preload_offset 0
		.amdhsa_user_sgpr_private_segment_size 0
		.amdhsa_wavefront_size32 1
		.amdhsa_uses_dynamic_stack 0
		.amdhsa_enable_private_segment 0
		.amdhsa_system_sgpr_workgroup_id_x 1
		.amdhsa_system_sgpr_workgroup_id_y 0
		.amdhsa_system_sgpr_workgroup_id_z 1
		.amdhsa_system_sgpr_workgroup_info 0
		.amdhsa_system_vgpr_workitem_id 0
		.amdhsa_next_free_vgpr 17
		.amdhsa_next_free_sgpr 48
		.amdhsa_named_barrier_count 0
		.amdhsa_reserve_vcc 1
		.amdhsa_float_round_mode_32 0
		.amdhsa_float_round_mode_16_64 0
		.amdhsa_float_denorm_mode_32 3
		.amdhsa_float_denorm_mode_16_64 3
		.amdhsa_fp16_overflow 0
		.amdhsa_memory_ordered 1
		.amdhsa_forward_progress 1
		.amdhsa_inst_pref_size 11
		.amdhsa_round_robin_scheduling 0
		.amdhsa_exception_fp_ieee_invalid_op 0
		.amdhsa_exception_fp_denorm_src 0
		.amdhsa_exception_fp_ieee_div_zero 0
		.amdhsa_exception_fp_ieee_overflow 0
		.amdhsa_exception_fp_ieee_underflow 0
		.amdhsa_exception_fp_ieee_inexact 0
		.amdhsa_exception_int_div_zero 0
	.end_amdhsa_kernel
	.section	.text._ZL20rocblas_gemvt_kernelILb0ELi256EfffEviiT2_lPKT1_lilS3_lilS0_lPT3_lili,"axG",@progbits,_ZL20rocblas_gemvt_kernelILb0ELi256EfffEviiT2_lPKT1_lilS3_lilS0_lPT3_lili,comdat
.Lfunc_end31:
	.size	_ZL20rocblas_gemvt_kernelILb0ELi256EfffEviiT2_lPKT1_lilS3_lilS0_lPT3_lili, .Lfunc_end31-_ZL20rocblas_gemvt_kernelILb0ELi256EfffEviiT2_lPKT1_lilS3_lilS0_lPT3_lili
                                        ; -- End function
	.set _ZL20rocblas_gemvt_kernelILb0ELi256EfffEviiT2_lPKT1_lilS3_lilS0_lPT3_lili.num_vgpr, 17
	.set _ZL20rocblas_gemvt_kernelILb0ELi256EfffEviiT2_lPKT1_lilS3_lilS0_lPT3_lili.num_agpr, 0
	.set _ZL20rocblas_gemvt_kernelILb0ELi256EfffEviiT2_lPKT1_lilS3_lilS0_lPT3_lili.numbered_sgpr, 48
	.set _ZL20rocblas_gemvt_kernelILb0ELi256EfffEviiT2_lPKT1_lilS3_lilS0_lPT3_lili.num_named_barrier, 0
	.set _ZL20rocblas_gemvt_kernelILb0ELi256EfffEviiT2_lPKT1_lilS3_lilS0_lPT3_lili.private_seg_size, 0
	.set _ZL20rocblas_gemvt_kernelILb0ELi256EfffEviiT2_lPKT1_lilS3_lilS0_lPT3_lili.uses_vcc, 1
	.set _ZL20rocblas_gemvt_kernelILb0ELi256EfffEviiT2_lPKT1_lilS3_lilS0_lPT3_lili.uses_flat_scratch, 0
	.set _ZL20rocblas_gemvt_kernelILb0ELi256EfffEviiT2_lPKT1_lilS3_lilS0_lPT3_lili.has_dyn_sized_stack, 0
	.set _ZL20rocblas_gemvt_kernelILb0ELi256EfffEviiT2_lPKT1_lilS3_lilS0_lPT3_lili.has_recursion, 0
	.set _ZL20rocblas_gemvt_kernelILb0ELi256EfffEviiT2_lPKT1_lilS3_lilS0_lPT3_lili.has_indirect_call, 0
	.section	.AMDGPU.csdata,"",@progbits
; Kernel info:
; codeLenInByte = 1404
; TotalNumSgprs: 50
; NumVgprs: 17
; ScratchSize: 0
; MemoryBound: 0
; FloatMode: 240
; IeeeMode: 1
; LDSByteSize: 1024 bytes/workgroup (compile time only)
; SGPRBlocks: 0
; VGPRBlocks: 1
; NumSGPRsForWavesPerEU: 50
; NumVGPRsForWavesPerEU: 17
; NamedBarCnt: 0
; Occupancy: 16
; WaveLimiterHint : 0
; COMPUTE_PGM_RSRC2:SCRATCH_EN: 0
; COMPUTE_PGM_RSRC2:USER_SGPR: 2
; COMPUTE_PGM_RSRC2:TRAP_HANDLER: 0
; COMPUTE_PGM_RSRC2:TGID_X_EN: 1
; COMPUTE_PGM_RSRC2:TGID_Y_EN: 0
; COMPUTE_PGM_RSRC2:TGID_Z_EN: 1
; COMPUTE_PGM_RSRC2:TIDIG_COMP_CNT: 0
	.section	.text._ZL32rocblas_gemvt_warp_reduce_kernelILb0ELi1024EifPKffEviiT3_lPKT2_lT1_lS5_lS6_lS2_lPT4_lS6_li,"axG",@progbits,_ZL32rocblas_gemvt_warp_reduce_kernelILb0ELi1024EifPKffEviiT3_lPKT2_lT1_lS5_lS6_lS2_lPT4_lS6_li,comdat
	.globl	_ZL32rocblas_gemvt_warp_reduce_kernelILb0ELi1024EifPKffEviiT3_lPKT2_lT1_lS5_lS6_lS2_lPT4_lS6_li ; -- Begin function _ZL32rocblas_gemvt_warp_reduce_kernelILb0ELi1024EifPKffEviiT3_lPKT2_lT1_lS5_lS6_lS2_lPT4_lS6_li
	.p2align	8
	.type	_ZL32rocblas_gemvt_warp_reduce_kernelILb0ELi1024EifPKffEviiT3_lPKT2_lT1_lS5_lS6_lS2_lPT4_lS6_li,@function
_ZL32rocblas_gemvt_warp_reduce_kernelILb0ELi1024EifPKffEviiT3_lPKT2_lT1_lS5_lS6_lS2_lPT4_lS6_li: ; @_ZL32rocblas_gemvt_warp_reduce_kernelILb0ELi1024EifPKffEviiT3_lPKT2_lT1_lS5_lS6_lS2_lPT4_lS6_li
; %bb.0:
	s_load_b32 s33, s[0:1], 0x88
	s_bfe_u32 s2, ttmp6, 0x40014
	s_lshr_b32 s3, ttmp7, 16
	s_add_co_i32 s2, s2, 1
	s_bfe_u32 s5, ttmp6, 0x40008
	s_mul_i32 s4, s3, s2
	s_getreg_b32 s2, hwreg(HW_REG_IB_STS2, 6, 4)
	s_add_co_i32 s5, s5, s4
	s_cmp_eq_u32 s2, 0
	s_mov_b32 s35, 0
	s_cselect_b32 s34, s3, s5
	s_wait_kmcnt 0x0
	s_cmp_ge_u32 s34, s33
	s_cbranch_scc1 .LBB32_34
; %bb.1:
	s_clause 0x7
	s_load_b96 s[4:6], s[0:1], 0x40
	s_load_b96 s[28:30], s[0:1], 0x70
	s_load_b256 s[8:15], s[0:1], 0x8
	s_load_b32 s7, s[0:1], 0x0
	s_load_b32 s31, s[0:1], 0x28
	s_load_b128 s[24:27], s[0:1], 0x30
	s_load_b256 s[16:23], s[0:1], 0x50
	s_load_b64 s[36:37], s[0:1], 0x80
	s_wait_xcnt 0x0
	s_bfe_u32 s1, ttmp6, 0x4000c
	s_and_b32 s3, ttmp6, 15
	s_add_co_i32 s1, s1, 1
	v_dual_mov_b32 v3, 0 :: v_dual_bitop2_b32 v8, 31, v0 bitop3:0x40
	s_mul_i32 s1, ttmp9, s1
	v_mbcnt_lo_u32_b32 v13, -1, 0
	s_add_co_i32 s3, s3, s1
	v_cmp_eq_u32_e64 s0, 0, v0
	v_cmp_gt_u32_e64 s1, 32, v0
	s_delay_alu instid0(VALU_DEP_3)
	v_lshl_or_b32 v14, v13, 2, 64
	s_wait_kmcnt 0x0
	s_lshl_b64 s[4:5], s[4:5], 2
	s_lshl_b64 s[28:29], s[28:29], 2
	;; [unrolled: 1-line block ×3, first 2 shown]
	v_cmp_gt_i32_e32 vcc_lo, s7, v0
	s_cmp_eq_u32 s2, 0
	v_lshrrev_b32_e32 v10, 3, v0
	s_cselect_b32 s15, ttmp9, s3
	s_ashr_i32 s2, s7, 31
	v_cndmask_b32_e32 v2, 0, v0, vcc_lo
	s_lshr_b32 s2, s2, 22
	v_lshlrev_b32_e32 v1, 2, v8
	s_add_co_i32 s2, s7, s2
	s_add_nc_u64 s[26:27], s[26:27], s[4:5]
	s_and_b32 s14, s2, 0xfffffc00
	s_delay_alu instid0(SALU_CYCLE_1) | instskip(SKIP_3) | instid1(VALU_DEP_2)
	v_dual_lshlrev_b32 v2, 2, v2 :: v_dual_bitop2_b32 v5, s14, v0 bitop3:0x54
	s_add_nc_u64 s[2:3], s[12:13], s[38:39]
	s_mul_i32 s4, s31, s15
	v_mul_lo_u32 v12, v0, s6
	v_add_nc_u64_e32 v[6:7], s[2:3], v[2:3]
	v_mul_lo_u32 v4, s6, v5
	s_ashr_i32 s5, s4, 31
	s_add_nc_u64 s[22:23], s[22:23], s[28:29]
	s_lshl_b64 s[4:5], s[4:5], 2
	s_mul_i32 s28, s30, s15
	v_cmp_gt_i32_e64 s2, s14, v0
	v_add_nc_u64_e32 v[6:7], s[4:5], v[6:7]
	s_add_nc_u64 s[4:5], s[38:39], s[4:5]
	v_cmp_gt_i32_e64 s3, s7, v5
	s_add_nc_u64 s[12:13], s[12:13], s[4:5]
	v_cmp_eq_u32_e64 s4, 0, v8
	v_add_nc_u64_e32 v[8:9], s[12:13], v[2:3]
	v_ashrrev_i32_e32 v5, 31, v4
	v_and_b32_e32 v2, 0x7c, v10
	s_ashr_i32 s29, s28, 31
	s_ashr_i32 s15, s14, 31
	s_lshl_b32 s38, s6, 10
	s_lshl_b64 s[6:7], s[24:25], 2
	s_lshl_b64 s[12:13], s[28:29], 2
	s_branch .LBB32_4
.LBB32_2:                               ;   in Loop: Header=BB32_4 Depth=1
	s_wait_xcnt 0x0
	s_or_b32 exec_lo, exec_lo, s5
.LBB32_3:                               ;   in Loop: Header=BB32_4 Depth=1
	s_add_co_i32 s34, s34, 0x10000
	s_delay_alu instid0(SALU_CYCLE_1)
	s_cmp_lt_u32 s34, s33
	s_cbranch_scc0 .LBB32_34
.LBB32_4:                               ; =>This Loop Header: Depth=1
                                        ;     Child Loop BB32_23 Depth 2
	s_mul_u64 s[28:29], s[10:11], s[34:35]
	s_wait_xcnt 0x0
	s_mul_u64 s[30:31], s[20:21], s[34:35]
	s_lshl_b64 s[28:29], s[28:29], 2
	s_lshl_b64 s[30:31], s[30:31], 2
	s_add_nc_u64 s[28:29], s[8:9], s[28:29]
	s_add_nc_u64 s[30:31], s[18:19], s[30:31]
	s_clause 0x1
	global_load_b32 v15, v3, s[28:29]
	global_load_b32 v10, v3, s[30:31]
	s_wait_loadcnt 0x1
	v_cmp_eq_f32_e32 vcc_lo, 0, v15
	s_wait_loadcnt 0x0
	v_cmp_eq_f32_e64 s5, 1.0, v10
	s_wait_xcnt 0x1
	s_and_b32 s28, vcc_lo, s5
	v_readfirstlane_b32 s5, v10
	s_and_b32 vcc_lo, exec_lo, s28
	s_cbranch_vccnz .LBB32_3
; %bb.5:                                ;   in Loop: Header=BB32_4 Depth=1
	v_cmp_neq_f32_e32 vcc_lo, 0, v15
	s_mul_u64 s[28:29], s[36:37], s[34:35]
	s_delay_alu instid0(SALU_CYCLE_1) | instskip(NEXT) | instid1(SALU_CYCLE_1)
	s_lshl_b64 s[28:29], s[28:29], 2
	s_add_nc_u64 s[28:29], s[22:23], s[28:29]
	s_cbranch_vccnz .LBB32_9
; %bb.6:                                ;   in Loop: Header=BB32_4 Depth=1
	s_wait_xcnt 0x0
	s_mov_b32 s30, 0
	s_mov_b32 s39, 0
                                        ; implicit-def: $vgpr10
	s_and_saveexec_b32 s31, s0
	s_cbranch_execz .LBB32_10
; %bb.7:                                ;   in Loop: Header=BB32_4 Depth=1
	s_cmp_eq_f32 s5, 0
	s_cbranch_scc1 .LBB32_11
; %bb.8:                                ;   in Loop: Header=BB32_4 Depth=1
	s_add_nc_u64 s[40:41], s[28:29], s[12:13]
	global_load_b32 v10, v3, s[40:41]
	s_wait_loadcnt 0x0
	v_mul_f32_e32 v10, s5, v10
	s_branch .LBB32_12
.LBB32_9:                               ;   in Loop: Header=BB32_4 Depth=1
	s_wait_xcnt 0x0
	s_mov_b32 s39, 0
                                        ; implicit-def: $vgpr10
	s_cbranch_execnz .LBB32_13
	s_branch .LBB32_32
.LBB32_10:                              ;   in Loop: Header=BB32_4 Depth=1
	s_or_b32 exec_lo, exec_lo, s31
	s_delay_alu instid0(SALU_CYCLE_1)
	s_and_b32 vcc_lo, exec_lo, s30
	s_cbranch_vccnz .LBB32_13
	s_branch .LBB32_32
.LBB32_11:                              ;   in Loop: Header=BB32_4 Depth=1
	v_mov_b32_e32 v10, 0
.LBB32_12:                              ;   in Loop: Header=BB32_4 Depth=1
	s_mov_b32 s39, exec_lo
	s_wait_xcnt 0x0
	s_or_b32 exec_lo, exec_lo, s31
	s_delay_alu instid0(SALU_CYCLE_1)
	s_and_b32 vcc_lo, exec_lo, s30
	s_cbranch_vccz .LBB32_32
.LBB32_13:                              ;   in Loop: Header=BB32_4 Depth=1
	s_mul_u64 s[30:31], s[16:17], s[34:35]
	v_mov_b32_e32 v16, 0
	s_lshl_b64 s[30:31], s[30:31], 2
	s_delay_alu instid0(SALU_CYCLE_1)
	s_add_nc_u64 s[30:31], s[26:27], s[30:31]
	s_and_saveexec_b32 s40, s2
	s_cbranch_execnz .LBB32_22
; %bb.14:                               ;   in Loop: Header=BB32_4 Depth=1
	s_or_b32 exec_lo, exec_lo, s40
	s_and_saveexec_b32 s40, s3
	s_cbranch_execnz .LBB32_25
.LBB32_15:                              ;   in Loop: Header=BB32_4 Depth=1
	s_or_b32 exec_lo, exec_lo, s40
	s_and_saveexec_b32 s30, s1
.LBB32_16:                              ;   in Loop: Header=BB32_4 Depth=1
	ds_store_b32 v1, v3
.LBB32_17:                              ;   in Loop: Header=BB32_4 Depth=1
	s_or_b32 exec_lo, exec_lo, s30
	ds_bpermute_b32 v11, v14, v16
	v_cmp_gt_u32_e32 vcc_lo, 24, v13
	s_wait_dscnt 0x0
	s_barrier_signal -1
	s_barrier_wait -1
	v_cndmask_b32_e64 v10, 0, 8, vcc_lo
	v_cmp_gt_u32_e32 vcc_lo, 28, v13
	s_delay_alu instid0(VALU_DEP_2)
	v_add_lshl_u32 v10, v10, v13, 2
	v_add_f32_e32 v16, v16, v11
	v_cndmask_b32_e64 v11, 0, 4, vcc_lo
	v_cmp_gt_u32_e32 vcc_lo, 30, v13
	ds_bpermute_b32 v17, v10, v16
	v_add_lshl_u32 v11, v11, v13, 2
	s_wait_dscnt 0x0
	v_add_f32_e32 v17, v16, v17
	v_cndmask_b32_e64 v16, 0, 2, vcc_lo
	v_cmp_ne_u32_e32 vcc_lo, 31, v13
	ds_bpermute_b32 v18, v11, v17
	v_add_lshl_u32 v16, v16, v13, 2
	v_add_co_ci_u32_e64 v19, null, 0, v13, vcc_lo
	s_wait_dscnt 0x0
	v_add_f32_e32 v17, v17, v18
	ds_bpermute_b32 v18, v16, v17
	s_wait_dscnt 0x0
	v_dual_add_f32 v18, v17, v18 :: v_dual_lshlrev_b32 v17, 2, v19
	ds_bpermute_b32 v19, v17, v18
	s_and_saveexec_b32 s30, s4
	s_cbranch_execz .LBB32_19
; %bb.18:                               ;   in Loop: Header=BB32_4 Depth=1
	s_wait_dscnt 0x0
	v_add_f32_e32 v18, v18, v19
	ds_store_b32 v2, v18
.LBB32_19:                              ;   in Loop: Header=BB32_4 Depth=1
	s_or_b32 exec_lo, exec_lo, s30
	v_mov_b32_e32 v18, 0
	s_wait_dscnt 0x0
	s_barrier_signal -1
	s_barrier_wait -1
	s_and_saveexec_b32 s30, s1
	s_cbranch_execnz .LBB32_26
; %bb.20:                               ;   in Loop: Header=BB32_4 Depth=1
	s_or_b32 exec_lo, exec_lo, s30
	s_and_saveexec_b32 s30, s1
	s_cbranch_execnz .LBB32_27
.LBB32_21:                              ;   in Loop: Header=BB32_4 Depth=1
	s_or_b32 exec_lo, exec_lo, s30
                                        ; implicit-def: $vgpr10
	s_and_saveexec_b32 s30, s0
	s_cbranch_execnz .LBB32_28
	s_branch .LBB32_31
.LBB32_22:                              ;   in Loop: Header=BB32_4 Depth=1
	v_mad_nc_u64_u32 v[10:11], s6, s34, v[8:9]
	v_dual_mov_b32 v16, 0 :: v_dual_mov_b32 v17, v0
	s_wait_dscnt 0x0
	v_mov_b32_e32 v18, v12
	s_mov_b32 s41, 0
	s_delay_alu instid0(VALU_DEP_3)
	v_mad_u32 v11, s7, s34, v11
.LBB32_23:                              ;   Parent Loop BB32_4 Depth=1
                                        ; =>  This Inner Loop Header: Depth=2
	global_load_b32 v19, v[10:11], off
	global_load_b32 v20, v18, s[30:31] scale_offset
	v_add_nc_u32_e32 v17, 0x400, v17
	s_wait_xcnt 0x1
	v_add_nc_u64_e32 v[10:11], 0x1000, v[10:11]
	s_wait_loadcnt 0x0
	s_wait_xcnt 0x0
	v_dual_add_nc_u32 v18, s38, v18 :: v_dual_fmac_f32 v16, v19, v20
	v_cmp_le_i32_e32 vcc_lo, s14, v17
	s_or_b32 s41, vcc_lo, s41
	s_delay_alu instid0(SALU_CYCLE_1)
	s_and_not1_b32 exec_lo, exec_lo, s41
	s_cbranch_execnz .LBB32_23
; %bb.24:                               ;   in Loop: Header=BB32_4 Depth=1
	s_or_b32 exec_lo, exec_lo, s41
	s_delay_alu instid0(SALU_CYCLE_1)
	s_or_b32 exec_lo, exec_lo, s40
	s_and_saveexec_b32 s40, s3
	s_cbranch_execz .LBB32_15
.LBB32_25:                              ;   in Loop: Header=BB32_4 Depth=1
	s_mul_u64 s[42:43], s[24:25], s[34:35]
	s_wait_dscnt 0x0
	v_lshl_add_u64 v[18:19], v[4:5], 2, s[30:31]
	v_lshl_add_u64 v[10:11], s[42:43], 2, v[6:7]
	s_delay_alu instid0(VALU_DEP_1)
	v_lshl_add_u64 v[10:11], s[14:15], 2, v[10:11]
	global_load_b32 v17, v[10:11], off
	global_load_b32 v20, v[18:19], off
	s_wait_loadcnt 0x0
	v_fmac_f32_e32 v16, v17, v20
	s_wait_xcnt 0x0
	s_or_b32 exec_lo, exec_lo, s40
	s_and_saveexec_b32 s30, s1
	s_cbranch_execnz .LBB32_16
	s_branch .LBB32_17
.LBB32_26:                              ;   in Loop: Header=BB32_4 Depth=1
	ds_load_b32 v18, v1
	s_or_b32 exec_lo, exec_lo, s30
	s_and_saveexec_b32 s30, s1
	s_cbranch_execz .LBB32_21
.LBB32_27:                              ;   in Loop: Header=BB32_4 Depth=1
	s_wait_dscnt 0x0
	ds_bpermute_b32 v19, v14, v18
	s_wait_dscnt 0x0
	v_add_f32_e32 v18, v18, v19
	ds_bpermute_b32 v10, v10, v18
	s_wait_dscnt 0x0
	v_add_f32_e32 v10, v18, v10
	;; [unrolled: 3-line block ×5, first 2 shown]
	s_or_b32 exec_lo, exec_lo, s30
                                        ; implicit-def: $vgpr10
	s_and_saveexec_b32 s30, s0
	s_cbranch_execz .LBB32_31
.LBB32_28:                              ;   in Loop: Header=BB32_4 Depth=1
	s_wait_dscnt 0x0
	v_mul_f32_e32 v10, v15, v18
	s_cmp_eq_f32 s5, 0
	s_cbranch_scc1 .LBB32_30
; %bb.29:                               ;   in Loop: Header=BB32_4 Depth=1
	s_add_nc_u64 s[40:41], s[28:29], s[12:13]
	global_load_b32 v11, v3, s[40:41]
	s_wait_loadcnt 0x0
	v_fmac_f32_e32 v10, s5, v11
.LBB32_30:                              ;   in Loop: Header=BB32_4 Depth=1
	s_or_b32 s39, s39, exec_lo
.LBB32_31:                              ;   in Loop: Header=BB32_4 Depth=1
	s_wait_xcnt 0x0
	s_or_b32 exec_lo, exec_lo, s30
.LBB32_32:                              ;   in Loop: Header=BB32_4 Depth=1
	s_and_saveexec_b32 s5, s39
	s_cbranch_execz .LBB32_2
; %bb.33:                               ;   in Loop: Header=BB32_4 Depth=1
	s_add_nc_u64 s[28:29], s[28:29], s[12:13]
	global_store_b32 v3, v10, s[28:29]
	s_branch .LBB32_2
.LBB32_34:
	s_endpgm
	.section	.rodata,"a",@progbits
	.p2align	6, 0x0
	.amdhsa_kernel _ZL32rocblas_gemvt_warp_reduce_kernelILb0ELi1024EifPKffEviiT3_lPKT2_lT1_lS5_lS6_lS2_lPT4_lS6_li
		.amdhsa_group_segment_fixed_size 128
		.amdhsa_private_segment_fixed_size 0
		.amdhsa_kernarg_size 140
		.amdhsa_user_sgpr_count 2
		.amdhsa_user_sgpr_dispatch_ptr 0
		.amdhsa_user_sgpr_queue_ptr 0
		.amdhsa_user_sgpr_kernarg_segment_ptr 1
		.amdhsa_user_sgpr_dispatch_id 0
		.amdhsa_user_sgpr_kernarg_preload_length 0
		.amdhsa_user_sgpr_kernarg_preload_offset 0
		.amdhsa_user_sgpr_private_segment_size 0
		.amdhsa_wavefront_size32 1
		.amdhsa_uses_dynamic_stack 0
		.amdhsa_enable_private_segment 0
		.amdhsa_system_sgpr_workgroup_id_x 1
		.amdhsa_system_sgpr_workgroup_id_y 0
		.amdhsa_system_sgpr_workgroup_id_z 1
		.amdhsa_system_sgpr_workgroup_info 0
		.amdhsa_system_vgpr_workitem_id 0
		.amdhsa_next_free_vgpr 21
		.amdhsa_next_free_sgpr 44
		.amdhsa_named_barrier_count 0
		.amdhsa_reserve_vcc 1
		.amdhsa_float_round_mode_32 0
		.amdhsa_float_round_mode_16_64 0
		.amdhsa_float_denorm_mode_32 3
		.amdhsa_float_denorm_mode_16_64 3
		.amdhsa_fp16_overflow 0
		.amdhsa_memory_ordered 1
		.amdhsa_forward_progress 1
		.amdhsa_inst_pref_size 12
		.amdhsa_round_robin_scheduling 0
		.amdhsa_exception_fp_ieee_invalid_op 0
		.amdhsa_exception_fp_denorm_src 0
		.amdhsa_exception_fp_ieee_div_zero 0
		.amdhsa_exception_fp_ieee_overflow 0
		.amdhsa_exception_fp_ieee_underflow 0
		.amdhsa_exception_fp_ieee_inexact 0
		.amdhsa_exception_int_div_zero 0
	.end_amdhsa_kernel
	.section	.text._ZL32rocblas_gemvt_warp_reduce_kernelILb0ELi1024EifPKffEviiT3_lPKT2_lT1_lS5_lS6_lS2_lPT4_lS6_li,"axG",@progbits,_ZL32rocblas_gemvt_warp_reduce_kernelILb0ELi1024EifPKffEviiT3_lPKT2_lT1_lS5_lS6_lS2_lPT4_lS6_li,comdat
.Lfunc_end32:
	.size	_ZL32rocblas_gemvt_warp_reduce_kernelILb0ELi1024EifPKffEviiT3_lPKT2_lT1_lS5_lS6_lS2_lPT4_lS6_li, .Lfunc_end32-_ZL32rocblas_gemvt_warp_reduce_kernelILb0ELi1024EifPKffEviiT3_lPKT2_lT1_lS5_lS6_lS2_lPT4_lS6_li
                                        ; -- End function
	.set _ZL32rocblas_gemvt_warp_reduce_kernelILb0ELi1024EifPKffEviiT3_lPKT2_lT1_lS5_lS6_lS2_lPT4_lS6_li.num_vgpr, 21
	.set _ZL32rocblas_gemvt_warp_reduce_kernelILb0ELi1024EifPKffEviiT3_lPKT2_lT1_lS5_lS6_lS2_lPT4_lS6_li.num_agpr, 0
	.set _ZL32rocblas_gemvt_warp_reduce_kernelILb0ELi1024EifPKffEviiT3_lPKT2_lT1_lS5_lS6_lS2_lPT4_lS6_li.numbered_sgpr, 44
	.set _ZL32rocblas_gemvt_warp_reduce_kernelILb0ELi1024EifPKffEviiT3_lPKT2_lT1_lS5_lS6_lS2_lPT4_lS6_li.num_named_barrier, 0
	.set _ZL32rocblas_gemvt_warp_reduce_kernelILb0ELi1024EifPKffEviiT3_lPKT2_lT1_lS5_lS6_lS2_lPT4_lS6_li.private_seg_size, 0
	.set _ZL32rocblas_gemvt_warp_reduce_kernelILb0ELi1024EifPKffEviiT3_lPKT2_lT1_lS5_lS6_lS2_lPT4_lS6_li.uses_vcc, 1
	.set _ZL32rocblas_gemvt_warp_reduce_kernelILb0ELi1024EifPKffEviiT3_lPKT2_lT1_lS5_lS6_lS2_lPT4_lS6_li.uses_flat_scratch, 0
	.set _ZL32rocblas_gemvt_warp_reduce_kernelILb0ELi1024EifPKffEviiT3_lPKT2_lT1_lS5_lS6_lS2_lPT4_lS6_li.has_dyn_sized_stack, 0
	.set _ZL32rocblas_gemvt_warp_reduce_kernelILb0ELi1024EifPKffEviiT3_lPKT2_lT1_lS5_lS6_lS2_lPT4_lS6_li.has_recursion, 0
	.set _ZL32rocblas_gemvt_warp_reduce_kernelILb0ELi1024EifPKffEviiT3_lPKT2_lT1_lS5_lS6_lS2_lPT4_lS6_li.has_indirect_call, 0
	.section	.AMDGPU.csdata,"",@progbits
; Kernel info:
; codeLenInByte = 1412
; TotalNumSgprs: 46
; NumVgprs: 21
; ScratchSize: 0
; MemoryBound: 0
; FloatMode: 240
; IeeeMode: 1
; LDSByteSize: 128 bytes/workgroup (compile time only)
; SGPRBlocks: 0
; VGPRBlocks: 1
; NumSGPRsForWavesPerEU: 46
; NumVGPRsForWavesPerEU: 21
; NamedBarCnt: 0
; Occupancy: 16
; WaveLimiterHint : 0
; COMPUTE_PGM_RSRC2:SCRATCH_EN: 0
; COMPUTE_PGM_RSRC2:USER_SGPR: 2
; COMPUTE_PGM_RSRC2:TRAP_HANDLER: 0
; COMPUTE_PGM_RSRC2:TGID_X_EN: 1
; COMPUTE_PGM_RSRC2:TGID_Y_EN: 0
; COMPUTE_PGM_RSRC2:TGID_Z_EN: 1
; COMPUTE_PGM_RSRC2:TIDIG_COMP_CNT: 0
	.section	.text._ZL32rocblas_gemvt_warp_reduce_kernelILb0ELi1024ElfPKffEviiT3_lPKT2_lT1_lS5_lS6_lS2_lPT4_lS6_li,"axG",@progbits,_ZL32rocblas_gemvt_warp_reduce_kernelILb0ELi1024ElfPKffEviiT3_lPKT2_lT1_lS5_lS6_lS2_lPT4_lS6_li,comdat
	.globl	_ZL32rocblas_gemvt_warp_reduce_kernelILb0ELi1024ElfPKffEviiT3_lPKT2_lT1_lS5_lS6_lS2_lPT4_lS6_li ; -- Begin function _ZL32rocblas_gemvt_warp_reduce_kernelILb0ELi1024ElfPKffEviiT3_lPKT2_lT1_lS5_lS6_lS2_lPT4_lS6_li
	.p2align	8
	.type	_ZL32rocblas_gemvt_warp_reduce_kernelILb0ELi1024ElfPKffEviiT3_lPKT2_lT1_lS5_lS6_lS2_lPT4_lS6_li,@function
_ZL32rocblas_gemvt_warp_reduce_kernelILb0ELi1024ElfPKffEviiT3_lPKT2_lT1_lS5_lS6_lS2_lPT4_lS6_li: ; @_ZL32rocblas_gemvt_warp_reduce_kernelILb0ELi1024ElfPKffEviiT3_lPKT2_lT1_lS5_lS6_lS2_lPT4_lS6_li
; %bb.0:
	s_load_b32 s30, s[0:1], 0x88
	s_bfe_u32 s2, ttmp6, 0x40014
	s_lshr_b32 s3, ttmp7, 16
	s_add_co_i32 s2, s2, 1
	s_bfe_u32 s5, ttmp6, 0x40008
	s_mul_i32 s4, s3, s2
	s_getreg_b32 s2, hwreg(HW_REG_IB_STS2, 6, 4)
	s_add_co_i32 s5, s5, s4
	s_cmp_eq_u32 s2, 0
	s_mov_b32 s7, 0
	s_cselect_b32 s6, s3, s5
	s_wait_kmcnt 0x0
	s_cmp_ge_u32 s6, s30
	s_cbranch_scc1 .LBB33_34
; %bb.1:
	s_clause 0x2
	s_load_b512 s[8:23], s[0:1], 0x8
	s_load_b512 s[36:51], s[0:1], 0x48
	s_load_b32 s28, s[0:1], 0x0
	s_wait_xcnt 0x0
	s_bfe_u32 s0, ttmp6, 0x4000c
	s_and_b32 s1, ttmp6, 15
	s_add_co_i32 s0, s0, 1
	v_mbcnt_lo_u32_b32 v16, -1, 0
	s_mul_i32 s0, ttmp9, s0
	s_delay_alu instid0(SALU_CYCLE_1)
	s_add_co_i32 s3, s1, s0
	s_wait_kmcnt 0x0
	s_lshl_b64 s[0:1], s[22:23], 2
	s_lshl_b64 s[4:5], s[46:47], 2
	;; [unrolled: 1-line block ×3, first 2 shown]
	s_cmp_eq_u32 s2, 0
	v_cmp_gt_i32_e32 vcc_lo, s28, v0
	s_cselect_b32 s2, ttmp9, s3
	s_ashr_i32 s3, s28, 31
	s_add_nc_u64 s[22:23], s[12:13], s[24:25]
	s_lshr_b32 s3, s3, 22
	s_add_nc_u64 s[20:21], s[20:21], s[0:1]
	s_add_co_i32 s3, s28, s3
	v_cmp_eq_u32_e64 s0, 0, v0
	s_and_b32 s14, s3, 0xfffffc00
	s_delay_alu instid0(SALU_CYCLE_1) | instskip(SKIP_3) | instid1(VALU_DEP_3)
	v_dual_mov_b32 v3, 0 :: v_dual_bitop2_b32 v8, s14, v0 bitop3:0x54
	v_cndmask_b32_e32 v2, 0, v0, vcc_lo
	s_ashr_i32 s3, s2, 31
	v_cmp_gt_i32_e64 s1, s14, v0
	v_dual_mov_b32 v1, v3 :: v_dual_ashrrev_i32 v9, 31, v8
	s_delay_alu instid0(VALU_DEP_3) | instskip(SKIP_2) | instid1(VALU_DEP_2)
	v_lshlrev_b32_e32 v2, 2, v2
	s_mul_u64 s[26:27], s[48:49], s[2:3]
	s_ashr_i32 s15, s14, 31
	v_mul_u64_e32 v[10:11], s[36:37], v[0:1]
	v_mul_u64_e32 v[4:5], s[36:37], v[8:9]
	v_add_nc_u64_e32 v[6:7], s[22:23], v[2:3]
	s_add_nc_u64 s[22:23], s[44:45], s[4:5]
	s_mul_u64 s[4:5], s[16:17], s[2:3]
	v_and_b32_e32 v9, 31, v0
	s_lshl_b64 s[4:5], s[4:5], 2
	v_cmp_gt_i32_e64 s2, s28, v8
	v_lshrrev_b32_e32 v8, 3, v0
	s_add_nc_u64 s[16:17], s[4:5], s[24:25]
	v_add_nc_u64_e32 v[6:7], s[4:5], v[6:7]
	s_add_nc_u64 s[12:13], s[12:13], s[16:17]
	v_lshlrev_b32_e32 v1, 2, v9
	v_cmp_eq_u32_e64 s4, 0, v9
	v_and_b32_e32 v17, 0x7c, v8
	v_add_nc_u64_e32 v[8:9], s[12:13], v[2:3]
	v_cmp_gt_u32_e64 s3, 32, v0
	v_lshl_or_b32 v2, v16, 2, 64
	s_lshl_b64 s[12:13], s[18:19], 2
	s_lshl_b64 s[16:17], s[38:39], 2
	;; [unrolled: 1-line block ×4, first 2 shown]
	v_lshl_add_u64 v[10:11], v[10:11], 2, s[20:21]
	s_branch .LBB33_4
.LBB33_2:                               ;   in Loop: Header=BB33_4 Depth=1
	s_wait_xcnt 0x0
	s_or_b32 exec_lo, exec_lo, s5
.LBB33_3:                               ;   in Loop: Header=BB33_4 Depth=1
	s_add_co_i32 s6, s6, 0x10000
	s_delay_alu instid0(SALU_CYCLE_1)
	s_cmp_lt_u32 s6, s30
	s_cbranch_scc0 .LBB33_34
.LBB33_4:                               ; =>This Loop Header: Depth=1
                                        ;     Child Loop BB33_23 Depth 2
	s_mul_u64 s[28:29], s[10:11], s[6:7]
	s_wait_xcnt 0x0
	s_mul_u64 s[34:35], s[42:43], s[6:7]
	s_lshl_b64 s[28:29], s[28:29], 2
	s_lshl_b64 s[34:35], s[34:35], 2
	s_add_nc_u64 s[28:29], s[8:9], s[28:29]
	s_add_nc_u64 s[34:35], s[40:41], s[34:35]
	s_clause 0x1
	global_load_b32 v18, v3, s[28:29]
	global_load_b32 v12, v3, s[34:35]
	s_wait_loadcnt 0x1
	v_cmp_eq_f32_e32 vcc_lo, 0, v18
	s_wait_loadcnt 0x0
	v_cmp_eq_f32_e64 s5, 1.0, v12
	s_wait_xcnt 0x1
	s_and_b32 s28, vcc_lo, s5
	v_readfirstlane_b32 s5, v12
	s_and_b32 vcc_lo, exec_lo, s28
	s_cbranch_vccnz .LBB33_3
; %bb.5:                                ;   in Loop: Header=BB33_4 Depth=1
	v_cmp_neq_f32_e32 vcc_lo, 0, v18
	s_mul_u64 s[28:29], s[50:51], s[6:7]
	s_delay_alu instid0(SALU_CYCLE_1) | instskip(NEXT) | instid1(SALU_CYCLE_1)
	s_lshl_b64 s[28:29], s[28:29], 2
	s_add_nc_u64 s[28:29], s[22:23], s[28:29]
	s_cbranch_vccnz .LBB33_9
; %bb.6:                                ;   in Loop: Header=BB33_4 Depth=1
	s_mov_b32 s33, 0
	s_mov_b32 s31, 0
                                        ; implicit-def: $vgpr12
	s_wait_xcnt 0x0
	s_and_saveexec_b32 s34, s0
	s_cbranch_execz .LBB33_10
; %bb.7:                                ;   in Loop: Header=BB33_4 Depth=1
	s_cmp_eq_f32 s5, 0
	s_cbranch_scc1 .LBB33_11
; %bb.8:                                ;   in Loop: Header=BB33_4 Depth=1
	s_add_nc_u64 s[36:37], s[28:29], s[26:27]
	global_load_b32 v12, v3, s[36:37]
	s_wait_loadcnt 0x0
	v_mul_f32_e32 v12, s5, v12
	s_branch .LBB33_12
.LBB33_9:                               ;   in Loop: Header=BB33_4 Depth=1
	s_mov_b32 s31, 0
                                        ; implicit-def: $vgpr12
	s_cbranch_execnz .LBB33_13
	s_branch .LBB33_32
.LBB33_10:                              ;   in Loop: Header=BB33_4 Depth=1
	s_or_b32 exec_lo, exec_lo, s34
	s_delay_alu instid0(SALU_CYCLE_1)
	s_and_b32 vcc_lo, exec_lo, s33
	s_cbranch_vccnz .LBB33_13
	s_branch .LBB33_32
.LBB33_11:                              ;   in Loop: Header=BB33_4 Depth=1
	v_mov_b32_e32 v12, 0
.LBB33_12:                              ;   in Loop: Header=BB33_4 Depth=1
	s_mov_b32 s31, exec_lo
	s_wait_xcnt 0x0
	s_or_b32 exec_lo, exec_lo, s34
	s_delay_alu instid0(SALU_CYCLE_1)
	s_and_b32 vcc_lo, exec_lo, s33
	s_cbranch_vccz .LBB33_32
.LBB33_13:                              ;   in Loop: Header=BB33_4 Depth=1
	s_wait_dscnt 0x0
	v_mov_b32_e32 v19, 0
	s_wait_xcnt 0x0
	s_and_saveexec_b32 s33, s1
	s_cbranch_execnz .LBB33_22
; %bb.14:                               ;   in Loop: Header=BB33_4 Depth=1
	s_or_b32 exec_lo, exec_lo, s33
	s_and_saveexec_b32 s33, s2
	s_cbranch_execnz .LBB33_25
.LBB33_15:                              ;   in Loop: Header=BB33_4 Depth=1
	s_or_b32 exec_lo, exec_lo, s33
	s_and_saveexec_b32 s33, s3
.LBB33_16:                              ;   in Loop: Header=BB33_4 Depth=1
	ds_store_b32 v1, v3
.LBB33_17:                              ;   in Loop: Header=BB33_4 Depth=1
	s_or_b32 exec_lo, exec_lo, s33
	ds_bpermute_b32 v13, v2, v19
	v_cmp_gt_u32_e32 vcc_lo, 24, v16
	s_wait_dscnt 0x0
	s_barrier_signal -1
	s_barrier_wait -1
	v_cndmask_b32_e64 v12, 0, 8, vcc_lo
	v_cmp_gt_u32_e32 vcc_lo, 28, v16
	s_delay_alu instid0(VALU_DEP_2)
	v_add_lshl_u32 v12, v12, v16, 2
	v_add_f32_e32 v14, v19, v13
	v_cndmask_b32_e64 v13, 0, 4, vcc_lo
	v_cmp_gt_u32_e32 vcc_lo, 30, v16
	ds_bpermute_b32 v15, v12, v14
	v_add_lshl_u32 v13, v13, v16, 2
	s_wait_dscnt 0x0
	v_add_f32_e32 v15, v14, v15
	v_cndmask_b32_e64 v14, 0, 2, vcc_lo
	v_cmp_ne_u32_e32 vcc_lo, 31, v16
	ds_bpermute_b32 v19, v13, v15
	v_add_lshl_u32 v14, v14, v16, 2
	v_add_co_ci_u32_e64 v20, null, 0, v16, vcc_lo
	s_wait_dscnt 0x0
	v_add_f32_e32 v15, v15, v19
	ds_bpermute_b32 v19, v14, v15
	s_wait_dscnt 0x0
	v_dual_add_f32 v19, v15, v19 :: v_dual_lshlrev_b32 v15, 2, v20
	ds_bpermute_b32 v20, v15, v19
	s_and_saveexec_b32 s33, s4
	s_cbranch_execz .LBB33_19
; %bb.18:                               ;   in Loop: Header=BB33_4 Depth=1
	s_wait_dscnt 0x0
	v_add_f32_e32 v19, v19, v20
	ds_store_b32 v17, v19
.LBB33_19:                              ;   in Loop: Header=BB33_4 Depth=1
	s_or_b32 exec_lo, exec_lo, s33
	v_mov_b32_e32 v19, 0
	s_wait_dscnt 0x0
	s_barrier_signal -1
	s_barrier_wait -1
	s_and_saveexec_b32 s33, s3
	s_cbranch_execnz .LBB33_26
; %bb.20:                               ;   in Loop: Header=BB33_4 Depth=1
	s_or_b32 exec_lo, exec_lo, s33
	s_and_saveexec_b32 s33, s3
	s_cbranch_execnz .LBB33_27
.LBB33_21:                              ;   in Loop: Header=BB33_4 Depth=1
	s_or_b32 exec_lo, exec_lo, s33
                                        ; implicit-def: $vgpr12
	s_and_saveexec_b32 s33, s0
	s_cbranch_execnz .LBB33_28
	s_branch .LBB33_31
.LBB33_22:                              ;   in Loop: Header=BB33_4 Depth=1
	v_mad_nc_u64_u32 v[12:13], s12, s6, v[8:9]
	v_mad_nc_u64_u32 v[14:15], s16, s6, v[10:11]
	v_dual_mov_b32 v19, 0 :: v_dual_mov_b32 v20, v0
	s_mov_b32 s34, 0
	s_delay_alu instid0(VALU_DEP_3) | instskip(NEXT) | instid1(VALU_DEP_3)
	v_mad_u32 v13, s13, s6, v13
	v_mad_u32 v15, s17, s6, v15
.LBB33_23:                              ;   Parent Loop BB33_4 Depth=1
                                        ; =>  This Inner Loop Header: Depth=2
	global_load_b32 v21, v[12:13], off
	global_load_b32 v22, v[14:15], off
	v_add_nc_u32_e32 v20, 0x400, v20
	s_wait_xcnt 0x1
	v_add_nc_u64_e32 v[12:13], 0x1000, v[12:13]
	s_wait_xcnt 0x0
	v_add_nc_u64_e32 v[14:15], s[24:25], v[14:15]
	s_wait_loadcnt 0x0
	v_fmac_f32_e32 v19, v21, v22
	v_cmp_le_i32_e32 vcc_lo, s14, v20
	s_or_b32 s34, vcc_lo, s34
	s_delay_alu instid0(SALU_CYCLE_1)
	s_and_not1_b32 exec_lo, exec_lo, s34
	s_cbranch_execnz .LBB33_23
; %bb.24:                               ;   in Loop: Header=BB33_4 Depth=1
	s_or_b32 exec_lo, exec_lo, s34
	s_delay_alu instid0(SALU_CYCLE_1)
	s_or_b32 exec_lo, exec_lo, s33
	s_and_saveexec_b32 s33, s2
	s_cbranch_execz .LBB33_15
.LBB33_25:                              ;   in Loop: Header=BB33_4 Depth=1
	s_mul_u64 s[34:35], s[18:19], s[6:7]
	s_mul_u64 s[36:37], s[38:39], s[6:7]
	v_lshl_add_u64 v[12:13], s[34:35], 2, v[6:7]
	s_lshl_b64 s[34:35], s[36:37], 2
	s_delay_alu instid0(SALU_CYCLE_1) | instskip(NEXT) | instid1(SALU_CYCLE_1)
	s_add_nc_u64 s[34:35], s[20:21], s[34:35]
	v_lshl_add_u64 v[14:15], v[4:5], 2, s[34:35]
	s_delay_alu instid0(VALU_DEP_2)
	v_lshl_add_u64 v[12:13], s[14:15], 2, v[12:13]
	global_load_b32 v20, v[12:13], off
	global_load_b32 v21, v[14:15], off
	s_wait_loadcnt 0x0
	v_fmac_f32_e32 v19, v20, v21
	s_wait_xcnt 0x0
	s_or_b32 exec_lo, exec_lo, s33
	s_and_saveexec_b32 s33, s3
	s_cbranch_execnz .LBB33_16
	s_branch .LBB33_17
.LBB33_26:                              ;   in Loop: Header=BB33_4 Depth=1
	ds_load_b32 v19, v1
	s_or_b32 exec_lo, exec_lo, s33
	s_and_saveexec_b32 s33, s3
	s_cbranch_execz .LBB33_21
.LBB33_27:                              ;   in Loop: Header=BB33_4 Depth=1
	s_wait_dscnt 0x0
	ds_bpermute_b32 v20, v2, v19
	s_wait_dscnt 0x0
	v_add_f32_e32 v19, v19, v20
	ds_bpermute_b32 v12, v12, v19
	s_wait_dscnt 0x0
	v_add_f32_e32 v12, v19, v12
	;; [unrolled: 3-line block ×5, first 2 shown]
	s_or_b32 exec_lo, exec_lo, s33
                                        ; implicit-def: $vgpr12
	s_and_saveexec_b32 s33, s0
	s_cbranch_execz .LBB33_31
.LBB33_28:                              ;   in Loop: Header=BB33_4 Depth=1
	s_wait_dscnt 0x0
	v_mul_f32_e32 v12, v18, v19
	s_cmp_eq_f32 s5, 0
	s_cbranch_scc1 .LBB33_30
; %bb.29:                               ;   in Loop: Header=BB33_4 Depth=1
	s_add_nc_u64 s[34:35], s[28:29], s[26:27]
	global_load_b32 v13, v3, s[34:35]
	s_wait_loadcnt 0x0
	v_fmac_f32_e32 v12, s5, v13
.LBB33_30:                              ;   in Loop: Header=BB33_4 Depth=1
	s_or_b32 s31, s31, exec_lo
.LBB33_31:                              ;   in Loop: Header=BB33_4 Depth=1
	s_wait_xcnt 0x0
	s_or_b32 exec_lo, exec_lo, s33
.LBB33_32:                              ;   in Loop: Header=BB33_4 Depth=1
	s_wait_xcnt 0x0
	s_and_saveexec_b32 s5, s31
	s_cbranch_execz .LBB33_2
; %bb.33:                               ;   in Loop: Header=BB33_4 Depth=1
	s_add_nc_u64 s[28:29], s[28:29], s[26:27]
	global_store_b32 v3, v12, s[28:29]
	s_branch .LBB33_2
.LBB33_34:
	s_endpgm
	.section	.rodata,"a",@progbits
	.p2align	6, 0x0
	.amdhsa_kernel _ZL32rocblas_gemvt_warp_reduce_kernelILb0ELi1024ElfPKffEviiT3_lPKT2_lT1_lS5_lS6_lS2_lPT4_lS6_li
		.amdhsa_group_segment_fixed_size 128
		.amdhsa_private_segment_fixed_size 0
		.amdhsa_kernarg_size 140
		.amdhsa_user_sgpr_count 2
		.amdhsa_user_sgpr_dispatch_ptr 0
		.amdhsa_user_sgpr_queue_ptr 0
		.amdhsa_user_sgpr_kernarg_segment_ptr 1
		.amdhsa_user_sgpr_dispatch_id 0
		.amdhsa_user_sgpr_kernarg_preload_length 0
		.amdhsa_user_sgpr_kernarg_preload_offset 0
		.amdhsa_user_sgpr_private_segment_size 0
		.amdhsa_wavefront_size32 1
		.amdhsa_uses_dynamic_stack 0
		.amdhsa_enable_private_segment 0
		.amdhsa_system_sgpr_workgroup_id_x 1
		.amdhsa_system_sgpr_workgroup_id_y 0
		.amdhsa_system_sgpr_workgroup_id_z 1
		.amdhsa_system_sgpr_workgroup_info 0
		.amdhsa_system_vgpr_workitem_id 0
		.amdhsa_next_free_vgpr 23
		.amdhsa_next_free_sgpr 52
		.amdhsa_named_barrier_count 0
		.amdhsa_reserve_vcc 1
		.amdhsa_float_round_mode_32 0
		.amdhsa_float_round_mode_16_64 0
		.amdhsa_float_denorm_mode_32 3
		.amdhsa_float_denorm_mode_16_64 3
		.amdhsa_fp16_overflow 0
		.amdhsa_memory_ordered 1
		.amdhsa_forward_progress 1
		.amdhsa_inst_pref_size 11
		.amdhsa_round_robin_scheduling 0
		.amdhsa_exception_fp_ieee_invalid_op 0
		.amdhsa_exception_fp_denorm_src 0
		.amdhsa_exception_fp_ieee_div_zero 0
		.amdhsa_exception_fp_ieee_overflow 0
		.amdhsa_exception_fp_ieee_underflow 0
		.amdhsa_exception_fp_ieee_inexact 0
		.amdhsa_exception_int_div_zero 0
	.end_amdhsa_kernel
	.section	.text._ZL32rocblas_gemvt_warp_reduce_kernelILb0ELi1024ElfPKffEviiT3_lPKT2_lT1_lS5_lS6_lS2_lPT4_lS6_li,"axG",@progbits,_ZL32rocblas_gemvt_warp_reduce_kernelILb0ELi1024ElfPKffEviiT3_lPKT2_lT1_lS5_lS6_lS2_lPT4_lS6_li,comdat
.Lfunc_end33:
	.size	_ZL32rocblas_gemvt_warp_reduce_kernelILb0ELi1024ElfPKffEviiT3_lPKT2_lT1_lS5_lS6_lS2_lPT4_lS6_li, .Lfunc_end33-_ZL32rocblas_gemvt_warp_reduce_kernelILb0ELi1024ElfPKffEviiT3_lPKT2_lT1_lS5_lS6_lS2_lPT4_lS6_li
                                        ; -- End function
	.set _ZL32rocblas_gemvt_warp_reduce_kernelILb0ELi1024ElfPKffEviiT3_lPKT2_lT1_lS5_lS6_lS2_lPT4_lS6_li.num_vgpr, 23
	.set _ZL32rocblas_gemvt_warp_reduce_kernelILb0ELi1024ElfPKffEviiT3_lPKT2_lT1_lS5_lS6_lS2_lPT4_lS6_li.num_agpr, 0
	.set _ZL32rocblas_gemvt_warp_reduce_kernelILb0ELi1024ElfPKffEviiT3_lPKT2_lT1_lS5_lS6_lS2_lPT4_lS6_li.numbered_sgpr, 52
	.set _ZL32rocblas_gemvt_warp_reduce_kernelILb0ELi1024ElfPKffEviiT3_lPKT2_lT1_lS5_lS6_lS2_lPT4_lS6_li.num_named_barrier, 0
	.set _ZL32rocblas_gemvt_warp_reduce_kernelILb0ELi1024ElfPKffEviiT3_lPKT2_lT1_lS5_lS6_lS2_lPT4_lS6_li.private_seg_size, 0
	.set _ZL32rocblas_gemvt_warp_reduce_kernelILb0ELi1024ElfPKffEviiT3_lPKT2_lT1_lS5_lS6_lS2_lPT4_lS6_li.uses_vcc, 1
	.set _ZL32rocblas_gemvt_warp_reduce_kernelILb0ELi1024ElfPKffEviiT3_lPKT2_lT1_lS5_lS6_lS2_lPT4_lS6_li.uses_flat_scratch, 0
	.set _ZL32rocblas_gemvt_warp_reduce_kernelILb0ELi1024ElfPKffEviiT3_lPKT2_lT1_lS5_lS6_lS2_lPT4_lS6_li.has_dyn_sized_stack, 0
	.set _ZL32rocblas_gemvt_warp_reduce_kernelILb0ELi1024ElfPKffEviiT3_lPKT2_lT1_lS5_lS6_lS2_lPT4_lS6_li.has_recursion, 0
	.set _ZL32rocblas_gemvt_warp_reduce_kernelILb0ELi1024ElfPKffEviiT3_lPKT2_lT1_lS5_lS6_lS2_lPT4_lS6_li.has_indirect_call, 0
	.section	.AMDGPU.csdata,"",@progbits
; Kernel info:
; codeLenInByte = 1392
; TotalNumSgprs: 54
; NumVgprs: 23
; ScratchSize: 0
; MemoryBound: 0
; FloatMode: 240
; IeeeMode: 1
; LDSByteSize: 128 bytes/workgroup (compile time only)
; SGPRBlocks: 0
; VGPRBlocks: 1
; NumSGPRsForWavesPerEU: 54
; NumVGPRsForWavesPerEU: 23
; NamedBarCnt: 0
; Occupancy: 16
; WaveLimiterHint : 0
; COMPUTE_PGM_RSRC2:SCRATCH_EN: 0
; COMPUTE_PGM_RSRC2:USER_SGPR: 2
; COMPUTE_PGM_RSRC2:TRAP_HANDLER: 0
; COMPUTE_PGM_RSRC2:TGID_X_EN: 1
; COMPUTE_PGM_RSRC2:TGID_Y_EN: 0
; COMPUTE_PGM_RSRC2:TGID_Z_EN: 1
; COMPUTE_PGM_RSRC2:TIDIG_COMP_CNT: 0
	.section	.text._ZL32rocblas_gemvt_warp_reduce_kernelILb0ELi1024EifffEviiT3_lPKT2_lT1_lS3_lS4_lS0_lPT4_lS4_li,"axG",@progbits,_ZL32rocblas_gemvt_warp_reduce_kernelILb0ELi1024EifffEviiT3_lPKT2_lT1_lS3_lS4_lS0_lPT4_lS4_li,comdat
	.globl	_ZL32rocblas_gemvt_warp_reduce_kernelILb0ELi1024EifffEviiT3_lPKT2_lT1_lS3_lS4_lS0_lPT4_lS4_li ; -- Begin function _ZL32rocblas_gemvt_warp_reduce_kernelILb0ELi1024EifffEviiT3_lPKT2_lT1_lS3_lS4_lS0_lPT4_lS4_li
	.p2align	8
	.type	_ZL32rocblas_gemvt_warp_reduce_kernelILb0ELi1024EifffEviiT3_lPKT2_lT1_lS3_lS4_lS0_lPT4_lS4_li,@function
_ZL32rocblas_gemvt_warp_reduce_kernelILb0ELi1024EifffEviiT3_lPKT2_lT1_lS3_lS4_lS0_lPT4_lS4_li: ; @_ZL32rocblas_gemvt_warp_reduce_kernelILb0ELi1024EifffEviiT3_lPKT2_lT1_lS3_lS4_lS0_lPT4_lS4_li
; %bb.0:
	s_load_b32 s19, s[0:1], 0x88
	s_bfe_u32 s2, ttmp6, 0x40014
	s_lshr_b32 s4, ttmp7, 16
	s_add_co_i32 s2, s2, 1
	s_bfe_u32 s5, ttmp6, 0x40008
	s_mul_i32 s2, s4, s2
	s_getreg_b32 s3, hwreg(HW_REG_IB_STS2, 6, 4)
	s_add_co_i32 s5, s5, s2
	s_cmp_eq_u32 s3, 0
	s_mov_b32 s25, 0
	s_cselect_b32 s24, s4, s5
	s_wait_kmcnt 0x0
	s_cmp_ge_u32 s24, s19
	s_cbranch_scc1 .LBB34_34
; %bb.1:
	s_clause 0x7
	s_load_b96 s[20:22], s[0:1], 0x40
	s_load_b128 s[12:15], s[0:1], 0x68
	s_load_b128 s[4:7], s[0:1], 0x18
	s_load_b32 s30, s[0:1], 0x8
	s_load_b96 s[16:18], s[0:1], 0x50
	s_load_b128 s[8:11], s[0:1], 0x30
	s_load_b32 s23, s[0:1], 0x0
	s_load_b32 s28, s[0:1], 0x28
	v_dual_mov_b32 v3, 0 :: v_dual_bitop2_b32 v2, 31, v0 bitop3:0x40
	v_lshrrev_b32_e32 v4, 3, v0
	v_mbcnt_lo_u32_b32 v1, -1, 0
	s_delay_alu instid0(VALU_DEP_3) | instskip(SKIP_1) | instid1(VALU_DEP_4)
	v_lshlrev_b32_e32 v12, 2, v2
	v_cmp_eq_u32_e64 s2, 0, v2
	v_and_b32_e32 v13, 0x7c, v4
	s_wait_kmcnt 0x0
	s_lshl_b64 s[26:27], s[20:21], 2
	s_lshl_b64 s[14:15], s[14:15], 2
	s_lshl_b64 s[20:21], s[6:7], 2
	s_cmp_eq_f32 s30, 0
	s_add_nc_u64 s[12:13], s[12:13], s[14:15]
	s_clause 0x1
	s_load_b32 s29, s[0:1], 0x78
	s_load_b64 s[6:7], s[0:1], 0x80
	v_cmp_gt_i32_e32 vcc_lo, s23, v0
	s_cselect_b32 s31, -1, 0
	s_cmp_neq_f32 s30, 0
	s_add_nc_u64 s[10:11], s[10:11], s[26:27]
	s_add_nc_u64 s[26:27], s[4:5], s[20:21]
	v_mul_lo_u32 v14, v0, s22
	s_cselect_b32 s33, -1, 0
	s_cmp_neq_f32 s18, 1.0
	s_wait_xcnt 0x0
	v_cmp_eq_u32_e64 s0, 0, v0
	v_cmp_gt_u32_e64 s1, 32, v0
	s_cselect_b32 s34, -1, 0
	s_delay_alu instid0(SALU_CYCLE_1)
	s_or_b32 s33, s33, s34
	s_cmp_neq_f32 s18, 0
	s_cselect_b32 s34, -1, 0
	s_bfe_u32 s35, ttmp6, 0x4000c
	s_and_b32 s36, ttmp6, 15
	s_add_co_i32 s35, s35, 1
	s_delay_alu instid0(SALU_CYCLE_1) | instskip(NEXT) | instid1(SALU_CYCLE_1)
	s_mul_i32 s35, ttmp9, s35
	s_add_co_i32 s36, s36, s35
	s_cmp_eq_u32 s3, 0
	s_cselect_b32 s3, ttmp9, s36
	s_ashr_i32 s14, s23, 31
	s_delay_alu instid0(SALU_CYCLE_1) | instskip(NEXT) | instid1(SALU_CYCLE_1)
	s_lshr_b32 s14, s14, 22
	s_add_co_i32 s14, s23, s14
	s_delay_alu instid0(SALU_CYCLE_1) | instskip(NEXT) | instid1(SALU_CYCLE_1)
	s_and_b32 s14, s14, 0xfffffc00
	v_dual_cndmask_b32 v2, 0, v0, vcc_lo :: v_dual_bitop2_b32 v5, s14, v0 bitop3:0x54
	s_ashr_i32 s15, s14, 31
	s_delay_alu instid0(VALU_DEP_1) | instskip(NEXT) | instid1(VALU_DEP_2)
	v_mul_lo_u32 v4, s22, v5
	v_lshlrev_b32_e32 v2, 2, v2
	s_delay_alu instid0(VALU_DEP_1)
	v_add_nc_u64_e32 v[6:7], s[26:27], v[2:3]
	s_mul_i32 s26, s28, s3
	s_wait_kmcnt 0x0
	s_mul_i32 s28, s29, s3
	s_ashr_i32 s27, s26, 31
	v_cmp_gt_i32_e64 s3, s14, v0
	s_lshl_b64 s[26:27], s[26:27], 2
	s_ashr_i32 s29, s28, 31
	s_add_nc_u64 s[20:21], s[20:21], s[26:27]
	v_add_nc_u64_e32 v[6:7], s[26:27], v[6:7]
	s_add_nc_u64 s[4:5], s[4:5], s[20:21]
	s_lshl_b64 s[20:21], s[8:9], 2
	v_add_nc_u64_e32 v[8:9], s[4:5], v[2:3]
	v_cmp_gt_i32_e64 s4, s23, v5
	v_ashrrev_i32_e32 v5, 31, v4
	v_lshl_or_b32 v2, v1, 2, 64
	s_lshl_b32 s5, s22, 10
	s_lshl_b64 s[22:23], s[28:29], 2
	s_branch .LBB34_4
.LBB34_2:                               ;   in Loop: Header=BB34_4 Depth=1
	s_wait_xcnt 0x0
	s_or_b32 exec_lo, exec_lo, s28
.LBB34_3:                               ;   in Loop: Header=BB34_4 Depth=1
	s_add_co_i32 s24, s24, 0x10000
	s_delay_alu instid0(SALU_CYCLE_1)
	s_cmp_lt_u32 s24, s19
	s_cbranch_scc0 .LBB34_34
.LBB34_4:                               ; =>This Loop Header: Depth=1
                                        ;     Child Loop BB34_23 Depth 2
	s_and_not1_b32 vcc_lo, exec_lo, s33
	s_cbranch_vccnz .LBB34_3
; %bb.5:                                ;   in Loop: Header=BB34_4 Depth=1
	s_mul_u64 s[26:27], s[6:7], s[24:25]
	s_and_not1_b32 vcc_lo, exec_lo, s31
	s_lshl_b64 s[26:27], s[26:27], 2
	s_delay_alu instid0(SALU_CYCLE_1)
	s_add_nc_u64 s[26:27], s[12:13], s[26:27]
	s_cbranch_vccnz .LBB34_9
; %bb.6:                                ;   in Loop: Header=BB34_4 Depth=1
	s_mov_b32 s28, 0
	s_mov_b32 s35, 0
                                        ; implicit-def: $vgpr10
	s_and_saveexec_b32 s29, s0
	s_cbranch_execz .LBB34_10
; %bb.7:                                ;   in Loop: Header=BB34_4 Depth=1
	s_and_not1_b32 vcc_lo, exec_lo, s34
	s_cbranch_vccnz .LBB34_11
; %bb.8:                                ;   in Loop: Header=BB34_4 Depth=1
	s_add_nc_u64 s[36:37], s[26:27], s[22:23]
	global_load_b32 v10, v3, s[36:37]
	s_wait_loadcnt 0x0
	v_mul_f32_e32 v10, s18, v10
	s_branch .LBB34_12
.LBB34_9:                               ;   in Loop: Header=BB34_4 Depth=1
	s_mov_b32 s35, 0
                                        ; implicit-def: $vgpr10
	s_cbranch_execnz .LBB34_13
	s_branch .LBB34_32
.LBB34_10:                              ;   in Loop: Header=BB34_4 Depth=1
	s_or_b32 exec_lo, exec_lo, s29
	s_delay_alu instid0(SALU_CYCLE_1)
	s_and_b32 vcc_lo, exec_lo, s28
	s_cbranch_vccnz .LBB34_13
	s_branch .LBB34_32
.LBB34_11:                              ;   in Loop: Header=BB34_4 Depth=1
	v_mov_b32_e32 v10, 0
.LBB34_12:                              ;   in Loop: Header=BB34_4 Depth=1
	s_mov_b32 s35, exec_lo
	s_wait_xcnt 0x0
	s_or_b32 exec_lo, exec_lo, s29
	s_delay_alu instid0(SALU_CYCLE_1)
	s_and_b32 vcc_lo, exec_lo, s28
	s_cbranch_vccz .LBB34_32
.LBB34_13:                              ;   in Loop: Header=BB34_4 Depth=1
	s_mul_u64 s[28:29], s[16:17], s[24:25]
	v_mov_b32_e32 v15, 0
	s_lshl_b64 s[28:29], s[28:29], 2
	s_delay_alu instid0(SALU_CYCLE_1)
	s_add_nc_u64 s[28:29], s[10:11], s[28:29]
	s_and_saveexec_b32 s36, s3
	s_cbranch_execnz .LBB34_22
; %bb.14:                               ;   in Loop: Header=BB34_4 Depth=1
	s_or_b32 exec_lo, exec_lo, s36
	s_and_saveexec_b32 s36, s4
	s_cbranch_execnz .LBB34_25
.LBB34_15:                              ;   in Loop: Header=BB34_4 Depth=1
	s_or_b32 exec_lo, exec_lo, s36
	s_and_saveexec_b32 s28, s1
.LBB34_16:                              ;   in Loop: Header=BB34_4 Depth=1
	ds_store_b32 v12, v3
.LBB34_17:                              ;   in Loop: Header=BB34_4 Depth=1
	s_or_b32 exec_lo, exec_lo, s28
	ds_bpermute_b32 v11, v2, v15
	v_cmp_gt_u32_e32 vcc_lo, 24, v1
	s_wait_dscnt 0x0
	s_barrier_signal -1
	s_barrier_wait -1
	v_cndmask_b32_e64 v10, 0, 8, vcc_lo
	v_cmp_gt_u32_e32 vcc_lo, 28, v1
	s_delay_alu instid0(VALU_DEP_2)
	v_add_lshl_u32 v10, v10, v1, 2
	v_add_f32_e32 v15, v15, v11
	v_cndmask_b32_e64 v11, 0, 4, vcc_lo
	v_cmp_gt_u32_e32 vcc_lo, 30, v1
	ds_bpermute_b32 v16, v10, v15
	v_add_lshl_u32 v11, v11, v1, 2
	s_wait_dscnt 0x0
	v_add_f32_e32 v16, v15, v16
	v_cndmask_b32_e64 v15, 0, 2, vcc_lo
	v_cmp_ne_u32_e32 vcc_lo, 31, v1
	ds_bpermute_b32 v17, v11, v16
	v_add_lshl_u32 v15, v15, v1, 2
	v_add_co_ci_u32_e64 v18, null, 0, v1, vcc_lo
	s_wait_dscnt 0x0
	v_add_f32_e32 v16, v16, v17
	ds_bpermute_b32 v17, v15, v16
	s_wait_dscnt 0x0
	v_dual_add_f32 v17, v16, v17 :: v_dual_lshlrev_b32 v16, 2, v18
	ds_bpermute_b32 v18, v16, v17
	s_and_saveexec_b32 s28, s2
	s_cbranch_execz .LBB34_19
; %bb.18:                               ;   in Loop: Header=BB34_4 Depth=1
	s_wait_dscnt 0x0
	v_add_f32_e32 v17, v17, v18
	ds_store_b32 v13, v17
.LBB34_19:                              ;   in Loop: Header=BB34_4 Depth=1
	s_or_b32 exec_lo, exec_lo, s28
	v_mov_b32_e32 v17, 0
	s_wait_dscnt 0x0
	s_barrier_signal -1
	s_barrier_wait -1
	s_and_saveexec_b32 s28, s1
	s_cbranch_execnz .LBB34_26
; %bb.20:                               ;   in Loop: Header=BB34_4 Depth=1
	s_or_b32 exec_lo, exec_lo, s28
	s_and_saveexec_b32 s28, s1
	s_cbranch_execnz .LBB34_27
.LBB34_21:                              ;   in Loop: Header=BB34_4 Depth=1
	s_or_b32 exec_lo, exec_lo, s28
                                        ; implicit-def: $vgpr10
	s_and_saveexec_b32 s28, s0
	s_cbranch_execnz .LBB34_28
	s_branch .LBB34_31
.LBB34_22:                              ;   in Loop: Header=BB34_4 Depth=1
	v_mad_nc_u64_u32 v[10:11], s20, s24, v[8:9]
	v_dual_mov_b32 v15, 0 :: v_dual_mov_b32 v16, v0
	s_wait_dscnt 0x0
	v_mov_b32_e32 v17, v14
	s_mov_b32 s37, 0
	s_delay_alu instid0(VALU_DEP_3)
	v_mad_u32 v11, s21, s24, v11
.LBB34_23:                              ;   Parent Loop BB34_4 Depth=1
                                        ; =>  This Inner Loop Header: Depth=2
	global_load_b32 v18, v[10:11], off
	global_load_b32 v19, v17, s[28:29] scale_offset
	v_add_nc_u32_e32 v16, 0x400, v16
	s_wait_xcnt 0x1
	v_add_nc_u64_e32 v[10:11], 0x1000, v[10:11]
	s_wait_loadcnt 0x0
	s_wait_xcnt 0x0
	v_dual_add_nc_u32 v17, s5, v17 :: v_dual_fmac_f32 v15, v18, v19
	v_cmp_le_i32_e32 vcc_lo, s14, v16
	s_or_b32 s37, vcc_lo, s37
	s_delay_alu instid0(SALU_CYCLE_1)
	s_and_not1_b32 exec_lo, exec_lo, s37
	s_cbranch_execnz .LBB34_23
; %bb.24:                               ;   in Loop: Header=BB34_4 Depth=1
	s_or_b32 exec_lo, exec_lo, s37
	s_delay_alu instid0(SALU_CYCLE_1)
	s_or_b32 exec_lo, exec_lo, s36
	s_and_saveexec_b32 s36, s4
	s_cbranch_execz .LBB34_15
.LBB34_25:                              ;   in Loop: Header=BB34_4 Depth=1
	s_mul_u64 s[38:39], s[8:9], s[24:25]
	s_wait_dscnt 0x0
	v_lshl_add_u64 v[16:17], v[4:5], 2, s[28:29]
	v_lshl_add_u64 v[10:11], s[38:39], 2, v[6:7]
	s_delay_alu instid0(VALU_DEP_1)
	v_lshl_add_u64 v[10:11], s[14:15], 2, v[10:11]
	global_load_b32 v18, v[10:11], off
	global_load_b32 v19, v[16:17], off
	s_wait_loadcnt 0x0
	v_fmac_f32_e32 v15, v18, v19
	s_wait_xcnt 0x0
	s_or_b32 exec_lo, exec_lo, s36
	s_and_saveexec_b32 s28, s1
	s_cbranch_execnz .LBB34_16
	s_branch .LBB34_17
.LBB34_26:                              ;   in Loop: Header=BB34_4 Depth=1
	ds_load_b32 v17, v12
	s_or_b32 exec_lo, exec_lo, s28
	s_and_saveexec_b32 s28, s1
	s_cbranch_execz .LBB34_21
.LBB34_27:                              ;   in Loop: Header=BB34_4 Depth=1
	s_wait_dscnt 0x0
	ds_bpermute_b32 v18, v2, v17
	s_wait_dscnt 0x0
	v_add_f32_e32 v17, v17, v18
	ds_bpermute_b32 v10, v10, v17
	s_wait_dscnt 0x0
	v_add_f32_e32 v10, v17, v10
	;; [unrolled: 3-line block ×5, first 2 shown]
	s_or_b32 exec_lo, exec_lo, s28
                                        ; implicit-def: $vgpr10
	s_and_saveexec_b32 s28, s0
	s_cbranch_execz .LBB34_31
.LBB34_28:                              ;   in Loop: Header=BB34_4 Depth=1
	s_wait_dscnt 0x0
	v_mul_f32_e32 v10, s30, v17
	s_and_not1_b32 vcc_lo, exec_lo, s34
	s_cbranch_vccnz .LBB34_30
; %bb.29:                               ;   in Loop: Header=BB34_4 Depth=1
	s_add_nc_u64 s[36:37], s[26:27], s[22:23]
	global_load_b32 v11, v3, s[36:37]
	s_wait_loadcnt 0x0
	v_fmac_f32_e32 v10, s18, v11
.LBB34_30:                              ;   in Loop: Header=BB34_4 Depth=1
	s_or_b32 s35, s35, exec_lo
.LBB34_31:                              ;   in Loop: Header=BB34_4 Depth=1
	s_wait_xcnt 0x0
	s_or_b32 exec_lo, exec_lo, s28
.LBB34_32:                              ;   in Loop: Header=BB34_4 Depth=1
	s_and_saveexec_b32 s28, s35
	s_cbranch_execz .LBB34_2
; %bb.33:                               ;   in Loop: Header=BB34_4 Depth=1
	s_add_nc_u64 s[26:27], s[26:27], s[22:23]
	global_store_b32 v3, v10, s[26:27]
	s_branch .LBB34_2
.LBB34_34:
	s_endpgm
	.section	.rodata,"a",@progbits
	.p2align	6, 0x0
	.amdhsa_kernel _ZL32rocblas_gemvt_warp_reduce_kernelILb0ELi1024EifffEviiT3_lPKT2_lT1_lS3_lS4_lS0_lPT4_lS4_li
		.amdhsa_group_segment_fixed_size 128
		.amdhsa_private_segment_fixed_size 0
		.amdhsa_kernarg_size 140
		.amdhsa_user_sgpr_count 2
		.amdhsa_user_sgpr_dispatch_ptr 0
		.amdhsa_user_sgpr_queue_ptr 0
		.amdhsa_user_sgpr_kernarg_segment_ptr 1
		.amdhsa_user_sgpr_dispatch_id 0
		.amdhsa_user_sgpr_kernarg_preload_length 0
		.amdhsa_user_sgpr_kernarg_preload_offset 0
		.amdhsa_user_sgpr_private_segment_size 0
		.amdhsa_wavefront_size32 1
		.amdhsa_uses_dynamic_stack 0
		.amdhsa_enable_private_segment 0
		.amdhsa_system_sgpr_workgroup_id_x 1
		.amdhsa_system_sgpr_workgroup_id_y 0
		.amdhsa_system_sgpr_workgroup_id_z 1
		.amdhsa_system_sgpr_workgroup_info 0
		.amdhsa_system_vgpr_workitem_id 0
		.amdhsa_next_free_vgpr 20
		.amdhsa_next_free_sgpr 40
		.amdhsa_named_barrier_count 0
		.amdhsa_reserve_vcc 1
		.amdhsa_float_round_mode_32 0
		.amdhsa_float_round_mode_16_64 0
		.amdhsa_float_denorm_mode_32 3
		.amdhsa_float_denorm_mode_16_64 3
		.amdhsa_fp16_overflow 0
		.amdhsa_memory_ordered 1
		.amdhsa_forward_progress 1
		.amdhsa_inst_pref_size 11
		.amdhsa_round_robin_scheduling 0
		.amdhsa_exception_fp_ieee_invalid_op 0
		.amdhsa_exception_fp_denorm_src 0
		.amdhsa_exception_fp_ieee_div_zero 0
		.amdhsa_exception_fp_ieee_overflow 0
		.amdhsa_exception_fp_ieee_underflow 0
		.amdhsa_exception_fp_ieee_inexact 0
		.amdhsa_exception_int_div_zero 0
	.end_amdhsa_kernel
	.section	.text._ZL32rocblas_gemvt_warp_reduce_kernelILb0ELi1024EifffEviiT3_lPKT2_lT1_lS3_lS4_lS0_lPT4_lS4_li,"axG",@progbits,_ZL32rocblas_gemvt_warp_reduce_kernelILb0ELi1024EifffEviiT3_lPKT2_lT1_lS3_lS4_lS0_lPT4_lS4_li,comdat
.Lfunc_end34:
	.size	_ZL32rocblas_gemvt_warp_reduce_kernelILb0ELi1024EifffEviiT3_lPKT2_lT1_lS3_lS4_lS0_lPT4_lS4_li, .Lfunc_end34-_ZL32rocblas_gemvt_warp_reduce_kernelILb0ELi1024EifffEviiT3_lPKT2_lT1_lS3_lS4_lS0_lPT4_lS4_li
                                        ; -- End function
	.set _ZL32rocblas_gemvt_warp_reduce_kernelILb0ELi1024EifffEviiT3_lPKT2_lT1_lS3_lS4_lS0_lPT4_lS4_li.num_vgpr, 20
	.set _ZL32rocblas_gemvt_warp_reduce_kernelILb0ELi1024EifffEviiT3_lPKT2_lT1_lS3_lS4_lS0_lPT4_lS4_li.num_agpr, 0
	.set _ZL32rocblas_gemvt_warp_reduce_kernelILb0ELi1024EifffEviiT3_lPKT2_lT1_lS3_lS4_lS0_lPT4_lS4_li.numbered_sgpr, 40
	.set _ZL32rocblas_gemvt_warp_reduce_kernelILb0ELi1024EifffEviiT3_lPKT2_lT1_lS3_lS4_lS0_lPT4_lS4_li.num_named_barrier, 0
	.set _ZL32rocblas_gemvt_warp_reduce_kernelILb0ELi1024EifffEviiT3_lPKT2_lT1_lS3_lS4_lS0_lPT4_lS4_li.private_seg_size, 0
	.set _ZL32rocblas_gemvt_warp_reduce_kernelILb0ELi1024EifffEviiT3_lPKT2_lT1_lS3_lS4_lS0_lPT4_lS4_li.uses_vcc, 1
	.set _ZL32rocblas_gemvt_warp_reduce_kernelILb0ELi1024EifffEviiT3_lPKT2_lT1_lS3_lS4_lS0_lPT4_lS4_li.uses_flat_scratch, 0
	.set _ZL32rocblas_gemvt_warp_reduce_kernelILb0ELi1024EifffEviiT3_lPKT2_lT1_lS3_lS4_lS0_lPT4_lS4_li.has_dyn_sized_stack, 0
	.set _ZL32rocblas_gemvt_warp_reduce_kernelILb0ELi1024EifffEviiT3_lPKT2_lT1_lS3_lS4_lS0_lPT4_lS4_li.has_recursion, 0
	.set _ZL32rocblas_gemvt_warp_reduce_kernelILb0ELi1024EifffEviiT3_lPKT2_lT1_lS3_lS4_lS0_lPT4_lS4_li.has_indirect_call, 0
	.section	.AMDGPU.csdata,"",@progbits
; Kernel info:
; codeLenInByte = 1396
; TotalNumSgprs: 42
; NumVgprs: 20
; ScratchSize: 0
; MemoryBound: 0
; FloatMode: 240
; IeeeMode: 1
; LDSByteSize: 128 bytes/workgroup (compile time only)
; SGPRBlocks: 0
; VGPRBlocks: 1
; NumSGPRsForWavesPerEU: 42
; NumVGPRsForWavesPerEU: 20
; NamedBarCnt: 0
; Occupancy: 16
; WaveLimiterHint : 0
; COMPUTE_PGM_RSRC2:SCRATCH_EN: 0
; COMPUTE_PGM_RSRC2:USER_SGPR: 2
; COMPUTE_PGM_RSRC2:TRAP_HANDLER: 0
; COMPUTE_PGM_RSRC2:TGID_X_EN: 1
; COMPUTE_PGM_RSRC2:TGID_Y_EN: 0
; COMPUTE_PGM_RSRC2:TGID_Z_EN: 1
; COMPUTE_PGM_RSRC2:TIDIG_COMP_CNT: 0
	.section	.text._ZL32rocblas_gemvt_warp_reduce_kernelILb0ELi1024ElfffEviiT3_lPKT2_lT1_lS3_lS4_lS0_lPT4_lS4_li,"axG",@progbits,_ZL32rocblas_gemvt_warp_reduce_kernelILb0ELi1024ElfffEviiT3_lPKT2_lT1_lS3_lS4_lS0_lPT4_lS4_li,comdat
	.globl	_ZL32rocblas_gemvt_warp_reduce_kernelILb0ELi1024ElfffEviiT3_lPKT2_lT1_lS3_lS4_lS0_lPT4_lS4_li ; -- Begin function _ZL32rocblas_gemvt_warp_reduce_kernelILb0ELi1024ElfffEviiT3_lPKT2_lT1_lS3_lS4_lS0_lPT4_lS4_li
	.p2align	8
	.type	_ZL32rocblas_gemvt_warp_reduce_kernelILb0ELi1024ElfffEviiT3_lPKT2_lT1_lS3_lS4_lS0_lPT4_lS4_li,@function
_ZL32rocblas_gemvt_warp_reduce_kernelILb0ELi1024ElfffEviiT3_lPKT2_lT1_lS3_lS4_lS0_lPT4_lS4_li: ; @_ZL32rocblas_gemvt_warp_reduce_kernelILb0ELi1024ElfffEviiT3_lPKT2_lT1_lS3_lS4_lS0_lPT4_lS4_li
; %bb.0:
	s_load_b32 s5, s[0:1], 0x88
	s_bfe_u32 s2, ttmp6, 0x40014
	s_lshr_b32 s3, ttmp7, 16
	s_add_co_i32 s2, s2, 1
	s_bfe_u32 s6, ttmp6, 0x40008
	s_mul_i32 s4, s3, s2
	s_getreg_b32 s2, hwreg(HW_REG_IB_STS2, 6, 4)
	s_add_co_i32 s6, s6, s4
	s_cmp_eq_u32 s2, 0
	s_mov_b32 s7, 0
	s_cselect_b32 s6, s3, s6
	s_wait_kmcnt 0x0
	s_cmp_ge_u32 s6, s5
	s_cbranch_scc1 .LBB35_34
; %bb.1:
	s_clause 0x4
	s_load_b512 s[8:23], s[0:1], 0x18
	s_load_b256 s[24:31], s[0:1], 0x68
	s_load_b32 s33, s[0:1], 0x8
	s_load_b32 s34, s[0:1], 0x58
	;; [unrolled: 1-line block ×3, first 2 shown]
	s_wait_kmcnt 0x0
	s_lshl_b64 s[18:19], s[18:19], 2
	s_lshl_b64 s[26:27], s[26:27], 2
	;; [unrolled: 1-line block ×3, first 2 shown]
	s_cmp_eq_f32 s33, 0
	v_cmp_gt_i32_e32 vcc_lo, s4, v0
	v_mov_b32_e32 v3, 0
	s_add_nc_u64 s[16:17], s[16:17], s[18:19]
	s_cselect_b32 s35, -1, 0
	s_cmp_neq_f32 s33, 0
	v_cndmask_b32_e32 v2, 0, v0, vcc_lo
	s_add_nc_u64 s[18:19], s[24:25], s[26:27]
	s_cselect_b32 s3, -1, 0
	s_cmp_neq_f32 s34, 1.0
	s_delay_alu instid0(VALU_DEP_1) | instskip(SKIP_1) | instid1(SALU_CYCLE_1)
	v_lshlrev_b32_e32 v2, 2, v2
	s_cselect_b32 s0, -1, 0
	s_or_b32 s36, s3, s0
	s_cmp_neq_f32 s34, 0
	s_cselect_b32 s37, -1, 0
	s_bfe_u32 s0, ttmp6, 0x4000c
	s_and_b32 s1, ttmp6, 15
	s_add_co_i32 s0, s0, 1
	s_delay_alu instid0(SALU_CYCLE_1) | instskip(NEXT) | instid1(SALU_CYCLE_1)
	s_mul_i32 s0, ttmp9, s0
	s_add_co_i32 s1, s1, s0
	s_cmp_eq_u32 s2, 0
	s_cselect_b32 s2, ttmp9, s1
	s_ashr_i32 s0, s4, 31
	s_ashr_i32 s3, s2, 31
	s_lshr_b32 s0, s0, 22
	s_mul_u64 s[12:13], s[12:13], s[2:3]
	s_add_co_i32 s0, s4, s0
	s_lshl_b64 s[12:13], s[12:13], 2
	s_and_b32 s10, s0, 0xfffffc00
	s_delay_alu instid0(SALU_CYCLE_1) | instskip(SKIP_3) | instid1(VALU_DEP_2)
	v_dual_mov_b32 v1, v3 :: v_dual_bitop2_b32 v8, s10, v0 bitop3:0x54
	s_add_nc_u64 s[0:1], s[8:9], s[38:39]
	s_mul_u64 s[24:25], s[28:29], s[2:3]
	v_cmp_gt_u32_e64 s3, 32, v0
	v_mul_u64_e32 v[10:11], s[20:21], v[0:1]
	v_ashrrev_i32_e32 v9, 31, v8
	v_add_nc_u64_e32 v[6:7], s[0:1], v[2:3]
	v_cmp_gt_i32_e64 s2, s4, v8
	v_cmp_eq_u32_e64 s0, 0, v0
	v_cmp_gt_i32_e64 s1, s10, v0
	v_mul_u64_e32 v[4:5], s[20:21], v[8:9]
	v_dual_lshrrev_b32 v8, 3, v0 :: v_dual_bitop2_b32 v9, 31, v0 bitop3:0x40
	v_add_nc_u64_e32 v[6:7], s[12:13], v[6:7]
	s_add_nc_u64 s[12:13], s[12:13], s[38:39]
	s_ashr_i32 s11, s10, 31
	s_add_nc_u64 s[8:9], s[8:9], s[12:13]
	v_lshlrev_b32_e32 v1, 2, v9
	v_cmp_eq_u32_e64 s4, 0, v9
	v_and_b32_e32 v16, 0x7c, v8
	v_add_nc_u64_e32 v[8:9], s[8:9], v[2:3]
	v_mbcnt_lo_u32_b32 v2, -1, 0
	s_lshl_b64 s[8:9], s[14:15], 2
	s_lshl_b64 s[12:13], s[22:23], 2
	s_lshl_b64 s[20:21], s[20:21], 12
	s_lshl_b64 s[24:25], s[24:25], 2
	v_lshl_or_b32 v17, v2, 2, 64
	v_lshl_add_u64 v[10:11], v[10:11], 2, s[16:17]
	s_branch .LBB35_4
.LBB35_2:                               ;   in Loop: Header=BB35_4 Depth=1
	s_wait_xcnt 0x0
	s_or_b32 exec_lo, exec_lo, s29
.LBB35_3:                               ;   in Loop: Header=BB35_4 Depth=1
	s_add_co_i32 s6, s6, 0x10000
	s_delay_alu instid0(SALU_CYCLE_1)
	s_cmp_lt_u32 s6, s5
	s_cbranch_scc0 .LBB35_34
.LBB35_4:                               ; =>This Loop Header: Depth=1
                                        ;     Child Loop BB35_23 Depth 2
	s_and_not1_b32 vcc_lo, exec_lo, s36
	s_cbranch_vccnz .LBB35_3
; %bb.5:                                ;   in Loop: Header=BB35_4 Depth=1
	s_mul_u64 s[26:27], s[30:31], s[6:7]
	s_and_not1_b32 vcc_lo, exec_lo, s35
	s_lshl_b64 s[26:27], s[26:27], 2
	s_delay_alu instid0(SALU_CYCLE_1)
	s_add_nc_u64 s[26:27], s[18:19], s[26:27]
	s_cbranch_vccnz .LBB35_9
; %bb.6:                                ;   in Loop: Header=BB35_4 Depth=1
	s_mov_b32 s29, 0
	s_mov_b32 s28, 0
                                        ; implicit-def: $vgpr12
	s_and_saveexec_b32 s38, s0
	s_cbranch_execz .LBB35_10
; %bb.7:                                ;   in Loop: Header=BB35_4 Depth=1
	s_and_not1_b32 vcc_lo, exec_lo, s37
	s_cbranch_vccnz .LBB35_11
; %bb.8:                                ;   in Loop: Header=BB35_4 Depth=1
	s_add_nc_u64 s[40:41], s[26:27], s[24:25]
	global_load_b32 v12, v3, s[40:41]
	s_wait_loadcnt 0x0
	v_mul_f32_e32 v12, s34, v12
	s_branch .LBB35_12
.LBB35_9:                               ;   in Loop: Header=BB35_4 Depth=1
	s_mov_b32 s28, 0
                                        ; implicit-def: $vgpr12
	s_cbranch_execnz .LBB35_13
	s_branch .LBB35_32
.LBB35_10:                              ;   in Loop: Header=BB35_4 Depth=1
	s_or_b32 exec_lo, exec_lo, s38
	s_delay_alu instid0(SALU_CYCLE_1)
	s_and_b32 vcc_lo, exec_lo, s29
	s_cbranch_vccnz .LBB35_13
	s_branch .LBB35_32
.LBB35_11:                              ;   in Loop: Header=BB35_4 Depth=1
	v_mov_b32_e32 v12, 0
.LBB35_12:                              ;   in Loop: Header=BB35_4 Depth=1
	s_mov_b32 s28, exec_lo
	s_wait_xcnt 0x0
	s_or_b32 exec_lo, exec_lo, s38
	s_delay_alu instid0(SALU_CYCLE_1)
	s_and_b32 vcc_lo, exec_lo, s29
	s_cbranch_vccz .LBB35_32
.LBB35_13:                              ;   in Loop: Header=BB35_4 Depth=1
	s_wait_dscnt 0x0
	v_mov_b32_e32 v18, 0
	s_and_saveexec_b32 s29, s1
	s_cbranch_execnz .LBB35_22
; %bb.14:                               ;   in Loop: Header=BB35_4 Depth=1
	s_or_b32 exec_lo, exec_lo, s29
	s_and_saveexec_b32 s29, s2
	s_cbranch_execnz .LBB35_25
.LBB35_15:                              ;   in Loop: Header=BB35_4 Depth=1
	s_or_b32 exec_lo, exec_lo, s29
	s_and_saveexec_b32 s29, s3
.LBB35_16:                              ;   in Loop: Header=BB35_4 Depth=1
	ds_store_b32 v1, v3
.LBB35_17:                              ;   in Loop: Header=BB35_4 Depth=1
	s_or_b32 exec_lo, exec_lo, s29
	ds_bpermute_b32 v13, v17, v18
	v_cmp_gt_u32_e32 vcc_lo, 24, v2
	s_wait_dscnt 0x0
	s_barrier_signal -1
	s_barrier_wait -1
	v_cndmask_b32_e64 v12, 0, 8, vcc_lo
	v_cmp_gt_u32_e32 vcc_lo, 28, v2
	s_delay_alu instid0(VALU_DEP_2)
	v_add_lshl_u32 v12, v12, v2, 2
	v_add_f32_e32 v14, v18, v13
	v_cndmask_b32_e64 v13, 0, 4, vcc_lo
	v_cmp_gt_u32_e32 vcc_lo, 30, v2
	ds_bpermute_b32 v15, v12, v14
	v_add_lshl_u32 v13, v13, v2, 2
	s_wait_dscnt 0x0
	v_add_f32_e32 v15, v14, v15
	v_cndmask_b32_e64 v14, 0, 2, vcc_lo
	v_cmp_ne_u32_e32 vcc_lo, 31, v2
	ds_bpermute_b32 v18, v13, v15
	v_add_lshl_u32 v14, v14, v2, 2
	v_add_co_ci_u32_e64 v19, null, 0, v2, vcc_lo
	s_wait_dscnt 0x0
	v_add_f32_e32 v15, v15, v18
	ds_bpermute_b32 v18, v14, v15
	s_wait_dscnt 0x0
	v_dual_add_f32 v18, v15, v18 :: v_dual_lshlrev_b32 v15, 2, v19
	ds_bpermute_b32 v19, v15, v18
	s_and_saveexec_b32 s29, s4
	s_cbranch_execz .LBB35_19
; %bb.18:                               ;   in Loop: Header=BB35_4 Depth=1
	s_wait_dscnt 0x0
	v_add_f32_e32 v18, v18, v19
	ds_store_b32 v16, v18
.LBB35_19:                              ;   in Loop: Header=BB35_4 Depth=1
	s_or_b32 exec_lo, exec_lo, s29
	v_mov_b32_e32 v18, 0
	s_wait_dscnt 0x0
	s_barrier_signal -1
	s_barrier_wait -1
	s_and_saveexec_b32 s29, s3
	s_cbranch_execnz .LBB35_26
; %bb.20:                               ;   in Loop: Header=BB35_4 Depth=1
	s_or_b32 exec_lo, exec_lo, s29
	s_and_saveexec_b32 s29, s3
	s_cbranch_execnz .LBB35_27
.LBB35_21:                              ;   in Loop: Header=BB35_4 Depth=1
	s_or_b32 exec_lo, exec_lo, s29
                                        ; implicit-def: $vgpr12
	s_and_saveexec_b32 s29, s0
	s_cbranch_execnz .LBB35_28
	s_branch .LBB35_31
.LBB35_22:                              ;   in Loop: Header=BB35_4 Depth=1
	v_mad_nc_u64_u32 v[12:13], s8, s6, v[8:9]
	v_mad_nc_u64_u32 v[14:15], s12, s6, v[10:11]
	v_dual_mov_b32 v18, 0 :: v_dual_mov_b32 v19, v0
	s_mov_b32 s38, 0
	s_delay_alu instid0(VALU_DEP_3) | instskip(NEXT) | instid1(VALU_DEP_3)
	v_mad_u32 v13, s9, s6, v13
	v_mad_u32 v15, s13, s6, v15
.LBB35_23:                              ;   Parent Loop BB35_4 Depth=1
                                        ; =>  This Inner Loop Header: Depth=2
	global_load_b32 v20, v[12:13], off
	global_load_b32 v21, v[14:15], off
	v_add_nc_u32_e32 v19, 0x400, v19
	s_wait_xcnt 0x1
	v_add_nc_u64_e32 v[12:13], 0x1000, v[12:13]
	s_wait_xcnt 0x0
	v_add_nc_u64_e32 v[14:15], s[20:21], v[14:15]
	s_wait_loadcnt 0x0
	v_fmac_f32_e32 v18, v20, v21
	v_cmp_le_i32_e32 vcc_lo, s10, v19
	s_or_b32 s38, vcc_lo, s38
	s_delay_alu instid0(SALU_CYCLE_1)
	s_and_not1_b32 exec_lo, exec_lo, s38
	s_cbranch_execnz .LBB35_23
; %bb.24:                               ;   in Loop: Header=BB35_4 Depth=1
	s_or_b32 exec_lo, exec_lo, s38
	s_delay_alu instid0(SALU_CYCLE_1)
	s_or_b32 exec_lo, exec_lo, s29
	s_and_saveexec_b32 s29, s2
	s_cbranch_execz .LBB35_15
.LBB35_25:                              ;   in Loop: Header=BB35_4 Depth=1
	s_mul_u64 s[38:39], s[14:15], s[6:7]
	s_mul_u64 s[40:41], s[22:23], s[6:7]
	v_lshl_add_u64 v[12:13], s[38:39], 2, v[6:7]
	s_lshl_b64 s[38:39], s[40:41], 2
	s_delay_alu instid0(SALU_CYCLE_1) | instskip(NEXT) | instid1(SALU_CYCLE_1)
	s_add_nc_u64 s[38:39], s[16:17], s[38:39]
	v_lshl_add_u64 v[14:15], v[4:5], 2, s[38:39]
	s_delay_alu instid0(VALU_DEP_2)
	v_lshl_add_u64 v[12:13], s[10:11], 2, v[12:13]
	global_load_b32 v19, v[12:13], off
	global_load_b32 v20, v[14:15], off
	s_wait_loadcnt 0x0
	v_fmac_f32_e32 v18, v19, v20
	s_wait_xcnt 0x0
	s_or_b32 exec_lo, exec_lo, s29
	s_and_saveexec_b32 s29, s3
	s_cbranch_execnz .LBB35_16
	s_branch .LBB35_17
.LBB35_26:                              ;   in Loop: Header=BB35_4 Depth=1
	ds_load_b32 v18, v1
	s_or_b32 exec_lo, exec_lo, s29
	s_and_saveexec_b32 s29, s3
	s_cbranch_execz .LBB35_21
.LBB35_27:                              ;   in Loop: Header=BB35_4 Depth=1
	s_wait_dscnt 0x0
	ds_bpermute_b32 v19, v17, v18
	s_wait_dscnt 0x0
	v_add_f32_e32 v18, v18, v19
	ds_bpermute_b32 v12, v12, v18
	s_wait_dscnt 0x0
	v_add_f32_e32 v12, v18, v12
	;; [unrolled: 3-line block ×5, first 2 shown]
	s_or_b32 exec_lo, exec_lo, s29
                                        ; implicit-def: $vgpr12
	s_and_saveexec_b32 s29, s0
	s_cbranch_execz .LBB35_31
.LBB35_28:                              ;   in Loop: Header=BB35_4 Depth=1
	s_wait_dscnt 0x0
	v_mul_f32_e32 v12, s33, v18
	s_and_not1_b32 vcc_lo, exec_lo, s37
	s_cbranch_vccnz .LBB35_30
; %bb.29:                               ;   in Loop: Header=BB35_4 Depth=1
	s_add_nc_u64 s[38:39], s[26:27], s[24:25]
	global_load_b32 v13, v3, s[38:39]
	s_wait_loadcnt 0x0
	v_fmac_f32_e32 v12, s34, v13
.LBB35_30:                              ;   in Loop: Header=BB35_4 Depth=1
	s_or_b32 s28, s28, exec_lo
.LBB35_31:                              ;   in Loop: Header=BB35_4 Depth=1
	s_wait_xcnt 0x0
	s_or_b32 exec_lo, exec_lo, s29
.LBB35_32:                              ;   in Loop: Header=BB35_4 Depth=1
	s_and_saveexec_b32 s29, s28
	s_cbranch_execz .LBB35_2
; %bb.33:                               ;   in Loop: Header=BB35_4 Depth=1
	s_add_nc_u64 s[26:27], s[26:27], s[24:25]
	global_store_b32 v3, v12, s[26:27]
	s_branch .LBB35_2
.LBB35_34:
	s_endpgm
	.section	.rodata,"a",@progbits
	.p2align	6, 0x0
	.amdhsa_kernel _ZL32rocblas_gemvt_warp_reduce_kernelILb0ELi1024ElfffEviiT3_lPKT2_lT1_lS3_lS4_lS0_lPT4_lS4_li
		.amdhsa_group_segment_fixed_size 128
		.amdhsa_private_segment_fixed_size 0
		.amdhsa_kernarg_size 140
		.amdhsa_user_sgpr_count 2
		.amdhsa_user_sgpr_dispatch_ptr 0
		.amdhsa_user_sgpr_queue_ptr 0
		.amdhsa_user_sgpr_kernarg_segment_ptr 1
		.amdhsa_user_sgpr_dispatch_id 0
		.amdhsa_user_sgpr_kernarg_preload_length 0
		.amdhsa_user_sgpr_kernarg_preload_offset 0
		.amdhsa_user_sgpr_private_segment_size 0
		.amdhsa_wavefront_size32 1
		.amdhsa_uses_dynamic_stack 0
		.amdhsa_enable_private_segment 0
		.amdhsa_system_sgpr_workgroup_id_x 1
		.amdhsa_system_sgpr_workgroup_id_y 0
		.amdhsa_system_sgpr_workgroup_id_z 1
		.amdhsa_system_sgpr_workgroup_info 0
		.amdhsa_system_vgpr_workitem_id 0
		.amdhsa_next_free_vgpr 22
		.amdhsa_next_free_sgpr 42
		.amdhsa_named_barrier_count 0
		.amdhsa_reserve_vcc 1
		.amdhsa_float_round_mode_32 0
		.amdhsa_float_round_mode_16_64 0
		.amdhsa_float_denorm_mode_32 3
		.amdhsa_float_denorm_mode_16_64 3
		.amdhsa_fp16_overflow 0
		.amdhsa_memory_ordered 1
		.amdhsa_forward_progress 1
		.amdhsa_inst_pref_size 11
		.amdhsa_round_robin_scheduling 0
		.amdhsa_exception_fp_ieee_invalid_op 0
		.amdhsa_exception_fp_denorm_src 0
		.amdhsa_exception_fp_ieee_div_zero 0
		.amdhsa_exception_fp_ieee_overflow 0
		.amdhsa_exception_fp_ieee_underflow 0
		.amdhsa_exception_fp_ieee_inexact 0
		.amdhsa_exception_int_div_zero 0
	.end_amdhsa_kernel
	.section	.text._ZL32rocblas_gemvt_warp_reduce_kernelILb0ELi1024ElfffEviiT3_lPKT2_lT1_lS3_lS4_lS0_lPT4_lS4_li,"axG",@progbits,_ZL32rocblas_gemvt_warp_reduce_kernelILb0ELi1024ElfffEviiT3_lPKT2_lT1_lS3_lS4_lS0_lPT4_lS4_li,comdat
.Lfunc_end35:
	.size	_ZL32rocblas_gemvt_warp_reduce_kernelILb0ELi1024ElfffEviiT3_lPKT2_lT1_lS3_lS4_lS0_lPT4_lS4_li, .Lfunc_end35-_ZL32rocblas_gemvt_warp_reduce_kernelILb0ELi1024ElfffEviiT3_lPKT2_lT1_lS3_lS4_lS0_lPT4_lS4_li
                                        ; -- End function
	.set _ZL32rocblas_gemvt_warp_reduce_kernelILb0ELi1024ElfffEviiT3_lPKT2_lT1_lS3_lS4_lS0_lPT4_lS4_li.num_vgpr, 22
	.set _ZL32rocblas_gemvt_warp_reduce_kernelILb0ELi1024ElfffEviiT3_lPKT2_lT1_lS3_lS4_lS0_lPT4_lS4_li.num_agpr, 0
	.set _ZL32rocblas_gemvt_warp_reduce_kernelILb0ELi1024ElfffEviiT3_lPKT2_lT1_lS3_lS4_lS0_lPT4_lS4_li.numbered_sgpr, 42
	.set _ZL32rocblas_gemvt_warp_reduce_kernelILb0ELi1024ElfffEviiT3_lPKT2_lT1_lS3_lS4_lS0_lPT4_lS4_li.num_named_barrier, 0
	.set _ZL32rocblas_gemvt_warp_reduce_kernelILb0ELi1024ElfffEviiT3_lPKT2_lT1_lS3_lS4_lS0_lPT4_lS4_li.private_seg_size, 0
	.set _ZL32rocblas_gemvt_warp_reduce_kernelILb0ELi1024ElfffEviiT3_lPKT2_lT1_lS3_lS4_lS0_lPT4_lS4_li.uses_vcc, 1
	.set _ZL32rocblas_gemvt_warp_reduce_kernelILb0ELi1024ElfffEviiT3_lPKT2_lT1_lS3_lS4_lS0_lPT4_lS4_li.uses_flat_scratch, 0
	.set _ZL32rocblas_gemvt_warp_reduce_kernelILb0ELi1024ElfffEviiT3_lPKT2_lT1_lS3_lS4_lS0_lPT4_lS4_li.has_dyn_sized_stack, 0
	.set _ZL32rocblas_gemvt_warp_reduce_kernelILb0ELi1024ElfffEviiT3_lPKT2_lT1_lS3_lS4_lS0_lPT4_lS4_li.has_recursion, 0
	.set _ZL32rocblas_gemvt_warp_reduce_kernelILb0ELi1024ElfffEviiT3_lPKT2_lT1_lS3_lS4_lS0_lPT4_lS4_li.has_indirect_call, 0
	.section	.AMDGPU.csdata,"",@progbits
; Kernel info:
; codeLenInByte = 1336
; TotalNumSgprs: 44
; NumVgprs: 22
; ScratchSize: 0
; MemoryBound: 0
; FloatMode: 240
; IeeeMode: 1
; LDSByteSize: 128 bytes/workgroup (compile time only)
; SGPRBlocks: 0
; VGPRBlocks: 1
; NumSGPRsForWavesPerEU: 44
; NumVGPRsForWavesPerEU: 22
; NamedBarCnt: 0
; Occupancy: 16
; WaveLimiterHint : 0
; COMPUTE_PGM_RSRC2:SCRATCH_EN: 0
; COMPUTE_PGM_RSRC2:USER_SGPR: 2
; COMPUTE_PGM_RSRC2:TRAP_HANDLER: 0
; COMPUTE_PGM_RSRC2:TGID_X_EN: 1
; COMPUTE_PGM_RSRC2:TGID_Y_EN: 0
; COMPUTE_PGM_RSRC2:TGID_Z_EN: 1
; COMPUTE_PGM_RSRC2:TIDIG_COMP_CNT: 0
	.section	.text._ZL22rocblas_gemvtsm_kernelILb1ELi256EfPKffEviiT2_lPKT1_lilS5_lilS2_lPT3_lil,"axG",@progbits,_ZL22rocblas_gemvtsm_kernelILb1ELi256EfPKffEviiT2_lPKT1_lilS5_lilS2_lPT3_lil,comdat
	.globl	_ZL22rocblas_gemvtsm_kernelILb1ELi256EfPKffEviiT2_lPKT1_lilS5_lilS2_lPT3_lil ; -- Begin function _ZL22rocblas_gemvtsm_kernelILb1ELi256EfPKffEviiT2_lPKT1_lilS5_lilS2_lPT3_lil
	.p2align	8
	.type	_ZL22rocblas_gemvtsm_kernelILb1ELi256EfPKffEviiT2_lPKT1_lilS5_lilS2_lPT3_lil,@function
_ZL22rocblas_gemvtsm_kernelILb1ELi256EfPKffEviiT2_lPKT1_lilS5_lilS2_lPT3_lil: ; @_ZL22rocblas_gemvtsm_kernelILb1ELi256EfPKffEviiT2_lPKT1_lilS5_lilS2_lPT3_lil
; %bb.0:
	s_clause 0x1
	s_load_b256 s[4:11], s[0:1], 0x8
	s_load_b256 s[12:19], s[0:1], 0x50
	s_bfe_u32 s2, ttmp6, 0x4000c
	s_and_b32 s3, ttmp6, 15
	s_add_co_i32 s2, s2, 1
	s_getreg_b32 s20, hwreg(HW_REG_IB_STS2, 6, 4)
	s_mul_i32 s2, ttmp9, s2
	s_mov_b32 s25, 0
	s_add_co_i32 s3, s3, s2
	s_cmp_eq_u32 s20, 0
	s_cselect_b32 s24, ttmp9, s3
	s_wait_kmcnt 0x0
	s_mul_u64 s[2:3], s[6:7], s[24:25]
	s_delay_alu instid0(SALU_CYCLE_1) | instskip(NEXT) | instid1(SALU_CYCLE_1)
	s_lshl_b64 s[2:3], s[2:3], 2
	s_add_nc_u64 s[2:3], s[4:5], s[2:3]
	s_mul_u64 s[4:5], s[16:17], s[24:25]
	s_load_b32 s26, s[2:3], 0x0
	s_wait_xcnt 0x0
	s_lshl_b64 s[2:3], s[4:5], 2
	s_delay_alu instid0(SALU_CYCLE_1)
	s_add_nc_u64 s[2:3], s[14:15], s[2:3]
	s_load_b32 s23, s[2:3], 0x0
	s_wait_kmcnt 0x0
	s_cmp_eq_f32 s26, 0
	s_cselect_b32 s2, -1, 0
	s_cmp_eq_f32 s23, 1.0
	s_cselect_b32 s3, -1, 0
	s_delay_alu instid0(SALU_CYCLE_1) | instskip(NEXT) | instid1(SALU_CYCLE_1)
	s_and_b32 s2, s2, s3
	s_and_b32 vcc_lo, exec_lo, s2
	s_cbranch_vccnz .LBB36_34
; %bb.1:
	s_clause 0x2
	s_load_b64 s[4:5], s[0:1], 0x80
	s_load_b96 s[20:22], s[0:1], 0x70
	s_load_b64 s[2:3], s[0:1], 0x0
	s_cmp_neq_f32 s26, 0
	s_wait_kmcnt 0x0
	s_mul_u64 s[14:15], s[4:5], s[24:25]
	s_cbranch_scc1 .LBB36_9
; %bb.2:
	s_cmp_gt_i32 s3, 0
	s_cselect_b32 s6, -1, 0
	s_cmp_neq_f32 s23, 0
	v_cndmask_b32_e64 v1, 0, 1, s6
	s_delay_alu instid0(VALU_DEP_1)
	v_cmp_ne_u32_e32 vcc_lo, 1, v1
	s_cbranch_scc1 .LBB36_10
; %bb.3:
	s_and_b32 vcc_lo, exec_lo, vcc_lo
	s_cbranch_vccnz .LBB36_8
; %bb.4:
	v_mov_b32_e32 v1, 0
	s_ashr_i32 s5, s22, 31
	s_mov_b32 s4, s22
	s_lshl_b64 s[16:17], s[20:21], 2
	s_lshl_b64 s[28:29], s[14:15], 2
	v_mul_u64_e32 v[2:3], s[4:5], v[0:1]
	s_add_nc_u64 s[16:17], s[18:19], s[16:17]
	s_lshl_b64 s[4:5], s[4:5], 10
	s_add_nc_u64 s[16:17], s[16:17], s[28:29]
	s_mov_b32 s7, 0
	s_delay_alu instid0(VALU_DEP_1)
	v_lshl_add_u64 v[2:3], v[2:3], 2, s[16:17]
	s_branch .LBB36_6
.LBB36_5:                               ;   in Loop: Header=BB36_6 Depth=1
	s_wait_xcnt 0x0
	s_or_b32 exec_lo, exec_lo, s16
	v_add_nc_u64_e32 v[2:3], s[4:5], v[2:3]
	s_addk_co_i32 s7, 0x100
	s_delay_alu instid0(SALU_CYCLE_1)
	s_cmp_ge_i32 s7, s3
	s_cbranch_scc1 .LBB36_8
.LBB36_6:                               ; =>This Inner Loop Header: Depth=1
	v_add_nc_u32_e32 v4, s7, v0
	s_mov_b32 s16, exec_lo
	s_delay_alu instid0(VALU_DEP_1)
	v_cmpx_gt_i32_e64 s3, v4
	s_cbranch_execz .LBB36_5
; %bb.7:                                ;   in Loop: Header=BB36_6 Depth=1
	global_store_b32 v[2:3], v1, off
	s_branch .LBB36_5
.LBB36_8:
	s_cbranch_execz .LBB36_11
	s_branch .LBB36_16
.LBB36_9:
	s_branch .LBB36_17
.LBB36_10:
.LBB36_11:
	s_and_not1_b32 vcc_lo, exec_lo, s6
	s_cbranch_vccnz .LBB36_16
; %bb.12:
	v_mov_b32_e32 v1, 0
	s_ashr_i32 s5, s22, 31
	s_mov_b32 s4, s22
	s_lshl_b64 s[6:7], s[20:21], 2
	s_lshl_b64 s[16:17], s[14:15], 2
	v_mul_u64_e32 v[2:3], s[4:5], v[0:1]
	s_add_nc_u64 s[6:7], s[18:19], s[6:7]
	s_lshl_b64 s[4:5], s[4:5], 10
	s_add_nc_u64 s[6:7], s[6:7], s[16:17]
	s_delay_alu instid0(VALU_DEP_1) | instid1(SALU_CYCLE_1)
	v_lshl_add_u64 v[2:3], v[2:3], 2, s[6:7]
	s_mov_b32 s6, 0
	s_branch .LBB36_14
.LBB36_13:                              ;   in Loop: Header=BB36_14 Depth=1
	s_wait_xcnt 0x0
	s_or_b32 exec_lo, exec_lo, s7
	v_add_nc_u64_e32 v[2:3], s[4:5], v[2:3]
	s_addk_co_i32 s6, 0x100
	s_delay_alu instid0(SALU_CYCLE_1)
	s_cmp_ge_i32 s6, s3
	s_cbranch_scc1 .LBB36_16
.LBB36_14:                              ; =>This Inner Loop Header: Depth=1
	v_add_nc_u32_e32 v1, s6, v0
	s_mov_b32 s7, exec_lo
	s_delay_alu instid0(VALU_DEP_1)
	v_cmpx_gt_i32_e64 s3, v1
	s_cbranch_execz .LBB36_13
; %bb.15:                               ;   in Loop: Header=BB36_14 Depth=1
	global_load_b32 v1, v[2:3], off
	s_wait_loadcnt 0x0
	v_mul_f32_e32 v1, s23, v1
	global_store_b32 v[2:3], v1, off
	s_branch .LBB36_13
.LBB36_16:
	s_cbranch_execnz .LBB36_34
.LBB36_17:
	s_clause 0x1
	s_load_b128 s[4:7], s[0:1], 0x30
	s_load_b64 s[16:17], s[0:1], 0x40
	s_mov_b32 s27, exec_lo
	v_cmpx_gt_i32_e64 s2, v0
	s_cbranch_execz .LBB36_19
; %bb.18:
	s_load_b32 s28, s[0:1], 0x48
	v_mov_b32_e32 v1, 0
	s_mul_u64 s[12:13], s[12:13], s[24:25]
	s_wait_kmcnt 0x0
	s_lshl_b64 s[16:17], s[16:17], 2
	s_lshl_b64 s[12:13], s[12:13], 2
	s_delay_alu instid0(SALU_CYCLE_1) | instskip(NEXT) | instid1(SALU_CYCLE_1)
	s_add_nc_u64 s[6:7], s[6:7], s[12:13]
	s_add_nc_u64 s[6:7], s[6:7], s[16:17]
	s_ashr_i32 s29, s28, 31
	s_delay_alu instid0(SALU_CYCLE_1) | instskip(NEXT) | instid1(VALU_DEP_1)
	v_mul_u64_e32 v[2:3], s[28:29], v[0:1]
	v_lshl_add_u64 v[2:3], v[2:3], 2, s[6:7]
	global_load_b32 v1, v[2:3], off
	s_wait_loadcnt 0x0
	v_dual_mul_f32 v1, s26, v1 :: v_dual_lshlrev_b32 v2, 2, v0
	ds_store_b32 v2, v1
.LBB36_19:
	s_or_b32 exec_lo, exec_lo, s27
	s_cmp_lt_i32 s3, 1
	s_wait_storecnt_dscnt 0x0
	s_barrier_signal -1
	s_barrier_wait -1
	s_cbranch_scc1 .LBB36_34
; %bb.20:
	s_load_b32 s26, s[0:1], 0x28
	v_mov_b32_e32 v3, 0
	s_wait_kmcnt 0x0
	s_lshl_b64 s[6:7], s[14:15], 2
	s_lshl_b64 s[20:21], s[20:21], 2
	s_ashr_i32 s1, s22, 31
	s_mul_u64 s[4:5], s[4:5], s[24:25]
	v_mov_b32_e32 v1, v3
	s_mov_b32 s0, s22
	s_ashr_i32 s27, s26, 31
	s_cmp_neq_f32 s23, 0
	s_delay_alu instid0(VALU_DEP_1)
	v_mul_u64_e32 v[4:5], s[26:27], v[0:1]
	s_cselect_b32 s12, -1, 0
	s_cmp_gt_i32 s2, 0
	s_cselect_b32 s13, -1, 0
	s_and_b32 s14, s2, 7
	s_cmp_gt_u32 s2, 7
	s_cselect_b32 s15, -1, 0
	s_and_b32 s2, s2, 0x7ffffff8
	s_cmp_lg_u32 s14, 0
	s_cselect_b32 s16, -1, 0
	s_lshl_b64 s[10:11], s[10:11], 2
	s_lshl_b64 s[4:5], s[4:5], 2
	s_add_nc_u64 s[8:9], s[8:9], s[10:11]
	s_mov_b32 s10, 0
	s_add_nc_u64 s[4:5], s[8:9], s[4:5]
	s_lshl_b64 s[8:9], s[26:27], 10
	s_delay_alu instid0(VALU_DEP_1) | instskip(SKIP_3) | instid1(VALU_DEP_1)
	v_lshl_add_u64 v[4:5], v[4:5], 2, s[4:5]
	s_add_nc_u64 s[4:5], s[18:19], s[6:7]
	s_mov_b32 s7, 0
	s_add_nc_u64 s[4:5], s[4:5], s[20:21]
	v_add_nc_u64_e32 v[6:7], 28, v[4:5]
	s_branch .LBB36_23
.LBB36_21:                              ;   in Loop: Header=BB36_23 Depth=1
	global_store_b32 v[8:9], v1, off
.LBB36_22:                              ;   in Loop: Header=BB36_23 Depth=1
	s_wait_xcnt 0x0
	s_or_b32 exec_lo, exec_lo, s11
	v_add_nc_u64_e32 v[6:7], s[8:9], v[6:7]
	v_add_nc_u64_e32 v[4:5], s[8:9], v[4:5]
	s_addk_co_i32 s10, 0x100
	s_delay_alu instid0(SALU_CYCLE_1)
	s_cmp_ge_i32 s10, s3
	s_cbranch_scc1 .LBB36_34
.LBB36_23:                              ; =>This Loop Header: Depth=1
                                        ;     Child Loop BB36_29 Depth 2
                                        ;     Child Loop BB36_33 Depth 2
	v_add_nc_u32_e32 v2, s10, v0
	s_mov_b32 s11, exec_lo
	s_delay_alu instid0(VALU_DEP_1)
	v_cmpx_gt_i32_e64 s3, v2
	s_cbranch_execz .LBB36_22
; %bb.24:                               ;   in Loop: Header=BB36_23 Depth=1
	v_mul_u64_e32 v[8:9], s[0:1], v[2:3]
	s_and_not1_b32 vcc_lo, exec_lo, s12
	s_delay_alu instid0(VALU_DEP_1)
	v_lshl_add_u64 v[8:9], v[8:9], 2, s[4:5]
	s_cbranch_vccnz .LBB36_26
; %bb.25:                               ;   in Loop: Header=BB36_23 Depth=1
	global_load_b32 v1, v[8:9], off
	s_wait_loadcnt 0x0
	v_mul_f32_e32 v1, s23, v1
	s_and_not1_b32 vcc_lo, exec_lo, s13
	s_cbranch_vccz .LBB36_27
	s_branch .LBB36_21
.LBB36_26:                              ;   in Loop: Header=BB36_23 Depth=1
	v_mov_b32_e32 v1, 0
	s_and_not1_b32 vcc_lo, exec_lo, s13
	s_cbranch_vccnz .LBB36_21
.LBB36_27:                              ;   in Loop: Header=BB36_23 Depth=1
	s_and_not1_b32 vcc_lo, exec_lo, s15
	s_mov_b32 s6, 0
	s_cbranch_vccnz .LBB36_31
; %bb.28:                               ;   in Loop: Header=BB36_23 Depth=1
	v_mov_b64_e32 v[10:11], v[6:7]
	s_mov_b32 s17, 0
.LBB36_29:                              ;   Parent Loop BB36_23 Depth=1
                                        ; =>  This Inner Loop Header: Depth=2
	s_clause 0x1
	global_load_b128 v[12:15], v[10:11], off offset:-28
	global_load_b128 v[16:19], v[10:11], off offset:-12
	v_mov_b32_e32 v2, s6
	s_wait_xcnt 0x0
	v_add_nc_u64_e32 v[10:11], 32, v[10:11]
	s_add_co_i32 s17, s17, 8
	s_add_co_i32 s6, s6, 32
	ds_load_b128 v[20:23], v2
	ds_load_b128 v[24:27], v2 offset:16
	s_cmp_eq_u32 s2, s17
	s_wait_loadcnt_dscnt 0x101
	v_fmac_f32_e32 v1, v20, v12
	s_delay_alu instid0(VALU_DEP_1) | instskip(NEXT) | instid1(VALU_DEP_1)
	v_fmac_f32_e32 v1, v21, v13
	v_fmac_f32_e32 v1, v22, v14
	s_delay_alu instid0(VALU_DEP_1) | instskip(SKIP_1) | instid1(VALU_DEP_1)
	v_fmac_f32_e32 v1, v23, v15
	s_wait_loadcnt_dscnt 0x0
	v_fmac_f32_e32 v1, v24, v16
	s_delay_alu instid0(VALU_DEP_1) | instskip(NEXT) | instid1(VALU_DEP_1)
	v_fmac_f32_e32 v1, v25, v17
	v_fmac_f32_e32 v1, v26, v18
	s_delay_alu instid0(VALU_DEP_1)
	v_fmac_f32_e32 v1, v27, v19
	s_cbranch_scc0 .LBB36_29
; %bb.30:                               ;   in Loop: Header=BB36_23 Depth=1
	s_mov_b32 s6, s2
.LBB36_31:                              ;   in Loop: Header=BB36_23 Depth=1
	s_and_not1_b32 vcc_lo, exec_lo, s16
	s_cbranch_vccnz .LBB36_21
; %bb.32:                               ;   in Loop: Header=BB36_23 Depth=1
	v_lshl_add_u64 v[10:11], s[6:7], 2, v[4:5]
	s_lshl_b32 s6, s6, 2
	s_mov_b32 s17, s14
.LBB36_33:                              ;   Parent Loop BB36_23 Depth=1
                                        ; =>  This Inner Loop Header: Depth=2
	global_load_b32 v2, v[10:11], off
	v_mov_b32_e32 v12, s6
	s_wait_xcnt 0x0
	v_add_nc_u64_e32 v[10:11], 4, v[10:11]
	s_add_co_i32 s17, s17, -1
	s_add_co_i32 s6, s6, 4
	s_cmp_lg_u32 s17, 0
	ds_load_b32 v12, v12
	s_wait_loadcnt_dscnt 0x0
	v_fmac_f32_e32 v1, v12, v2
	s_cbranch_scc1 .LBB36_33
	s_branch .LBB36_21
.LBB36_34:
	s_endpgm
	.section	.rodata,"a",@progbits
	.p2align	6, 0x0
	.amdhsa_kernel _ZL22rocblas_gemvtsm_kernelILb1ELi256EfPKffEviiT2_lPKT1_lilS5_lilS2_lPT3_lil
		.amdhsa_group_segment_fixed_size 256
		.amdhsa_private_segment_fixed_size 0
		.amdhsa_kernarg_size 136
		.amdhsa_user_sgpr_count 2
		.amdhsa_user_sgpr_dispatch_ptr 0
		.amdhsa_user_sgpr_queue_ptr 0
		.amdhsa_user_sgpr_kernarg_segment_ptr 1
		.amdhsa_user_sgpr_dispatch_id 0
		.amdhsa_user_sgpr_kernarg_preload_length 0
		.amdhsa_user_sgpr_kernarg_preload_offset 0
		.amdhsa_user_sgpr_private_segment_size 0
		.amdhsa_wavefront_size32 1
		.amdhsa_uses_dynamic_stack 0
		.amdhsa_enable_private_segment 0
		.amdhsa_system_sgpr_workgroup_id_x 1
		.amdhsa_system_sgpr_workgroup_id_y 0
		.amdhsa_system_sgpr_workgroup_id_z 0
		.amdhsa_system_sgpr_workgroup_info 0
		.amdhsa_system_vgpr_workitem_id 0
		.amdhsa_next_free_vgpr 28
		.amdhsa_next_free_sgpr 30
		.amdhsa_named_barrier_count 0
		.amdhsa_reserve_vcc 1
		.amdhsa_float_round_mode_32 0
		.amdhsa_float_round_mode_16_64 0
		.amdhsa_float_denorm_mode_32 3
		.amdhsa_float_denorm_mode_16_64 3
		.amdhsa_fp16_overflow 0
		.amdhsa_memory_ordered 1
		.amdhsa_forward_progress 1
		.amdhsa_inst_pref_size 10
		.amdhsa_round_robin_scheduling 0
		.amdhsa_exception_fp_ieee_invalid_op 0
		.amdhsa_exception_fp_denorm_src 0
		.amdhsa_exception_fp_ieee_div_zero 0
		.amdhsa_exception_fp_ieee_overflow 0
		.amdhsa_exception_fp_ieee_underflow 0
		.amdhsa_exception_fp_ieee_inexact 0
		.amdhsa_exception_int_div_zero 0
	.end_amdhsa_kernel
	.section	.text._ZL22rocblas_gemvtsm_kernelILb1ELi256EfPKffEviiT2_lPKT1_lilS5_lilS2_lPT3_lil,"axG",@progbits,_ZL22rocblas_gemvtsm_kernelILb1ELi256EfPKffEviiT2_lPKT1_lilS5_lilS2_lPT3_lil,comdat
.Lfunc_end36:
	.size	_ZL22rocblas_gemvtsm_kernelILb1ELi256EfPKffEviiT2_lPKT1_lilS5_lilS2_lPT3_lil, .Lfunc_end36-_ZL22rocblas_gemvtsm_kernelILb1ELi256EfPKffEviiT2_lPKT1_lilS5_lilS2_lPT3_lil
                                        ; -- End function
	.set _ZL22rocblas_gemvtsm_kernelILb1ELi256EfPKffEviiT2_lPKT1_lilS5_lilS2_lPT3_lil.num_vgpr, 28
	.set _ZL22rocblas_gemvtsm_kernelILb1ELi256EfPKffEviiT2_lPKT1_lilS5_lilS2_lPT3_lil.num_agpr, 0
	.set _ZL22rocblas_gemvtsm_kernelILb1ELi256EfPKffEviiT2_lPKT1_lilS5_lilS2_lPT3_lil.numbered_sgpr, 30
	.set _ZL22rocblas_gemvtsm_kernelILb1ELi256EfPKffEviiT2_lPKT1_lilS5_lilS2_lPT3_lil.num_named_barrier, 0
	.set _ZL22rocblas_gemvtsm_kernelILb1ELi256EfPKffEviiT2_lPKT1_lilS5_lilS2_lPT3_lil.private_seg_size, 0
	.set _ZL22rocblas_gemvtsm_kernelILb1ELi256EfPKffEviiT2_lPKT1_lilS5_lilS2_lPT3_lil.uses_vcc, 1
	.set _ZL22rocblas_gemvtsm_kernelILb1ELi256EfPKffEviiT2_lPKT1_lilS5_lilS2_lPT3_lil.uses_flat_scratch, 0
	.set _ZL22rocblas_gemvtsm_kernelILb1ELi256EfPKffEviiT2_lPKT1_lilS5_lilS2_lPT3_lil.has_dyn_sized_stack, 0
	.set _ZL22rocblas_gemvtsm_kernelILb1ELi256EfPKffEviiT2_lPKT1_lilS5_lilS2_lPT3_lil.has_recursion, 0
	.set _ZL22rocblas_gemvtsm_kernelILb1ELi256EfPKffEviiT2_lPKT1_lilS5_lilS2_lPT3_lil.has_indirect_call, 0
	.section	.AMDGPU.csdata,"",@progbits
; Kernel info:
; codeLenInByte = 1208
; TotalNumSgprs: 32
; NumVgprs: 28
; ScratchSize: 0
; MemoryBound: 0
; FloatMode: 240
; IeeeMode: 1
; LDSByteSize: 256 bytes/workgroup (compile time only)
; SGPRBlocks: 0
; VGPRBlocks: 1
; NumSGPRsForWavesPerEU: 32
; NumVGPRsForWavesPerEU: 28
; NamedBarCnt: 0
; Occupancy: 16
; WaveLimiterHint : 1
; COMPUTE_PGM_RSRC2:SCRATCH_EN: 0
; COMPUTE_PGM_RSRC2:USER_SGPR: 2
; COMPUTE_PGM_RSRC2:TRAP_HANDLER: 0
; COMPUTE_PGM_RSRC2:TGID_X_EN: 1
; COMPUTE_PGM_RSRC2:TGID_Y_EN: 0
; COMPUTE_PGM_RSRC2:TGID_Z_EN: 0
; COMPUTE_PGM_RSRC2:TIDIG_COMP_CNT: 0
	.section	.text._ZL22rocblas_gemvtsm_kernelILb1ELi256EfffEviiT2_lPKT1_lilS3_lilS0_lPT3_lil,"axG",@progbits,_ZL22rocblas_gemvtsm_kernelILb1ELi256EfffEviiT2_lPKT1_lilS3_lilS0_lPT3_lil,comdat
	.globl	_ZL22rocblas_gemvtsm_kernelILb1ELi256EfffEviiT2_lPKT1_lilS3_lilS0_lPT3_lil ; -- Begin function _ZL22rocblas_gemvtsm_kernelILb1ELi256EfffEviiT2_lPKT1_lilS3_lilS0_lPT3_lil
	.p2align	8
	.type	_ZL22rocblas_gemvtsm_kernelILb1ELi256EfffEviiT2_lPKT1_lilS3_lilS0_lPT3_lil,@function
_ZL22rocblas_gemvtsm_kernelILb1ELi256EfffEviiT2_lPKT1_lilS3_lilS0_lPT3_lil: ; @_ZL22rocblas_gemvtsm_kernelILb1ELi256EfffEviiT2_lPKT1_lilS3_lilS0_lPT3_lil
; %bb.0:
	s_clause 0x1
	s_load_b96 s[12:14], s[0:1], 0x0
	s_load_b32 s15, s[0:1], 0x58
	s_mov_b32 s17, 0
	s_wait_kmcnt 0x0
	s_cmp_eq_f32 s14, 0
	s_cselect_b32 s2, -1, 0
	s_cmp_eq_f32 s15, 1.0
	s_cselect_b32 s3, -1, 0
	s_delay_alu instid0(SALU_CYCLE_1) | instskip(NEXT) | instid1(SALU_CYCLE_1)
	s_and_b32 s2, s2, s3
	s_and_b32 vcc_lo, exec_lo, s2
	s_cbranch_vccnz .LBB37_34
; %bb.1:
	s_clause 0x2
	s_load_b64 s[8:9], s[0:1], 0x80
	s_load_b128 s[4:7], s[0:1], 0x68
	s_load_b32 s2, s[0:1], 0x78
	s_bfe_u32 s3, ttmp6, 0x4000c
	s_and_b32 s10, ttmp6, 15
	s_add_co_i32 s3, s3, 1
	s_getreg_b32 s11, hwreg(HW_REG_IB_STS2, 6, 4)
	s_mul_i32 s3, ttmp9, s3
	s_delay_alu instid0(SALU_CYCLE_1)
	s_add_co_i32 s10, s10, s3
	s_cmp_eq_u32 s11, 0
	s_cselect_b32 s16, ttmp9, s10
	s_cmp_neq_f32 s14, 0
	s_wait_kmcnt 0x0
	s_mul_u64 s[18:19], s[8:9], s[16:17]
	s_cbranch_scc1 .LBB37_9
; %bb.2:
	s_cmp_gt_i32 s13, 0
	s_cselect_b32 s10, -1, 0
	s_cmp_neq_f32 s15, 0
	v_cndmask_b32_e64 v1, 0, 1, s10
	s_delay_alu instid0(VALU_DEP_1)
	v_cmp_ne_u32_e32 vcc_lo, 1, v1
	s_cbranch_scc1 .LBB37_10
; %bb.3:
	s_and_b32 vcc_lo, exec_lo, vcc_lo
	s_cbranch_vccnz .LBB37_8
; %bb.4:
	v_mov_b32_e32 v1, 0
	s_ashr_i32 s3, s2, 31
	s_lshl_b64 s[8:9], s[6:7], 2
	s_lshl_b64 s[20:21], s[18:19], 2
	s_add_nc_u64 s[8:9], s[4:5], s[8:9]
	v_mul_u64_e32 v[2:3], s[2:3], v[0:1]
	s_add_nc_u64 s[8:9], s[8:9], s[20:21]
	s_delay_alu instid0(VALU_DEP_1) | instid1(SALU_CYCLE_1)
	v_lshl_add_u64 v[2:3], v[2:3], 2, s[8:9]
	s_lshl_b64 s[8:9], s[2:3], 10
	s_mov_b32 s3, 0
	s_branch .LBB37_6
.LBB37_5:                               ;   in Loop: Header=BB37_6 Depth=1
	s_wait_xcnt 0x0
	s_or_b32 exec_lo, exec_lo, s11
	v_add_nc_u64_e32 v[2:3], s[8:9], v[2:3]
	s_addk_co_i32 s3, 0x100
	s_delay_alu instid0(SALU_CYCLE_1)
	s_cmp_ge_i32 s3, s13
	s_cbranch_scc1 .LBB37_8
.LBB37_6:                               ; =>This Inner Loop Header: Depth=1
	v_add_nc_u32_e32 v4, s3, v0
	s_mov_b32 s11, exec_lo
	s_delay_alu instid0(VALU_DEP_1)
	v_cmpx_gt_i32_e64 s13, v4
	s_cbranch_execz .LBB37_5
; %bb.7:                                ;   in Loop: Header=BB37_6 Depth=1
	global_store_b32 v[2:3], v1, off
	s_branch .LBB37_5
.LBB37_8:
	s_cbranch_execz .LBB37_11
	s_branch .LBB37_16
.LBB37_9:
	s_branch .LBB37_17
.LBB37_10:
.LBB37_11:
	s_and_not1_b32 vcc_lo, exec_lo, s10
	s_cbranch_vccnz .LBB37_16
; %bb.12:
	v_mov_b32_e32 v1, 0
	s_ashr_i32 s3, s2, 31
	s_lshl_b64 s[8:9], s[6:7], 2
	s_lshl_b64 s[10:11], s[18:19], 2
	s_add_nc_u64 s[8:9], s[4:5], s[8:9]
	v_mul_u64_e32 v[2:3], s[2:3], v[0:1]
	s_add_nc_u64 s[8:9], s[8:9], s[10:11]
	s_delay_alu instid0(VALU_DEP_1) | instid1(SALU_CYCLE_1)
	v_lshl_add_u64 v[2:3], v[2:3], 2, s[8:9]
	s_lshl_b64 s[8:9], s[2:3], 10
	s_mov_b32 s3, 0
	s_branch .LBB37_14
.LBB37_13:                              ;   in Loop: Header=BB37_14 Depth=1
	s_wait_xcnt 0x0
	s_or_b32 exec_lo, exec_lo, s10
	v_add_nc_u64_e32 v[2:3], s[8:9], v[2:3]
	s_addk_co_i32 s3, 0x100
	s_delay_alu instid0(SALU_CYCLE_1)
	s_cmp_ge_i32 s3, s13
	s_cbranch_scc1 .LBB37_16
.LBB37_14:                              ; =>This Inner Loop Header: Depth=1
	v_add_nc_u32_e32 v1, s3, v0
	s_mov_b32 s10, exec_lo
	s_delay_alu instid0(VALU_DEP_1)
	v_cmpx_gt_i32_e64 s13, v1
	s_cbranch_execz .LBB37_13
; %bb.15:                               ;   in Loop: Header=BB37_14 Depth=1
	global_load_b32 v1, v[2:3], off
	s_wait_loadcnt 0x0
	v_mul_f32_e32 v1, s15, v1
	global_store_b32 v[2:3], v1, off
	s_branch .LBB37_13
.LBB37_16:
	s_cbranch_execnz .LBB37_34
.LBB37_17:
	s_clause 0x1
	s_load_b128 s[8:11], s[0:1], 0x30
	s_load_b64 s[20:21], s[0:1], 0x40
	s_mov_b32 s3, exec_lo
	v_cmpx_gt_i32_e64 s12, v0
	s_cbranch_execz .LBB37_19
; %bb.18:
	s_clause 0x1
	s_load_b32 s22, s[0:1], 0x48
	s_load_b64 s[24:25], s[0:1], 0x50
	v_mov_b32_e32 v1, 0
	s_wait_kmcnt 0x0
	s_lshl_b64 s[20:21], s[20:21], 2
	s_ashr_i32 s23, s22, 31
	s_delay_alu instid0(VALU_DEP_1) | instid1(SALU_CYCLE_1)
	v_mul_u64_e32 v[2:3], s[22:23], v[0:1]
	s_mul_u64 s[22:23], s[24:25], s[16:17]
	s_delay_alu instid0(SALU_CYCLE_1) | instskip(NEXT) | instid1(SALU_CYCLE_1)
	s_lshl_b64 s[22:23], s[22:23], 2
	s_add_nc_u64 s[10:11], s[10:11], s[22:23]
	s_delay_alu instid0(SALU_CYCLE_1)
	s_add_nc_u64 s[10:11], s[10:11], s[20:21]
	s_delay_alu instid0(VALU_DEP_1) | instid1(SALU_CYCLE_1)
	v_lshl_add_u64 v[2:3], v[2:3], 2, s[10:11]
	global_load_b32 v1, v[2:3], off
	s_wait_loadcnt 0x0
	v_dual_mul_f32 v1, s14, v1 :: v_dual_lshlrev_b32 v2, 2, v0
	ds_store_b32 v2, v1
.LBB37_19:
	s_or_b32 exec_lo, exec_lo, s3
	s_cmp_lt_i32 s13, 1
	s_wait_storecnt_dscnt 0x0
	s_barrier_signal -1
	s_barrier_wait -1
	s_cbranch_scc1 .LBB37_34
; %bb.20:
	s_load_b32 s24, s[0:1], 0x28
	s_wait_kmcnt 0x0
	s_load_b128 s[20:23], s[0:1], 0x18
	v_mov_b32_e32 v3, 0
	s_wait_xcnt 0x0
	s_lshl_b64 s[0:1], s[18:19], 2
	s_lshl_b64 s[6:7], s[6:7], 2
	s_ashr_i32 s3, s2, 31
	s_mul_u64 s[16:17], s[8:9], s[16:17]
	v_mov_b32_e32 v1, v3
	s_add_nc_u64 s[0:1], s[4:5], s[0:1]
	s_mov_b32 s5, 0
	s_add_nc_u64 s[0:1], s[0:1], s[6:7]
	s_mov_b32 s9, 0
	s_ashr_i32 s25, s24, 31
	s_cmp_neq_f32 s15, 0
	v_mul_u64_e32 v[4:5], s[24:25], v[0:1]
	s_cselect_b32 s10, -1, 0
	s_cmp_gt_i32 s12, 0
	s_cselect_b32 s11, -1, 0
	s_and_b32 s14, s12, 7
	s_cmp_gt_u32 s12, 7
	s_cselect_b32 s18, -1, 0
	s_and_b32 s12, s12, 0x7ffffff8
	s_cmp_lg_u32 s14, 0
	s_cselect_b32 s8, -1, 0
	s_wait_kmcnt 0x0
	s_lshl_b64 s[22:23], s[22:23], 2
	s_lshl_b64 s[16:17], s[16:17], 2
	s_add_nc_u64 s[20:21], s[20:21], s[22:23]
	s_lshl_b64 s[6:7], s[24:25], 10
	s_add_nc_u64 s[16:17], s[20:21], s[16:17]
	s_delay_alu instid0(VALU_DEP_1) | instid1(SALU_CYCLE_1)
	v_lshl_add_u64 v[4:5], v[4:5], 2, s[16:17]
	s_delay_alu instid0(VALU_DEP_1)
	v_add_nc_u64_e32 v[6:7], 28, v[4:5]
	s_branch .LBB37_23
.LBB37_21:                              ;   in Loop: Header=BB37_23 Depth=1
	global_store_b32 v[8:9], v1, off
.LBB37_22:                              ;   in Loop: Header=BB37_23 Depth=1
	s_wait_xcnt 0x0
	s_or_b32 exec_lo, exec_lo, s16
	v_add_nc_u64_e32 v[6:7], s[6:7], v[6:7]
	v_add_nc_u64_e32 v[4:5], s[6:7], v[4:5]
	s_addk_co_i32 s9, 0x100
	s_delay_alu instid0(SALU_CYCLE_1)
	s_cmp_ge_i32 s9, s13
	s_cbranch_scc1 .LBB37_34
.LBB37_23:                              ; =>This Loop Header: Depth=1
                                        ;     Child Loop BB37_29 Depth 2
                                        ;     Child Loop BB37_33 Depth 2
	v_add_nc_u32_e32 v2, s9, v0
	s_mov_b32 s16, exec_lo
	s_delay_alu instid0(VALU_DEP_1)
	v_cmpx_gt_i32_e64 s13, v2
	s_cbranch_execz .LBB37_22
; %bb.24:                               ;   in Loop: Header=BB37_23 Depth=1
	v_mul_u64_e32 v[8:9], s[2:3], v[2:3]
	s_and_not1_b32 vcc_lo, exec_lo, s10
	s_delay_alu instid0(VALU_DEP_1)
	v_lshl_add_u64 v[8:9], v[8:9], 2, s[0:1]
	s_cbranch_vccnz .LBB37_26
; %bb.25:                               ;   in Loop: Header=BB37_23 Depth=1
	global_load_b32 v1, v[8:9], off
	s_wait_loadcnt 0x0
	v_mul_f32_e32 v1, s15, v1
	s_and_not1_b32 vcc_lo, exec_lo, s11
	s_cbranch_vccz .LBB37_27
	s_branch .LBB37_21
.LBB37_26:                              ;   in Loop: Header=BB37_23 Depth=1
	v_mov_b32_e32 v1, 0
	s_and_not1_b32 vcc_lo, exec_lo, s11
	s_cbranch_vccnz .LBB37_21
.LBB37_27:                              ;   in Loop: Header=BB37_23 Depth=1
	s_and_not1_b32 vcc_lo, exec_lo, s18
	s_mov_b32 s4, 0
	s_cbranch_vccnz .LBB37_31
; %bb.28:                               ;   in Loop: Header=BB37_23 Depth=1
	v_mov_b64_e32 v[10:11], v[6:7]
	s_mov_b32 s17, 0
.LBB37_29:                              ;   Parent Loop BB37_23 Depth=1
                                        ; =>  This Inner Loop Header: Depth=2
	s_clause 0x1
	global_load_b128 v[12:15], v[10:11], off offset:-28
	global_load_b128 v[16:19], v[10:11], off offset:-12
	v_mov_b32_e32 v2, s4
	s_wait_xcnt 0x0
	v_add_nc_u64_e32 v[10:11], 32, v[10:11]
	s_add_co_i32 s17, s17, 8
	s_add_co_i32 s4, s4, 32
	ds_load_b128 v[20:23], v2
	ds_load_b128 v[24:27], v2 offset:16
	s_cmp_eq_u32 s12, s17
	s_wait_loadcnt_dscnt 0x101
	v_fmac_f32_e32 v1, v20, v12
	s_delay_alu instid0(VALU_DEP_1) | instskip(NEXT) | instid1(VALU_DEP_1)
	v_fmac_f32_e32 v1, v21, v13
	v_fmac_f32_e32 v1, v22, v14
	s_delay_alu instid0(VALU_DEP_1) | instskip(SKIP_1) | instid1(VALU_DEP_1)
	v_fmac_f32_e32 v1, v23, v15
	s_wait_loadcnt_dscnt 0x0
	v_fmac_f32_e32 v1, v24, v16
	s_delay_alu instid0(VALU_DEP_1) | instskip(NEXT) | instid1(VALU_DEP_1)
	v_fmac_f32_e32 v1, v25, v17
	v_fmac_f32_e32 v1, v26, v18
	s_delay_alu instid0(VALU_DEP_1)
	v_fmac_f32_e32 v1, v27, v19
	s_cbranch_scc0 .LBB37_29
; %bb.30:                               ;   in Loop: Header=BB37_23 Depth=1
	s_mov_b32 s4, s12
.LBB37_31:                              ;   in Loop: Header=BB37_23 Depth=1
	s_and_not1_b32 vcc_lo, exec_lo, s8
	s_cbranch_vccnz .LBB37_21
; %bb.32:                               ;   in Loop: Header=BB37_23 Depth=1
	v_lshl_add_u64 v[10:11], s[4:5], 2, v[4:5]
	s_lshl_b32 s4, s4, 2
	s_mov_b32 s17, s14
.LBB37_33:                              ;   Parent Loop BB37_23 Depth=1
                                        ; =>  This Inner Loop Header: Depth=2
	global_load_b32 v2, v[10:11], off
	v_mov_b32_e32 v12, s4
	s_wait_xcnt 0x0
	v_add_nc_u64_e32 v[10:11], 4, v[10:11]
	s_add_co_i32 s17, s17, -1
	s_add_co_i32 s4, s4, 4
	s_cmp_lg_u32 s17, 0
	ds_load_b32 v12, v12
	s_wait_loadcnt_dscnt 0x0
	v_fmac_f32_e32 v1, v12, v2
	s_cbranch_scc1 .LBB37_33
	s_branch .LBB37_21
.LBB37_34:
	s_endpgm
	.section	.rodata,"a",@progbits
	.p2align	6, 0x0
	.amdhsa_kernel _ZL22rocblas_gemvtsm_kernelILb1ELi256EfffEviiT2_lPKT1_lilS3_lilS0_lPT3_lil
		.amdhsa_group_segment_fixed_size 256
		.amdhsa_private_segment_fixed_size 0
		.amdhsa_kernarg_size 136
		.amdhsa_user_sgpr_count 2
		.amdhsa_user_sgpr_dispatch_ptr 0
		.amdhsa_user_sgpr_queue_ptr 0
		.amdhsa_user_sgpr_kernarg_segment_ptr 1
		.amdhsa_user_sgpr_dispatch_id 0
		.amdhsa_user_sgpr_kernarg_preload_length 0
		.amdhsa_user_sgpr_kernarg_preload_offset 0
		.amdhsa_user_sgpr_private_segment_size 0
		.amdhsa_wavefront_size32 1
		.amdhsa_uses_dynamic_stack 0
		.amdhsa_enable_private_segment 0
		.amdhsa_system_sgpr_workgroup_id_x 1
		.amdhsa_system_sgpr_workgroup_id_y 0
		.amdhsa_system_sgpr_workgroup_id_z 0
		.amdhsa_system_sgpr_workgroup_info 0
		.amdhsa_system_vgpr_workitem_id 0
		.amdhsa_next_free_vgpr 28
		.amdhsa_next_free_sgpr 26
		.amdhsa_named_barrier_count 0
		.amdhsa_reserve_vcc 1
		.amdhsa_float_round_mode_32 0
		.amdhsa_float_round_mode_16_64 0
		.amdhsa_float_denorm_mode_32 3
		.amdhsa_float_denorm_mode_16_64 3
		.amdhsa_fp16_overflow 0
		.amdhsa_memory_ordered 1
		.amdhsa_forward_progress 1
		.amdhsa_inst_pref_size 10
		.amdhsa_round_robin_scheduling 0
		.amdhsa_exception_fp_ieee_invalid_op 0
		.amdhsa_exception_fp_denorm_src 0
		.amdhsa_exception_fp_ieee_div_zero 0
		.amdhsa_exception_fp_ieee_overflow 0
		.amdhsa_exception_fp_ieee_underflow 0
		.amdhsa_exception_fp_ieee_inexact 0
		.amdhsa_exception_int_div_zero 0
	.end_amdhsa_kernel
	.section	.text._ZL22rocblas_gemvtsm_kernelILb1ELi256EfffEviiT2_lPKT1_lilS3_lilS0_lPT3_lil,"axG",@progbits,_ZL22rocblas_gemvtsm_kernelILb1ELi256EfffEviiT2_lPKT1_lilS3_lilS0_lPT3_lil,comdat
.Lfunc_end37:
	.size	_ZL22rocblas_gemvtsm_kernelILb1ELi256EfffEviiT2_lPKT1_lilS3_lilS0_lPT3_lil, .Lfunc_end37-_ZL22rocblas_gemvtsm_kernelILb1ELi256EfffEviiT2_lPKT1_lilS3_lilS0_lPT3_lil
                                        ; -- End function
	.set _ZL22rocblas_gemvtsm_kernelILb1ELi256EfffEviiT2_lPKT1_lilS3_lilS0_lPT3_lil.num_vgpr, 28
	.set _ZL22rocblas_gemvtsm_kernelILb1ELi256EfffEviiT2_lPKT1_lilS3_lilS0_lPT3_lil.num_agpr, 0
	.set _ZL22rocblas_gemvtsm_kernelILb1ELi256EfffEviiT2_lPKT1_lilS3_lilS0_lPT3_lil.numbered_sgpr, 26
	.set _ZL22rocblas_gemvtsm_kernelILb1ELi256EfffEviiT2_lPKT1_lilS3_lilS0_lPT3_lil.num_named_barrier, 0
	.set _ZL22rocblas_gemvtsm_kernelILb1ELi256EfffEviiT2_lPKT1_lilS3_lilS0_lPT3_lil.private_seg_size, 0
	.set _ZL22rocblas_gemvtsm_kernelILb1ELi256EfffEviiT2_lPKT1_lilS3_lilS0_lPT3_lil.uses_vcc, 1
	.set _ZL22rocblas_gemvtsm_kernelILb1ELi256EfffEviiT2_lPKT1_lilS3_lilS0_lPT3_lil.uses_flat_scratch, 0
	.set _ZL22rocblas_gemvtsm_kernelILb1ELi256EfffEviiT2_lPKT1_lilS3_lilS0_lPT3_lil.has_dyn_sized_stack, 0
	.set _ZL22rocblas_gemvtsm_kernelILb1ELi256EfffEviiT2_lPKT1_lilS3_lilS0_lPT3_lil.has_recursion, 0
	.set _ZL22rocblas_gemvtsm_kernelILb1ELi256EfffEviiT2_lPKT1_lilS3_lilS0_lPT3_lil.has_indirect_call, 0
	.section	.AMDGPU.csdata,"",@progbits
; Kernel info:
; codeLenInByte = 1180
; TotalNumSgprs: 28
; NumVgprs: 28
; ScratchSize: 0
; MemoryBound: 0
; FloatMode: 240
; IeeeMode: 1
; LDSByteSize: 256 bytes/workgroup (compile time only)
; SGPRBlocks: 0
; VGPRBlocks: 1
; NumSGPRsForWavesPerEU: 28
; NumVGPRsForWavesPerEU: 28
; NamedBarCnt: 0
; Occupancy: 16
; WaveLimiterHint : 1
; COMPUTE_PGM_RSRC2:SCRATCH_EN: 0
; COMPUTE_PGM_RSRC2:USER_SGPR: 2
; COMPUTE_PGM_RSRC2:TRAP_HANDLER: 0
; COMPUTE_PGM_RSRC2:TGID_X_EN: 1
; COMPUTE_PGM_RSRC2:TGID_Y_EN: 0
; COMPUTE_PGM_RSRC2:TGID_Z_EN: 0
; COMPUTE_PGM_RSRC2:TIDIG_COMP_CNT: 0
	.section	.text._ZL23rocblas_gemvt_sn_kernelILb1ELi256ELi4EifPKffEviiT4_lPKT3_lilS5_lilPT5_i,"axG",@progbits,_ZL23rocblas_gemvt_sn_kernelILb1ELi256ELi4EifPKffEviiT4_lPKT3_lilS5_lilPT5_i,comdat
	.globl	_ZL23rocblas_gemvt_sn_kernelILb1ELi256ELi4EifPKffEviiT4_lPKT3_lilS5_lilPT5_i ; -- Begin function _ZL23rocblas_gemvt_sn_kernelILb1ELi256ELi4EifPKffEviiT4_lPKT3_lilS5_lilPT5_i
	.p2align	8
	.type	_ZL23rocblas_gemvt_sn_kernelILb1ELi256ELi4EifPKffEviiT4_lPKT3_lilS5_lilPT5_i,@function
_ZL23rocblas_gemvt_sn_kernelILb1ELi256ELi4EifPKffEviiT4_lPKT3_lilS5_lilPT5_i: ; @_ZL23rocblas_gemvt_sn_kernelILb1ELi256ELi4EifPKffEviiT4_lPKT3_lilS5_lilPT5_i
; %bb.0:
	s_load_b32 s11, s[0:1], 0x60
	s_bfe_u32 s2, ttmp6, 0x40014
	s_lshr_b32 s3, ttmp7, 16
	s_add_co_i32 s2, s2, 1
	s_bfe_u32 s5, ttmp6, 0x40008
	s_mul_i32 s2, s3, s2
	s_getreg_b32 s4, hwreg(HW_REG_IB_STS2, 6, 4)
	s_add_co_i32 s5, s5, s2
	s_cmp_eq_u32 s4, 0
	s_mov_b32 s31, 0
	s_cselect_b32 s28, s3, s5
	s_wait_kmcnt 0x0
	s_cmp_ge_u32 s28, s11
	s_cbranch_scc1 .LBB38_88
; %bb.1:
	s_clause 0x6
	s_load_b96 s[8:10], s[0:1], 0x40
	s_load_b256 s[12:19], s[0:1], 0x8
	s_load_b64 s[34:35], s[0:1], 0x0
	s_load_b32 s36, s[0:1], 0x28
	s_load_b128 s[20:23], s[0:1], 0x30
	s_load_b128 s[24:27], s[0:1], 0x50
	s_load_b32 s38, s[0:1], 0x68
	s_wait_xcnt 0x0
	v_cmp_eq_u32_e64 s0, 0, v0
	v_dual_lshrrev_b32 v2, 3, v0 :: v_dual_bitop2_b32 v1, 31, v0 bitop3:0x40
	v_cmp_gt_u32_e64 s1, 32, v0
	v_cmp_gt_u32_e64 s2, 8, v0
	v_mbcnt_lo_u32_b32 v38, -1, 0
	s_delay_alu instid0(VALU_DEP_4)
	v_cmp_eq_u32_e64 s3, 0, v1
	v_dual_lshlrev_b32 v36, 2, v1 :: v_dual_bitop2_b32 v37, 28, v2 bitop3:0x40
	v_mov_b64_e32 v[18:19], 0
	s_mov_b32 s39, s31
	s_mov_b32 s41, s31
	v_lshl_or_b32 v39, v38, 2, 64
	s_wait_kmcnt 0x0
	s_lshl_b64 s[6:7], s[8:9], 2
	s_lshl_b64 s[8:9], s[18:19], 2
	s_ashr_i32 s47, s35, 31
	s_cmp_gt_i32 s35, 0
	s_add_nc_u64 s[18:19], s[22:23], s[6:7]
	s_cselect_b32 s5, -1, 0
	s_bfe_u32 s29, ttmp6, 0x4000c
	s_and_b32 s6, ttmp6, 15
	s_add_co_i32 s29, s29, 1
	s_and_b32 s33, s0, s5
	s_mul_i32 s7, ttmp9, s29
	s_mov_b32 s46, s35
	s_add_co_i32 s6, s6, s7
	s_cmp_eq_u32 s4, 0
	s_add_nc_u64 s[4:5], s[16:17], s[8:9]
	s_cselect_b32 s40, ttmp9, s6
	s_ashr_i32 s7, s34, 31
	s_lshl_b32 s6, s40, 10
	s_lshr_b32 s7, s7, 30
	v_lshl_or_b32 v0, v0, 2, s6
	s_lshr_b32 s6, s47, 30
	s_add_co_i32 s7, s34, s7
	s_add_co_i32 s6, s35, s6
	s_and_b32 s7, s7, -4
	v_mul_lo_u32 v8, s10, v0
	s_and_b32 s72, s6, -4
	s_sub_co_i32 s73, s34, s7
	s_cmp_gt_i32 s72, 0
	v_dual_ashrrev_i32 v1, 31, v0 :: v_dual_add_nc_u32 v2, 4, v0
	s_cselect_b32 s74, -1, 0
	s_cmp_gt_i32 s73, 0
	s_mul_u64 s[16:17], s[46:47], s[38:39]
	s_cselect_b32 s75, -1, 0
	s_cmp_gt_u32 s35, 1
	s_delay_alu instid0(VALU_DEP_2) | instskip(SKIP_3) | instid1(VALU_DEP_2)
	v_dual_add_nc_u32 v10, s10, v8 :: v_dual_ashrrev_i32 v9, 31, v8
	v_add_nc_u32_e32 v3, s73, v0
	s_cselect_b32 s6, -1, 0
	s_cmp_eq_u32 s38, 1
	v_add_nc_u32_e32 v14, s10, v10
	s_cselect_b32 s7, -1, 0
	v_lshl_add_u64 v[12:13], v[0:1], 2, s[4:5]
	v_cmp_ge_i32_e64 s4, s34, v2
	v_cmp_ge_i32_e64 s5, s34, v3
	v_dual_add_nc_u32 v16, s10, v14 :: v_dual_ashrrev_i32 v15, 31, v14
	s_and_b32 s34, s35, 0x7ffffffe
	s_and_b32 s76, s6, s7
	s_cmp_lg_u32 s35, s34
	s_delay_alu instid0(VALU_DEP_1)
	v_dual_ashrrev_i32 v11, 31, v10 :: v_dual_ashrrev_i32 v17, 31, v16
	s_cselect_b32 s77, -1, 0
	s_lshl_b32 s30, s36, 1
	v_mov_b32_e32 v0, 0
	s_lshl_b64 s[22:23], s[40:41], 2
	s_mov_b64 s[52:53], s[30:31]
	s_mul_i32 s30, s36, 3
	s_add_nc_u64 s[42:43], s[26:27], s[22:23]
	s_lshl_b64 s[44:45], s[16:17], 2
	s_lshl_b64 s[46:47], s[46:47], 2
	;; [unrolled: 1-line block ×3, first 2 shown]
	s_mov_b32 s37, s31
	s_lshl_b32 s50, s36, 2
	s_mov_b32 s51, s31
	s_mov_b64 s[54:55], s[30:31]
	s_lshl_b64 s[56:57], s[20:21], 2
	s_branch .LBB38_3
.LBB38_2:                               ;   in Loop: Header=BB38_3 Depth=1
	s_add_co_i32 s28, s28, 0x10000
	s_delay_alu instid0(SALU_CYCLE_1)
	s_cmp_lt_u32 s28, s11
	s_cbranch_scc0 .LBB38_88
.LBB38_3:                               ; =>This Loop Header: Depth=1
                                        ;     Child Loop BB38_7 Depth 2
                                        ;     Child Loop BB38_11 Depth 2
	;; [unrolled: 1-line block ×3, first 2 shown]
                                        ;       Child Loop BB38_48 Depth 3
                                        ;       Child Loop BB38_51 Depth 3
                                        ;     Child Loop BB38_67 Depth 2
                                        ;       Child Loop BB38_80 Depth 3
                                        ;       Child Loop BB38_83 Depth 3
	s_mov_b32 s29, s31
	s_delay_alu instid0(SALU_CYCLE_1) | instskip(NEXT) | instid1(SALU_CYCLE_1)
	s_mul_u64 s[6:7], s[14:15], s[28:29]
	s_lshl_b64 s[6:7], s[6:7], 2
	s_delay_alu instid0(SALU_CYCLE_1)
	s_add_nc_u64 s[6:7], s[12:13], s[6:7]
	global_load_b32 v40, v0, s[6:7]
	s_wait_xcnt 0x0
	s_mov_b32 s6, -1
	s_wait_loadcnt 0x0
	v_cmp_neq_f32_e32 vcc_lo, 0, v40
	s_cbranch_vccnz .LBB38_13
; %bb.4:                                ;   in Loop: Header=BB38_3 Depth=1
	s_and_saveexec_b32 s8, s33
	s_cbranch_execz .LBB38_12
; %bb.5:                                ;   in Loop: Header=BB38_3 Depth=1
	s_and_not1_b32 vcc_lo, exec_lo, s76
	s_cbranch_vccnz .LBB38_9
; %bb.6:                                ;   in Loop: Header=BB38_3 Depth=1
	s_mul_u64 s[6:7], s[44:45], s[28:29]
	s_mov_b32 s9, s34
	s_add_nc_u64 s[6:7], s[42:43], s[6:7]
.LBB38_7:                               ;   Parent Loop BB38_3 Depth=1
                                        ; =>  This Inner Loop Header: Depth=2
	s_add_co_i32 s9, s9, -2
	global_store_b64 v0, v[18:19], s[6:7]
	s_wait_xcnt 0x0
	s_add_nc_u64 s[6:7], s[6:7], 8
	s_mov_b32 s30, s34
	s_cmp_lg_u32 s9, 0
	s_mov_b32 s41, s77
	s_cbranch_scc1 .LBB38_7
; %bb.8:                                ;   in Loop: Header=BB38_3 Depth=1
	s_and_b32 vcc_lo, exec_lo, s41
	s_cbranch_vccnz .LBB38_10
	s_branch .LBB38_12
.LBB38_9:                               ;   in Loop: Header=BB38_3 Depth=1
	s_mov_b32 s30, 0
	s_cbranch_execz .LBB38_12
.LBB38_10:                              ;   in Loop: Header=BB38_3 Depth=1
	s_mul_u64 s[6:7], s[46:47], s[28:29]
	s_lshl_b64 s[58:59], s[30:31], 2
	s_sub_co_i32 s9, s35, s30
	s_add_nc_u64 s[6:7], s[6:7], s[58:59]
	s_delay_alu instid0(SALU_CYCLE_1) | instskip(NEXT) | instid1(SALU_CYCLE_1)
	s_mul_u64 s[6:7], s[38:39], s[6:7]
	s_add_nc_u64 s[6:7], s[42:43], s[6:7]
.LBB38_11:                              ;   Parent Loop BB38_3 Depth=1
                                        ; =>  This Inner Loop Header: Depth=2
	s_add_co_i32 s9, s9, -1
	global_store_b32 v0, v0, s[6:7]
	s_cmp_eq_u32 s9, 0
	s_wait_xcnt 0x0
	s_add_nc_u64 s[6:7], s[6:7], s[48:49]
	s_cbranch_scc0 .LBB38_11
.LBB38_12:                              ;   in Loop: Header=BB38_3 Depth=1
	s_or_b32 exec_lo, exec_lo, s8
	s_mov_b32 s6, 0
.LBB38_13:                              ;   in Loop: Header=BB38_3 Depth=1
	s_delay_alu instid0(SALU_CYCLE_1)
	s_and_not1_b32 vcc_lo, exec_lo, s6
	s_cbranch_vccnz .LBB38_2
; %bb.14:                               ;   in Loop: Header=BB38_3 Depth=1
	s_mul_u64 s[6:7], s[24:25], s[28:29]
	s_mul_u64 s[8:9], s[56:57], s[28:29]
	s_lshl_b64 s[6:7], s[6:7], 2
	s_mul_u64 s[60:61], s[20:21], s[28:29]
	s_add_nc_u64 s[58:59], s[18:19], s[6:7]
	v_add_nc_u64_e32 v[30:31], s[8:9], v[12:13]
	s_mul_u64 s[62:63], s[16:17], s[28:29]
	v_lshl_add_u64 v[20:21], s[60:61], 2, v[12:13]
	v_lshl_add_u64 v[22:23], v[8:9], 2, s[58:59]
	;; [unrolled: 1-line block ×5, first 2 shown]
	v_cmp_gt_u32_e64 s9, 24, v38
	v_cmp_gt_u32_e64 s8, 28, v38
	;; [unrolled: 1-line block ×3, first 2 shown]
	v_cmp_ne_u32_e64 s6, 31, v38
	s_lshl_b64 s[60:61], s[62:63], 2
	s_and_not1_b32 vcc_lo, exec_lo, s74
	s_add_nc_u64 s[60:61], s[26:27], s[60:61]
	s_cbranch_vccnz .LBB38_63
; %bb.15:                               ;   in Loop: Header=BB38_3 Depth=1
	v_cndmask_b32_e64 v1, 0, 8, s9
	v_cndmask_b32_e64 v4, 0, 4, s8
	;; [unrolled: 1-line block ×3, first 2 shown]
	s_wait_dscnt 0x0
	v_add_co_ci_u32_e64 v6, null, 0, v38, s6
	v_add_lshl_u32 v41, v1, v38, 2
	v_dual_mov_b32 v1, v0 :: v_dual_mov_b32 v2, v0
	s_delay_alu instid0(VALU_DEP_3) | instskip(SKIP_3) | instid1(VALU_DEP_3)
	v_dual_mov_b32 v3, v0 :: v_dual_lshlrev_b32 v44, 2, v6
	v_add_lshl_u32 v42, v4, v38, 2
	v_add_lshl_u32 v43, v5, v38, 2
	s_mov_b32 s62, 0
	v_mov_b64_e32 v[4:5], v[2:3]
	v_mov_b64_e32 v[2:3], v[0:1]
	s_mov_b64 s[64:65], s[54:55]
	s_mov_b64 s[66:67], s[52:53]
	;; [unrolled: 1-line block ×3, first 2 shown]
	s_mov_b32 s30, s62
	s_branch .LBB38_17
.LBB38_16:                              ;   in Loop: Header=BB38_17 Depth=2
	s_wait_xcnt 0x0
	s_or_b32 exec_lo, exec_lo, s6
	s_add_co_i32 s30, s30, 4
	s_add_co_i32 s62, s62, s50
	s_add_nc_u64 s[68:69], s[68:69], s[50:51]
	s_add_nc_u64 s[66:67], s[66:67], s[50:51]
	s_cmp_ge_i32 s30, s72
	s_add_nc_u64 s[64:65], s[64:65], s[50:51]
	s_cbranch_scc1 .LBB38_64
.LBB38_17:                              ;   Parent Loop BB38_3 Depth=1
                                        ; =>  This Loop Header: Depth=2
                                        ;       Child Loop BB38_48 Depth 3
                                        ;       Child Loop BB38_51 Depth 3
                                        ; implicit-def: $vgpr7
                                        ; implicit-def: $vgpr33
	s_and_saveexec_b32 s6, s4
	s_delay_alu instid0(SALU_CYCLE_1)
	s_xor_b32 s6, exec_lo, s6
	s_cbranch_execnz .LBB38_44
; %bb.18:                               ;   in Loop: Header=BB38_17 Depth=2
	s_and_not1_saveexec_b32 s9, s6
	s_cbranch_execnz .LBB38_45
.LBB38_19:                              ;   in Loop: Header=BB38_17 Depth=2
	s_or_b32 exec_lo, exec_lo, s9
	s_and_saveexec_b32 s6, s1
.LBB38_20:                              ;   in Loop: Header=BB38_17 Depth=2
	ds_store_b32 v36, v0
.LBB38_21:                              ;   in Loop: Header=BB38_17 Depth=2
	s_or_b32 exec_lo, exec_lo, s6
	ds_bpermute_b32 v1, v39, v32
	s_wait_storecnt_dscnt 0x0
	s_barrier_signal -1
	s_barrier_wait -1
	v_add_f32_e32 v1, v32, v1
	ds_bpermute_b32 v32, v41, v1
	s_wait_dscnt 0x0
	v_add_f32_e32 v1, v1, v32
	ds_bpermute_b32 v32, v42, v1
	s_wait_dscnt 0x0
	;; [unrolled: 3-line block ×3, first 2 shown]
	v_add_f32_e32 v1, v1, v32
	ds_bpermute_b32 v32, v44, v1
	s_and_saveexec_b32 s6, s3
	s_cbranch_execz .LBB38_23
; %bb.22:                               ;   in Loop: Header=BB38_17 Depth=2
	s_wait_dscnt 0x0
	v_add_f32_e32 v1, v1, v32
	ds_store_b32 v37, v1
.LBB38_23:                              ;   in Loop: Header=BB38_17 Depth=2
	s_or_b32 exec_lo, exec_lo, s6
	v_mov_b32_e32 v1, 0
	s_wait_dscnt 0x0
	s_barrier_signal -1
	s_barrier_wait -1
	s_and_saveexec_b32 s6, s2
	s_cbranch_execnz .LBB38_52
; %bb.24:                               ;   in Loop: Header=BB38_17 Depth=2
	s_or_b32 exec_lo, exec_lo, s6
	s_and_saveexec_b32 s6, s1
	s_cbranch_execnz .LBB38_53
.LBB38_25:                              ;   in Loop: Header=BB38_17 Depth=2
	s_or_b32 exec_lo, exec_lo, s6
	s_and_saveexec_b32 s6, s1
.LBB38_26:                              ;   in Loop: Header=BB38_17 Depth=2
	ds_store_b32 v36, v0
.LBB38_27:                              ;   in Loop: Header=BB38_17 Depth=2
	s_or_b32 exec_lo, exec_lo, s6
	ds_bpermute_b32 v32, v39, v33
	s_wait_dscnt 0x0
	s_barrier_signal -1
	s_barrier_wait -1
	v_add_f32_e32 v32, v33, v32
	ds_bpermute_b32 v33, v41, v32
	s_wait_dscnt 0x0
	v_add_f32_e32 v32, v32, v33
	ds_bpermute_b32 v33, v42, v32
	s_wait_dscnt 0x0
	;; [unrolled: 3-line block ×3, first 2 shown]
	v_add_f32_e32 v32, v32, v33
	ds_bpermute_b32 v33, v44, v32
	s_and_saveexec_b32 s6, s3
	s_cbranch_execz .LBB38_29
; %bb.28:                               ;   in Loop: Header=BB38_17 Depth=2
	s_wait_dscnt 0x0
	v_add_f32_e32 v32, v32, v33
	ds_store_b32 v37, v32
.LBB38_29:                              ;   in Loop: Header=BB38_17 Depth=2
	s_or_b32 exec_lo, exec_lo, s6
	v_mov_b32_e32 v32, 0
	s_wait_dscnt 0x0
	s_barrier_signal -1
	s_barrier_wait -1
	s_and_saveexec_b32 s6, s2
	s_cbranch_execnz .LBB38_54
; %bb.30:                               ;   in Loop: Header=BB38_17 Depth=2
	s_or_b32 exec_lo, exec_lo, s6
	s_and_saveexec_b32 s6, s1
	s_cbranch_execnz .LBB38_55
.LBB38_31:                              ;   in Loop: Header=BB38_17 Depth=2
	s_or_b32 exec_lo, exec_lo, s6
	s_and_saveexec_b32 s6, s1
.LBB38_32:                              ;   in Loop: Header=BB38_17 Depth=2
	ds_store_b32 v36, v0
.LBB38_33:                              ;   in Loop: Header=BB38_17 Depth=2
	s_or_b32 exec_lo, exec_lo, s6
	ds_bpermute_b32 v33, v39, v6
	s_wait_dscnt 0x0
	s_barrier_signal -1
	s_barrier_wait -1
	v_add_f32_e32 v6, v6, v33
	ds_bpermute_b32 v33, v41, v6
	s_wait_dscnt 0x0
	v_add_f32_e32 v6, v6, v33
	ds_bpermute_b32 v33, v42, v6
	s_wait_dscnt 0x0
	;; [unrolled: 3-line block ×3, first 2 shown]
	v_add_f32_e32 v6, v6, v33
	ds_bpermute_b32 v33, v44, v6
	s_and_saveexec_b32 s6, s3
	s_cbranch_execz .LBB38_35
; %bb.34:                               ;   in Loop: Header=BB38_17 Depth=2
	s_wait_dscnt 0x0
	v_add_f32_e32 v6, v6, v33
	ds_store_b32 v37, v6
.LBB38_35:                              ;   in Loop: Header=BB38_17 Depth=2
	s_or_b32 exec_lo, exec_lo, s6
	v_mov_b32_e32 v6, 0
	s_wait_dscnt 0x0
	s_barrier_signal -1
	s_barrier_wait -1
	s_and_saveexec_b32 s6, s2
	s_cbranch_execnz .LBB38_56
; %bb.36:                               ;   in Loop: Header=BB38_17 Depth=2
	s_or_b32 exec_lo, exec_lo, s6
	s_and_saveexec_b32 s6, s1
	s_cbranch_execnz .LBB38_57
.LBB38_37:                              ;   in Loop: Header=BB38_17 Depth=2
	s_or_b32 exec_lo, exec_lo, s6
	s_and_saveexec_b32 s6, s1
.LBB38_38:                              ;   in Loop: Header=BB38_17 Depth=2
	ds_store_b32 v36, v0
.LBB38_39:                              ;   in Loop: Header=BB38_17 Depth=2
	s_or_b32 exec_lo, exec_lo, s6
	ds_bpermute_b32 v33, v39, v7
	s_wait_dscnt 0x0
	s_barrier_signal -1
	s_barrier_wait -1
	v_add_f32_e32 v7, v7, v33
	ds_bpermute_b32 v33, v41, v7
	s_wait_dscnt 0x0
	v_add_f32_e32 v7, v7, v33
	ds_bpermute_b32 v33, v42, v7
	s_wait_dscnt 0x0
	;; [unrolled: 3-line block ×3, first 2 shown]
	v_add_f32_e32 v7, v7, v33
	ds_bpermute_b32 v33, v44, v7
	s_and_saveexec_b32 s6, s3
	s_cbranch_execz .LBB38_41
; %bb.40:                               ;   in Loop: Header=BB38_17 Depth=2
	s_wait_dscnt 0x0
	v_add_f32_e32 v7, v7, v33
	ds_store_b32 v37, v7
.LBB38_41:                              ;   in Loop: Header=BB38_17 Depth=2
	s_or_b32 exec_lo, exec_lo, s6
	v_mov_b32_e32 v7, 0
	s_wait_dscnt 0x0
	s_barrier_signal -1
	s_barrier_wait -1
	s_and_saveexec_b32 s6, s2
	s_cbranch_execnz .LBB38_58
; %bb.42:                               ;   in Loop: Header=BB38_17 Depth=2
	s_or_b32 exec_lo, exec_lo, s6
	s_and_saveexec_b32 s6, s1
	s_cbranch_execnz .LBB38_59
.LBB38_43:                              ;   in Loop: Header=BB38_17 Depth=2
	s_or_b32 exec_lo, exec_lo, s6
	s_and_saveexec_b32 s6, s0
	s_cbranch_execz .LBB38_16
	s_branch .LBB38_60
.LBB38_44:                              ;   in Loop: Header=BB38_17 Depth=2
	s_mul_i32 s8, s30, s36
	s_delay_alu instid0(SALU_CYCLE_1)
	s_ashr_i32 s9, s8, 31
	s_add_co_i32 s70, s8, s36
	s_wait_dscnt 0x0
	v_lshl_add_u64 v[6:7], s[8:9], 2, v[20:21]
	s_add_co_i32 s8, s70, s36
	s_ashr_i32 s71, s70, 31
	s_add_co_i32 s78, s8, s36
	s_ashr_i32 s9, s8, 31
	s_ashr_i32 s79, s78, 31
	v_lshl_add_u64 v[50:51], s[70:71], 2, v[20:21]
	v_lshl_add_u64 v[32:33], s[78:79], 2, v[20:21]
	;; [unrolled: 1-line block ×3, first 2 shown]
	s_clause 0x2
	global_load_b32 v2, v[22:23], off
	global_load_b32 v3, v[24:25], off
	;; [unrolled: 1-line block ×3, first 2 shown]
	s_clause 0x3
	global_load_b128 v[32:35], v[32:33], off
	global_load_b128 v[46:49], v[6:7], off
	;; [unrolled: 1-line block ×4, first 2 shown]
	global_load_b32 v4, v[26:27], off
	s_wait_loadcnt 0x5
	s_wait_xcnt 0x3
	v_dual_mov_b32 v6, v3 :: v_dual_mov_b32 v58, v5
	s_wait_loadcnt 0x4
	v_pk_mul_f32 v[32:33], v[2:3], v[32:33]
	s_wait_loadcnt 0x3
	v_dual_mov_b32 v60, v46 :: v_dual_mov_b32 v46, v48
	s_wait_loadcnt 0x2
	v_mov_b32_e32 v61, v50
	s_wait_loadcnt 0x1
	s_wait_xcnt 0x2
	v_dual_mul_f32 v62, v2, v54 :: v_dual_mov_b32 v50, v47
	v_dual_mov_b32 v63, v32 :: v_dual_mul_f32 v32, v3, v55
	v_mov_b32_e32 v47, v52
	s_wait_loadcnt 0x0
	v_pk_mul_f32 v[34:35], v[4:5], v[34:35]
	v_pk_fma_f32 v[60:61], v[2:3], v[60:61], 0 op_sel_hi:[0,1,0]
	s_wait_xcnt 0x1
	v_pk_add_f32 v[54:55], v[62:63], 0 op_sel_hi:[1,0]
	v_dual_mul_f32 v62, v4, v56 :: v_dual_mov_b32 v52, v49
	v_mov_b32_e32 v63, v34
	v_pk_fma_f32 v[6:7], v[6:7], v[50:51], v[60:61] op_sel_hi:[0,1,1]
	s_delay_alu instid0(VALU_DEP_4) | instskip(SKIP_1) | instid1(VALU_DEP_3)
	v_pk_add_f32 v[32:33], v[54:55], v[32:33]
	v_mul_f32_e32 v34, v5, v57
	v_pk_fma_f32 v[46:47], v[4:5], v[46:47], v[6:7] op_sel_hi:[0,1,1]
	s_delay_alu instid0(VALU_DEP_3) | instskip(NEXT) | instid1(VALU_DEP_1)
	v_pk_add_f32 v[32:33], v[32:33], v[62:63]
	v_pk_add_f32 v[6:7], v[32:33], v[34:35]
	s_delay_alu instid0(VALU_DEP_3)
	v_pk_fma_f32 v[32:33], v[58:59], v[52:53], v[46:47] op_sel_hi:[0,1,1]
	s_wait_xcnt 0x0
	s_and_not1_saveexec_b32 s9, s6
	s_cbranch_execz .LBB38_19
.LBB38_45:                              ;   in Loop: Header=BB38_17 Depth=2
	s_wait_dscnt 0x0
	v_dual_mov_b32 v7, 0 :: v_dual_mov_b32 v6, 0
	v_dual_mov_b32 v33, 0 :: v_dual_mov_b32 v32, 0
	s_and_saveexec_b32 s29, s5
	s_cbranch_execz .LBB38_62
; %bb.46:                               ;   in Loop: Header=BB38_17 Depth=2
	s_and_not1_b32 vcc_lo, exec_lo, s75
	s_cbranch_vccnz .LBB38_49
; %bb.47:                               ;   in Loop: Header=BB38_17 Depth=2
	v_mov_b32_e32 v1, v8
	s_mov_b64 s[70:71], 0
.LBB38_48:                              ;   Parent Loop BB38_3 Depth=1
                                        ;     Parent Loop BB38_17 Depth=2
                                        ; =>    This Inner Loop Header: Depth=3
	global_load_b32 v6, v1, s[58:59] scale_offset
	s_cmp_eq_u32 s70, 3
	s_cselect_b32 vcc_lo, -1, 0
	s_cmp_eq_u32 s70, 2
	s_wait_xcnt 0x0
	v_add_nc_u32_e32 v1, s10, v1
	s_cselect_b32 s6, -1, 0
	s_cmp_eq_u32 s70, 1
	s_cselect_b32 s7, -1, 0
	s_cmp_eq_u32 s70, 0
	s_add_nc_u64 s[70:71], s[70:71], 1
	s_cselect_b32 s8, -1, 0
	s_cmp_eq_u32 s73, s70
	s_wait_loadcnt 0x0
	v_dual_cndmask_b32 v5, v5, v6, vcc_lo :: v_dual_cndmask_b32 v4, v4, v6, s6
	v_dual_cndmask_b32 v3, v3, v6, s7 :: v_dual_cndmask_b32 v2, v2, v6, s8
	s_cbranch_scc0 .LBB38_48
.LBB38_49:                              ;   in Loop: Header=BB38_17 Depth=2
	s_and_not1_b32 vcc_lo, exec_lo, s75
	s_cbranch_vccnz .LBB38_61
; %bb.50:                               ;   in Loop: Header=BB38_17 Depth=2
	v_mov_b32_e32 v32, 0
	s_ashr_i32 s63, s62, 31
	s_mov_b64 s[6:7], 0
	v_lshl_add_u64 v[34:35], s[62:63], 2, v[30:31]
	s_delay_alu instid0(VALU_DEP_2)
	v_dual_mov_b32 v33, v32 :: v_dual_mov_b32 v6, v32
	v_mov_b32_e32 v7, v32
.LBB38_51:                              ;   Parent Loop BB38_3 Depth=1
                                        ;     Parent Loop BB38_17 Depth=2
                                        ; =>    This Inner Loop Header: Depth=3
	s_cmp_eq_u32 s6, 1
	s_cselect_b32 vcc_lo, -1, 0
	s_cmp_eq_u32 s6, 2
	v_cndmask_b32_e32 v1, v2, v3, vcc_lo
	s_cselect_b32 vcc_lo, -1, 0
	s_cmp_eq_u32 s6, 3
	s_delay_alu instid0(VALU_DEP_1)
	v_cndmask_b32_e32 v1, v1, v4, vcc_lo
	s_cselect_b32 vcc_lo, -1, 0
	s_add_co_i32 s78, s66, s6
	s_add_co_i32 s80, s64, s6
	;; [unrolled: 1-line block ×3, first 2 shown]
	s_ashr_i32 s79, s78, 31
	s_ashr_i32 s81, s80, 31
	s_ashr_i32 s71, s70, 31
	v_lshl_add_u64 v[46:47], s[78:79], 2, v[20:21]
	v_lshl_add_u64 v[48:49], s[80:81], 2, v[20:21]
	s_wait_xcnt 0x0
	v_lshl_add_u64 v[50:51], s[70:71], 2, v[20:21]
	global_load_b32 v52, v[34:35], off
	s_clause 0x2
	global_load_b32 v46, v[46:47], off
	global_load_b32 v47, v[48:49], off
	;; [unrolled: 1-line block ×3, first 2 shown]
	s_wait_xcnt 0x1
	v_cndmask_b32_e32 v48, v1, v5, vcc_lo
	v_add_nc_u64_e32 v[34:35], 4, v[34:35]
	s_add_nc_u64 s[6:7], s[6:7], 1
	s_delay_alu instid0(SALU_CYCLE_1)
	s_cmp_lg_u32 s73, s6
	s_wait_loadcnt 0x1
	v_pk_fma_f32 v[6:7], v[48:49], v[46:47], v[6:7] op_sel_hi:[0,1,1]
	s_wait_loadcnt 0x0
	v_pk_fma_f32 v[32:33], v[48:49], v[52:53], v[32:33] op_sel_hi:[0,1,1]
	s_cbranch_scc1 .LBB38_51
	s_branch .LBB38_62
.LBB38_52:                              ;   in Loop: Header=BB38_17 Depth=2
	ds_load_b32 v1, v36
	s_or_b32 exec_lo, exec_lo, s6
	s_and_saveexec_b32 s6, s1
	s_cbranch_execz .LBB38_25
.LBB38_53:                              ;   in Loop: Header=BB38_17 Depth=2
	s_wait_dscnt 0x0
	ds_bpermute_b32 v32, v42, v1
	s_wait_dscnt 0x0
	v_add_f32_e32 v1, v1, v32
	ds_bpermute_b32 v32, v43, v1
	s_wait_dscnt 0x0
	v_add_f32_e32 v1, v1, v32
	;; [unrolled: 3-line block ×3, first 2 shown]
	s_or_b32 exec_lo, exec_lo, s6
	s_and_saveexec_b32 s6, s1
	s_cbranch_execnz .LBB38_26
	s_branch .LBB38_27
.LBB38_54:                              ;   in Loop: Header=BB38_17 Depth=2
	ds_load_b32 v32, v36
	s_or_b32 exec_lo, exec_lo, s6
	s_and_saveexec_b32 s6, s1
	s_cbranch_execz .LBB38_31
.LBB38_55:                              ;   in Loop: Header=BB38_17 Depth=2
	s_wait_dscnt 0x0
	ds_bpermute_b32 v33, v42, v32
	s_wait_dscnt 0x0
	v_add_f32_e32 v32, v32, v33
	ds_bpermute_b32 v33, v43, v32
	s_wait_dscnt 0x0
	v_add_f32_e32 v32, v32, v33
	;; [unrolled: 3-line block ×3, first 2 shown]
	s_or_b32 exec_lo, exec_lo, s6
	s_and_saveexec_b32 s6, s1
	s_cbranch_execnz .LBB38_32
	s_branch .LBB38_33
.LBB38_56:                              ;   in Loop: Header=BB38_17 Depth=2
	ds_load_b32 v6, v36
	s_or_b32 exec_lo, exec_lo, s6
	s_and_saveexec_b32 s6, s1
	s_cbranch_execz .LBB38_37
.LBB38_57:                              ;   in Loop: Header=BB38_17 Depth=2
	s_wait_dscnt 0x0
	ds_bpermute_b32 v33, v42, v6
	s_wait_dscnt 0x0
	v_add_f32_e32 v6, v6, v33
	ds_bpermute_b32 v33, v43, v6
	s_wait_dscnt 0x0
	v_add_f32_e32 v6, v6, v33
	;; [unrolled: 3-line block ×3, first 2 shown]
	s_or_b32 exec_lo, exec_lo, s6
	s_and_saveexec_b32 s6, s1
	s_cbranch_execnz .LBB38_38
	s_branch .LBB38_39
.LBB38_58:                              ;   in Loop: Header=BB38_17 Depth=2
	ds_load_b32 v7, v36
	s_or_b32 exec_lo, exec_lo, s6
	s_and_saveexec_b32 s6, s1
	s_cbranch_execz .LBB38_43
.LBB38_59:                              ;   in Loop: Header=BB38_17 Depth=2
	s_wait_dscnt 0x0
	ds_bpermute_b32 v33, v42, v7
	s_wait_dscnt 0x0
	v_add_f32_e32 v7, v7, v33
	ds_bpermute_b32 v33, v43, v7
	s_wait_dscnt 0x0
	v_add_f32_e32 v7, v7, v33
	ds_bpermute_b32 v33, v44, v7
	s_wait_dscnt 0x0
	v_add_f32_e32 v7, v7, v33
	s_or_b32 exec_lo, exec_lo, s6
	s_and_saveexec_b32 s6, s0
	s_cbranch_execz .LBB38_16
.LBB38_60:                              ;   in Loop: Header=BB38_17 Depth=2
	s_mul_i32 s7, s30, s38
	v_dual_mul_f32 v1, v40, v1 :: v_dual_mul_f32 v32, v40, v32
	s_add_co_i32 s7, s7, s40
	s_delay_alu instid0(SALU_CYCLE_1) | instskip(NEXT) | instid1(SALU_CYCLE_1)
	s_add_co_i32 s8, s7, s38
	v_dual_mov_b32 v33, s7 :: v_dual_mov_b32 v34, s8
	s_add_co_i32 s7, s8, s38
	s_delay_alu instid0(SALU_CYCLE_1)
	v_dual_mul_f32 v6, v40, v6 :: v_dual_mov_b32 v35, s7
	s_add_co_i32 s7, s7, s38
	s_wait_dscnt 0x0
	v_dual_mul_f32 v7, v40, v7 :: v_dual_mov_b32 v45, s7
	s_clause 0x3
	global_store_b32 v33, v1, s[60:61] scale_offset
	global_store_b32 v34, v32, s[60:61] scale_offset
	;; [unrolled: 1-line block ×4, first 2 shown]
	s_branch .LBB38_16
.LBB38_61:                              ;   in Loop: Header=BB38_17 Depth=2
	v_mov_b32_e32 v7, 0
	s_delay_alu instid0(VALU_DEP_1)
	v_dual_mov_b32 v6, v7 :: v_dual_mov_b32 v33, v7
	v_mov_b32_e32 v32, v7
.LBB38_62:                              ;   in Loop: Header=BB38_17 Depth=2
	s_wait_xcnt 0x0
	s_or_b32 exec_lo, exec_lo, s29
	s_delay_alu instid0(SALU_CYCLE_1)
	s_or_b32 exec_lo, exec_lo, s9
	s_and_saveexec_b32 s6, s1
	s_cbranch_execnz .LBB38_20
	s_branch .LBB38_21
.LBB38_63:                              ;   in Loop: Header=BB38_3 Depth=1
	v_dual_mov_b32 v1, v0 :: v_dual_mov_b32 v2, v0
	v_mov_b32_e32 v3, v0
	s_mov_b32 s30, 0
	s_delay_alu instid0(VALU_DEP_1) | instskip(NEXT) | instid1(VALU_DEP_3)
	v_mov_b64_e32 v[4:5], v[2:3]
	v_mov_b64_e32 v[2:3], v[0:1]
.LBB38_64:                              ;   in Loop: Header=BB38_3 Depth=1
	s_cmp_ge_i32 s30, s35
	s_cbranch_scc1 .LBB38_2
; %bb.65:                               ;   in Loop: Header=BB38_3 Depth=1
	v_cmp_gt_u32_e32 vcc_lo, 24, v38
	s_add_nc_u64 s[60:61], s[60:61], s[22:23]
	s_mul_i32 s62, s36, s30
	v_cndmask_b32_e64 v1, 0, 8, vcc_lo
	v_cmp_gt_u32_e32 vcc_lo, 28, v38
	s_delay_alu instid0(VALU_DEP_2) | instskip(SKIP_4) | instid1(VALU_DEP_2)
	v_add_lshl_u32 v1, v1, v38, 2
	s_wait_dscnt 0x0
	v_cndmask_b32_e64 v6, 0, 4, vcc_lo
	v_cmp_gt_u32_e32 vcc_lo, 30, v38
	s_wait_dscnt 0x0
	v_add_lshl_u32 v7, v6, v38, 2
	v_cndmask_b32_e64 v32, 0, 2, vcc_lo
	v_cmp_ne_u32_e32 vcc_lo, 31, v38
	s_delay_alu instid0(VALU_DEP_2) | instskip(SKIP_1) | instid1(VALU_DEP_1)
	v_add_lshl_u32 v34, v32, v38, 2
	v_add_co_ci_u32_e64 v33, null, 0, v38, vcc_lo
	v_lshlrev_b32_e32 v35, 2, v33
	s_branch .LBB38_67
.LBB38_66:                              ;   in Loop: Header=BB38_67 Depth=2
	s_wait_xcnt 0x0
	s_or_b32 exec_lo, exec_lo, s6
	s_add_co_i32 s30, s30, 1
	s_add_co_i32 s62, s62, s36
	s_cmp_ge_i32 s30, s35
	s_cbranch_scc1 .LBB38_2
.LBB38_67:                              ;   Parent Loop BB38_3 Depth=1
                                        ; =>  This Loop Header: Depth=2
                                        ;       Child Loop BB38_80 Depth 3
                                        ;       Child Loop BB38_83 Depth 3
	s_wait_dscnt 0x0
	v_mov_b32_e32 v6, s31
	s_and_saveexec_b32 s6, s4
	s_delay_alu instid0(SALU_CYCLE_1)
	s_xor_b32 s6, exec_lo, s6
	s_cbranch_execnz .LBB38_76
; %bb.68:                               ;   in Loop: Header=BB38_67 Depth=2
	s_and_not1_saveexec_b32 s9, s6
	s_cbranch_execnz .LBB38_77
.LBB38_69:                              ;   in Loop: Header=BB38_67 Depth=2
	s_or_b32 exec_lo, exec_lo, s9
	s_and_saveexec_b32 s6, s1
.LBB38_70:                              ;   in Loop: Header=BB38_67 Depth=2
	ds_store_b32 v36, v0
.LBB38_71:                              ;   in Loop: Header=BB38_67 Depth=2
	s_or_b32 exec_lo, exec_lo, s6
	ds_bpermute_b32 v32, v39, v6
	s_wait_storecnt_dscnt 0x0
	s_barrier_signal -1
	s_barrier_wait -1
	v_add_f32_e32 v6, v6, v32
	ds_bpermute_b32 v32, v1, v6
	s_wait_dscnt 0x0
	v_add_f32_e32 v6, v6, v32
	ds_bpermute_b32 v32, v7, v6
	s_wait_dscnt 0x0
	;; [unrolled: 3-line block ×3, first 2 shown]
	v_add_f32_e32 v6, v6, v32
	ds_bpermute_b32 v32, v35, v6
	s_and_saveexec_b32 s6, s3
	s_cbranch_execz .LBB38_73
; %bb.72:                               ;   in Loop: Header=BB38_67 Depth=2
	s_wait_dscnt 0x0
	v_add_f32_e32 v6, v6, v32
	ds_store_b32 v37, v6
.LBB38_73:                              ;   in Loop: Header=BB38_67 Depth=2
	s_or_b32 exec_lo, exec_lo, s6
	v_mov_b32_e32 v6, 0
	s_wait_dscnt 0x0
	s_barrier_signal -1
	s_barrier_wait -1
	s_and_saveexec_b32 s6, s2
	s_cbranch_execnz .LBB38_85
; %bb.74:                               ;   in Loop: Header=BB38_67 Depth=2
	s_or_b32 exec_lo, exec_lo, s6
	s_and_saveexec_b32 s6, s1
	s_cbranch_execnz .LBB38_86
.LBB38_75:                              ;   in Loop: Header=BB38_67 Depth=2
	s_or_b32 exec_lo, exec_lo, s6
	s_and_saveexec_b32 s6, s0
	s_cbranch_execz .LBB38_66
	s_branch .LBB38_87
.LBB38_76:                              ;   in Loop: Header=BB38_67 Depth=2
	s_mul_i32 s8, s30, s36
	s_delay_alu instid0(SALU_CYCLE_1) | instskip(NEXT) | instid1(SALU_CYCLE_1)
	s_ashr_i32 s9, s8, 31
	v_lshl_add_u64 v[2:3], s[8:9], 2, v[20:21]
	global_load_b128 v[42:45], v[2:3], off
	s_clause 0x3
	global_load_b32 v2, v[22:23], off
	global_load_b32 v3, v[24:25], off
	;; [unrolled: 1-line block ×4, first 2 shown]
	s_wait_loadcnt 0x2
	v_pk_mul_f32 v[32:33], v[2:3], v[42:43]
	s_delay_alu instid0(VALU_DEP_1) | instskip(NEXT) | instid1(VALU_DEP_1)
	v_add_f32_e32 v6, 0, v32
	v_add_f32_e32 v6, v6, v33
	s_wait_loadcnt 0x0
	v_pk_mul_f32 v[32:33], v[4:5], v[44:45]
	s_delay_alu instid0(VALU_DEP_1) | instskip(NEXT) | instid1(VALU_DEP_1)
	v_add_f32_e32 v6, v6, v32
	v_add_f32_e32 v6, v6, v33
	s_wait_xcnt 0x0
	s_and_not1_saveexec_b32 s9, s6
	s_cbranch_execz .LBB38_69
.LBB38_77:                              ;   in Loop: Header=BB38_67 Depth=2
	s_and_saveexec_b32 s29, s5
	s_cbranch_execz .LBB38_84
; %bb.78:                               ;   in Loop: Header=BB38_67 Depth=2
	s_and_not1_b32 vcc_lo, exec_lo, s75
	s_cbranch_vccnz .LBB38_81
; %bb.79:                               ;   in Loop: Header=BB38_67 Depth=2
	v_mov_b32_e32 v32, v8
	s_mov_b64 s[64:65], 0
.LBB38_80:                              ;   Parent Loop BB38_3 Depth=1
                                        ;     Parent Loop BB38_67 Depth=2
                                        ; =>    This Inner Loop Header: Depth=3
	global_load_b32 v33, v32, s[58:59] scale_offset
	s_cmp_eq_u32 s64, 3
	s_cselect_b32 vcc_lo, -1, 0
	s_cmp_eq_u32 s64, 2
	s_wait_xcnt 0x0
	v_add_nc_u32_e32 v32, s10, v32
	s_cselect_b32 s6, -1, 0
	s_cmp_eq_u32 s64, 1
	s_cselect_b32 s7, -1, 0
	s_cmp_eq_u32 s64, 0
	s_add_nc_u64 s[64:65], s[64:65], 1
	s_cselect_b32 s8, -1, 0
	s_cmp_eq_u32 s73, s64
	s_wait_loadcnt 0x0
	v_dual_cndmask_b32 v5, v5, v33, vcc_lo :: v_dual_cndmask_b32 v4, v4, v33, s6
	v_dual_cndmask_b32 v3, v3, v33, s7 :: v_dual_cndmask_b32 v2, v2, v33, s8
	s_cbranch_scc0 .LBB38_80
.LBB38_81:                              ;   in Loop: Header=BB38_67 Depth=2
	s_and_not1_b32 vcc_lo, exec_lo, s75
	s_cbranch_vccnz .LBB38_84
; %bb.82:                               ;   in Loop: Header=BB38_67 Depth=2
	s_ashr_i32 s63, s62, 31
	s_mov_b64 s[6:7], 0
	v_lshl_add_u64 v[32:33], s[62:63], 2, v[30:31]
.LBB38_83:                              ;   Parent Loop BB38_3 Depth=1
                                        ;     Parent Loop BB38_67 Depth=2
                                        ; =>    This Inner Loop Header: Depth=3
	global_load_b32 v41, v[32:33], off
	s_cmp_eq_u32 s6, 1
	s_wait_xcnt 0x0
	v_add_nc_u64_e32 v[32:33], 4, v[32:33]
	s_cselect_b32 vcc_lo, -1, 0
	s_cmp_eq_u32 s6, 2
	v_cndmask_b32_e32 v42, v2, v3, vcc_lo
	s_cselect_b32 vcc_lo, -1, 0
	s_cmp_eq_u32 s6, 3
	s_add_nc_u64 s[6:7], s[6:7], 1
	s_delay_alu instid0(VALU_DEP_1) | instskip(SKIP_2) | instid1(VALU_DEP_1)
	v_cndmask_b32_e32 v42, v42, v4, vcc_lo
	s_cselect_b32 vcc_lo, -1, 0
	s_cmp_lg_u32 s73, s6
	v_cndmask_b32_e32 v42, v42, v5, vcc_lo
	s_wait_loadcnt 0x0
	s_delay_alu instid0(VALU_DEP_1)
	v_fmac_f32_e32 v6, v42, v41
	s_cbranch_scc1 .LBB38_83
.LBB38_84:                              ;   in Loop: Header=BB38_67 Depth=2
	s_or_b32 exec_lo, exec_lo, s29
	s_delay_alu instid0(SALU_CYCLE_1)
	s_or_b32 exec_lo, exec_lo, s9
	s_and_saveexec_b32 s6, s1
	s_cbranch_execnz .LBB38_70
	s_branch .LBB38_71
.LBB38_85:                              ;   in Loop: Header=BB38_67 Depth=2
	ds_load_b32 v6, v36
	s_or_b32 exec_lo, exec_lo, s6
	s_and_saveexec_b32 s6, s1
	s_cbranch_execz .LBB38_75
.LBB38_86:                              ;   in Loop: Header=BB38_67 Depth=2
	s_wait_dscnt 0x0
	ds_bpermute_b32 v32, v7, v6
	s_wait_dscnt 0x0
	v_add_f32_e32 v6, v6, v32
	ds_bpermute_b32 v32, v34, v6
	s_wait_dscnt 0x0
	v_add_f32_e32 v6, v6, v32
	;; [unrolled: 3-line block ×3, first 2 shown]
	s_or_b32 exec_lo, exec_lo, s6
	s_and_saveexec_b32 s6, s0
	s_cbranch_execz .LBB38_66
.LBB38_87:                              ;   in Loop: Header=BB38_67 Depth=2
	s_mul_u64 s[8:9], s[30:31], s[38:39]
	s_wait_dscnt 0x0
	v_mul_f32_e32 v6, v40, v6
	s_lshl_b64 s[8:9], s[8:9], 2
	s_delay_alu instid0(SALU_CYCLE_1)
	s_add_nc_u64 s[8:9], s[60:61], s[8:9]
	global_store_b32 v0, v6, s[8:9]
	s_branch .LBB38_66
.LBB38_88:
	s_endpgm
	.section	.rodata,"a",@progbits
	.p2align	6, 0x0
	.amdhsa_kernel _ZL23rocblas_gemvt_sn_kernelILb1ELi256ELi4EifPKffEviiT4_lPKT3_lilS5_lilPT5_i
		.amdhsa_group_segment_fixed_size 128
		.amdhsa_private_segment_fixed_size 0
		.amdhsa_kernarg_size 360
		.amdhsa_user_sgpr_count 2
		.amdhsa_user_sgpr_dispatch_ptr 0
		.amdhsa_user_sgpr_queue_ptr 0
		.amdhsa_user_sgpr_kernarg_segment_ptr 1
		.amdhsa_user_sgpr_dispatch_id 0
		.amdhsa_user_sgpr_kernarg_preload_length 0
		.amdhsa_user_sgpr_kernarg_preload_offset 0
		.amdhsa_user_sgpr_private_segment_size 0
		.amdhsa_wavefront_size32 1
		.amdhsa_uses_dynamic_stack 0
		.amdhsa_enable_private_segment 0
		.amdhsa_system_sgpr_workgroup_id_x 1
		.amdhsa_system_sgpr_workgroup_id_y 0
		.amdhsa_system_sgpr_workgroup_id_z 1
		.amdhsa_system_sgpr_workgroup_info 0
		.amdhsa_system_vgpr_workitem_id 0
		.amdhsa_next_free_vgpr 64
		.amdhsa_next_free_sgpr 82
		.amdhsa_named_barrier_count 0
		.amdhsa_reserve_vcc 1
		.amdhsa_float_round_mode_32 0
		.amdhsa_float_round_mode_16_64 0
		.amdhsa_float_denorm_mode_32 3
		.amdhsa_float_denorm_mode_16_64 3
		.amdhsa_fp16_overflow 0
		.amdhsa_memory_ordered 1
		.amdhsa_forward_progress 1
		.amdhsa_inst_pref_size 31
		.amdhsa_round_robin_scheduling 0
		.amdhsa_exception_fp_ieee_invalid_op 0
		.amdhsa_exception_fp_denorm_src 0
		.amdhsa_exception_fp_ieee_div_zero 0
		.amdhsa_exception_fp_ieee_overflow 0
		.amdhsa_exception_fp_ieee_underflow 0
		.amdhsa_exception_fp_ieee_inexact 0
		.amdhsa_exception_int_div_zero 0
	.end_amdhsa_kernel
	.section	.text._ZL23rocblas_gemvt_sn_kernelILb1ELi256ELi4EifPKffEviiT4_lPKT3_lilS5_lilPT5_i,"axG",@progbits,_ZL23rocblas_gemvt_sn_kernelILb1ELi256ELi4EifPKffEviiT4_lPKT3_lilS5_lilPT5_i,comdat
.Lfunc_end38:
	.size	_ZL23rocblas_gemvt_sn_kernelILb1ELi256ELi4EifPKffEviiT4_lPKT3_lilS5_lilPT5_i, .Lfunc_end38-_ZL23rocblas_gemvt_sn_kernelILb1ELi256ELi4EifPKffEviiT4_lPKT3_lilS5_lilPT5_i
                                        ; -- End function
	.set _ZL23rocblas_gemvt_sn_kernelILb1ELi256ELi4EifPKffEviiT4_lPKT3_lilS5_lilPT5_i.num_vgpr, 64
	.set _ZL23rocblas_gemvt_sn_kernelILb1ELi256ELi4EifPKffEviiT4_lPKT3_lilS5_lilPT5_i.num_agpr, 0
	.set _ZL23rocblas_gemvt_sn_kernelILb1ELi256ELi4EifPKffEviiT4_lPKT3_lilS5_lilPT5_i.numbered_sgpr, 82
	.set _ZL23rocblas_gemvt_sn_kernelILb1ELi256ELi4EifPKffEviiT4_lPKT3_lilS5_lilPT5_i.num_named_barrier, 0
	.set _ZL23rocblas_gemvt_sn_kernelILb1ELi256ELi4EifPKffEviiT4_lPKT3_lilS5_lilPT5_i.private_seg_size, 0
	.set _ZL23rocblas_gemvt_sn_kernelILb1ELi256ELi4EifPKffEviiT4_lPKT3_lilS5_lilPT5_i.uses_vcc, 1
	.set _ZL23rocblas_gemvt_sn_kernelILb1ELi256ELi4EifPKffEviiT4_lPKT3_lilS5_lilPT5_i.uses_flat_scratch, 0
	.set _ZL23rocblas_gemvt_sn_kernelILb1ELi256ELi4EifPKffEviiT4_lPKT3_lilS5_lilPT5_i.has_dyn_sized_stack, 0
	.set _ZL23rocblas_gemvt_sn_kernelILb1ELi256ELi4EifPKffEviiT4_lPKT3_lilS5_lilPT5_i.has_recursion, 0
	.set _ZL23rocblas_gemvt_sn_kernelILb1ELi256ELi4EifPKffEviiT4_lPKT3_lilS5_lilPT5_i.has_indirect_call, 0
	.section	.AMDGPU.csdata,"",@progbits
; Kernel info:
; codeLenInByte = 3932
; TotalNumSgprs: 84
; NumVgprs: 64
; ScratchSize: 0
; MemoryBound: 0
; FloatMode: 240
; IeeeMode: 1
; LDSByteSize: 128 bytes/workgroup (compile time only)
; SGPRBlocks: 0
; VGPRBlocks: 3
; NumSGPRsForWavesPerEU: 84
; NumVGPRsForWavesPerEU: 64
; NamedBarCnt: 0
; Occupancy: 16
; WaveLimiterHint : 0
; COMPUTE_PGM_RSRC2:SCRATCH_EN: 0
; COMPUTE_PGM_RSRC2:USER_SGPR: 2
; COMPUTE_PGM_RSRC2:TRAP_HANDLER: 0
; COMPUTE_PGM_RSRC2:TGID_X_EN: 1
; COMPUTE_PGM_RSRC2:TGID_Y_EN: 0
; COMPUTE_PGM_RSRC2:TGID_Z_EN: 1
; COMPUTE_PGM_RSRC2:TIDIG_COMP_CNT: 0
	.section	.text._ZL23rocblas_gemvt_sn_kernelILb1ELi256ELi4ElfPKffEviiT4_lPKT3_lilS5_lilPT5_i,"axG",@progbits,_ZL23rocblas_gemvt_sn_kernelILb1ELi256ELi4ElfPKffEviiT4_lPKT3_lilS5_lilPT5_i,comdat
	.globl	_ZL23rocblas_gemvt_sn_kernelILb1ELi256ELi4ElfPKffEviiT4_lPKT3_lilS5_lilPT5_i ; -- Begin function _ZL23rocblas_gemvt_sn_kernelILb1ELi256ELi4ElfPKffEviiT4_lPKT3_lilS5_lilPT5_i
	.p2align	8
	.type	_ZL23rocblas_gemvt_sn_kernelILb1ELi256ELi4ElfPKffEviiT4_lPKT3_lilS5_lilPT5_i,@function
_ZL23rocblas_gemvt_sn_kernelILb1ELi256ELi4ElfPKffEviiT4_lPKT3_lilS5_lilPT5_i: ; @_ZL23rocblas_gemvt_sn_kernelILb1ELi256ELi4ElfPKffEviiT4_lPKT3_lilS5_lilPT5_i
; %bb.0:
	s_load_b32 s33, s[0:1], 0x60
	s_bfe_u32 s2, ttmp6, 0x40014
	s_lshr_b32 s3, ttmp7, 16
	s_add_co_i32 s2, s2, 1
	s_bfe_u32 s5, ttmp6, 0x40008
	s_mul_i32 s4, s3, s2
	s_getreg_b32 s2, hwreg(HW_REG_IB_STS2, 6, 4)
	s_add_co_i32 s5, s5, s4
	s_cmp_eq_u32 s2, 0
	s_mov_b32 s29, 0
	s_cselect_b32 s10, s3, s5
	s_wait_kmcnt 0x0
	s_cmp_ge_u32 s10, s33
	s_cbranch_scc1 .LBB39_88
; %bb.1:
	s_clause 0x6
	s_load_b32 s30, s[0:1], 0x28
	s_load_b96 s[4:6], s[0:1], 0x40
	s_load_b256 s[12:19], s[0:1], 0x8
	s_load_b64 s[34:35], s[0:1], 0x0
	s_load_b128 s[20:23], s[0:1], 0x30
	s_load_b128 s[24:27], s[0:1], 0x50
	s_load_b32 s36, s[0:1], 0x68
	s_wait_xcnt 0x0
	v_cmp_eq_u32_e64 s0, 0, v0
	v_mbcnt_lo_u32_b32 v42, -1, 0
	v_mov_b64_e32 v[20:21], 0
	s_mov_b32 s37, s29
	s_delay_alu instid0(VALU_DEP_2)
	v_lshl_or_b32 v43, v42, 2, 64
	s_wait_kmcnt 0x0
	s_ashr_i32 s31, s30, 31
	s_ashr_i32 s7, s6, 31
	s_lshl_b64 s[4:5], s[4:5], 2
	s_lshl_b64 s[8:9], s[18:19], 2
	s_ashr_i32 s43, s35, 31
	s_cmp_gt_i32 s35, 0
	s_add_nc_u64 s[18:19], s[22:23], s[4:5]
	s_cselect_b32 s1, -1, 0
	s_bfe_u32 s3, ttmp6, 0x4000c
	s_add_nc_u64 s[4:5], s[16:17], s[8:9]
	s_add_co_i32 s3, s3, 1
	s_and_b32 s8, ttmp6, 15
	s_mul_i32 s3, ttmp9, s3
	s_and_b32 s66, s0, s1
	s_add_co_i32 s8, s8, s3
	s_cmp_eq_u32 s2, 0
	s_mov_b32 s42, s35
	s_cselect_b32 s28, ttmp9, s8
	s_ashr_i32 s2, s34, 31
	s_lshl_b32 s3, s28, 10
	s_lshr_b32 s2, s2, 30
	v_lshl_or_b32 v2, v0, 2, s3
	s_add_co_i32 s2, s34, s2
	s_lshr_b32 s1, s43, 30
	s_and_b32 s2, s2, -4
	s_add_co_i32 s1, s35, s1
	s_sub_co_i32 s68, s34, s2
	v_dual_ashrrev_i32 v3, 31, v2 :: v_dual_add_nc_u32 v1, 4, v2
	v_dual_add_nc_u32 v4, s68, v2 :: v_dual_bitop2_b32 v6, 2, v2 bitop3:0x54
	s_and_b32 s67, s1, -4
	s_delay_alu instid0(VALU_DEP_2) | instskip(SKIP_1) | instid1(VALU_DEP_3)
	v_lshl_add_u64 v[8:9], v[2:3], 2, s[4:5]
	v_mul_u64_e32 v[10:11], s[6:7], v[2:3]
	v_cmp_ge_i32_e64 s2, s34, v4
	v_or_b32_e32 v4, 1, v2
	v_or_b32_e32 v2, 3, v2
	v_cmp_ge_i32_e64 s1, s34, v1
	v_dual_ashrrev_i32 v7, 31, v6 :: v_dual_bitop2_b32 v1, 31, v0 bitop3:0x40
	s_cmp_gt_i32 s67, 0
	v_dual_ashrrev_i32 v3, 31, v2 :: v_dual_ashrrev_i32 v5, 31, v4
	s_cselect_b32 s69, -1, 0
	s_delay_alu instid0(VALU_DEP_2) | instskip(SKIP_1) | instid1(VALU_DEP_2)
	v_mul_u64_e32 v[14:15], s[6:7], v[6:7]
	s_cmp_gt_i32 s68, 0
	v_mul_u64_e32 v[16:17], s[6:7], v[2:3]
	v_mul_u64_e32 v[12:13], s[6:7], v[4:5]
	s_cselect_b32 s34, -1, 0
	s_cmp_gt_u32 s35, 1
	v_cmp_gt_u32_e64 s3, 32, v0
	s_cselect_b32 s8, -1, 0
	s_cmp_eq_u32 s36, 1
	v_cmp_gt_u32_e64 s5, 8, v0
	v_dual_lshrrev_b32 v0, 3, v0 :: v_dual_lshlrev_b32 v40, 2, v1
	s_cselect_b32 s9, -1, 0
	s_and_b32 s70, s35, 0x7ffffffe
	s_and_b32 s71, s8, s9
	s_cmp_lg_u32 s35, s70
	v_cmp_eq_u32_e64 s4, 0, v1
	v_dual_mov_b32 v0, 0 :: v_dual_bitop2_b32 v41, 28, v0 bitop3:0x40
	s_mul_u64 s[16:17], s[42:43], s[36:37]
	s_cselect_b32 s72, -1, 0
	v_lshl_add_u64 v[18:19], v[10:11], 2, s[18:19]
	s_lshl_b64 s[22:23], s[28:29], 2
	s_lshl_b64 s[40:41], s[16:17], 2
	s_add_nc_u64 s[38:39], s[26:27], s[22:23]
	s_lshl_b64 s[42:43], s[42:43], 2
	s_lshl_b64 s[44:45], s[36:37], 2
	;; [unrolled: 1-line block ×8, first 2 shown]
	s_mul_u64 s[58:59], s[30:31], 12
	s_branch .LBB39_3
.LBB39_2:                               ;   in Loop: Header=BB39_3 Depth=1
	s_add_co_i32 s10, s10, 0x10000
	s_delay_alu instid0(SALU_CYCLE_1)
	s_cmp_lt_u32 s10, s33
	s_cbranch_scc0 .LBB39_88
.LBB39_3:                               ; =>This Loop Header: Depth=1
                                        ;     Child Loop BB39_7 Depth 2
                                        ;     Child Loop BB39_11 Depth 2
	;; [unrolled: 1-line block ×3, first 2 shown]
                                        ;       Child Loop BB39_48 Depth 3
                                        ;       Child Loop BB39_51 Depth 3
                                        ;     Child Loop BB39_67 Depth 2
                                        ;       Child Loop BB39_80 Depth 3
                                        ;       Child Loop BB39_83 Depth 3
	s_mov_b32 s11, s29
	s_delay_alu instid0(SALU_CYCLE_1) | instskip(NEXT) | instid1(SALU_CYCLE_1)
	s_mul_u64 s[6:7], s[14:15], s[10:11]
	s_lshl_b64 s[6:7], s[6:7], 2
	s_delay_alu instid0(SALU_CYCLE_1)
	s_add_nc_u64 s[6:7], s[12:13], s[6:7]
	global_load_b32 v44, v0, s[6:7]
	s_wait_xcnt 0x0
	s_mov_b32 s6, -1
	s_wait_loadcnt 0x0
	v_cmp_neq_f32_e32 vcc_lo, 0, v44
	s_cbranch_vccnz .LBB39_13
; %bb.4:                                ;   in Loop: Header=BB39_3 Depth=1
	s_and_saveexec_b32 s8, s66
	s_cbranch_execz .LBB39_12
; %bb.5:                                ;   in Loop: Header=BB39_3 Depth=1
	s_and_not1_b32 vcc_lo, exec_lo, s71
	s_cbranch_vccnz .LBB39_9
; %bb.6:                                ;   in Loop: Header=BB39_3 Depth=1
	s_mul_u64 s[6:7], s[40:41], s[10:11]
	s_mov_b32 s9, s70
	s_add_nc_u64 s[6:7], s[38:39], s[6:7]
.LBB39_7:                               ;   Parent Loop BB39_3 Depth=1
                                        ; =>  This Inner Loop Header: Depth=2
	s_add_co_i32 s9, s9, -2
	global_store_b64 v0, v[20:21], s[6:7]
	s_wait_xcnt 0x0
	s_add_nc_u64 s[6:7], s[6:7], 8
	s_mov_b32 s28, s70
	s_cmp_lg_u32 s9, 0
	s_mov_b32 s60, s72
	s_cbranch_scc1 .LBB39_7
; %bb.8:                                ;   in Loop: Header=BB39_3 Depth=1
	s_and_b32 vcc_lo, exec_lo, s60
	s_cbranch_vccnz .LBB39_10
	s_branch .LBB39_12
.LBB39_9:                               ;   in Loop: Header=BB39_3 Depth=1
	s_mov_b32 s28, 0
	s_cbranch_execz .LBB39_12
.LBB39_10:                              ;   in Loop: Header=BB39_3 Depth=1
	s_mul_u64 s[6:7], s[42:43], s[10:11]
	s_lshl_b64 s[60:61], s[28:29], 2
	s_sub_co_i32 s9, s35, s28
	s_add_nc_u64 s[6:7], s[6:7], s[60:61]
	s_delay_alu instid0(SALU_CYCLE_1) | instskip(NEXT) | instid1(SALU_CYCLE_1)
	s_mul_u64 s[6:7], s[36:37], s[6:7]
	s_add_nc_u64 s[6:7], s[38:39], s[6:7]
.LBB39_11:                              ;   Parent Loop BB39_3 Depth=1
                                        ; =>  This Inner Loop Header: Depth=2
	s_add_co_i32 s9, s9, -1
	global_store_b32 v0, v0, s[6:7]
	s_cmp_eq_u32 s9, 0
	s_wait_xcnt 0x0
	s_add_nc_u64 s[6:7], s[6:7], s[44:45]
	s_cbranch_scc0 .LBB39_11
.LBB39_12:                              ;   in Loop: Header=BB39_3 Depth=1
	s_or_b32 exec_lo, exec_lo, s8
	s_mov_b32 s6, 0
.LBB39_13:                              ;   in Loop: Header=BB39_3 Depth=1
	s_delay_alu instid0(SALU_CYCLE_1)
	s_and_not1_b32 vcc_lo, exec_lo, s6
	s_cbranch_vccnz .LBB39_2
; %bb.14:                               ;   in Loop: Header=BB39_3 Depth=1
	v_mad_nc_u64_u32 v[22:23], s46, s10, v[18:19]
	s_mul_u64 s[6:7], s[24:25], s[10:11]
	s_mul_u64 s[8:9], s[16:17], s[10:11]
	s_lshl_b64 s[6:7], s[6:7], 2
	s_mul_u64 s[60:61], s[20:21], s[10:11]
	s_add_nc_u64 s[6:7], s[18:19], s[6:7]
	s_lshl_b64 s[64:65], s[8:9], 2
	v_lshl_add_u64 v[24:25], s[60:61], 2, v[8:9]
	v_lshl_add_u64 v[26:27], v[10:11], 2, s[6:7]
	;; [unrolled: 1-line block ×4, first 2 shown]
	v_mad_u32 v23, s47, s10, v23
	v_lshl_add_u64 v[32:33], v[16:17], 2, s[6:7]
	v_cmp_gt_u32_e64 s9, 24, v42
	v_cmp_gt_u32_e64 s8, 28, v42
	;; [unrolled: 1-line block ×3, first 2 shown]
	v_cmp_ne_u32_e64 s6, 31, v42
	s_add_nc_u64 s[60:61], s[26:27], s[64:65]
	s_mul_u64 s[62:63], s[50:51], s[10:11]
	s_and_not1_b32 vcc_lo, exec_lo, s69
	s_add_nc_u64 s[60:61], s[60:61], s[22:23]
	s_cbranch_vccnz .LBB39_63
; %bb.15:                               ;   in Loop: Header=BB39_3 Depth=1
	v_cndmask_b32_e64 v4, 0, 8, s9
	v_cndmask_b32_e64 v5, 0, 4, s8
	s_wait_dscnt 0x0
	v_add_co_ci_u32_e64 v35, null, 0, v42, s6
	v_dual_mov_b32 v1, v0 :: v_dual_mov_b32 v2, v0
	s_delay_alu instid0(VALU_DEP_2) | instskip(SKIP_3) | instid1(VALU_DEP_4)
	v_dual_mov_b32 v3, v0 :: v_dual_lshlrev_b32 v48, 2, v35
	v_cndmask_b32_e64 v34, 0, 2, s7
	v_add_lshl_u32 v45, v4, v42, 2
	v_add_lshl_u32 v46, v5, v42, 2
	v_mov_b64_e32 v[4:5], v[2:3]
	v_add_nc_u64_e32 v[6:7], s[62:63], v[8:9]
	v_mov_b64_e32 v[2:3], v[0:1]
	v_add_lshl_u32 v47, v34, v42, 2
	s_mov_b32 s28, 0
	s_branch .LBB39_17
.LBB39_16:                              ;   in Loop: Header=BB39_17 Depth=2
	s_wait_xcnt 0x0
	s_or_b32 exec_lo, exec_lo, s6
	v_add_nc_u64_e32 v[6:7], s[52:53], v[6:7]
	s_add_co_i32 s28, s28, 4
	s_delay_alu instid0(SALU_CYCLE_1)
	s_cmp_ge_i32 s28, s67
	s_cbranch_scc1 .LBB39_64
.LBB39_17:                              ;   Parent Loop BB39_3 Depth=1
                                        ; =>  This Loop Header: Depth=2
                                        ;       Child Loop BB39_48 Depth 3
                                        ;       Child Loop BB39_51 Depth 3
                                        ; implicit-def: $vgpr35
                                        ; implicit-def: $vgpr37
	s_and_saveexec_b32 s6, s1
	s_delay_alu instid0(SALU_CYCLE_1)
	s_xor_b32 s6, exec_lo, s6
	s_cbranch_execnz .LBB39_44
; %bb.18:                               ;   in Loop: Header=BB39_17 Depth=2
	s_and_not1_saveexec_b32 s9, s6
	s_cbranch_execnz .LBB39_45
.LBB39_19:                              ;   in Loop: Header=BB39_17 Depth=2
	s_or_b32 exec_lo, exec_lo, s9
	s_and_saveexec_b32 s6, s3
.LBB39_20:                              ;   in Loop: Header=BB39_17 Depth=2
	ds_store_b32 v40, v0
.LBB39_21:                              ;   in Loop: Header=BB39_17 Depth=2
	s_or_b32 exec_lo, exec_lo, s6
	ds_bpermute_b32 v1, v43, v36
	s_wait_storecnt_dscnt 0x0
	s_barrier_signal -1
	s_barrier_wait -1
	v_add_f32_e32 v1, v36, v1
	ds_bpermute_b32 v36, v45, v1
	s_wait_dscnt 0x0
	v_add_f32_e32 v1, v1, v36
	ds_bpermute_b32 v36, v46, v1
	s_wait_dscnt 0x0
	;; [unrolled: 3-line block ×3, first 2 shown]
	v_add_f32_e32 v1, v1, v36
	ds_bpermute_b32 v36, v48, v1
	s_and_saveexec_b32 s6, s4
	s_cbranch_execz .LBB39_23
; %bb.22:                               ;   in Loop: Header=BB39_17 Depth=2
	s_wait_dscnt 0x0
	v_add_f32_e32 v1, v1, v36
	ds_store_b32 v41, v1
.LBB39_23:                              ;   in Loop: Header=BB39_17 Depth=2
	s_or_b32 exec_lo, exec_lo, s6
	v_mov_b32_e32 v1, 0
	s_wait_dscnt 0x0
	s_barrier_signal -1
	s_barrier_wait -1
	s_and_saveexec_b32 s6, s5
	s_cbranch_execnz .LBB39_52
; %bb.24:                               ;   in Loop: Header=BB39_17 Depth=2
	s_or_b32 exec_lo, exec_lo, s6
	s_and_saveexec_b32 s6, s3
	s_cbranch_execnz .LBB39_53
.LBB39_25:                              ;   in Loop: Header=BB39_17 Depth=2
	s_or_b32 exec_lo, exec_lo, s6
	s_and_saveexec_b32 s6, s3
.LBB39_26:                              ;   in Loop: Header=BB39_17 Depth=2
	ds_store_b32 v40, v0
.LBB39_27:                              ;   in Loop: Header=BB39_17 Depth=2
	s_or_b32 exec_lo, exec_lo, s6
	ds_bpermute_b32 v36, v43, v37
	s_wait_dscnt 0x0
	s_barrier_signal -1
	s_barrier_wait -1
	v_add_f32_e32 v36, v37, v36
	ds_bpermute_b32 v37, v45, v36
	s_wait_dscnt 0x0
	v_add_f32_e32 v36, v36, v37
	ds_bpermute_b32 v37, v46, v36
	s_wait_dscnt 0x0
	;; [unrolled: 3-line block ×3, first 2 shown]
	v_add_f32_e32 v36, v36, v37
	ds_bpermute_b32 v37, v48, v36
	s_and_saveexec_b32 s6, s4
	s_cbranch_execz .LBB39_29
; %bb.28:                               ;   in Loop: Header=BB39_17 Depth=2
	s_wait_dscnt 0x0
	v_add_f32_e32 v36, v36, v37
	ds_store_b32 v41, v36
.LBB39_29:                              ;   in Loop: Header=BB39_17 Depth=2
	s_or_b32 exec_lo, exec_lo, s6
	v_mov_b32_e32 v36, 0
	s_wait_dscnt 0x0
	s_barrier_signal -1
	s_barrier_wait -1
	s_and_saveexec_b32 s6, s5
	s_cbranch_execnz .LBB39_54
; %bb.30:                               ;   in Loop: Header=BB39_17 Depth=2
	s_or_b32 exec_lo, exec_lo, s6
	s_and_saveexec_b32 s6, s3
	s_cbranch_execnz .LBB39_55
.LBB39_31:                              ;   in Loop: Header=BB39_17 Depth=2
	s_or_b32 exec_lo, exec_lo, s6
	s_and_saveexec_b32 s6, s3
.LBB39_32:                              ;   in Loop: Header=BB39_17 Depth=2
	ds_store_b32 v40, v0
.LBB39_33:                              ;   in Loop: Header=BB39_17 Depth=2
	s_or_b32 exec_lo, exec_lo, s6
	ds_bpermute_b32 v37, v43, v34
	s_wait_dscnt 0x0
	s_barrier_signal -1
	s_barrier_wait -1
	v_add_f32_e32 v34, v34, v37
	ds_bpermute_b32 v37, v45, v34
	s_wait_dscnt 0x0
	v_add_f32_e32 v34, v34, v37
	ds_bpermute_b32 v37, v46, v34
	s_wait_dscnt 0x0
	;; [unrolled: 3-line block ×3, first 2 shown]
	v_add_f32_e32 v34, v34, v37
	ds_bpermute_b32 v37, v48, v34
	s_and_saveexec_b32 s6, s4
	s_cbranch_execz .LBB39_35
; %bb.34:                               ;   in Loop: Header=BB39_17 Depth=2
	s_wait_dscnt 0x0
	v_add_f32_e32 v34, v34, v37
	ds_store_b32 v41, v34
.LBB39_35:                              ;   in Loop: Header=BB39_17 Depth=2
	s_or_b32 exec_lo, exec_lo, s6
	v_mov_b32_e32 v34, 0
	s_wait_dscnt 0x0
	s_barrier_signal -1
	s_barrier_wait -1
	s_and_saveexec_b32 s6, s5
	s_cbranch_execnz .LBB39_56
; %bb.36:                               ;   in Loop: Header=BB39_17 Depth=2
	s_or_b32 exec_lo, exec_lo, s6
	s_and_saveexec_b32 s6, s3
	s_cbranch_execnz .LBB39_57
.LBB39_37:                              ;   in Loop: Header=BB39_17 Depth=2
	s_or_b32 exec_lo, exec_lo, s6
	s_and_saveexec_b32 s6, s3
.LBB39_38:                              ;   in Loop: Header=BB39_17 Depth=2
	ds_store_b32 v40, v0
.LBB39_39:                              ;   in Loop: Header=BB39_17 Depth=2
	s_or_b32 exec_lo, exec_lo, s6
	ds_bpermute_b32 v37, v43, v35
	s_wait_dscnt 0x0
	s_barrier_signal -1
	s_barrier_wait -1
	v_add_f32_e32 v35, v35, v37
	ds_bpermute_b32 v37, v45, v35
	s_wait_dscnt 0x0
	v_add_f32_e32 v35, v35, v37
	ds_bpermute_b32 v37, v46, v35
	s_wait_dscnt 0x0
	v_add_f32_e32 v35, v35, v37
	ds_bpermute_b32 v37, v47, v35
	s_wait_dscnt 0x0
	v_add_f32_e32 v35, v35, v37
	ds_bpermute_b32 v37, v48, v35
	s_and_saveexec_b32 s6, s4
	s_cbranch_execz .LBB39_41
; %bb.40:                               ;   in Loop: Header=BB39_17 Depth=2
	s_wait_dscnt 0x0
	v_add_f32_e32 v35, v35, v37
	ds_store_b32 v41, v35
.LBB39_41:                              ;   in Loop: Header=BB39_17 Depth=2
	s_or_b32 exec_lo, exec_lo, s6
	v_mov_b32_e32 v35, 0
	s_wait_dscnt 0x0
	s_barrier_signal -1
	s_barrier_wait -1
	s_and_saveexec_b32 s6, s5
	s_cbranch_execnz .LBB39_58
; %bb.42:                               ;   in Loop: Header=BB39_17 Depth=2
	s_or_b32 exec_lo, exec_lo, s6
	s_and_saveexec_b32 s6, s3
	s_cbranch_execnz .LBB39_59
.LBB39_43:                              ;   in Loop: Header=BB39_17 Depth=2
	s_or_b32 exec_lo, exec_lo, s6
	s_and_saveexec_b32 s6, s0
	s_cbranch_execz .LBB39_16
	s_branch .LBB39_60
.LBB39_44:                              ;   in Loop: Header=BB39_17 Depth=2
	s_or_b32 s64, s28, 3
	s_mov_b32 s65, s29
	s_mul_u64 s[8:9], s[28:29], s[30:31]
	s_or_b32 s74, s28, 2
	s_mul_u64 s[64:65], s[64:65], s[30:31]
	s_mov_b32 s75, s29
	v_lshl_add_u64 v[38:39], s[8:9], 2, v[24:25]
	s_or_b32 s8, s28, 1
	s_mov_b32 s9, s29
	s_wait_dscnt 0x0
	v_lshl_add_u64 v[34:35], s[64:65], 2, v[24:25]
	s_mul_u64 s[64:65], s[74:75], s[30:31]
	s_mul_u64 s[8:9], s[8:9], s[30:31]
	s_clause 0x2
	global_load_b32 v2, v[26:27], off
	global_load_b32 v3, v[28:29], off
	;; [unrolled: 1-line block ×3, first 2 shown]
	v_lshl_add_u64 v[54:55], s[64:65], 2, v[24:25]
	v_lshl_add_u64 v[58:59], s[8:9], 2, v[24:25]
	s_clause 0x3
	global_load_b128 v[34:37], v[34:35], off
	global_load_b128 v[50:53], v[38:39], off
	;; [unrolled: 1-line block ×4, first 2 shown]
	global_load_b32 v4, v[30:31], off
	s_wait_loadcnt 0x5
	s_wait_xcnt 0x3
	v_dual_mov_b32 v38, v3 :: v_dual_mov_b32 v62, v5
	s_wait_loadcnt 0x4
	v_pk_mul_f32 v[34:35], v[2:3], v[34:35]
	s_wait_loadcnt 0x3
	v_dual_mov_b32 v64, v50 :: v_dual_mov_b32 v50, v52
	s_wait_loadcnt 0x2
	s_wait_xcnt 0x2
	v_dual_mul_f32 v54, v2, v54 :: v_dual_mul_f32 v66, v3, v55
	s_wait_loadcnt 0x1
	v_dual_mov_b32 v55, v34 :: v_dual_mov_b32 v65, v58
	s_wait_xcnt 0x1
	v_dual_mov_b32 v58, v51 :: v_dual_mov_b32 v67, v35
	s_wait_loadcnt 0x0
	v_pk_mul_f32 v[36:37], v[4:5], v[36:37]
	v_pk_add_f32 v[34:35], v[54:55], 0 op_sel_hi:[1,0]
	v_pk_fma_f32 v[54:55], v[2:3], v[64:65], 0 op_sel_hi:[0,1,0]
	v_mul_f32_e32 v64, v4, v56
	s_delay_alu instid0(VALU_DEP_4) | instskip(NEXT) | instid1(VALU_DEP_4)
	v_dual_mov_b32 v51, v60 :: v_dual_mov_b32 v65, v36
	v_pk_add_f32 v[34:35], v[34:35], v[66:67]
	s_delay_alu instid0(VALU_DEP_4) | instskip(SKIP_2) | instid1(VALU_DEP_4)
	v_pk_fma_f32 v[38:39], v[38:39], v[58:59], v[54:55] op_sel_hi:[0,1,1]
	v_mov_b32_e32 v60, v53
	v_mul_f32_e32 v36, v5, v57
	v_pk_add_f32 v[34:35], v[34:35], v[64:65]
	s_delay_alu instid0(VALU_DEP_4) | instskip(NEXT) | instid1(VALU_DEP_2)
	v_pk_fma_f32 v[38:39], v[4:5], v[50:51], v[38:39] op_sel_hi:[0,1,1]
	v_pk_add_f32 v[34:35], v[34:35], v[36:37]
	s_delay_alu instid0(VALU_DEP_2)
	v_pk_fma_f32 v[36:37], v[62:63], v[60:61], v[38:39] op_sel_hi:[0,1,1]
	s_wait_xcnt 0x0
	s_and_not1_saveexec_b32 s9, s6
	s_cbranch_execz .LBB39_19
.LBB39_45:                              ;   in Loop: Header=BB39_17 Depth=2
	s_wait_dscnt 0x0
	v_dual_mov_b32 v35, 0 :: v_dual_mov_b32 v34, 0
	v_dual_mov_b32 v37, 0 :: v_dual_mov_b32 v36, 0
	s_and_saveexec_b32 s11, s2
	s_cbranch_execz .LBB39_62
; %bb.46:                               ;   in Loop: Header=BB39_17 Depth=2
	s_and_not1_b32 vcc_lo, exec_lo, s34
	s_cbranch_vccnz .LBB39_49
; %bb.47:                               ;   in Loop: Header=BB39_17 Depth=2
	v_mov_b64_e32 v[34:35], v[22:23]
	s_mov_b64 s[64:65], 0
.LBB39_48:                              ;   Parent Loop BB39_3 Depth=1
                                        ;     Parent Loop BB39_17 Depth=2
                                        ; =>    This Inner Loop Header: Depth=3
	global_load_b32 v1, v[34:35], off
	s_cmp_eq_u32 s64, 3
	s_wait_xcnt 0x0
	v_add_nc_u64_e32 v[34:35], s[48:49], v[34:35]
	s_cselect_b32 vcc_lo, -1, 0
	s_cmp_eq_u32 s64, 2
	s_cselect_b32 s6, -1, 0
	s_cmp_eq_u32 s64, 1
	s_cselect_b32 s7, -1, 0
	s_cmp_eq_u32 s64, 0
	s_add_nc_u64 s[64:65], s[64:65], 1
	s_cselect_b32 s8, -1, 0
	s_cmp_eq_u32 s68, s64
	s_wait_loadcnt 0x0
	v_dual_cndmask_b32 v5, v5, v1, vcc_lo :: v_dual_cndmask_b32 v4, v4, v1, s6
	v_dual_cndmask_b32 v3, v3, v1, s7 :: v_dual_cndmask_b32 v2, v2, v1, s8
	s_cbranch_scc0 .LBB39_48
.LBB39_49:                              ;   in Loop: Header=BB39_17 Depth=2
	s_and_not1_b32 vcc_lo, exec_lo, s34
	s_cbranch_vccnz .LBB39_61
; %bb.50:                               ;   in Loop: Header=BB39_17 Depth=2
	v_mov_b32_e32 v36, 0
	v_mov_b64_e32 v[38:39], v[6:7]
	s_mov_b64 s[6:7], 0
	s_delay_alu instid0(VALU_DEP_2)
	v_dual_mov_b32 v37, v36 :: v_dual_mov_b32 v34, v36
	v_mov_b32_e32 v35, v36
.LBB39_51:                              ;   Parent Loop BB39_3 Depth=1
                                        ;     Parent Loop BB39_17 Depth=2
                                        ; =>    This Inner Loop Header: Depth=3
	s_delay_alu instid0(VALU_DEP_3)
	v_add_nc_u64_e32 v[50:51], s[56:57], v[38:39]
	v_add_nc_u64_e32 v[52:53], s[58:59], v[38:39]
	s_wait_xcnt 0x0
	v_add_nc_u64_e32 v[54:55], s[54:55], v[38:39]
	s_cmp_eq_u32 s6, 1
	s_clause 0x3
	global_load_b32 v56, v[38:39], off
	global_load_b32 v50, v[50:51], off
	;; [unrolled: 1-line block ×4, first 2 shown]
	s_cselect_b32 vcc_lo, -1, 0
	s_cmp_eq_u32 s6, 2
	v_cndmask_b32_e32 v1, v2, v3, vcc_lo
	s_cselect_b32 vcc_lo, -1, 0
	s_cmp_eq_u32 s6, 3
	v_add_nc_u64_e32 v[38:39], 4, v[38:39]
	s_add_nc_u64 s[6:7], s[6:7], 1
	v_cndmask_b32_e32 v1, v1, v4, vcc_lo
	s_cselect_b32 vcc_lo, -1, 0
	s_cmp_lg_u32 s68, s6
	s_wait_xcnt 0x1
	s_delay_alu instid0(VALU_DEP_1) | instskip(SKIP_1) | instid1(VALU_DEP_1)
	v_cndmask_b32_e32 v52, v1, v5, vcc_lo
	s_wait_loadcnt 0x1
	v_pk_fma_f32 v[34:35], v[52:53], v[50:51], v[34:35] op_sel_hi:[0,1,1]
	s_wait_loadcnt 0x0
	v_pk_fma_f32 v[36:37], v[52:53], v[56:57], v[36:37] op_sel_hi:[0,1,1]
	s_cbranch_scc1 .LBB39_51
	s_branch .LBB39_62
.LBB39_52:                              ;   in Loop: Header=BB39_17 Depth=2
	ds_load_b32 v1, v40
	s_or_b32 exec_lo, exec_lo, s6
	s_and_saveexec_b32 s6, s3
	s_cbranch_execz .LBB39_25
.LBB39_53:                              ;   in Loop: Header=BB39_17 Depth=2
	s_wait_dscnt 0x0
	ds_bpermute_b32 v36, v46, v1
	s_wait_dscnt 0x0
	v_add_f32_e32 v1, v1, v36
	ds_bpermute_b32 v36, v47, v1
	s_wait_dscnt 0x0
	v_add_f32_e32 v1, v1, v36
	;; [unrolled: 3-line block ×3, first 2 shown]
	s_or_b32 exec_lo, exec_lo, s6
	s_and_saveexec_b32 s6, s3
	s_cbranch_execnz .LBB39_26
	s_branch .LBB39_27
.LBB39_54:                              ;   in Loop: Header=BB39_17 Depth=2
	ds_load_b32 v36, v40
	s_or_b32 exec_lo, exec_lo, s6
	s_and_saveexec_b32 s6, s3
	s_cbranch_execz .LBB39_31
.LBB39_55:                              ;   in Loop: Header=BB39_17 Depth=2
	s_wait_dscnt 0x0
	ds_bpermute_b32 v37, v46, v36
	s_wait_dscnt 0x0
	v_add_f32_e32 v36, v36, v37
	ds_bpermute_b32 v37, v47, v36
	s_wait_dscnt 0x0
	v_add_f32_e32 v36, v36, v37
	;; [unrolled: 3-line block ×3, first 2 shown]
	s_or_b32 exec_lo, exec_lo, s6
	s_and_saveexec_b32 s6, s3
	s_cbranch_execnz .LBB39_32
	s_branch .LBB39_33
.LBB39_56:                              ;   in Loop: Header=BB39_17 Depth=2
	ds_load_b32 v34, v40
	s_or_b32 exec_lo, exec_lo, s6
	s_and_saveexec_b32 s6, s3
	s_cbranch_execz .LBB39_37
.LBB39_57:                              ;   in Loop: Header=BB39_17 Depth=2
	s_wait_dscnt 0x0
	ds_bpermute_b32 v37, v46, v34
	s_wait_dscnt 0x0
	v_add_f32_e32 v34, v34, v37
	ds_bpermute_b32 v37, v47, v34
	s_wait_dscnt 0x0
	v_add_f32_e32 v34, v34, v37
	;; [unrolled: 3-line block ×3, first 2 shown]
	s_or_b32 exec_lo, exec_lo, s6
	s_and_saveexec_b32 s6, s3
	s_cbranch_execnz .LBB39_38
	s_branch .LBB39_39
.LBB39_58:                              ;   in Loop: Header=BB39_17 Depth=2
	ds_load_b32 v35, v40
	s_or_b32 exec_lo, exec_lo, s6
	s_and_saveexec_b32 s6, s3
	s_cbranch_execz .LBB39_43
.LBB39_59:                              ;   in Loop: Header=BB39_17 Depth=2
	s_wait_dscnt 0x0
	ds_bpermute_b32 v37, v46, v35
	s_wait_dscnt 0x0
	v_add_f32_e32 v35, v35, v37
	ds_bpermute_b32 v37, v47, v35
	s_wait_dscnt 0x0
	v_add_f32_e32 v35, v35, v37
	;; [unrolled: 3-line block ×3, first 2 shown]
	s_or_b32 exec_lo, exec_lo, s6
	s_and_saveexec_b32 s6, s0
	s_cbranch_execz .LBB39_16
.LBB39_60:                              ;   in Loop: Header=BB39_17 Depth=2
	s_or_b32 s64, s28, 1
	s_mov_b32 s65, s29
	s_mul_u64 s[8:9], s[28:29], s[36:37]
	v_dual_mul_f32 v1, v44, v1 :: v_dual_mul_f32 v36, v44, v36
	s_mul_u64 s[64:65], s[64:65], s[36:37]
	s_lshl_b64 s[8:9], s[8:9], 2
	s_lshl_b64 s[64:65], s[64:65], 2
	s_add_nc_u64 s[8:9], s[60:61], s[8:9]
	s_add_nc_u64 s[64:65], s[60:61], s[64:65]
	s_clause 0x1
	global_store_b32 v0, v1, s[8:9]
	global_store_b32 v0, v36, s[64:65]
	s_wait_xcnt 0x1
	s_or_b32 s8, s28, 2
	s_mov_b32 s9, s29
	s_wait_xcnt 0x0
	s_or_b32 s64, s28, 3
	s_mov_b32 s65, s29
	s_mul_u64 s[8:9], s[8:9], s[36:37]
	s_wait_dscnt 0x0
	v_dual_mul_f32 v1, v44, v34 :: v_dual_mul_f32 v34, v44, v35
	s_mul_u64 s[64:65], s[64:65], s[36:37]
	s_lshl_b64 s[8:9], s[8:9], 2
	s_lshl_b64 s[64:65], s[64:65], 2
	s_add_nc_u64 s[8:9], s[60:61], s[8:9]
	s_add_nc_u64 s[64:65], s[60:61], s[64:65]
	s_clause 0x1
	global_store_b32 v0, v1, s[8:9]
	global_store_b32 v0, v34, s[64:65]
	s_branch .LBB39_16
.LBB39_61:                              ;   in Loop: Header=BB39_17 Depth=2
	v_mov_b32_e32 v35, 0
	s_delay_alu instid0(VALU_DEP_1)
	v_dual_mov_b32 v34, v35 :: v_dual_mov_b32 v37, v35
	v_mov_b32_e32 v36, v35
.LBB39_62:                              ;   in Loop: Header=BB39_17 Depth=2
	s_wait_xcnt 0x0
	s_or_b32 exec_lo, exec_lo, s11
	s_delay_alu instid0(SALU_CYCLE_1)
	s_or_b32 exec_lo, exec_lo, s9
	s_and_saveexec_b32 s6, s3
	s_cbranch_execnz .LBB39_20
	s_branch .LBB39_21
.LBB39_63:                              ;   in Loop: Header=BB39_3 Depth=1
	v_dual_mov_b32 v1, v0 :: v_dual_mov_b32 v2, v0
	v_mov_b32_e32 v3, v0
	s_mov_b32 s28, 0
	s_delay_alu instid0(VALU_DEP_1) | instskip(NEXT) | instid1(VALU_DEP_3)
	v_mov_b64_e32 v[4:5], v[2:3]
	v_mov_b64_e32 v[2:3], v[0:1]
.LBB39_64:                              ;   in Loop: Header=BB39_3 Depth=1
	s_cmp_ge_i32 s28, s35
	s_cbranch_scc1 .LBB39_2
; %bb.65:                               ;   in Loop: Header=BB39_3 Depth=1
	v_cmp_gt_u32_e32 vcc_lo, 24, v42
	s_mul_u64 s[6:7], s[54:55], s[28:29]
	s_delay_alu instid0(SALU_CYCLE_1) | instskip(SKIP_4) | instid1(VALU_DEP_2)
	s_add_nc_u64 s[6:7], s[6:7], s[62:63]
	s_wait_dscnt 0x0
	v_add_nc_u64_e32 v[34:35], s[6:7], v[8:9]
	v_cndmask_b32_e64 v1, 0, 8, vcc_lo
	v_cmp_gt_u32_e32 vcc_lo, 28, v42
	v_add_lshl_u32 v1, v1, v42, 2
	v_cndmask_b32_e64 v6, 0, 4, vcc_lo
	v_cmp_gt_u32_e32 vcc_lo, 30, v42
	s_delay_alu instid0(VALU_DEP_2) | instskip(SKIP_2) | instid1(VALU_DEP_2)
	v_add_lshl_u32 v7, v6, v42, 2
	v_cndmask_b32_e64 v36, 0, 2, vcc_lo
	v_cmp_ne_u32_e32 vcc_lo, 31, v42
	v_add_lshl_u32 v38, v36, v42, 2
	v_add_co_ci_u32_e64 v37, null, 0, v42, vcc_lo
	s_delay_alu instid0(VALU_DEP_1)
	v_lshlrev_b32_e32 v39, 2, v37
	s_branch .LBB39_67
.LBB39_66:                              ;   in Loop: Header=BB39_67 Depth=2
	s_wait_xcnt 0x0
	s_or_b32 exec_lo, exec_lo, s6
	v_add_nc_u64_e32 v[34:35], s[54:55], v[34:35]
	s_add_co_i32 s28, s28, 1
	s_delay_alu instid0(SALU_CYCLE_1)
	s_cmp_ge_i32 s28, s35
	s_cbranch_scc1 .LBB39_2
.LBB39_67:                              ;   Parent Loop BB39_3 Depth=1
                                        ; =>  This Loop Header: Depth=2
                                        ;       Child Loop BB39_80 Depth 3
                                        ;       Child Loop BB39_83 Depth 3
	s_wait_dscnt 0x0
	v_mov_b32_e32 v6, s29
	s_and_saveexec_b32 s6, s1
	s_delay_alu instid0(SALU_CYCLE_1)
	s_xor_b32 s6, exec_lo, s6
	s_cbranch_execnz .LBB39_76
; %bb.68:                               ;   in Loop: Header=BB39_67 Depth=2
	s_and_not1_saveexec_b32 s9, s6
	s_cbranch_execnz .LBB39_77
.LBB39_69:                              ;   in Loop: Header=BB39_67 Depth=2
	s_or_b32 exec_lo, exec_lo, s9
	s_and_saveexec_b32 s6, s3
.LBB39_70:                              ;   in Loop: Header=BB39_67 Depth=2
	ds_store_b32 v40, v0
.LBB39_71:                              ;   in Loop: Header=BB39_67 Depth=2
	s_or_b32 exec_lo, exec_lo, s6
	ds_bpermute_b32 v36, v43, v6
	s_wait_storecnt_dscnt 0x0
	s_barrier_signal -1
	s_barrier_wait -1
	v_add_f32_e32 v6, v6, v36
	ds_bpermute_b32 v36, v1, v6
	s_wait_dscnt 0x0
	v_add_f32_e32 v6, v6, v36
	ds_bpermute_b32 v36, v7, v6
	s_wait_dscnt 0x0
	v_add_f32_e32 v6, v6, v36
	ds_bpermute_b32 v36, v38, v6
	s_wait_dscnt 0x0
	v_add_f32_e32 v6, v6, v36
	ds_bpermute_b32 v36, v39, v6
	s_and_saveexec_b32 s6, s4
	s_cbranch_execz .LBB39_73
; %bb.72:                               ;   in Loop: Header=BB39_67 Depth=2
	s_wait_dscnt 0x0
	v_add_f32_e32 v6, v6, v36
	ds_store_b32 v41, v6
.LBB39_73:                              ;   in Loop: Header=BB39_67 Depth=2
	s_or_b32 exec_lo, exec_lo, s6
	v_mov_b32_e32 v6, 0
	s_wait_dscnt 0x0
	s_barrier_signal -1
	s_barrier_wait -1
	s_and_saveexec_b32 s6, s5
	s_cbranch_execnz .LBB39_85
; %bb.74:                               ;   in Loop: Header=BB39_67 Depth=2
	s_or_b32 exec_lo, exec_lo, s6
	s_and_saveexec_b32 s6, s3
	s_cbranch_execnz .LBB39_86
.LBB39_75:                              ;   in Loop: Header=BB39_67 Depth=2
	s_or_b32 exec_lo, exec_lo, s6
	s_and_saveexec_b32 s6, s0
	s_cbranch_execz .LBB39_66
	s_branch .LBB39_87
.LBB39_76:                              ;   in Loop: Header=BB39_67 Depth=2
	s_mul_u64 s[8:9], s[28:29], s[30:31]
	s_delay_alu instid0(SALU_CYCLE_1)
	v_lshl_add_u64 v[2:3], s[8:9], 2, v[24:25]
	global_load_b128 v[46:49], v[2:3], off
	s_clause 0x3
	global_load_b32 v2, v[26:27], off
	global_load_b32 v3, v[28:29], off
	;; [unrolled: 1-line block ×4, first 2 shown]
	s_wait_loadcnt 0x2
	v_pk_mul_f32 v[36:37], v[2:3], v[46:47]
	s_delay_alu instid0(VALU_DEP_1) | instskip(NEXT) | instid1(VALU_DEP_1)
	v_add_f32_e32 v6, 0, v36
	v_add_f32_e32 v6, v6, v37
	s_wait_loadcnt 0x0
	v_pk_mul_f32 v[36:37], v[4:5], v[48:49]
	s_delay_alu instid0(VALU_DEP_1) | instskip(NEXT) | instid1(VALU_DEP_1)
	v_add_f32_e32 v6, v6, v36
	v_add_f32_e32 v6, v6, v37
	s_wait_xcnt 0x0
	s_and_not1_saveexec_b32 s9, s6
	s_cbranch_execz .LBB39_69
.LBB39_77:                              ;   in Loop: Header=BB39_67 Depth=2
	s_and_saveexec_b32 s11, s2
	s_cbranch_execz .LBB39_84
; %bb.78:                               ;   in Loop: Header=BB39_67 Depth=2
	s_and_not1_b32 vcc_lo, exec_lo, s34
	s_cbranch_vccnz .LBB39_81
; %bb.79:                               ;   in Loop: Header=BB39_67 Depth=2
	v_mov_b64_e32 v[36:37], v[22:23]
	s_mov_b64 s[62:63], 0
.LBB39_80:                              ;   Parent Loop BB39_3 Depth=1
                                        ;     Parent Loop BB39_67 Depth=2
                                        ; =>    This Inner Loop Header: Depth=3
	global_load_b32 v45, v[36:37], off
	s_cmp_eq_u32 s62, 3
	s_wait_xcnt 0x0
	v_add_nc_u64_e32 v[36:37], s[48:49], v[36:37]
	s_cselect_b32 vcc_lo, -1, 0
	s_cmp_eq_u32 s62, 2
	s_cselect_b32 s6, -1, 0
	s_cmp_eq_u32 s62, 1
	s_cselect_b32 s7, -1, 0
	s_cmp_eq_u32 s62, 0
	s_add_nc_u64 s[62:63], s[62:63], 1
	s_cselect_b32 s8, -1, 0
	s_cmp_eq_u32 s68, s62
	s_wait_loadcnt 0x0
	v_dual_cndmask_b32 v5, v5, v45, vcc_lo :: v_dual_cndmask_b32 v4, v4, v45, s6
	v_dual_cndmask_b32 v3, v3, v45, s7 :: v_dual_cndmask_b32 v2, v2, v45, s8
	s_cbranch_scc0 .LBB39_80
.LBB39_81:                              ;   in Loop: Header=BB39_67 Depth=2
	s_and_not1_b32 vcc_lo, exec_lo, s34
	s_cbranch_vccnz .LBB39_84
; %bb.82:                               ;   in Loop: Header=BB39_67 Depth=2
	v_mov_b64_e32 v[36:37], v[34:35]
	s_mov_b64 s[6:7], 0
.LBB39_83:                              ;   Parent Loop BB39_3 Depth=1
                                        ;     Parent Loop BB39_67 Depth=2
                                        ; =>    This Inner Loop Header: Depth=3
	global_load_b32 v45, v[36:37], off
	s_cmp_eq_u32 s6, 1
	s_wait_xcnt 0x0
	v_add_nc_u64_e32 v[36:37], 4, v[36:37]
	s_cselect_b32 vcc_lo, -1, 0
	s_cmp_eq_u32 s6, 2
	v_cndmask_b32_e32 v46, v2, v3, vcc_lo
	s_cselect_b32 vcc_lo, -1, 0
	s_cmp_eq_u32 s6, 3
	s_add_nc_u64 s[6:7], s[6:7], 1
	s_delay_alu instid0(VALU_DEP_1) | instskip(SKIP_2) | instid1(VALU_DEP_1)
	v_cndmask_b32_e32 v46, v46, v4, vcc_lo
	s_cselect_b32 vcc_lo, -1, 0
	s_cmp_lg_u32 s68, s6
	v_cndmask_b32_e32 v46, v46, v5, vcc_lo
	s_wait_loadcnt 0x0
	s_delay_alu instid0(VALU_DEP_1)
	v_fmac_f32_e32 v6, v46, v45
	s_cbranch_scc1 .LBB39_83
.LBB39_84:                              ;   in Loop: Header=BB39_67 Depth=2
	s_or_b32 exec_lo, exec_lo, s11
	s_delay_alu instid0(SALU_CYCLE_1)
	s_or_b32 exec_lo, exec_lo, s9
	s_and_saveexec_b32 s6, s3
	s_cbranch_execnz .LBB39_70
	s_branch .LBB39_71
.LBB39_85:                              ;   in Loop: Header=BB39_67 Depth=2
	ds_load_b32 v6, v40
	s_or_b32 exec_lo, exec_lo, s6
	s_and_saveexec_b32 s6, s3
	s_cbranch_execz .LBB39_75
.LBB39_86:                              ;   in Loop: Header=BB39_67 Depth=2
	s_wait_dscnt 0x0
	ds_bpermute_b32 v36, v7, v6
	s_wait_dscnt 0x0
	v_add_f32_e32 v6, v6, v36
	ds_bpermute_b32 v36, v38, v6
	s_wait_dscnt 0x0
	v_add_f32_e32 v6, v6, v36
	;; [unrolled: 3-line block ×3, first 2 shown]
	s_or_b32 exec_lo, exec_lo, s6
	s_and_saveexec_b32 s6, s0
	s_cbranch_execz .LBB39_66
.LBB39_87:                              ;   in Loop: Header=BB39_67 Depth=2
	s_mul_u64 s[8:9], s[28:29], s[36:37]
	s_wait_dscnt 0x0
	v_mul_f32_e32 v6, v44, v6
	s_lshl_b64 s[8:9], s[8:9], 2
	s_delay_alu instid0(SALU_CYCLE_1)
	s_add_nc_u64 s[8:9], s[60:61], s[8:9]
	global_store_b32 v0, v6, s[8:9]
	s_branch .LBB39_66
.LBB39_88:
	s_sendmsg sendmsg(MSG_DEALLOC_VGPRS)
	s_endpgm
	.section	.rodata,"a",@progbits
	.p2align	6, 0x0
	.amdhsa_kernel _ZL23rocblas_gemvt_sn_kernelILb1ELi256ELi4ElfPKffEviiT4_lPKT3_lilS5_lilPT5_i
		.amdhsa_group_segment_fixed_size 128
		.amdhsa_private_segment_fixed_size 0
		.amdhsa_kernarg_size 360
		.amdhsa_user_sgpr_count 2
		.amdhsa_user_sgpr_dispatch_ptr 0
		.amdhsa_user_sgpr_queue_ptr 0
		.amdhsa_user_sgpr_kernarg_segment_ptr 1
		.amdhsa_user_sgpr_dispatch_id 0
		.amdhsa_user_sgpr_kernarg_preload_length 0
		.amdhsa_user_sgpr_kernarg_preload_offset 0
		.amdhsa_user_sgpr_private_segment_size 0
		.amdhsa_wavefront_size32 1
		.amdhsa_uses_dynamic_stack 0
		.amdhsa_enable_private_segment 0
		.amdhsa_system_sgpr_workgroup_id_x 1
		.amdhsa_system_sgpr_workgroup_id_y 0
		.amdhsa_system_sgpr_workgroup_id_z 1
		.amdhsa_system_sgpr_workgroup_info 0
		.amdhsa_system_vgpr_workitem_id 0
		.amdhsa_next_free_vgpr 68
		.amdhsa_next_free_sgpr 76
		.amdhsa_named_barrier_count 0
		.amdhsa_reserve_vcc 1
		.amdhsa_float_round_mode_32 0
		.amdhsa_float_round_mode_16_64 0
		.amdhsa_float_denorm_mode_32 3
		.amdhsa_float_denorm_mode_16_64 3
		.amdhsa_fp16_overflow 0
		.amdhsa_memory_ordered 1
		.amdhsa_forward_progress 1
		.amdhsa_inst_pref_size 31
		.amdhsa_round_robin_scheduling 0
		.amdhsa_exception_fp_ieee_invalid_op 0
		.amdhsa_exception_fp_denorm_src 0
		.amdhsa_exception_fp_ieee_div_zero 0
		.amdhsa_exception_fp_ieee_overflow 0
		.amdhsa_exception_fp_ieee_underflow 0
		.amdhsa_exception_fp_ieee_inexact 0
		.amdhsa_exception_int_div_zero 0
	.end_amdhsa_kernel
	.section	.text._ZL23rocblas_gemvt_sn_kernelILb1ELi256ELi4ElfPKffEviiT4_lPKT3_lilS5_lilPT5_i,"axG",@progbits,_ZL23rocblas_gemvt_sn_kernelILb1ELi256ELi4ElfPKffEviiT4_lPKT3_lilS5_lilPT5_i,comdat
.Lfunc_end39:
	.size	_ZL23rocblas_gemvt_sn_kernelILb1ELi256ELi4ElfPKffEviiT4_lPKT3_lilS5_lilPT5_i, .Lfunc_end39-_ZL23rocblas_gemvt_sn_kernelILb1ELi256ELi4ElfPKffEviiT4_lPKT3_lilS5_lilPT5_i
                                        ; -- End function
	.set _ZL23rocblas_gemvt_sn_kernelILb1ELi256ELi4ElfPKffEviiT4_lPKT3_lilS5_lilPT5_i.num_vgpr, 68
	.set _ZL23rocblas_gemvt_sn_kernelILb1ELi256ELi4ElfPKffEviiT4_lPKT3_lilS5_lilPT5_i.num_agpr, 0
	.set _ZL23rocblas_gemvt_sn_kernelILb1ELi256ELi4ElfPKffEviiT4_lPKT3_lilS5_lilPT5_i.numbered_sgpr, 76
	.set _ZL23rocblas_gemvt_sn_kernelILb1ELi256ELi4ElfPKffEviiT4_lPKT3_lilS5_lilPT5_i.num_named_barrier, 0
	.set _ZL23rocblas_gemvt_sn_kernelILb1ELi256ELi4ElfPKffEviiT4_lPKT3_lilS5_lilPT5_i.private_seg_size, 0
	.set _ZL23rocblas_gemvt_sn_kernelILb1ELi256ELi4ElfPKffEviiT4_lPKT3_lilS5_lilPT5_i.uses_vcc, 1
	.set _ZL23rocblas_gemvt_sn_kernelILb1ELi256ELi4ElfPKffEviiT4_lPKT3_lilS5_lilPT5_i.uses_flat_scratch, 0
	.set _ZL23rocblas_gemvt_sn_kernelILb1ELi256ELi4ElfPKffEviiT4_lPKT3_lilS5_lilPT5_i.has_dyn_sized_stack, 0
	.set _ZL23rocblas_gemvt_sn_kernelILb1ELi256ELi4ElfPKffEviiT4_lPKT3_lilS5_lilPT5_i.has_recursion, 0
	.set _ZL23rocblas_gemvt_sn_kernelILb1ELi256ELi4ElfPKffEviiT4_lPKT3_lilS5_lilPT5_i.has_indirect_call, 0
	.section	.AMDGPU.csdata,"",@progbits
; Kernel info:
; codeLenInByte = 3948
; TotalNumSgprs: 78
; NumVgprs: 68
; ScratchSize: 0
; MemoryBound: 0
; FloatMode: 240
; IeeeMode: 1
; LDSByteSize: 128 bytes/workgroup (compile time only)
; SGPRBlocks: 0
; VGPRBlocks: 4
; NumSGPRsForWavesPerEU: 78
; NumVGPRsForWavesPerEU: 68
; NamedBarCnt: 0
; Occupancy: 12
; WaveLimiterHint : 0
; COMPUTE_PGM_RSRC2:SCRATCH_EN: 0
; COMPUTE_PGM_RSRC2:USER_SGPR: 2
; COMPUTE_PGM_RSRC2:TRAP_HANDLER: 0
; COMPUTE_PGM_RSRC2:TGID_X_EN: 1
; COMPUTE_PGM_RSRC2:TGID_Y_EN: 0
; COMPUTE_PGM_RSRC2:TGID_Z_EN: 1
; COMPUTE_PGM_RSRC2:TIDIG_COMP_CNT: 0
	.section	.text._ZL23rocblas_gemvt_sn_kernelILb1ELi256ELi4EifffEviiT4_lPKT3_lilS3_lilPT5_i,"axG",@progbits,_ZL23rocblas_gemvt_sn_kernelILb1ELi256ELi4EifffEviiT4_lPKT3_lilS3_lilPT5_i,comdat
	.globl	_ZL23rocblas_gemvt_sn_kernelILb1ELi256ELi4EifffEviiT4_lPKT3_lilS3_lilPT5_i ; -- Begin function _ZL23rocblas_gemvt_sn_kernelILb1ELi256ELi4EifffEviiT4_lPKT3_lilS3_lilPT5_i
	.p2align	8
	.type	_ZL23rocblas_gemvt_sn_kernelILb1ELi256ELi4EifffEviiT4_lPKT3_lilS3_lilPT5_i,@function
_ZL23rocblas_gemvt_sn_kernelILb1ELi256ELi4EifffEviiT4_lPKT3_lilS3_lilPT5_i: ; @_ZL23rocblas_gemvt_sn_kernelILb1ELi256ELi4EifffEviiT4_lPKT3_lilS3_lilPT5_i
; %bb.0:
	s_load_b32 s11, s[0:1], 0x60
	s_bfe_u32 s2, ttmp6, 0x40014
	s_lshr_b32 s3, ttmp7, 16
	s_add_co_i32 s2, s2, 1
	s_bfe_u32 s4, ttmp6, 0x40008
	s_mul_i32 s2, s3, s2
	s_getreg_b32 s25, hwreg(HW_REG_IB_STS2, 6, 4)
	s_add_co_i32 s4, s4, s2
	s_cmp_eq_u32 s25, 0
	s_mov_b32 s27, 0
	s_cselect_b32 s24, s3, s4
	s_wait_kmcnt 0x0
	s_cmp_ge_u32 s24, s11
	s_cbranch_scc1 .LBB40_88
; %bb.1:
	s_clause 0x6
	s_load_b96 s[8:10], s[0:1], 0x40
	s_load_b128 s[4:7], s[0:1], 0x18
	s_load_b96 s[20:22], s[0:1], 0x0
	s_load_b32 s28, s[0:1], 0x28
	s_load_b128 s[12:15], s[0:1], 0x30
	s_load_b128 s[16:19], s[0:1], 0x50
	s_load_b32 s30, s[0:1], 0x68
	s_wait_xcnt 0x0
	v_cmp_eq_u32_e64 s0, 0, v0
	v_dual_lshrrev_b32 v2, 3, v0 :: v_dual_bitop2_b32 v1, 31, v0 bitop3:0x40
	v_cmp_gt_u32_e64 s1, 32, v0
	v_cmp_gt_u32_e64 s2, 8, v0
	v_mbcnt_lo_u32_b32 v38, -1, 0
	s_delay_alu instid0(VALU_DEP_4)
	v_cmp_eq_u32_e64 s3, 0, v1
	v_dual_lshlrev_b32 v36, 2, v1 :: v_dual_bitop2_b32 v37, 28, v2 bitop3:0x40
	v_mov_b64_e32 v[18:19], 0
	s_mov_b32 s31, s27
	s_mov_b32 s35, s27
	v_lshl_or_b32 v39, v38, 2, 64
	s_wait_kmcnt 0x0
	s_lshl_b64 s[8:9], s[8:9], 2
	s_lshl_b64 s[6:7], s[6:7], 2
	s_ashr_i32 s45, s21, 31
	s_cmp_eq_f32 s22, 0
	s_add_nc_u64 s[14:15], s[14:15], s[8:9]
	s_add_nc_u64 s[4:5], s[4:5], s[6:7]
	s_mov_b32 s44, s21
	s_cselect_b32 s23, -1, 0
	s_cmp_gt_i32 s21, 0
	s_mul_u64 s[36:37], s[44:45], s[30:31]
	s_cselect_b32 s8, -1, 0
	s_bfe_u32 s9, ttmp6, 0x4000c
	s_and_b32 s6, ttmp6, 15
	s_add_co_i32 s9, s9, 1
	s_and_b32 s33, s0, s8
	s_mul_i32 s7, ttmp9, s9
	s_mov_b32 s29, s27
	s_add_co_i32 s6, s6, s7
	s_cmp_eq_u32 s25, 0
	s_mov_b32 s49, s27
	s_cselect_b32 s34, ttmp9, s6
	s_ashr_i32 s7, s20, 31
	s_lshl_b32 s8, s34, 10
	s_lshr_b32 s6, s45, 30
	v_lshl_or_b32 v0, v0, 2, s8
	s_lshr_b32 s7, s7, 30
	s_add_co_i32 s6, s21, s6
	s_add_co_i32 s7, s20, s7
	s_and_b32 s70, s6, -4
	v_mul_lo_u32 v8, s10, v0
	s_and_b32 s6, s7, -4
	v_dual_ashrrev_i32 v1, 31, v0 :: v_dual_add_nc_u32 v2, 4, v0
	s_sub_co_i32 s71, s20, s6
	s_cmp_gt_i32 s70, 0
	s_cselect_b32 s72, -1, 0
	s_cmp_gt_i32 s71, 0
	v_lshl_add_u64 v[10:11], v[0:1], 2, s[4:5]
	s_cselect_b32 s73, -1, 0
	s_delay_alu instid0(VALU_DEP_3)
	v_dual_add_nc_u32 v12, s10, v8 :: v_dual_ashrrev_i32 v9, 31, v8
	s_cmp_gt_u32 s21, 1
	v_cmp_ge_i32_e64 s4, s20, v2
	s_cselect_b32 s6, -1, 0
	v_dual_add_nc_u32 v14, s10, v12 :: v_dual_ashrrev_i32 v13, 31, v12
	v_add_nc_u32_e32 v3, s71, v0
	s_cmp_eq_u32 s30, 1
	v_mov_b32_e32 v0, 0
	s_cselect_b32 s7, -1, 0
	v_add_nc_u32_e32 v16, s10, v14
	v_cmp_ge_i32_e64 s5, s20, v3
	s_and_b32 s20, s21, 0x7ffffffe
	s_and_b32 s74, s6, s7
	s_cmp_lg_u32 s21, s20
	v_dual_ashrrev_i32 v15, 31, v14 :: v_dual_ashrrev_i32 v17, 31, v16
	s_cselect_b32 s75, -1, 0
	s_lshl_b32 s26, s28, 1
	s_lshl_b64 s[38:39], s[34:35], 2
	s_mov_b64 s[50:51], s[26:27]
	s_mul_i32 s26, s28, 3
	s_add_nc_u64 s[40:41], s[18:19], s[38:39]
	s_lshl_b64 s[42:43], s[36:37], 2
	s_lshl_b64 s[44:45], s[44:45], 2
	;; [unrolled: 1-line block ×3, first 2 shown]
	s_lshl_b32 s48, s28, 2
	s_mov_b64 s[52:53], s[26:27]
	s_lshl_b64 s[54:55], s[12:13], 2
	s_branch .LBB40_3
.LBB40_2:                               ;   in Loop: Header=BB40_3 Depth=1
	s_add_co_i32 s24, s24, 0x10000
	s_delay_alu instid0(SALU_CYCLE_1)
	s_cmp_lt_u32 s24, s11
	s_cbranch_scc0 .LBB40_88
.LBB40_3:                               ; =>This Loop Header: Depth=1
                                        ;     Child Loop BB40_7 Depth 2
                                        ;     Child Loop BB40_11 Depth 2
	;; [unrolled: 1-line block ×3, first 2 shown]
                                        ;       Child Loop BB40_48 Depth 3
                                        ;       Child Loop BB40_51 Depth 3
                                        ;     Child Loop BB40_67 Depth 2
                                        ;       Child Loop BB40_80 Depth 3
                                        ;       Child Loop BB40_83 Depth 3
	s_mov_b32 s25, s27
	s_and_not1_b32 vcc_lo, exec_lo, s23
	s_mov_b32 s6, -1
	s_cbranch_vccnz .LBB40_13
; %bb.4:                                ;   in Loop: Header=BB40_3 Depth=1
	s_and_saveexec_b32 s8, s33
	s_cbranch_execz .LBB40_12
; %bb.5:                                ;   in Loop: Header=BB40_3 Depth=1
	s_and_not1_b32 vcc_lo, exec_lo, s74
	s_cbranch_vccnz .LBB40_9
; %bb.6:                                ;   in Loop: Header=BB40_3 Depth=1
	s_mul_u64 s[6:7], s[42:43], s[24:25]
	s_mov_b32 s9, s20
	s_add_nc_u64 s[6:7], s[40:41], s[6:7]
.LBB40_7:                               ;   Parent Loop BB40_3 Depth=1
                                        ; =>  This Inner Loop Header: Depth=2
	s_add_co_i32 s9, s9, -2
	global_store_b64 v0, v[18:19], s[6:7]
	s_wait_xcnt 0x0
	s_add_nc_u64 s[6:7], s[6:7], 8
	s_mov_b32 s26, s20
	s_cmp_lg_u32 s9, 0
	s_mov_b32 s35, s75
	s_cbranch_scc1 .LBB40_7
; %bb.8:                                ;   in Loop: Header=BB40_3 Depth=1
	s_and_b32 vcc_lo, exec_lo, s35
	s_cbranch_vccnz .LBB40_10
	s_branch .LBB40_12
.LBB40_9:                               ;   in Loop: Header=BB40_3 Depth=1
	s_mov_b32 s26, 0
	s_cbranch_execz .LBB40_12
.LBB40_10:                              ;   in Loop: Header=BB40_3 Depth=1
	s_mul_u64 s[6:7], s[44:45], s[24:25]
	s_lshl_b64 s[56:57], s[26:27], 2
	s_sub_co_i32 s9, s21, s26
	s_add_nc_u64 s[6:7], s[6:7], s[56:57]
	s_delay_alu instid0(SALU_CYCLE_1) | instskip(NEXT) | instid1(SALU_CYCLE_1)
	s_mul_u64 s[6:7], s[30:31], s[6:7]
	s_add_nc_u64 s[6:7], s[40:41], s[6:7]
.LBB40_11:                              ;   Parent Loop BB40_3 Depth=1
                                        ; =>  This Inner Loop Header: Depth=2
	s_add_co_i32 s9, s9, -1
	global_store_b32 v0, v0, s[6:7]
	s_cmp_eq_u32 s9, 0
	s_wait_xcnt 0x0
	s_add_nc_u64 s[6:7], s[6:7], s[46:47]
	s_cbranch_scc0 .LBB40_11
.LBB40_12:                              ;   in Loop: Header=BB40_3 Depth=1
	s_or_b32 exec_lo, exec_lo, s8
	s_mov_b32 s6, 0
.LBB40_13:                              ;   in Loop: Header=BB40_3 Depth=1
	s_delay_alu instid0(SALU_CYCLE_1)
	s_and_not1_b32 vcc_lo, exec_lo, s6
	s_cbranch_vccnz .LBB40_2
; %bb.14:                               ;   in Loop: Header=BB40_3 Depth=1
	s_mul_u64 s[6:7], s[16:17], s[24:25]
	s_mul_u64 s[8:9], s[54:55], s[24:25]
	s_lshl_b64 s[6:7], s[6:7], 2
	s_mul_u64 s[58:59], s[12:13], s[24:25]
	s_add_nc_u64 s[56:57], s[14:15], s[6:7]
	v_add_nc_u64_e32 v[30:31], s[8:9], v[10:11]
	s_mul_u64 s[60:61], s[36:37], s[24:25]
	v_lshl_add_u64 v[20:21], s[58:59], 2, v[10:11]
	v_lshl_add_u64 v[22:23], v[8:9], 2, s[56:57]
	v_lshl_add_u64 v[24:25], v[12:13], 2, s[56:57]
	v_lshl_add_u64 v[26:27], v[14:15], 2, s[56:57]
	v_lshl_add_u64 v[28:29], v[16:17], 2, s[56:57]
	v_cmp_gt_u32_e64 s9, 24, v38
	v_cmp_gt_u32_e64 s8, 28, v38
	;; [unrolled: 1-line block ×3, first 2 shown]
	v_cmp_ne_u32_e64 s6, 31, v38
	s_lshl_b64 s[58:59], s[60:61], 2
	s_and_not1_b32 vcc_lo, exec_lo, s72
	s_add_nc_u64 s[58:59], s[18:19], s[58:59]
	s_cbranch_vccnz .LBB40_63
; %bb.15:                               ;   in Loop: Header=BB40_3 Depth=1
	v_cndmask_b32_e64 v1, 0, 8, s9
	v_cndmask_b32_e64 v4, 0, 4, s8
	;; [unrolled: 1-line block ×3, first 2 shown]
	s_wait_dscnt 0x0
	v_add_co_ci_u32_e64 v6, null, 0, v38, s6
	v_add_lshl_u32 v40, v1, v38, 2
	v_dual_mov_b32 v1, v0 :: v_dual_mov_b32 v2, v0
	s_delay_alu instid0(VALU_DEP_3) | instskip(SKIP_3) | instid1(VALU_DEP_3)
	v_dual_mov_b32 v3, v0 :: v_dual_lshlrev_b32 v43, 2, v6
	v_add_lshl_u32 v41, v4, v38, 2
	v_add_lshl_u32 v42, v5, v38, 2
	s_mov_b32 s60, 0
	v_mov_b64_e32 v[4:5], v[2:3]
	v_mov_b64_e32 v[2:3], v[0:1]
	s_mov_b64 s[62:63], s[52:53]
	s_mov_b64 s[64:65], s[50:51]
	;; [unrolled: 1-line block ×3, first 2 shown]
	s_mov_b32 s26, s60
	s_branch .LBB40_17
.LBB40_16:                              ;   in Loop: Header=BB40_17 Depth=2
	s_wait_xcnt 0x0
	s_or_b32 exec_lo, exec_lo, s6
	s_add_co_i32 s26, s26, 4
	s_add_co_i32 s60, s60, s48
	s_add_nc_u64 s[66:67], s[66:67], s[48:49]
	s_add_nc_u64 s[64:65], s[64:65], s[48:49]
	s_cmp_ge_i32 s26, s70
	s_add_nc_u64 s[62:63], s[62:63], s[48:49]
	s_cbranch_scc1 .LBB40_64
.LBB40_17:                              ;   Parent Loop BB40_3 Depth=1
                                        ; =>  This Loop Header: Depth=2
                                        ;       Child Loop BB40_48 Depth 3
                                        ;       Child Loop BB40_51 Depth 3
                                        ; implicit-def: $vgpr7
                                        ; implicit-def: $vgpr33
	s_and_saveexec_b32 s6, s4
	s_delay_alu instid0(SALU_CYCLE_1)
	s_xor_b32 s6, exec_lo, s6
	s_cbranch_execnz .LBB40_44
; %bb.18:                               ;   in Loop: Header=BB40_17 Depth=2
	s_and_not1_saveexec_b32 s9, s6
	s_cbranch_execnz .LBB40_45
.LBB40_19:                              ;   in Loop: Header=BB40_17 Depth=2
	s_or_b32 exec_lo, exec_lo, s9
	s_and_saveexec_b32 s6, s1
.LBB40_20:                              ;   in Loop: Header=BB40_17 Depth=2
	ds_store_b32 v36, v0
.LBB40_21:                              ;   in Loop: Header=BB40_17 Depth=2
	s_or_b32 exec_lo, exec_lo, s6
	ds_bpermute_b32 v1, v39, v32
	s_wait_storecnt_dscnt 0x0
	s_barrier_signal -1
	s_barrier_wait -1
	v_add_f32_e32 v1, v32, v1
	ds_bpermute_b32 v32, v40, v1
	s_wait_dscnt 0x0
	v_add_f32_e32 v1, v1, v32
	ds_bpermute_b32 v32, v41, v1
	s_wait_dscnt 0x0
	;; [unrolled: 3-line block ×3, first 2 shown]
	v_add_f32_e32 v1, v1, v32
	ds_bpermute_b32 v32, v43, v1
	s_and_saveexec_b32 s6, s3
	s_cbranch_execz .LBB40_23
; %bb.22:                               ;   in Loop: Header=BB40_17 Depth=2
	s_wait_dscnt 0x0
	v_add_f32_e32 v1, v1, v32
	ds_store_b32 v37, v1
.LBB40_23:                              ;   in Loop: Header=BB40_17 Depth=2
	s_or_b32 exec_lo, exec_lo, s6
	v_mov_b32_e32 v1, 0
	s_wait_dscnt 0x0
	s_barrier_signal -1
	s_barrier_wait -1
	s_and_saveexec_b32 s6, s2
	s_cbranch_execnz .LBB40_52
; %bb.24:                               ;   in Loop: Header=BB40_17 Depth=2
	s_or_b32 exec_lo, exec_lo, s6
	s_and_saveexec_b32 s6, s1
	s_cbranch_execnz .LBB40_53
.LBB40_25:                              ;   in Loop: Header=BB40_17 Depth=2
	s_or_b32 exec_lo, exec_lo, s6
	s_and_saveexec_b32 s6, s1
.LBB40_26:                              ;   in Loop: Header=BB40_17 Depth=2
	ds_store_b32 v36, v0
.LBB40_27:                              ;   in Loop: Header=BB40_17 Depth=2
	s_or_b32 exec_lo, exec_lo, s6
	ds_bpermute_b32 v32, v39, v33
	s_wait_dscnt 0x0
	s_barrier_signal -1
	s_barrier_wait -1
	v_add_f32_e32 v32, v33, v32
	ds_bpermute_b32 v33, v40, v32
	s_wait_dscnt 0x0
	v_add_f32_e32 v32, v32, v33
	ds_bpermute_b32 v33, v41, v32
	s_wait_dscnt 0x0
	;; [unrolled: 3-line block ×3, first 2 shown]
	v_add_f32_e32 v32, v32, v33
	ds_bpermute_b32 v33, v43, v32
	s_and_saveexec_b32 s6, s3
	s_cbranch_execz .LBB40_29
; %bb.28:                               ;   in Loop: Header=BB40_17 Depth=2
	s_wait_dscnt 0x0
	v_add_f32_e32 v32, v32, v33
	ds_store_b32 v37, v32
.LBB40_29:                              ;   in Loop: Header=BB40_17 Depth=2
	s_or_b32 exec_lo, exec_lo, s6
	v_mov_b32_e32 v32, 0
	s_wait_dscnt 0x0
	s_barrier_signal -1
	s_barrier_wait -1
	s_and_saveexec_b32 s6, s2
	s_cbranch_execnz .LBB40_54
; %bb.30:                               ;   in Loop: Header=BB40_17 Depth=2
	s_or_b32 exec_lo, exec_lo, s6
	s_and_saveexec_b32 s6, s1
	s_cbranch_execnz .LBB40_55
.LBB40_31:                              ;   in Loop: Header=BB40_17 Depth=2
	s_or_b32 exec_lo, exec_lo, s6
	s_and_saveexec_b32 s6, s1
.LBB40_32:                              ;   in Loop: Header=BB40_17 Depth=2
	ds_store_b32 v36, v0
.LBB40_33:                              ;   in Loop: Header=BB40_17 Depth=2
	s_or_b32 exec_lo, exec_lo, s6
	ds_bpermute_b32 v33, v39, v6
	s_wait_dscnt 0x0
	s_barrier_signal -1
	s_barrier_wait -1
	v_add_f32_e32 v6, v6, v33
	ds_bpermute_b32 v33, v40, v6
	s_wait_dscnt 0x0
	v_add_f32_e32 v6, v6, v33
	ds_bpermute_b32 v33, v41, v6
	s_wait_dscnt 0x0
	;; [unrolled: 3-line block ×3, first 2 shown]
	v_add_f32_e32 v6, v6, v33
	ds_bpermute_b32 v33, v43, v6
	s_and_saveexec_b32 s6, s3
	s_cbranch_execz .LBB40_35
; %bb.34:                               ;   in Loop: Header=BB40_17 Depth=2
	s_wait_dscnt 0x0
	v_add_f32_e32 v6, v6, v33
	ds_store_b32 v37, v6
.LBB40_35:                              ;   in Loop: Header=BB40_17 Depth=2
	s_or_b32 exec_lo, exec_lo, s6
	v_mov_b32_e32 v6, 0
	s_wait_dscnt 0x0
	s_barrier_signal -1
	s_barrier_wait -1
	s_and_saveexec_b32 s6, s2
	s_cbranch_execnz .LBB40_56
; %bb.36:                               ;   in Loop: Header=BB40_17 Depth=2
	s_or_b32 exec_lo, exec_lo, s6
	s_and_saveexec_b32 s6, s1
	s_cbranch_execnz .LBB40_57
.LBB40_37:                              ;   in Loop: Header=BB40_17 Depth=2
	s_or_b32 exec_lo, exec_lo, s6
	s_and_saveexec_b32 s6, s1
.LBB40_38:                              ;   in Loop: Header=BB40_17 Depth=2
	ds_store_b32 v36, v0
.LBB40_39:                              ;   in Loop: Header=BB40_17 Depth=2
	s_or_b32 exec_lo, exec_lo, s6
	ds_bpermute_b32 v33, v39, v7
	s_wait_dscnt 0x0
	s_barrier_signal -1
	s_barrier_wait -1
	v_add_f32_e32 v7, v7, v33
	ds_bpermute_b32 v33, v40, v7
	s_wait_dscnt 0x0
	v_add_f32_e32 v7, v7, v33
	ds_bpermute_b32 v33, v41, v7
	s_wait_dscnt 0x0
	;; [unrolled: 3-line block ×3, first 2 shown]
	v_add_f32_e32 v7, v7, v33
	ds_bpermute_b32 v33, v43, v7
	s_and_saveexec_b32 s6, s3
	s_cbranch_execz .LBB40_41
; %bb.40:                               ;   in Loop: Header=BB40_17 Depth=2
	s_wait_dscnt 0x0
	v_add_f32_e32 v7, v7, v33
	ds_store_b32 v37, v7
.LBB40_41:                              ;   in Loop: Header=BB40_17 Depth=2
	s_or_b32 exec_lo, exec_lo, s6
	v_mov_b32_e32 v7, 0
	s_wait_dscnt 0x0
	s_barrier_signal -1
	s_barrier_wait -1
	s_and_saveexec_b32 s6, s2
	s_cbranch_execnz .LBB40_58
; %bb.42:                               ;   in Loop: Header=BB40_17 Depth=2
	s_or_b32 exec_lo, exec_lo, s6
	s_and_saveexec_b32 s6, s1
	s_cbranch_execnz .LBB40_59
.LBB40_43:                              ;   in Loop: Header=BB40_17 Depth=2
	s_or_b32 exec_lo, exec_lo, s6
	s_and_saveexec_b32 s6, s0
	s_cbranch_execz .LBB40_16
	s_branch .LBB40_60
.LBB40_44:                              ;   in Loop: Header=BB40_17 Depth=2
	s_mul_i32 s8, s26, s28
	s_delay_alu instid0(SALU_CYCLE_1)
	s_ashr_i32 s9, s8, 31
	s_add_co_i32 s68, s8, s28
	s_wait_dscnt 0x0
	v_lshl_add_u64 v[6:7], s[8:9], 2, v[20:21]
	s_add_co_i32 s8, s68, s28
	s_ashr_i32 s69, s68, 31
	s_add_co_i32 s76, s8, s28
	s_ashr_i32 s9, s8, 31
	s_ashr_i32 s77, s76, 31
	v_lshl_add_u64 v[48:49], s[68:69], 2, v[20:21]
	v_lshl_add_u64 v[32:33], s[76:77], 2, v[20:21]
	;; [unrolled: 1-line block ×3, first 2 shown]
	s_clause 0x2
	global_load_b32 v2, v[22:23], off
	global_load_b32 v3, v[24:25], off
	;; [unrolled: 1-line block ×3, first 2 shown]
	s_clause 0x3
	global_load_b128 v[32:35], v[32:33], off
	global_load_b128 v[44:47], v[6:7], off
	;; [unrolled: 1-line block ×4, first 2 shown]
	global_load_b32 v4, v[26:27], off
	s_wait_loadcnt 0x5
	s_wait_xcnt 0x3
	v_dual_mov_b32 v6, v3 :: v_dual_mov_b32 v56, v5
	s_wait_loadcnt 0x4
	v_pk_mul_f32 v[32:33], v[2:3], v[32:33]
	s_wait_loadcnt 0x3
	v_dual_mov_b32 v58, v44 :: v_dual_mov_b32 v44, v46
	s_wait_loadcnt 0x1
	v_dual_mov_b32 v59, v48 :: v_dual_mul_f32 v60, v2, v52
	s_wait_xcnt 0x2
	v_dual_mov_b32 v61, v32 :: v_dual_mov_b32 v48, v45
	v_dual_mul_f32 v32, v3, v53 :: v_dual_mov_b32 v45, v50
	s_wait_loadcnt 0x0
	v_pk_mul_f32 v[34:35], v[4:5], v[34:35]
	s_wait_xcnt 0x1
	v_pk_add_f32 v[52:53], v[60:61], 0 op_sel_hi:[1,0]
	v_pk_fma_f32 v[58:59], v[2:3], v[58:59], 0 op_sel_hi:[0,1,0]
	v_dual_mul_f32 v60, v4, v54 :: v_dual_mov_b32 v50, v47
	v_mov_b32_e32 v61, v34
	s_delay_alu instid0(VALU_DEP_4) | instskip(NEXT) | instid1(VALU_DEP_4)
	v_pk_add_f32 v[32:33], v[52:53], v[32:33]
	v_pk_fma_f32 v[6:7], v[6:7], v[48:49], v[58:59] op_sel_hi:[0,1,1]
	v_mul_f32_e32 v34, v5, v55
	s_delay_alu instid0(VALU_DEP_3) | instskip(NEXT) | instid1(VALU_DEP_3)
	v_pk_add_f32 v[32:33], v[32:33], v[60:61]
	v_pk_fma_f32 v[44:45], v[4:5], v[44:45], v[6:7] op_sel_hi:[0,1,1]
	s_delay_alu instid0(VALU_DEP_2) | instskip(NEXT) | instid1(VALU_DEP_2)
	v_pk_add_f32 v[6:7], v[32:33], v[34:35]
	v_pk_fma_f32 v[32:33], v[56:57], v[50:51], v[44:45] op_sel_hi:[0,1,1]
	s_wait_xcnt 0x0
	s_and_not1_saveexec_b32 s9, s6
	s_cbranch_execz .LBB40_19
.LBB40_45:                              ;   in Loop: Header=BB40_17 Depth=2
	s_wait_dscnt 0x0
	v_dual_mov_b32 v7, 0 :: v_dual_mov_b32 v6, 0
	v_dual_mov_b32 v33, 0 :: v_dual_mov_b32 v32, 0
	s_and_saveexec_b32 s25, s5
	s_cbranch_execz .LBB40_62
; %bb.46:                               ;   in Loop: Header=BB40_17 Depth=2
	s_and_not1_b32 vcc_lo, exec_lo, s73
	s_cbranch_vccnz .LBB40_49
; %bb.47:                               ;   in Loop: Header=BB40_17 Depth=2
	v_mov_b32_e32 v1, v8
	s_mov_b64 s[68:69], 0
.LBB40_48:                              ;   Parent Loop BB40_3 Depth=1
                                        ;     Parent Loop BB40_17 Depth=2
                                        ; =>    This Inner Loop Header: Depth=3
	global_load_b32 v6, v1, s[56:57] scale_offset
	s_cmp_eq_u32 s68, 3
	s_cselect_b32 vcc_lo, -1, 0
	s_cmp_eq_u32 s68, 2
	s_wait_xcnt 0x0
	v_add_nc_u32_e32 v1, s10, v1
	s_cselect_b32 s6, -1, 0
	s_cmp_eq_u32 s68, 1
	s_cselect_b32 s7, -1, 0
	s_cmp_eq_u32 s68, 0
	s_add_nc_u64 s[68:69], s[68:69], 1
	s_cselect_b32 s8, -1, 0
	s_cmp_eq_u32 s71, s68
	s_wait_loadcnt 0x0
	v_dual_cndmask_b32 v5, v5, v6, vcc_lo :: v_dual_cndmask_b32 v4, v4, v6, s6
	v_dual_cndmask_b32 v3, v3, v6, s7 :: v_dual_cndmask_b32 v2, v2, v6, s8
	s_cbranch_scc0 .LBB40_48
.LBB40_49:                              ;   in Loop: Header=BB40_17 Depth=2
	s_and_not1_b32 vcc_lo, exec_lo, s73
	s_cbranch_vccnz .LBB40_61
; %bb.50:                               ;   in Loop: Header=BB40_17 Depth=2
	v_mov_b32_e32 v32, 0
	s_ashr_i32 s61, s60, 31
	s_mov_b64 s[6:7], 0
	v_lshl_add_u64 v[34:35], s[60:61], 2, v[30:31]
	s_delay_alu instid0(VALU_DEP_2)
	v_dual_mov_b32 v33, v32 :: v_dual_mov_b32 v6, v32
	v_mov_b32_e32 v7, v32
.LBB40_51:                              ;   Parent Loop BB40_3 Depth=1
                                        ;     Parent Loop BB40_17 Depth=2
                                        ; =>    This Inner Loop Header: Depth=3
	s_cmp_eq_u32 s6, 1
	s_cselect_b32 vcc_lo, -1, 0
	s_cmp_eq_u32 s6, 2
	v_cndmask_b32_e32 v1, v2, v3, vcc_lo
	s_cselect_b32 vcc_lo, -1, 0
	s_cmp_eq_u32 s6, 3
	s_delay_alu instid0(VALU_DEP_1)
	v_cndmask_b32_e32 v1, v1, v4, vcc_lo
	s_cselect_b32 vcc_lo, -1, 0
	s_add_co_i32 s76, s64, s6
	s_add_co_i32 s78, s62, s6
	s_add_co_i32 s68, s66, s6
	s_ashr_i32 s77, s76, 31
	s_ashr_i32 s79, s78, 31
	;; [unrolled: 1-line block ×3, first 2 shown]
	v_lshl_add_u64 v[44:45], s[76:77], 2, v[20:21]
	v_lshl_add_u64 v[46:47], s[78:79], 2, v[20:21]
	s_wait_xcnt 0x0
	v_lshl_add_u64 v[48:49], s[68:69], 2, v[20:21]
	global_load_b32 v50, v[34:35], off
	s_clause 0x2
	global_load_b32 v44, v[44:45], off
	global_load_b32 v45, v[46:47], off
	;; [unrolled: 1-line block ×3, first 2 shown]
	s_wait_xcnt 0x1
	v_cndmask_b32_e32 v46, v1, v5, vcc_lo
	v_add_nc_u64_e32 v[34:35], 4, v[34:35]
	s_add_nc_u64 s[6:7], s[6:7], 1
	s_delay_alu instid0(SALU_CYCLE_1)
	s_cmp_lg_u32 s71, s6
	s_wait_loadcnt 0x1
	v_pk_fma_f32 v[6:7], v[46:47], v[44:45], v[6:7] op_sel_hi:[0,1,1]
	s_wait_loadcnt 0x0
	v_pk_fma_f32 v[32:33], v[46:47], v[50:51], v[32:33] op_sel_hi:[0,1,1]
	s_cbranch_scc1 .LBB40_51
	s_branch .LBB40_62
.LBB40_52:                              ;   in Loop: Header=BB40_17 Depth=2
	ds_load_b32 v1, v36
	s_or_b32 exec_lo, exec_lo, s6
	s_and_saveexec_b32 s6, s1
	s_cbranch_execz .LBB40_25
.LBB40_53:                              ;   in Loop: Header=BB40_17 Depth=2
	s_wait_dscnt 0x0
	ds_bpermute_b32 v32, v41, v1
	s_wait_dscnt 0x0
	v_add_f32_e32 v1, v1, v32
	ds_bpermute_b32 v32, v42, v1
	s_wait_dscnt 0x0
	v_add_f32_e32 v1, v1, v32
	;; [unrolled: 3-line block ×3, first 2 shown]
	s_or_b32 exec_lo, exec_lo, s6
	s_and_saveexec_b32 s6, s1
	s_cbranch_execnz .LBB40_26
	s_branch .LBB40_27
.LBB40_54:                              ;   in Loop: Header=BB40_17 Depth=2
	ds_load_b32 v32, v36
	s_or_b32 exec_lo, exec_lo, s6
	s_and_saveexec_b32 s6, s1
	s_cbranch_execz .LBB40_31
.LBB40_55:                              ;   in Loop: Header=BB40_17 Depth=2
	s_wait_dscnt 0x0
	ds_bpermute_b32 v33, v41, v32
	s_wait_dscnt 0x0
	v_add_f32_e32 v32, v32, v33
	ds_bpermute_b32 v33, v42, v32
	s_wait_dscnt 0x0
	v_add_f32_e32 v32, v32, v33
	;; [unrolled: 3-line block ×3, first 2 shown]
	s_or_b32 exec_lo, exec_lo, s6
	s_and_saveexec_b32 s6, s1
	s_cbranch_execnz .LBB40_32
	s_branch .LBB40_33
.LBB40_56:                              ;   in Loop: Header=BB40_17 Depth=2
	ds_load_b32 v6, v36
	s_or_b32 exec_lo, exec_lo, s6
	s_and_saveexec_b32 s6, s1
	s_cbranch_execz .LBB40_37
.LBB40_57:                              ;   in Loop: Header=BB40_17 Depth=2
	s_wait_dscnt 0x0
	ds_bpermute_b32 v33, v41, v6
	s_wait_dscnt 0x0
	v_add_f32_e32 v6, v6, v33
	ds_bpermute_b32 v33, v42, v6
	s_wait_dscnt 0x0
	v_add_f32_e32 v6, v6, v33
	;; [unrolled: 3-line block ×3, first 2 shown]
	s_or_b32 exec_lo, exec_lo, s6
	s_and_saveexec_b32 s6, s1
	s_cbranch_execnz .LBB40_38
	s_branch .LBB40_39
.LBB40_58:                              ;   in Loop: Header=BB40_17 Depth=2
	ds_load_b32 v7, v36
	s_or_b32 exec_lo, exec_lo, s6
	s_and_saveexec_b32 s6, s1
	s_cbranch_execz .LBB40_43
.LBB40_59:                              ;   in Loop: Header=BB40_17 Depth=2
	s_wait_dscnt 0x0
	ds_bpermute_b32 v33, v41, v7
	s_wait_dscnt 0x0
	v_add_f32_e32 v7, v7, v33
	ds_bpermute_b32 v33, v42, v7
	s_wait_dscnt 0x0
	v_add_f32_e32 v7, v7, v33
	;; [unrolled: 3-line block ×3, first 2 shown]
	s_or_b32 exec_lo, exec_lo, s6
	s_and_saveexec_b32 s6, s0
	s_cbranch_execz .LBB40_16
.LBB40_60:                              ;   in Loop: Header=BB40_17 Depth=2
	s_mul_i32 s7, s26, s30
	v_dual_mul_f32 v1, s22, v1 :: v_dual_mul_f32 v32, s22, v32
	s_add_co_i32 s7, s7, s34
	s_delay_alu instid0(SALU_CYCLE_1) | instskip(NEXT) | instid1(SALU_CYCLE_1)
	s_add_co_i32 s8, s7, s30
	v_dual_mov_b32 v33, s7 :: v_dual_mov_b32 v34, s8
	s_add_co_i32 s7, s8, s30
	s_delay_alu instid0(SALU_CYCLE_1)
	v_dual_mul_f32 v6, s22, v6 :: v_dual_mov_b32 v35, s7
	s_add_co_i32 s7, s7, s30
	s_wait_dscnt 0x0
	v_dual_mul_f32 v7, s22, v7 :: v_dual_mov_b32 v44, s7
	s_clause 0x3
	global_store_b32 v33, v1, s[58:59] scale_offset
	global_store_b32 v34, v32, s[58:59] scale_offset
	;; [unrolled: 1-line block ×4, first 2 shown]
	s_branch .LBB40_16
.LBB40_61:                              ;   in Loop: Header=BB40_17 Depth=2
	v_mov_b32_e32 v7, 0
	s_delay_alu instid0(VALU_DEP_1)
	v_dual_mov_b32 v6, v7 :: v_dual_mov_b32 v33, v7
	v_mov_b32_e32 v32, v7
.LBB40_62:                              ;   in Loop: Header=BB40_17 Depth=2
	s_wait_xcnt 0x0
	s_or_b32 exec_lo, exec_lo, s25
	s_delay_alu instid0(SALU_CYCLE_1)
	s_or_b32 exec_lo, exec_lo, s9
	s_and_saveexec_b32 s6, s1
	s_cbranch_execnz .LBB40_20
	s_branch .LBB40_21
.LBB40_63:                              ;   in Loop: Header=BB40_3 Depth=1
	v_dual_mov_b32 v1, v0 :: v_dual_mov_b32 v2, v0
	v_mov_b32_e32 v3, v0
	s_mov_b32 s26, 0
	s_delay_alu instid0(VALU_DEP_1) | instskip(NEXT) | instid1(VALU_DEP_3)
	v_mov_b64_e32 v[4:5], v[2:3]
	v_mov_b64_e32 v[2:3], v[0:1]
.LBB40_64:                              ;   in Loop: Header=BB40_3 Depth=1
	s_cmp_ge_i32 s26, s21
	s_cbranch_scc1 .LBB40_2
; %bb.65:                               ;   in Loop: Header=BB40_3 Depth=1
	v_cmp_gt_u32_e32 vcc_lo, 24, v38
	s_add_nc_u64 s[58:59], s[58:59], s[38:39]
	s_mul_i32 s60, s28, s26
	v_cndmask_b32_e64 v1, 0, 8, vcc_lo
	v_cmp_gt_u32_e32 vcc_lo, 28, v38
	s_delay_alu instid0(VALU_DEP_2) | instskip(SKIP_4) | instid1(VALU_DEP_2)
	v_add_lshl_u32 v1, v1, v38, 2
	s_wait_dscnt 0x0
	v_cndmask_b32_e64 v6, 0, 4, vcc_lo
	v_cmp_gt_u32_e32 vcc_lo, 30, v38
	s_wait_dscnt 0x0
	v_add_lshl_u32 v7, v6, v38, 2
	v_cndmask_b32_e64 v32, 0, 2, vcc_lo
	v_cmp_ne_u32_e32 vcc_lo, 31, v38
	s_delay_alu instid0(VALU_DEP_2) | instskip(SKIP_1) | instid1(VALU_DEP_1)
	v_add_lshl_u32 v34, v32, v38, 2
	v_add_co_ci_u32_e64 v33, null, 0, v38, vcc_lo
	v_lshlrev_b32_e32 v35, 2, v33
	s_branch .LBB40_67
.LBB40_66:                              ;   in Loop: Header=BB40_67 Depth=2
	s_wait_xcnt 0x0
	s_or_b32 exec_lo, exec_lo, s6
	s_add_co_i32 s26, s26, 1
	s_add_co_i32 s60, s60, s28
	s_cmp_ge_i32 s26, s21
	s_cbranch_scc1 .LBB40_2
.LBB40_67:                              ;   Parent Loop BB40_3 Depth=1
                                        ; =>  This Loop Header: Depth=2
                                        ;       Child Loop BB40_80 Depth 3
                                        ;       Child Loop BB40_83 Depth 3
	s_wait_dscnt 0x0
	v_mov_b32_e32 v6, s27
	s_and_saveexec_b32 s6, s4
	s_delay_alu instid0(SALU_CYCLE_1)
	s_xor_b32 s6, exec_lo, s6
	s_cbranch_execnz .LBB40_76
; %bb.68:                               ;   in Loop: Header=BB40_67 Depth=2
	s_and_not1_saveexec_b32 s9, s6
	s_cbranch_execnz .LBB40_77
.LBB40_69:                              ;   in Loop: Header=BB40_67 Depth=2
	s_or_b32 exec_lo, exec_lo, s9
	s_and_saveexec_b32 s6, s1
.LBB40_70:                              ;   in Loop: Header=BB40_67 Depth=2
	ds_store_b32 v36, v0
.LBB40_71:                              ;   in Loop: Header=BB40_67 Depth=2
	s_or_b32 exec_lo, exec_lo, s6
	ds_bpermute_b32 v32, v39, v6
	s_wait_storecnt_dscnt 0x0
	s_barrier_signal -1
	s_barrier_wait -1
	v_add_f32_e32 v6, v6, v32
	ds_bpermute_b32 v32, v1, v6
	s_wait_dscnt 0x0
	v_add_f32_e32 v6, v6, v32
	ds_bpermute_b32 v32, v7, v6
	s_wait_dscnt 0x0
	;; [unrolled: 3-line block ×3, first 2 shown]
	v_add_f32_e32 v6, v6, v32
	ds_bpermute_b32 v32, v35, v6
	s_and_saveexec_b32 s6, s3
	s_cbranch_execz .LBB40_73
; %bb.72:                               ;   in Loop: Header=BB40_67 Depth=2
	s_wait_dscnt 0x0
	v_add_f32_e32 v6, v6, v32
	ds_store_b32 v37, v6
.LBB40_73:                              ;   in Loop: Header=BB40_67 Depth=2
	s_or_b32 exec_lo, exec_lo, s6
	v_mov_b32_e32 v6, 0
	s_wait_dscnt 0x0
	s_barrier_signal -1
	s_barrier_wait -1
	s_and_saveexec_b32 s6, s2
	s_cbranch_execnz .LBB40_85
; %bb.74:                               ;   in Loop: Header=BB40_67 Depth=2
	s_or_b32 exec_lo, exec_lo, s6
	s_and_saveexec_b32 s6, s1
	s_cbranch_execnz .LBB40_86
.LBB40_75:                              ;   in Loop: Header=BB40_67 Depth=2
	s_or_b32 exec_lo, exec_lo, s6
	s_and_saveexec_b32 s6, s0
	s_cbranch_execz .LBB40_66
	s_branch .LBB40_87
.LBB40_76:                              ;   in Loop: Header=BB40_67 Depth=2
	s_mul_i32 s8, s26, s28
	s_delay_alu instid0(SALU_CYCLE_1) | instskip(NEXT) | instid1(SALU_CYCLE_1)
	s_ashr_i32 s9, s8, 31
	v_lshl_add_u64 v[2:3], s[8:9], 2, v[20:21]
	global_load_b128 v[40:43], v[2:3], off
	s_clause 0x3
	global_load_b32 v2, v[22:23], off
	global_load_b32 v3, v[24:25], off
	;; [unrolled: 1-line block ×4, first 2 shown]
	s_wait_loadcnt 0x2
	v_pk_mul_f32 v[32:33], v[2:3], v[40:41]
	s_delay_alu instid0(VALU_DEP_1) | instskip(NEXT) | instid1(VALU_DEP_1)
	v_add_f32_e32 v6, 0, v32
	v_add_f32_e32 v6, v6, v33
	s_wait_loadcnt 0x0
	v_pk_mul_f32 v[32:33], v[4:5], v[42:43]
	s_delay_alu instid0(VALU_DEP_1) | instskip(NEXT) | instid1(VALU_DEP_1)
	v_add_f32_e32 v6, v6, v32
	v_add_f32_e32 v6, v6, v33
	s_wait_xcnt 0x0
	s_and_not1_saveexec_b32 s9, s6
	s_cbranch_execz .LBB40_69
.LBB40_77:                              ;   in Loop: Header=BB40_67 Depth=2
	s_and_saveexec_b32 s25, s5
	s_cbranch_execz .LBB40_84
; %bb.78:                               ;   in Loop: Header=BB40_67 Depth=2
	s_and_not1_b32 vcc_lo, exec_lo, s73
	s_cbranch_vccnz .LBB40_81
; %bb.79:                               ;   in Loop: Header=BB40_67 Depth=2
	v_mov_b32_e32 v32, v8
	s_mov_b64 s[62:63], 0
.LBB40_80:                              ;   Parent Loop BB40_3 Depth=1
                                        ;     Parent Loop BB40_67 Depth=2
                                        ; =>    This Inner Loop Header: Depth=3
	global_load_b32 v33, v32, s[56:57] scale_offset
	s_cmp_eq_u32 s62, 3
	s_cselect_b32 vcc_lo, -1, 0
	s_cmp_eq_u32 s62, 2
	s_wait_xcnt 0x0
	v_add_nc_u32_e32 v32, s10, v32
	s_cselect_b32 s6, -1, 0
	s_cmp_eq_u32 s62, 1
	s_cselect_b32 s7, -1, 0
	s_cmp_eq_u32 s62, 0
	s_add_nc_u64 s[62:63], s[62:63], 1
	s_cselect_b32 s8, -1, 0
	s_cmp_eq_u32 s71, s62
	s_wait_loadcnt 0x0
	v_dual_cndmask_b32 v5, v5, v33, vcc_lo :: v_dual_cndmask_b32 v4, v4, v33, s6
	v_dual_cndmask_b32 v3, v3, v33, s7 :: v_dual_cndmask_b32 v2, v2, v33, s8
	s_cbranch_scc0 .LBB40_80
.LBB40_81:                              ;   in Loop: Header=BB40_67 Depth=2
	s_and_not1_b32 vcc_lo, exec_lo, s73
	s_cbranch_vccnz .LBB40_84
; %bb.82:                               ;   in Loop: Header=BB40_67 Depth=2
	s_ashr_i32 s61, s60, 31
	s_mov_b64 s[6:7], 0
	v_lshl_add_u64 v[32:33], s[60:61], 2, v[30:31]
.LBB40_83:                              ;   Parent Loop BB40_3 Depth=1
                                        ;     Parent Loop BB40_67 Depth=2
                                        ; =>    This Inner Loop Header: Depth=3
	global_load_b32 v40, v[32:33], off
	s_cmp_eq_u32 s6, 1
	s_wait_xcnt 0x0
	v_add_nc_u64_e32 v[32:33], 4, v[32:33]
	s_cselect_b32 vcc_lo, -1, 0
	s_cmp_eq_u32 s6, 2
	v_cndmask_b32_e32 v41, v2, v3, vcc_lo
	s_cselect_b32 vcc_lo, -1, 0
	s_cmp_eq_u32 s6, 3
	s_add_nc_u64 s[6:7], s[6:7], 1
	s_delay_alu instid0(VALU_DEP_1) | instskip(SKIP_2) | instid1(VALU_DEP_1)
	v_cndmask_b32_e32 v41, v41, v4, vcc_lo
	s_cselect_b32 vcc_lo, -1, 0
	s_cmp_lg_u32 s71, s6
	v_cndmask_b32_e32 v41, v41, v5, vcc_lo
	s_wait_loadcnt 0x0
	s_delay_alu instid0(VALU_DEP_1)
	v_fmac_f32_e32 v6, v41, v40
	s_cbranch_scc1 .LBB40_83
.LBB40_84:                              ;   in Loop: Header=BB40_67 Depth=2
	s_or_b32 exec_lo, exec_lo, s25
	s_delay_alu instid0(SALU_CYCLE_1)
	s_or_b32 exec_lo, exec_lo, s9
	s_and_saveexec_b32 s6, s1
	s_cbranch_execnz .LBB40_70
	s_branch .LBB40_71
.LBB40_85:                              ;   in Loop: Header=BB40_67 Depth=2
	ds_load_b32 v6, v36
	s_or_b32 exec_lo, exec_lo, s6
	s_and_saveexec_b32 s6, s1
	s_cbranch_execz .LBB40_75
.LBB40_86:                              ;   in Loop: Header=BB40_67 Depth=2
	s_wait_dscnt 0x0
	ds_bpermute_b32 v32, v7, v6
	s_wait_dscnt 0x0
	v_add_f32_e32 v6, v6, v32
	ds_bpermute_b32 v32, v34, v6
	s_wait_dscnt 0x0
	v_add_f32_e32 v6, v6, v32
	;; [unrolled: 3-line block ×3, first 2 shown]
	s_or_b32 exec_lo, exec_lo, s6
	s_and_saveexec_b32 s6, s0
	s_cbranch_execz .LBB40_66
.LBB40_87:                              ;   in Loop: Header=BB40_67 Depth=2
	s_mul_u64 s[8:9], s[26:27], s[30:31]
	s_wait_dscnt 0x0
	v_mul_f32_e32 v6, s22, v6
	s_lshl_b64 s[8:9], s[8:9], 2
	s_delay_alu instid0(SALU_CYCLE_1)
	s_add_nc_u64 s[8:9], s[58:59], s[8:9]
	global_store_b32 v0, v6, s[8:9]
	s_branch .LBB40_66
.LBB40_88:
	s_endpgm
	.section	.rodata,"a",@progbits
	.p2align	6, 0x0
	.amdhsa_kernel _ZL23rocblas_gemvt_sn_kernelILb1ELi256ELi4EifffEviiT4_lPKT3_lilS3_lilPT5_i
		.amdhsa_group_segment_fixed_size 128
		.amdhsa_private_segment_fixed_size 0
		.amdhsa_kernarg_size 360
		.amdhsa_user_sgpr_count 2
		.amdhsa_user_sgpr_dispatch_ptr 0
		.amdhsa_user_sgpr_queue_ptr 0
		.amdhsa_user_sgpr_kernarg_segment_ptr 1
		.amdhsa_user_sgpr_dispatch_id 0
		.amdhsa_user_sgpr_kernarg_preload_length 0
		.amdhsa_user_sgpr_kernarg_preload_offset 0
		.amdhsa_user_sgpr_private_segment_size 0
		.amdhsa_wavefront_size32 1
		.amdhsa_uses_dynamic_stack 0
		.amdhsa_enable_private_segment 0
		.amdhsa_system_sgpr_workgroup_id_x 1
		.amdhsa_system_sgpr_workgroup_id_y 0
		.amdhsa_system_sgpr_workgroup_id_z 1
		.amdhsa_system_sgpr_workgroup_info 0
		.amdhsa_system_vgpr_workitem_id 0
		.amdhsa_next_free_vgpr 62
		.amdhsa_next_free_sgpr 80
		.amdhsa_named_barrier_count 0
		.amdhsa_reserve_vcc 1
		.amdhsa_float_round_mode_32 0
		.amdhsa_float_round_mode_16_64 0
		.amdhsa_float_denorm_mode_32 3
		.amdhsa_float_denorm_mode_16_64 3
		.amdhsa_fp16_overflow 0
		.amdhsa_memory_ordered 1
		.amdhsa_forward_progress 1
		.amdhsa_inst_pref_size 31
		.amdhsa_round_robin_scheduling 0
		.amdhsa_exception_fp_ieee_invalid_op 0
		.amdhsa_exception_fp_denorm_src 0
		.amdhsa_exception_fp_ieee_div_zero 0
		.amdhsa_exception_fp_ieee_overflow 0
		.amdhsa_exception_fp_ieee_underflow 0
		.amdhsa_exception_fp_ieee_inexact 0
		.amdhsa_exception_int_div_zero 0
	.end_amdhsa_kernel
	.section	.text._ZL23rocblas_gemvt_sn_kernelILb1ELi256ELi4EifffEviiT4_lPKT3_lilS3_lilPT5_i,"axG",@progbits,_ZL23rocblas_gemvt_sn_kernelILb1ELi256ELi4EifffEviiT4_lPKT3_lilS3_lilPT5_i,comdat
.Lfunc_end40:
	.size	_ZL23rocblas_gemvt_sn_kernelILb1ELi256ELi4EifffEviiT4_lPKT3_lilS3_lilPT5_i, .Lfunc_end40-_ZL23rocblas_gemvt_sn_kernelILb1ELi256ELi4EifffEviiT4_lPKT3_lilS3_lilPT5_i
                                        ; -- End function
	.set _ZL23rocblas_gemvt_sn_kernelILb1ELi256ELi4EifffEviiT4_lPKT3_lilS3_lilPT5_i.num_vgpr, 62
	.set _ZL23rocblas_gemvt_sn_kernelILb1ELi256ELi4EifffEviiT4_lPKT3_lilS3_lilPT5_i.num_agpr, 0
	.set _ZL23rocblas_gemvt_sn_kernelILb1ELi256ELi4EifffEviiT4_lPKT3_lilS3_lilPT5_i.numbered_sgpr, 80
	.set _ZL23rocblas_gemvt_sn_kernelILb1ELi256ELi4EifffEviiT4_lPKT3_lilS3_lilPT5_i.num_named_barrier, 0
	.set _ZL23rocblas_gemvt_sn_kernelILb1ELi256ELi4EifffEviiT4_lPKT3_lilS3_lilPT5_i.private_seg_size, 0
	.set _ZL23rocblas_gemvt_sn_kernelILb1ELi256ELi4EifffEviiT4_lPKT3_lilS3_lilPT5_i.uses_vcc, 1
	.set _ZL23rocblas_gemvt_sn_kernelILb1ELi256ELi4EifffEviiT4_lPKT3_lilS3_lilPT5_i.uses_flat_scratch, 0
	.set _ZL23rocblas_gemvt_sn_kernelILb1ELi256ELi4EifffEviiT4_lPKT3_lilS3_lilPT5_i.has_dyn_sized_stack, 0
	.set _ZL23rocblas_gemvt_sn_kernelILb1ELi256ELi4EifffEviiT4_lPKT3_lilS3_lilPT5_i.has_recursion, 0
	.set _ZL23rocblas_gemvt_sn_kernelILb1ELi256ELi4EifffEviiT4_lPKT3_lilS3_lilPT5_i.has_indirect_call, 0
	.section	.AMDGPU.csdata,"",@progbits
; Kernel info:
; codeLenInByte = 3888
; TotalNumSgprs: 82
; NumVgprs: 62
; ScratchSize: 0
; MemoryBound: 0
; FloatMode: 240
; IeeeMode: 1
; LDSByteSize: 128 bytes/workgroup (compile time only)
; SGPRBlocks: 0
; VGPRBlocks: 3
; NumSGPRsForWavesPerEU: 82
; NumVGPRsForWavesPerEU: 62
; NamedBarCnt: 0
; Occupancy: 16
; WaveLimiterHint : 0
; COMPUTE_PGM_RSRC2:SCRATCH_EN: 0
; COMPUTE_PGM_RSRC2:USER_SGPR: 2
; COMPUTE_PGM_RSRC2:TRAP_HANDLER: 0
; COMPUTE_PGM_RSRC2:TGID_X_EN: 1
; COMPUTE_PGM_RSRC2:TGID_Y_EN: 0
; COMPUTE_PGM_RSRC2:TGID_Z_EN: 1
; COMPUTE_PGM_RSRC2:TIDIG_COMP_CNT: 0
	.section	.text._ZL23rocblas_gemvt_sn_kernelILb1ELi256ELi4ElfffEviiT4_lPKT3_lilS3_lilPT5_i,"axG",@progbits,_ZL23rocblas_gemvt_sn_kernelILb1ELi256ELi4ElfffEviiT4_lPKT3_lilS3_lilPT5_i,comdat
	.globl	_ZL23rocblas_gemvt_sn_kernelILb1ELi256ELi4ElfffEviiT4_lPKT3_lilS3_lilPT5_i ; -- Begin function _ZL23rocblas_gemvt_sn_kernelILb1ELi256ELi4ElfffEviiT4_lPKT3_lilS3_lilPT5_i
	.p2align	8
	.type	_ZL23rocblas_gemvt_sn_kernelILb1ELi256ELi4ElfffEviiT4_lPKT3_lilS3_lilPT5_i,@function
_ZL23rocblas_gemvt_sn_kernelILb1ELi256ELi4ElfffEviiT4_lPKT3_lilS3_lilPT5_i: ; @_ZL23rocblas_gemvt_sn_kernelILb1ELi256ELi4ElfffEviiT4_lPKT3_lilS3_lilPT5_i
; %bb.0:
	s_load_b32 s23, s[0:1], 0x60
	s_bfe_u32 s2, ttmp6, 0x40014
	s_lshr_b32 s3, ttmp7, 16
	s_add_co_i32 s2, s2, 1
	s_bfe_u32 s4, ttmp6, 0x40008
	s_mul_i32 s2, s3, s2
	s_getreg_b32 s25, hwreg(HW_REG_IB_STS2, 6, 4)
	s_add_co_i32 s4, s4, s2
	s_cmp_eq_u32 s25, 0
	s_mov_b32 s11, 0
	s_cselect_b32 s24, s3, s4
	s_wait_kmcnt 0x0
	s_cmp_ge_u32 s24, s23
	s_cbranch_scc1 .LBB41_88
; %bb.1:
	s_clause 0x6
	s_load_b32 s26, s[0:1], 0x28
	s_load_b96 s[8:10], s[0:1], 0x40
	s_load_b128 s[4:7], s[0:1], 0x18
	s_load_b96 s[20:22], s[0:1], 0x0
	s_load_b128 s[12:15], s[0:1], 0x30
	s_load_b128 s[16:19], s[0:1], 0x50
	s_load_b32 s28, s[0:1], 0x68
	s_wait_xcnt 0x0
	v_cmp_eq_u32_e64 s0, 0, v0
	v_dual_lshrrev_b32 v2, 3, v0 :: v_dual_bitop2_b32 v1, 31, v0 bitop3:0x40
	v_cmp_gt_u32_e64 s1, 32, v0
	v_cmp_gt_u32_e64 s2, 8, v0
	v_mbcnt_lo_u32_b32 v42, -1, 0
	s_delay_alu instid0(VALU_DEP_4)
	v_cmp_eq_u32_e64 s3, 0, v1
	v_dual_lshlrev_b32 v40, 2, v1 :: v_dual_bitop2_b32 v41, 28, v2 bitop3:0x40
	v_mov_b64_e32 v[20:21], 0
	s_mov_b32 s29, s11
	v_lshl_or_b32 v43, v42, 2, 64
	s_wait_kmcnt 0x0
	s_ashr_i32 s27, s26, 31
	s_ashr_i32 s47, s10, 31
	s_lshl_b64 s[8:9], s[8:9], 2
	s_lshl_b64 s[6:7], s[6:7], 2
	s_ashr_i32 s39, s21, 31
	s_cmp_eq_f32 s22, 0
	s_mov_b32 s46, s10
	s_add_nc_u64 s[14:15], s[14:15], s[8:9]
	s_add_nc_u64 s[4:5], s[4:5], s[6:7]
	s_cselect_b32 s33, -1, 0
	s_cmp_gt_i32 s21, 0
	s_mov_b32 s38, s21
	s_cselect_b32 s10, -1, 0
	s_bfe_u32 s30, ttmp6, 0x4000c
	s_and_b32 s8, ttmp6, 15
	s_add_co_i32 s30, s30, 1
	s_and_b32 s64, s0, s10
	s_mul_i32 s9, ttmp9, s30
	s_mul_u64 s[30:31], s[38:39], s[28:29]
	s_add_co_i32 s8, s8, s9
	s_cmp_eq_u32 s25, 0
	s_mul_u64 s[56:57], s[26:27], 12
	s_cselect_b32 s10, ttmp9, s8
	s_ashr_i32 s7, s20, 31
	s_lshl_b32 s6, s10, 10
	s_lshr_b32 s7, s7, 30
	v_lshl_or_b32 v0, v0, 2, s6
	s_add_co_i32 s7, s20, s7
	s_lshr_b32 s6, s39, 30
	s_and_b32 s7, s7, -4
	s_add_co_i32 s6, s21, s6
	s_sub_co_i32 s66, s20, s7
	v_dual_ashrrev_i32 v1, 31, v0 :: v_dual_add_nc_u32 v18, 4, v0
	v_dual_add_nc_u32 v19, s66, v0 :: v_dual_bitop2_b32 v2, 1, v0 bitop3:0x54
	v_or_b32_e32 v4, 2, v0
	v_or_b32_e32 v6, 3, v0
	s_delay_alu instid0(VALU_DEP_4) | instskip(NEXT) | instid1(VALU_DEP_4)
	v_mul_u64_e32 v[8:9], s[46:47], v[0:1]
	v_ashrrev_i32_e32 v3, 31, v2
	v_lshl_add_u64 v[16:17], v[0:1], 2, s[4:5]
	v_dual_mov_b32 v0, 0 :: v_dual_ashrrev_i32 v5, 31, v4
	v_ashrrev_i32_e32 v7, 31, v6
	s_delay_alu instid0(VALU_DEP_4)
	v_mul_u64_e32 v[10:11], s[46:47], v[2:3]
	s_and_b32 s65, s6, -4
	v_cmp_ge_i32_e64 s4, s20, v18
	v_mul_u64_e32 v[12:13], s[46:47], v[4:5]
	v_mul_u64_e32 v[14:15], s[46:47], v[6:7]
	s_cmp_gt_i32 s65, 0
	s_cselect_b32 s67, -1, 0
	s_cmp_gt_i32 s66, 0
	s_cselect_b32 s68, -1, 0
	s_cmp_gt_u32 s21, 1
	s_cselect_b32 s5, -1, 0
	s_cmp_eq_u32 s28, 1
	s_cselect_b32 s6, -1, 0
	s_and_b32 s69, s21, 0x7ffffffe
	s_and_b32 s70, s5, s6
	s_cmp_lg_u32 s21, s69
	v_cmp_ge_i32_e64 s5, s20, v19
	s_cselect_b32 s20, -1, 0
	s_lshl_b64 s[34:35], s[10:11], 2
	s_lshl_b64 s[36:37], s[30:31], 2
	;; [unrolled: 1-line block ×4, first 2 shown]
	v_lshl_add_u64 v[18:19], v[8:9], 2, s[14:15]
	s_lshl_b64 s[42:43], s[16:17], 2
	s_add_nc_u64 s[44:45], s[18:19], s[34:35]
	s_lshl_b64 s[46:47], s[46:47], 2
	s_lshl_b64 s[48:49], s[12:13], 2
	s_lshl_b64 s[50:51], s[26:27], 4
	s_lshl_b64 s[52:53], s[26:27], 2
	s_lshl_b64 s[54:55], s[26:27], 3
	s_branch .LBB41_3
.LBB41_2:                               ;   in Loop: Header=BB41_3 Depth=1
	s_add_co_i32 s24, s24, 0x10000
	s_delay_alu instid0(SALU_CYCLE_1)
	s_cmp_lt_u32 s24, s23
	s_cbranch_scc0 .LBB41_88
.LBB41_3:                               ; =>This Loop Header: Depth=1
                                        ;     Child Loop BB41_7 Depth 2
                                        ;     Child Loop BB41_11 Depth 2
	;; [unrolled: 1-line block ×3, first 2 shown]
                                        ;       Child Loop BB41_48 Depth 3
                                        ;       Child Loop BB41_51 Depth 3
                                        ;     Child Loop BB41_67 Depth 2
                                        ;       Child Loop BB41_80 Depth 3
                                        ;       Child Loop BB41_83 Depth 3
	s_mov_b32 s25, s11
	s_and_not1_b32 vcc_lo, exec_lo, s33
	s_mov_b32 s6, -1
	s_cbranch_vccnz .LBB41_13
; %bb.4:                                ;   in Loop: Header=BB41_3 Depth=1
	s_and_saveexec_b32 s8, s64
	s_cbranch_execz .LBB41_12
; %bb.5:                                ;   in Loop: Header=BB41_3 Depth=1
	s_and_not1_b32 vcc_lo, exec_lo, s70
	s_cbranch_vccnz .LBB41_9
; %bb.6:                                ;   in Loop: Header=BB41_3 Depth=1
	s_mul_u64 s[6:7], s[36:37], s[24:25]
	s_mov_b32 s9, s69
	s_add_nc_u64 s[6:7], s[44:45], s[6:7]
.LBB41_7:                               ;   Parent Loop BB41_3 Depth=1
                                        ; =>  This Inner Loop Header: Depth=2
	s_add_co_i32 s9, s9, -2
	global_store_b64 v0, v[20:21], s[6:7]
	s_wait_xcnt 0x0
	s_add_nc_u64 s[6:7], s[6:7], 8
	s_mov_b32 s10, s69
	s_cmp_lg_u32 s9, 0
	s_mov_b32 s58, s20
	s_cbranch_scc1 .LBB41_7
; %bb.8:                                ;   in Loop: Header=BB41_3 Depth=1
	s_and_b32 vcc_lo, exec_lo, s58
	s_cbranch_vccnz .LBB41_10
	s_branch .LBB41_12
.LBB41_9:                               ;   in Loop: Header=BB41_3 Depth=1
	s_mov_b32 s10, 0
	s_cbranch_execz .LBB41_12
.LBB41_10:                              ;   in Loop: Header=BB41_3 Depth=1
	s_mul_u64 s[6:7], s[38:39], s[24:25]
	s_lshl_b64 s[58:59], s[10:11], 2
	s_sub_co_i32 s9, s21, s10
	s_add_nc_u64 s[6:7], s[6:7], s[58:59]
	s_delay_alu instid0(SALU_CYCLE_1) | instskip(NEXT) | instid1(SALU_CYCLE_1)
	s_mul_u64 s[6:7], s[28:29], s[6:7]
	s_add_nc_u64 s[6:7], s[44:45], s[6:7]
.LBB41_11:                              ;   Parent Loop BB41_3 Depth=1
                                        ; =>  This Inner Loop Header: Depth=2
	s_add_co_i32 s9, s9, -1
	global_store_b32 v0, v0, s[6:7]
	s_cmp_eq_u32 s9, 0
	s_wait_xcnt 0x0
	s_add_nc_u64 s[6:7], s[6:7], s[40:41]
	s_cbranch_scc0 .LBB41_11
.LBB41_12:                              ;   in Loop: Header=BB41_3 Depth=1
	s_or_b32 exec_lo, exec_lo, s8
	s_mov_b32 s6, 0
.LBB41_13:                              ;   in Loop: Header=BB41_3 Depth=1
	s_delay_alu instid0(SALU_CYCLE_1)
	s_and_not1_b32 vcc_lo, exec_lo, s6
	s_cbranch_vccnz .LBB41_2
; %bb.14:                               ;   in Loop: Header=BB41_3 Depth=1
	v_mad_nc_u64_u32 v[22:23], s42, s24, v[18:19]
	s_mul_u64 s[6:7], s[16:17], s[24:25]
	s_mul_u64 s[8:9], s[30:31], s[24:25]
	s_lshl_b64 s[6:7], s[6:7], 2
	s_mul_u64 s[58:59], s[12:13], s[24:25]
	s_add_nc_u64 s[6:7], s[14:15], s[6:7]
	s_lshl_b64 s[62:63], s[8:9], 2
	v_lshl_add_u64 v[24:25], s[58:59], 2, v[16:17]
	v_lshl_add_u64 v[26:27], v[8:9], 2, s[6:7]
	;; [unrolled: 1-line block ×4, first 2 shown]
	v_mad_u32 v23, s43, s24, v23
	v_lshl_add_u64 v[32:33], v[14:15], 2, s[6:7]
	v_cmp_gt_u32_e64 s9, 24, v42
	v_cmp_gt_u32_e64 s8, 28, v42
	;; [unrolled: 1-line block ×3, first 2 shown]
	v_cmp_ne_u32_e64 s6, 31, v42
	s_add_nc_u64 s[58:59], s[18:19], s[62:63]
	s_mul_u64 s[60:61], s[48:49], s[24:25]
	s_and_not1_b32 vcc_lo, exec_lo, s67
	s_add_nc_u64 s[58:59], s[58:59], s[34:35]
	s_cbranch_vccnz .LBB41_63
; %bb.15:                               ;   in Loop: Header=BB41_3 Depth=1
	v_cndmask_b32_e64 v4, 0, 8, s9
	v_cndmask_b32_e64 v5, 0, 4, s8
	s_wait_dscnt 0x0
	v_add_co_ci_u32_e64 v35, null, 0, v42, s6
	v_dual_mov_b32 v1, v0 :: v_dual_mov_b32 v2, v0
	s_delay_alu instid0(VALU_DEP_2) | instskip(SKIP_3) | instid1(VALU_DEP_4)
	v_dual_mov_b32 v3, v0 :: v_dual_lshlrev_b32 v47, 2, v35
	v_cndmask_b32_e64 v34, 0, 2, s7
	v_add_lshl_u32 v44, v4, v42, 2
	v_add_lshl_u32 v45, v5, v42, 2
	v_mov_b64_e32 v[4:5], v[2:3]
	v_add_nc_u64_e32 v[6:7], s[60:61], v[16:17]
	v_mov_b64_e32 v[2:3], v[0:1]
	v_add_lshl_u32 v46, v34, v42, 2
	s_mov_b32 s10, 0
	s_branch .LBB41_17
.LBB41_16:                              ;   in Loop: Header=BB41_17 Depth=2
	s_wait_xcnt 0x0
	s_or_b32 exec_lo, exec_lo, s6
	v_add_nc_u64_e32 v[6:7], s[50:51], v[6:7]
	s_add_co_i32 s10, s10, 4
	s_delay_alu instid0(SALU_CYCLE_1)
	s_cmp_ge_i32 s10, s65
	s_cbranch_scc1 .LBB41_64
.LBB41_17:                              ;   Parent Loop BB41_3 Depth=1
                                        ; =>  This Loop Header: Depth=2
                                        ;       Child Loop BB41_48 Depth 3
                                        ;       Child Loop BB41_51 Depth 3
                                        ; implicit-def: $vgpr35
                                        ; implicit-def: $vgpr37
	s_and_saveexec_b32 s6, s4
	s_delay_alu instid0(SALU_CYCLE_1)
	s_xor_b32 s6, exec_lo, s6
	s_cbranch_execnz .LBB41_44
; %bb.18:                               ;   in Loop: Header=BB41_17 Depth=2
	s_and_not1_saveexec_b32 s9, s6
	s_cbranch_execnz .LBB41_45
.LBB41_19:                              ;   in Loop: Header=BB41_17 Depth=2
	s_or_b32 exec_lo, exec_lo, s9
	s_and_saveexec_b32 s6, s1
.LBB41_20:                              ;   in Loop: Header=BB41_17 Depth=2
	ds_store_b32 v40, v0
.LBB41_21:                              ;   in Loop: Header=BB41_17 Depth=2
	s_or_b32 exec_lo, exec_lo, s6
	ds_bpermute_b32 v1, v43, v36
	s_wait_storecnt_dscnt 0x0
	s_barrier_signal -1
	s_barrier_wait -1
	v_add_f32_e32 v1, v36, v1
	ds_bpermute_b32 v36, v44, v1
	s_wait_dscnt 0x0
	v_add_f32_e32 v1, v1, v36
	ds_bpermute_b32 v36, v45, v1
	s_wait_dscnt 0x0
	;; [unrolled: 3-line block ×3, first 2 shown]
	v_add_f32_e32 v1, v1, v36
	ds_bpermute_b32 v36, v47, v1
	s_and_saveexec_b32 s6, s3
	s_cbranch_execz .LBB41_23
; %bb.22:                               ;   in Loop: Header=BB41_17 Depth=2
	s_wait_dscnt 0x0
	v_add_f32_e32 v1, v1, v36
	ds_store_b32 v41, v1
.LBB41_23:                              ;   in Loop: Header=BB41_17 Depth=2
	s_or_b32 exec_lo, exec_lo, s6
	v_mov_b32_e32 v1, 0
	s_wait_dscnt 0x0
	s_barrier_signal -1
	s_barrier_wait -1
	s_and_saveexec_b32 s6, s2
	s_cbranch_execnz .LBB41_52
; %bb.24:                               ;   in Loop: Header=BB41_17 Depth=2
	s_or_b32 exec_lo, exec_lo, s6
	s_and_saveexec_b32 s6, s1
	s_cbranch_execnz .LBB41_53
.LBB41_25:                              ;   in Loop: Header=BB41_17 Depth=2
	s_or_b32 exec_lo, exec_lo, s6
	s_and_saveexec_b32 s6, s1
.LBB41_26:                              ;   in Loop: Header=BB41_17 Depth=2
	ds_store_b32 v40, v0
.LBB41_27:                              ;   in Loop: Header=BB41_17 Depth=2
	s_or_b32 exec_lo, exec_lo, s6
	ds_bpermute_b32 v36, v43, v37
	s_wait_dscnt 0x0
	s_barrier_signal -1
	s_barrier_wait -1
	v_add_f32_e32 v36, v37, v36
	ds_bpermute_b32 v37, v44, v36
	s_wait_dscnt 0x0
	v_add_f32_e32 v36, v36, v37
	ds_bpermute_b32 v37, v45, v36
	s_wait_dscnt 0x0
	;; [unrolled: 3-line block ×3, first 2 shown]
	v_add_f32_e32 v36, v36, v37
	ds_bpermute_b32 v37, v47, v36
	s_and_saveexec_b32 s6, s3
	s_cbranch_execz .LBB41_29
; %bb.28:                               ;   in Loop: Header=BB41_17 Depth=2
	s_wait_dscnt 0x0
	v_add_f32_e32 v36, v36, v37
	ds_store_b32 v41, v36
.LBB41_29:                              ;   in Loop: Header=BB41_17 Depth=2
	s_or_b32 exec_lo, exec_lo, s6
	v_mov_b32_e32 v36, 0
	s_wait_dscnt 0x0
	s_barrier_signal -1
	s_barrier_wait -1
	s_and_saveexec_b32 s6, s2
	s_cbranch_execnz .LBB41_54
; %bb.30:                               ;   in Loop: Header=BB41_17 Depth=2
	s_or_b32 exec_lo, exec_lo, s6
	s_and_saveexec_b32 s6, s1
	s_cbranch_execnz .LBB41_55
.LBB41_31:                              ;   in Loop: Header=BB41_17 Depth=2
	s_or_b32 exec_lo, exec_lo, s6
	s_and_saveexec_b32 s6, s1
.LBB41_32:                              ;   in Loop: Header=BB41_17 Depth=2
	ds_store_b32 v40, v0
.LBB41_33:                              ;   in Loop: Header=BB41_17 Depth=2
	s_or_b32 exec_lo, exec_lo, s6
	ds_bpermute_b32 v37, v43, v34
	s_wait_dscnt 0x0
	s_barrier_signal -1
	s_barrier_wait -1
	v_add_f32_e32 v34, v34, v37
	ds_bpermute_b32 v37, v44, v34
	s_wait_dscnt 0x0
	v_add_f32_e32 v34, v34, v37
	ds_bpermute_b32 v37, v45, v34
	s_wait_dscnt 0x0
	;; [unrolled: 3-line block ×3, first 2 shown]
	v_add_f32_e32 v34, v34, v37
	ds_bpermute_b32 v37, v47, v34
	s_and_saveexec_b32 s6, s3
	s_cbranch_execz .LBB41_35
; %bb.34:                               ;   in Loop: Header=BB41_17 Depth=2
	s_wait_dscnt 0x0
	v_add_f32_e32 v34, v34, v37
	ds_store_b32 v41, v34
.LBB41_35:                              ;   in Loop: Header=BB41_17 Depth=2
	s_or_b32 exec_lo, exec_lo, s6
	v_mov_b32_e32 v34, 0
	s_wait_dscnt 0x0
	s_barrier_signal -1
	s_barrier_wait -1
	s_and_saveexec_b32 s6, s2
	s_cbranch_execnz .LBB41_56
; %bb.36:                               ;   in Loop: Header=BB41_17 Depth=2
	s_or_b32 exec_lo, exec_lo, s6
	s_and_saveexec_b32 s6, s1
	s_cbranch_execnz .LBB41_57
.LBB41_37:                              ;   in Loop: Header=BB41_17 Depth=2
	s_or_b32 exec_lo, exec_lo, s6
	s_and_saveexec_b32 s6, s1
.LBB41_38:                              ;   in Loop: Header=BB41_17 Depth=2
	ds_store_b32 v40, v0
.LBB41_39:                              ;   in Loop: Header=BB41_17 Depth=2
	s_or_b32 exec_lo, exec_lo, s6
	ds_bpermute_b32 v37, v43, v35
	s_wait_dscnt 0x0
	s_barrier_signal -1
	s_barrier_wait -1
	v_add_f32_e32 v35, v35, v37
	ds_bpermute_b32 v37, v44, v35
	s_wait_dscnt 0x0
	v_add_f32_e32 v35, v35, v37
	ds_bpermute_b32 v37, v45, v35
	s_wait_dscnt 0x0
	v_add_f32_e32 v35, v35, v37
	ds_bpermute_b32 v37, v46, v35
	s_wait_dscnt 0x0
	v_add_f32_e32 v35, v35, v37
	ds_bpermute_b32 v37, v47, v35
	s_and_saveexec_b32 s6, s3
	s_cbranch_execz .LBB41_41
; %bb.40:                               ;   in Loop: Header=BB41_17 Depth=2
	s_wait_dscnt 0x0
	v_add_f32_e32 v35, v35, v37
	ds_store_b32 v41, v35
.LBB41_41:                              ;   in Loop: Header=BB41_17 Depth=2
	s_or_b32 exec_lo, exec_lo, s6
	v_mov_b32_e32 v35, 0
	s_wait_dscnt 0x0
	s_barrier_signal -1
	s_barrier_wait -1
	s_and_saveexec_b32 s6, s2
	s_cbranch_execnz .LBB41_58
; %bb.42:                               ;   in Loop: Header=BB41_17 Depth=2
	s_or_b32 exec_lo, exec_lo, s6
	s_and_saveexec_b32 s6, s1
	s_cbranch_execnz .LBB41_59
.LBB41_43:                              ;   in Loop: Header=BB41_17 Depth=2
	s_or_b32 exec_lo, exec_lo, s6
	s_and_saveexec_b32 s6, s0
	s_cbranch_execz .LBB41_16
	s_branch .LBB41_60
.LBB41_44:                              ;   in Loop: Header=BB41_17 Depth=2
	s_or_b32 s62, s10, 3
	s_mov_b32 s63, s11
	s_mul_u64 s[8:9], s[10:11], s[26:27]
	s_or_b32 s72, s10, 2
	s_mul_u64 s[62:63], s[62:63], s[26:27]
	s_mov_b32 s73, s11
	v_lshl_add_u64 v[38:39], s[8:9], 2, v[24:25]
	s_or_b32 s8, s10, 1
	s_mov_b32 s9, s11
	s_wait_dscnt 0x0
	v_lshl_add_u64 v[34:35], s[62:63], 2, v[24:25]
	s_mul_u64 s[62:63], s[72:73], s[26:27]
	s_mul_u64 s[8:9], s[8:9], s[26:27]
	s_clause 0x2
	global_load_b32 v2, v[26:27], off
	global_load_b32 v3, v[28:29], off
	;; [unrolled: 1-line block ×3, first 2 shown]
	v_lshl_add_u64 v[52:53], s[62:63], 2, v[24:25]
	v_lshl_add_u64 v[56:57], s[8:9], 2, v[24:25]
	s_clause 0x3
	global_load_b128 v[34:37], v[34:35], off
	global_load_b128 v[48:51], v[38:39], off
	;; [unrolled: 1-line block ×4, first 2 shown]
	global_load_b32 v4, v[30:31], off
	s_wait_loadcnt 0x5
	s_wait_xcnt 0x3
	v_dual_mov_b32 v38, v3 :: v_dual_mov_b32 v60, v5
	s_wait_loadcnt 0x4
	v_pk_mul_f32 v[34:35], v[2:3], v[34:35]
	s_wait_loadcnt 0x3
	v_dual_mov_b32 v62, v48 :: v_dual_mov_b32 v48, v50
	s_wait_loadcnt 0x2
	s_wait_xcnt 0x2
	v_dual_mul_f32 v52, v2, v52 :: v_dual_mul_f32 v64, v3, v53
	s_wait_loadcnt 0x1
	v_dual_mov_b32 v53, v34 :: v_dual_mov_b32 v63, v56
	s_wait_xcnt 0x1
	v_dual_mov_b32 v56, v49 :: v_dual_mov_b32 v65, v35
	s_wait_loadcnt 0x0
	v_pk_mul_f32 v[36:37], v[4:5], v[36:37]
	v_pk_add_f32 v[34:35], v[52:53], 0 op_sel_hi:[1,0]
	v_pk_fma_f32 v[52:53], v[2:3], v[62:63], 0 op_sel_hi:[0,1,0]
	v_dual_mul_f32 v62, v4, v54 :: v_dual_mov_b32 v49, v58
	s_delay_alu instid0(VALU_DEP_4) | instskip(NEXT) | instid1(VALU_DEP_4)
	v_dual_mov_b32 v63, v36 :: v_dual_mov_b32 v58, v51
	v_pk_add_f32 v[34:35], v[34:35], v[64:65]
	s_delay_alu instid0(VALU_DEP_4) | instskip(SKIP_1) | instid1(VALU_DEP_3)
	v_pk_fma_f32 v[38:39], v[38:39], v[56:57], v[52:53] op_sel_hi:[0,1,1]
	v_mul_f32_e32 v36, v5, v55
	v_pk_add_f32 v[34:35], v[34:35], v[62:63]
	s_delay_alu instid0(VALU_DEP_3) | instskip(NEXT) | instid1(VALU_DEP_2)
	v_pk_fma_f32 v[38:39], v[4:5], v[48:49], v[38:39] op_sel_hi:[0,1,1]
	v_pk_add_f32 v[34:35], v[34:35], v[36:37]
	s_delay_alu instid0(VALU_DEP_2)
	v_pk_fma_f32 v[36:37], v[60:61], v[58:59], v[38:39] op_sel_hi:[0,1,1]
	s_wait_xcnt 0x0
	s_and_not1_saveexec_b32 s9, s6
	s_cbranch_execz .LBB41_19
.LBB41_45:                              ;   in Loop: Header=BB41_17 Depth=2
	s_wait_dscnt 0x0
	v_dual_mov_b32 v35, 0 :: v_dual_mov_b32 v34, 0
	v_dual_mov_b32 v37, 0 :: v_dual_mov_b32 v36, 0
	s_and_saveexec_b32 s25, s5
	s_cbranch_execz .LBB41_62
; %bb.46:                               ;   in Loop: Header=BB41_17 Depth=2
	s_and_not1_b32 vcc_lo, exec_lo, s68
	s_cbranch_vccnz .LBB41_49
; %bb.47:                               ;   in Loop: Header=BB41_17 Depth=2
	v_mov_b64_e32 v[34:35], v[22:23]
	s_mov_b64 s[62:63], 0
.LBB41_48:                              ;   Parent Loop BB41_3 Depth=1
                                        ;     Parent Loop BB41_17 Depth=2
                                        ; =>    This Inner Loop Header: Depth=3
	global_load_b32 v1, v[34:35], off
	s_cmp_eq_u32 s62, 3
	s_wait_xcnt 0x0
	v_add_nc_u64_e32 v[34:35], s[46:47], v[34:35]
	s_cselect_b32 vcc_lo, -1, 0
	s_cmp_eq_u32 s62, 2
	s_cselect_b32 s6, -1, 0
	s_cmp_eq_u32 s62, 1
	s_cselect_b32 s7, -1, 0
	s_cmp_eq_u32 s62, 0
	s_add_nc_u64 s[62:63], s[62:63], 1
	s_cselect_b32 s8, -1, 0
	s_cmp_eq_u32 s66, s62
	s_wait_loadcnt 0x0
	v_dual_cndmask_b32 v5, v5, v1, vcc_lo :: v_dual_cndmask_b32 v4, v4, v1, s6
	v_dual_cndmask_b32 v3, v3, v1, s7 :: v_dual_cndmask_b32 v2, v2, v1, s8
	s_cbranch_scc0 .LBB41_48
.LBB41_49:                              ;   in Loop: Header=BB41_17 Depth=2
	s_and_not1_b32 vcc_lo, exec_lo, s68
	s_cbranch_vccnz .LBB41_61
; %bb.50:                               ;   in Loop: Header=BB41_17 Depth=2
	v_mov_b32_e32 v36, 0
	v_mov_b64_e32 v[38:39], v[6:7]
	s_mov_b64 s[6:7], 0
	s_delay_alu instid0(VALU_DEP_2)
	v_dual_mov_b32 v37, v36 :: v_dual_mov_b32 v34, v36
	v_mov_b32_e32 v35, v36
.LBB41_51:                              ;   Parent Loop BB41_3 Depth=1
                                        ;     Parent Loop BB41_17 Depth=2
                                        ; =>    This Inner Loop Header: Depth=3
	s_delay_alu instid0(VALU_DEP_3)
	v_add_nc_u64_e32 v[48:49], s[54:55], v[38:39]
	v_add_nc_u64_e32 v[50:51], s[56:57], v[38:39]
	s_wait_xcnt 0x0
	v_add_nc_u64_e32 v[52:53], s[52:53], v[38:39]
	s_cmp_eq_u32 s6, 1
	s_clause 0x3
	global_load_b32 v54, v[38:39], off
	global_load_b32 v48, v[48:49], off
	;; [unrolled: 1-line block ×4, first 2 shown]
	s_cselect_b32 vcc_lo, -1, 0
	s_cmp_eq_u32 s6, 2
	v_cndmask_b32_e32 v1, v2, v3, vcc_lo
	s_cselect_b32 vcc_lo, -1, 0
	s_cmp_eq_u32 s6, 3
	v_add_nc_u64_e32 v[38:39], 4, v[38:39]
	s_add_nc_u64 s[6:7], s[6:7], 1
	v_cndmask_b32_e32 v1, v1, v4, vcc_lo
	s_cselect_b32 vcc_lo, -1, 0
	s_cmp_lg_u32 s66, s6
	s_wait_xcnt 0x1
	s_delay_alu instid0(VALU_DEP_1) | instskip(SKIP_1) | instid1(VALU_DEP_1)
	v_cndmask_b32_e32 v50, v1, v5, vcc_lo
	s_wait_loadcnt 0x1
	v_pk_fma_f32 v[34:35], v[50:51], v[48:49], v[34:35] op_sel_hi:[0,1,1]
	s_wait_loadcnt 0x0
	v_pk_fma_f32 v[36:37], v[50:51], v[54:55], v[36:37] op_sel_hi:[0,1,1]
	s_cbranch_scc1 .LBB41_51
	s_branch .LBB41_62
.LBB41_52:                              ;   in Loop: Header=BB41_17 Depth=2
	ds_load_b32 v1, v40
	s_or_b32 exec_lo, exec_lo, s6
	s_and_saveexec_b32 s6, s1
	s_cbranch_execz .LBB41_25
.LBB41_53:                              ;   in Loop: Header=BB41_17 Depth=2
	s_wait_dscnt 0x0
	ds_bpermute_b32 v36, v45, v1
	s_wait_dscnt 0x0
	v_add_f32_e32 v1, v1, v36
	ds_bpermute_b32 v36, v46, v1
	s_wait_dscnt 0x0
	v_add_f32_e32 v1, v1, v36
	;; [unrolled: 3-line block ×3, first 2 shown]
	s_or_b32 exec_lo, exec_lo, s6
	s_and_saveexec_b32 s6, s1
	s_cbranch_execnz .LBB41_26
	s_branch .LBB41_27
.LBB41_54:                              ;   in Loop: Header=BB41_17 Depth=2
	ds_load_b32 v36, v40
	s_or_b32 exec_lo, exec_lo, s6
	s_and_saveexec_b32 s6, s1
	s_cbranch_execz .LBB41_31
.LBB41_55:                              ;   in Loop: Header=BB41_17 Depth=2
	s_wait_dscnt 0x0
	ds_bpermute_b32 v37, v45, v36
	s_wait_dscnt 0x0
	v_add_f32_e32 v36, v36, v37
	ds_bpermute_b32 v37, v46, v36
	s_wait_dscnt 0x0
	v_add_f32_e32 v36, v36, v37
	;; [unrolled: 3-line block ×3, first 2 shown]
	s_or_b32 exec_lo, exec_lo, s6
	s_and_saveexec_b32 s6, s1
	s_cbranch_execnz .LBB41_32
	s_branch .LBB41_33
.LBB41_56:                              ;   in Loop: Header=BB41_17 Depth=2
	ds_load_b32 v34, v40
	s_or_b32 exec_lo, exec_lo, s6
	s_and_saveexec_b32 s6, s1
	s_cbranch_execz .LBB41_37
.LBB41_57:                              ;   in Loop: Header=BB41_17 Depth=2
	s_wait_dscnt 0x0
	ds_bpermute_b32 v37, v45, v34
	s_wait_dscnt 0x0
	v_add_f32_e32 v34, v34, v37
	ds_bpermute_b32 v37, v46, v34
	s_wait_dscnt 0x0
	v_add_f32_e32 v34, v34, v37
	;; [unrolled: 3-line block ×3, first 2 shown]
	s_or_b32 exec_lo, exec_lo, s6
	s_and_saveexec_b32 s6, s1
	s_cbranch_execnz .LBB41_38
	s_branch .LBB41_39
.LBB41_58:                              ;   in Loop: Header=BB41_17 Depth=2
	ds_load_b32 v35, v40
	s_or_b32 exec_lo, exec_lo, s6
	s_and_saveexec_b32 s6, s1
	s_cbranch_execz .LBB41_43
.LBB41_59:                              ;   in Loop: Header=BB41_17 Depth=2
	s_wait_dscnt 0x0
	ds_bpermute_b32 v37, v45, v35
	s_wait_dscnt 0x0
	v_add_f32_e32 v35, v35, v37
	ds_bpermute_b32 v37, v46, v35
	s_wait_dscnt 0x0
	v_add_f32_e32 v35, v35, v37
	;; [unrolled: 3-line block ×3, first 2 shown]
	s_or_b32 exec_lo, exec_lo, s6
	s_and_saveexec_b32 s6, s0
	s_cbranch_execz .LBB41_16
.LBB41_60:                              ;   in Loop: Header=BB41_17 Depth=2
	s_or_b32 s62, s10, 1
	s_mov_b32 s63, s11
	s_mul_u64 s[8:9], s[10:11], s[28:29]
	v_dual_mul_f32 v1, s22, v1 :: v_dual_mul_f32 v36, s22, v36
	s_mul_u64 s[62:63], s[62:63], s[28:29]
	s_lshl_b64 s[8:9], s[8:9], 2
	s_lshl_b64 s[62:63], s[62:63], 2
	s_add_nc_u64 s[8:9], s[58:59], s[8:9]
	s_add_nc_u64 s[62:63], s[58:59], s[62:63]
	s_clause 0x1
	global_store_b32 v0, v1, s[8:9]
	global_store_b32 v0, v36, s[62:63]
	s_wait_xcnt 0x1
	s_or_b32 s8, s10, 2
	s_mov_b32 s9, s11
	s_wait_xcnt 0x0
	s_or_b32 s62, s10, 3
	s_mov_b32 s63, s11
	s_mul_u64 s[8:9], s[8:9], s[28:29]
	s_wait_dscnt 0x0
	v_dual_mul_f32 v1, s22, v34 :: v_dual_mul_f32 v34, s22, v35
	s_mul_u64 s[62:63], s[62:63], s[28:29]
	s_lshl_b64 s[8:9], s[8:9], 2
	s_lshl_b64 s[62:63], s[62:63], 2
	s_add_nc_u64 s[8:9], s[58:59], s[8:9]
	s_add_nc_u64 s[62:63], s[58:59], s[62:63]
	s_clause 0x1
	global_store_b32 v0, v1, s[8:9]
	global_store_b32 v0, v34, s[62:63]
	s_branch .LBB41_16
.LBB41_61:                              ;   in Loop: Header=BB41_17 Depth=2
	v_mov_b32_e32 v35, 0
	s_delay_alu instid0(VALU_DEP_1)
	v_dual_mov_b32 v34, v35 :: v_dual_mov_b32 v37, v35
	v_mov_b32_e32 v36, v35
.LBB41_62:                              ;   in Loop: Header=BB41_17 Depth=2
	s_wait_xcnt 0x0
	s_or_b32 exec_lo, exec_lo, s25
	s_delay_alu instid0(SALU_CYCLE_1)
	s_or_b32 exec_lo, exec_lo, s9
	s_and_saveexec_b32 s6, s1
	s_cbranch_execnz .LBB41_20
	s_branch .LBB41_21
.LBB41_63:                              ;   in Loop: Header=BB41_3 Depth=1
	v_dual_mov_b32 v1, v0 :: v_dual_mov_b32 v2, v0
	v_mov_b32_e32 v3, v0
	s_mov_b32 s10, 0
	s_delay_alu instid0(VALU_DEP_1) | instskip(NEXT) | instid1(VALU_DEP_3)
	v_mov_b64_e32 v[4:5], v[2:3]
	v_mov_b64_e32 v[2:3], v[0:1]
.LBB41_64:                              ;   in Loop: Header=BB41_3 Depth=1
	s_cmp_ge_i32 s10, s21
	s_cbranch_scc1 .LBB41_2
; %bb.65:                               ;   in Loop: Header=BB41_3 Depth=1
	v_cmp_gt_u32_e32 vcc_lo, 24, v42
	s_mul_u64 s[6:7], s[52:53], s[10:11]
	s_delay_alu instid0(SALU_CYCLE_1) | instskip(SKIP_4) | instid1(VALU_DEP_2)
	s_add_nc_u64 s[6:7], s[6:7], s[60:61]
	s_wait_dscnt 0x0
	v_add_nc_u64_e32 v[34:35], s[6:7], v[16:17]
	v_cndmask_b32_e64 v1, 0, 8, vcc_lo
	v_cmp_gt_u32_e32 vcc_lo, 28, v42
	v_add_lshl_u32 v1, v1, v42, 2
	v_cndmask_b32_e64 v6, 0, 4, vcc_lo
	v_cmp_gt_u32_e32 vcc_lo, 30, v42
	s_delay_alu instid0(VALU_DEP_2) | instskip(SKIP_2) | instid1(VALU_DEP_2)
	v_add_lshl_u32 v7, v6, v42, 2
	v_cndmask_b32_e64 v36, 0, 2, vcc_lo
	v_cmp_ne_u32_e32 vcc_lo, 31, v42
	v_add_lshl_u32 v38, v36, v42, 2
	v_add_co_ci_u32_e64 v37, null, 0, v42, vcc_lo
	s_delay_alu instid0(VALU_DEP_1)
	v_lshlrev_b32_e32 v39, 2, v37
	s_branch .LBB41_67
.LBB41_66:                              ;   in Loop: Header=BB41_67 Depth=2
	s_wait_xcnt 0x0
	s_or_b32 exec_lo, exec_lo, s6
	v_add_nc_u64_e32 v[34:35], s[52:53], v[34:35]
	s_add_co_i32 s10, s10, 1
	s_delay_alu instid0(SALU_CYCLE_1)
	s_cmp_ge_i32 s10, s21
	s_cbranch_scc1 .LBB41_2
.LBB41_67:                              ;   Parent Loop BB41_3 Depth=1
                                        ; =>  This Loop Header: Depth=2
                                        ;       Child Loop BB41_80 Depth 3
                                        ;       Child Loop BB41_83 Depth 3
	s_wait_dscnt 0x0
	v_mov_b32_e32 v6, s11
	s_and_saveexec_b32 s6, s4
	s_delay_alu instid0(SALU_CYCLE_1)
	s_xor_b32 s6, exec_lo, s6
	s_cbranch_execnz .LBB41_76
; %bb.68:                               ;   in Loop: Header=BB41_67 Depth=2
	s_and_not1_saveexec_b32 s9, s6
	s_cbranch_execnz .LBB41_77
.LBB41_69:                              ;   in Loop: Header=BB41_67 Depth=2
	s_or_b32 exec_lo, exec_lo, s9
	s_and_saveexec_b32 s6, s1
.LBB41_70:                              ;   in Loop: Header=BB41_67 Depth=2
	ds_store_b32 v40, v0
.LBB41_71:                              ;   in Loop: Header=BB41_67 Depth=2
	s_or_b32 exec_lo, exec_lo, s6
	ds_bpermute_b32 v36, v43, v6
	s_wait_storecnt_dscnt 0x0
	s_barrier_signal -1
	s_barrier_wait -1
	v_add_f32_e32 v6, v6, v36
	ds_bpermute_b32 v36, v1, v6
	s_wait_dscnt 0x0
	v_add_f32_e32 v6, v6, v36
	ds_bpermute_b32 v36, v7, v6
	s_wait_dscnt 0x0
	v_add_f32_e32 v6, v6, v36
	ds_bpermute_b32 v36, v38, v6
	s_wait_dscnt 0x0
	v_add_f32_e32 v6, v6, v36
	ds_bpermute_b32 v36, v39, v6
	s_and_saveexec_b32 s6, s3
	s_cbranch_execz .LBB41_73
; %bb.72:                               ;   in Loop: Header=BB41_67 Depth=2
	s_wait_dscnt 0x0
	v_add_f32_e32 v6, v6, v36
	ds_store_b32 v41, v6
.LBB41_73:                              ;   in Loop: Header=BB41_67 Depth=2
	s_or_b32 exec_lo, exec_lo, s6
	v_mov_b32_e32 v6, 0
	s_wait_dscnt 0x0
	s_barrier_signal -1
	s_barrier_wait -1
	s_and_saveexec_b32 s6, s2
	s_cbranch_execnz .LBB41_85
; %bb.74:                               ;   in Loop: Header=BB41_67 Depth=2
	s_or_b32 exec_lo, exec_lo, s6
	s_and_saveexec_b32 s6, s1
	s_cbranch_execnz .LBB41_86
.LBB41_75:                              ;   in Loop: Header=BB41_67 Depth=2
	s_or_b32 exec_lo, exec_lo, s6
	s_and_saveexec_b32 s6, s0
	s_cbranch_execz .LBB41_66
	s_branch .LBB41_87
.LBB41_76:                              ;   in Loop: Header=BB41_67 Depth=2
	s_mul_u64 s[8:9], s[10:11], s[26:27]
	s_delay_alu instid0(SALU_CYCLE_1)
	v_lshl_add_u64 v[2:3], s[8:9], 2, v[24:25]
	global_load_b128 v[44:47], v[2:3], off
	s_clause 0x3
	global_load_b32 v2, v[26:27], off
	global_load_b32 v3, v[28:29], off
	;; [unrolled: 1-line block ×4, first 2 shown]
	s_wait_loadcnt 0x2
	v_pk_mul_f32 v[36:37], v[2:3], v[44:45]
	s_delay_alu instid0(VALU_DEP_1) | instskip(NEXT) | instid1(VALU_DEP_1)
	v_add_f32_e32 v6, 0, v36
	v_add_f32_e32 v6, v6, v37
	s_wait_loadcnt 0x0
	v_pk_mul_f32 v[36:37], v[4:5], v[46:47]
	s_delay_alu instid0(VALU_DEP_1) | instskip(NEXT) | instid1(VALU_DEP_1)
	v_add_f32_e32 v6, v6, v36
	v_add_f32_e32 v6, v6, v37
	s_wait_xcnt 0x0
	s_and_not1_saveexec_b32 s9, s6
	s_cbranch_execz .LBB41_69
.LBB41_77:                              ;   in Loop: Header=BB41_67 Depth=2
	s_and_saveexec_b32 s25, s5
	s_cbranch_execz .LBB41_84
; %bb.78:                               ;   in Loop: Header=BB41_67 Depth=2
	s_and_not1_b32 vcc_lo, exec_lo, s68
	s_cbranch_vccnz .LBB41_81
; %bb.79:                               ;   in Loop: Header=BB41_67 Depth=2
	v_mov_b64_e32 v[36:37], v[22:23]
	s_mov_b64 s[60:61], 0
.LBB41_80:                              ;   Parent Loop BB41_3 Depth=1
                                        ;     Parent Loop BB41_67 Depth=2
                                        ; =>    This Inner Loop Header: Depth=3
	global_load_b32 v44, v[36:37], off
	s_cmp_eq_u32 s60, 3
	s_wait_xcnt 0x0
	v_add_nc_u64_e32 v[36:37], s[46:47], v[36:37]
	s_cselect_b32 vcc_lo, -1, 0
	s_cmp_eq_u32 s60, 2
	s_cselect_b32 s6, -1, 0
	s_cmp_eq_u32 s60, 1
	s_cselect_b32 s7, -1, 0
	s_cmp_eq_u32 s60, 0
	s_add_nc_u64 s[60:61], s[60:61], 1
	s_cselect_b32 s8, -1, 0
	s_cmp_eq_u32 s66, s60
	s_wait_loadcnt 0x0
	v_dual_cndmask_b32 v5, v5, v44, vcc_lo :: v_dual_cndmask_b32 v4, v4, v44, s6
	v_dual_cndmask_b32 v3, v3, v44, s7 :: v_dual_cndmask_b32 v2, v2, v44, s8
	s_cbranch_scc0 .LBB41_80
.LBB41_81:                              ;   in Loop: Header=BB41_67 Depth=2
	s_and_not1_b32 vcc_lo, exec_lo, s68
	s_cbranch_vccnz .LBB41_84
; %bb.82:                               ;   in Loop: Header=BB41_67 Depth=2
	v_mov_b64_e32 v[36:37], v[34:35]
	s_mov_b64 s[6:7], 0
.LBB41_83:                              ;   Parent Loop BB41_3 Depth=1
                                        ;     Parent Loop BB41_67 Depth=2
                                        ; =>    This Inner Loop Header: Depth=3
	global_load_b32 v44, v[36:37], off
	s_cmp_eq_u32 s6, 1
	s_wait_xcnt 0x0
	v_add_nc_u64_e32 v[36:37], 4, v[36:37]
	s_cselect_b32 vcc_lo, -1, 0
	s_cmp_eq_u32 s6, 2
	v_cndmask_b32_e32 v45, v2, v3, vcc_lo
	s_cselect_b32 vcc_lo, -1, 0
	s_cmp_eq_u32 s6, 3
	s_add_nc_u64 s[6:7], s[6:7], 1
	s_delay_alu instid0(VALU_DEP_1) | instskip(SKIP_2) | instid1(VALU_DEP_1)
	v_cndmask_b32_e32 v45, v45, v4, vcc_lo
	s_cselect_b32 vcc_lo, -1, 0
	s_cmp_lg_u32 s66, s6
	v_cndmask_b32_e32 v45, v45, v5, vcc_lo
	s_wait_loadcnt 0x0
	s_delay_alu instid0(VALU_DEP_1)
	v_fmac_f32_e32 v6, v45, v44
	s_cbranch_scc1 .LBB41_83
.LBB41_84:                              ;   in Loop: Header=BB41_67 Depth=2
	s_or_b32 exec_lo, exec_lo, s25
	s_delay_alu instid0(SALU_CYCLE_1)
	s_or_b32 exec_lo, exec_lo, s9
	s_and_saveexec_b32 s6, s1
	s_cbranch_execnz .LBB41_70
	s_branch .LBB41_71
.LBB41_85:                              ;   in Loop: Header=BB41_67 Depth=2
	ds_load_b32 v6, v40
	s_or_b32 exec_lo, exec_lo, s6
	s_and_saveexec_b32 s6, s1
	s_cbranch_execz .LBB41_75
.LBB41_86:                              ;   in Loop: Header=BB41_67 Depth=2
	s_wait_dscnt 0x0
	ds_bpermute_b32 v36, v7, v6
	s_wait_dscnt 0x0
	v_add_f32_e32 v6, v6, v36
	ds_bpermute_b32 v36, v38, v6
	s_wait_dscnt 0x0
	v_add_f32_e32 v6, v6, v36
	;; [unrolled: 3-line block ×3, first 2 shown]
	s_or_b32 exec_lo, exec_lo, s6
	s_and_saveexec_b32 s6, s0
	s_cbranch_execz .LBB41_66
.LBB41_87:                              ;   in Loop: Header=BB41_67 Depth=2
	s_mul_u64 s[8:9], s[10:11], s[28:29]
	s_wait_dscnt 0x0
	v_mul_f32_e32 v6, s22, v6
	s_lshl_b64 s[8:9], s[8:9], 2
	s_delay_alu instid0(SALU_CYCLE_1)
	s_add_nc_u64 s[8:9], s[58:59], s[8:9]
	global_store_b32 v0, v6, s[8:9]
	s_branch .LBB41_66
.LBB41_88:
	s_sendmsg sendmsg(MSG_DEALLOC_VGPRS)
	s_endpgm
	.section	.rodata,"a",@progbits
	.p2align	6, 0x0
	.amdhsa_kernel _ZL23rocblas_gemvt_sn_kernelILb1ELi256ELi4ElfffEviiT4_lPKT3_lilS3_lilPT5_i
		.amdhsa_group_segment_fixed_size 128
		.amdhsa_private_segment_fixed_size 0
		.amdhsa_kernarg_size 360
		.amdhsa_user_sgpr_count 2
		.amdhsa_user_sgpr_dispatch_ptr 0
		.amdhsa_user_sgpr_queue_ptr 0
		.amdhsa_user_sgpr_kernarg_segment_ptr 1
		.amdhsa_user_sgpr_dispatch_id 0
		.amdhsa_user_sgpr_kernarg_preload_length 0
		.amdhsa_user_sgpr_kernarg_preload_offset 0
		.amdhsa_user_sgpr_private_segment_size 0
		.amdhsa_wavefront_size32 1
		.amdhsa_uses_dynamic_stack 0
		.amdhsa_enable_private_segment 0
		.amdhsa_system_sgpr_workgroup_id_x 1
		.amdhsa_system_sgpr_workgroup_id_y 0
		.amdhsa_system_sgpr_workgroup_id_z 1
		.amdhsa_system_sgpr_workgroup_info 0
		.amdhsa_system_vgpr_workitem_id 0
		.amdhsa_next_free_vgpr 66
		.amdhsa_next_free_sgpr 74
		.amdhsa_named_barrier_count 0
		.amdhsa_reserve_vcc 1
		.amdhsa_float_round_mode_32 0
		.amdhsa_float_round_mode_16_64 0
		.amdhsa_float_denorm_mode_32 3
		.amdhsa_float_denorm_mode_16_64 3
		.amdhsa_fp16_overflow 0
		.amdhsa_memory_ordered 1
		.amdhsa_forward_progress 1
		.amdhsa_inst_pref_size 31
		.amdhsa_round_robin_scheduling 0
		.amdhsa_exception_fp_ieee_invalid_op 0
		.amdhsa_exception_fp_denorm_src 0
		.amdhsa_exception_fp_ieee_div_zero 0
		.amdhsa_exception_fp_ieee_overflow 0
		.amdhsa_exception_fp_ieee_underflow 0
		.amdhsa_exception_fp_ieee_inexact 0
		.amdhsa_exception_int_div_zero 0
	.end_amdhsa_kernel
	.section	.text._ZL23rocblas_gemvt_sn_kernelILb1ELi256ELi4ElfffEviiT4_lPKT3_lilS3_lilPT5_i,"axG",@progbits,_ZL23rocblas_gemvt_sn_kernelILb1ELi256ELi4ElfffEviiT4_lPKT3_lilS3_lilPT5_i,comdat
.Lfunc_end41:
	.size	_ZL23rocblas_gemvt_sn_kernelILb1ELi256ELi4ElfffEviiT4_lPKT3_lilS3_lilPT5_i, .Lfunc_end41-_ZL23rocblas_gemvt_sn_kernelILb1ELi256ELi4ElfffEviiT4_lPKT3_lilS3_lilPT5_i
                                        ; -- End function
	.set _ZL23rocblas_gemvt_sn_kernelILb1ELi256ELi4ElfffEviiT4_lPKT3_lilS3_lilPT5_i.num_vgpr, 66
	.set _ZL23rocblas_gemvt_sn_kernelILb1ELi256ELi4ElfffEviiT4_lPKT3_lilS3_lilPT5_i.num_agpr, 0
	.set _ZL23rocblas_gemvt_sn_kernelILb1ELi256ELi4ElfffEviiT4_lPKT3_lilS3_lilPT5_i.numbered_sgpr, 74
	.set _ZL23rocblas_gemvt_sn_kernelILb1ELi256ELi4ElfffEviiT4_lPKT3_lilS3_lilPT5_i.num_named_barrier, 0
	.set _ZL23rocblas_gemvt_sn_kernelILb1ELi256ELi4ElfffEviiT4_lPKT3_lilS3_lilPT5_i.private_seg_size, 0
	.set _ZL23rocblas_gemvt_sn_kernelILb1ELi256ELi4ElfffEviiT4_lPKT3_lilS3_lilPT5_i.uses_vcc, 1
	.set _ZL23rocblas_gemvt_sn_kernelILb1ELi256ELi4ElfffEviiT4_lPKT3_lilS3_lilPT5_i.uses_flat_scratch, 0
	.set _ZL23rocblas_gemvt_sn_kernelILb1ELi256ELi4ElfffEviiT4_lPKT3_lilS3_lilPT5_i.has_dyn_sized_stack, 0
	.set _ZL23rocblas_gemvt_sn_kernelILb1ELi256ELi4ElfffEviiT4_lPKT3_lilS3_lilPT5_i.has_recursion, 0
	.set _ZL23rocblas_gemvt_sn_kernelILb1ELi256ELi4ElfffEviiT4_lPKT3_lilS3_lilPT5_i.has_indirect_call, 0
	.section	.AMDGPU.csdata,"",@progbits
; Kernel info:
; codeLenInByte = 3912
; TotalNumSgprs: 76
; NumVgprs: 66
; ScratchSize: 0
; MemoryBound: 0
; FloatMode: 240
; IeeeMode: 1
; LDSByteSize: 128 bytes/workgroup (compile time only)
; SGPRBlocks: 0
; VGPRBlocks: 4
; NumSGPRsForWavesPerEU: 76
; NumVGPRsForWavesPerEU: 66
; NamedBarCnt: 0
; Occupancy: 12
; WaveLimiterHint : 0
; COMPUTE_PGM_RSRC2:SCRATCH_EN: 0
; COMPUTE_PGM_RSRC2:USER_SGPR: 2
; COMPUTE_PGM_RSRC2:TRAP_HANDLER: 0
; COMPUTE_PGM_RSRC2:TGID_X_EN: 1
; COMPUTE_PGM_RSRC2:TGID_Y_EN: 0
; COMPUTE_PGM_RSRC2:TGID_Z_EN: 1
; COMPUTE_PGM_RSRC2:TIDIG_COMP_CNT: 0
	.section	.text._ZL36rocblas_gemvt_double_buffered_kernelILb1ELi128ELi8ELi8EfPKffEviiT4_lPKT3_lilS5_lilPT5_lili,"axG",@progbits,_ZL36rocblas_gemvt_double_buffered_kernelILb1ELi128ELi8ELi8EfPKffEviiT4_lPKT3_lilS5_lilPT5_lili,comdat
	.globl	_ZL36rocblas_gemvt_double_buffered_kernelILb1ELi128ELi8ELi8EfPKffEviiT4_lPKT3_lilS5_lilPT5_lili ; -- Begin function _ZL36rocblas_gemvt_double_buffered_kernelILb1ELi128ELi8ELi8EfPKffEviiT4_lPKT3_lilS5_lilPT5_lili
	.p2align	8
	.type	_ZL36rocblas_gemvt_double_buffered_kernelILb1ELi128ELi8ELi8EfPKffEviiT4_lPKT3_lilS5_lilPT5_lili,@function
_ZL36rocblas_gemvt_double_buffered_kernelILb1ELi128ELi8ELi8EfPKffEviiT4_lPKT3_lilS5_lilPT5_lili: ; @_ZL36rocblas_gemvt_double_buffered_kernelILb1ELi128ELi8ELi8EfPKffEviiT4_lPKT3_lilS5_lilPT5_lili
; %bb.0:
	s_load_b32 s33, s[0:1], 0x78
	s_bfe_u32 s2, ttmp6, 0x40014
	s_lshr_b32 s3, ttmp7, 16
	s_add_co_i32 s2, s2, 1
	s_bfe_u32 s4, ttmp6, 0x40008
	s_mul_i32 s2, s3, s2
	s_getreg_b32 s28, hwreg(HW_REG_IB_STS2, 6, 4)
	s_add_co_i32 s4, s4, s2
	s_cmp_eq_u32 s28, 0
	s_cselect_b32 s2, s3, s4
	s_mov_b32 s3, 0
	s_wait_kmcnt 0x0
	s_cmp_ge_u32 s2, s33
	s_cbranch_scc1 .LBB42_15
; %bb.1:
	s_clause 0x7
	s_load_b32 s24, s[0:1], 0x28
	s_load_b96 s[20:22], s[0:1], 0x40
	s_load_b96 s[36:38], s[0:1], 0x60
	s_load_b32 s29, s[0:1], 0x0
	s_load_b256 s[4:11], s[0:1], 0x8
	s_load_b128 s[16:19], s[0:1], 0x50
	s_load_b128 s[12:15], s[0:1], 0x30
	s_load_b64 s[26:27], s[0:1], 0x70
	v_and_b32_e32 v8, 0x3ff, v0
	v_bfe_u32 v1, v0, 10, 10
	s_bfe_u32 s23, ttmp6, 0x4000c
	s_bfe_u32 s25, ttmp6, 0x40010
	s_and_b32 s40, ttmp7, 0xffff
	s_add_co_i32 s41, s23, 1
	v_lshl_add_u32 v6, v1, 7, v8
	s_add_co_i32 s42, s25, 1
	s_and_b32 s39, ttmp6, 15
	v_dual_mov_b32 v3, 0 :: v_dual_bitop2_b32 v2, 63, v0 bitop3:0x40
	s_delay_alu instid0(VALU_DEP_2)
	v_lshrrev_b32_e32 v7, 3, v6
	s_wait_kmcnt 0x0
	s_ashr_i32 s25, s24, 31
	s_ashr_i32 s23, s22, 31
	s_lshl_b64 s[30:31], s[36:37], 2
	s_ashr_i32 s36, s29, 31
	v_and_b32_e32 v9, 0x7ff8, v7
	s_lshl_b64 s[10:11], s[10:11], 2
	s_lshr_b32 s36, s36, 25
	s_ashr_i32 s35, s38, 31
	s_add_co_i32 s29, s29, s36
	s_add_nc_u64 s[36:37], s[8:9], s[10:11]
	s_mul_i32 s9, ttmp9, s41
	s_mul_i32 s10, s40, s42
	s_bfe_u32 s11, ttmp6, 0x40004
	s_ashr_i32 s8, s29, 7
	s_add_co_i32 s39, s39, s9
	s_add_co_i32 s9, s11, s10
	v_lshlrev_b32_e32 v24, 8, v9
	v_lshl_or_b32 v25, v7, 8, 0x700
	v_add_nc_u32_e32 v7, 1, v8
	s_cmp_eq_u32 s28, 0
	s_add_nc_u64 s[10:11], s[0:1], 0x80
	s_cselect_b32 s0, ttmp9, s39
	s_mov_b32 s34, s38
	s_cselect_b32 s1, s40, s9
	s_lshl_b32 s38, s0, 7
	v_mad_nc_i64_i32 v[4:5], s24, v9, v[2:3]
	v_dual_add_nc_u32 v9, 2, v8 :: v_dual_add_nc_u32 v10, 3, v8
	v_cmp_eq_u32_e64 s0, 0, v1
	v_dual_lshlrev_b32 v1, 8, v8 :: v_dual_bitop2_b32 v7, 63, v7 bitop3:0x40
	s_delay_alu instid0(VALU_DEP_3) | instskip(NEXT) | instid1(VALU_DEP_4)
	v_dual_add_nc_u32 v11, 4, v8 :: v_dual_bitop2_b32 v9, 63, v9 bitop3:0x40
	v_dual_add_nc_u32 v12, 5, v8 :: v_dual_bitop2_b32 v10, 63, v10 bitop3:0x40
	s_delay_alu instid0(VALU_DEP_3)
	v_lshl_or_b32 v7, v7, 2, v1
	v_lshrrev_b32_e32 v6, 1, v6
	v_lshlrev_b32_e32 v2, 2, v2
	s_ashr_i32 s39, s38, 31
	v_bitop3_b32 v0, v0, 32, 63 bitop3:0x6c
	scratch_store_b32 off, v7, off          ; 4-byte Folded Spill
	s_wait_xcnt 0x0
	v_lshl_or_b32 v7, v9, 2, v1
	v_lshl_or_b32 v9, v10, 2, v1
	v_add_nc_u32_e32 v10, 6, v8
	v_and_b32_e32 v6, 0x1ffe0, v6
	v_lshl_or_b32 v100, v0, 2, v1
	scratch_store_b32 off, v7, off offset:4 ; 4-byte Folded Spill
	s_wait_xcnt 0x0
	v_dual_add_nc_u32 v11, 7, v8 :: v_dual_bitop2_b32 v7, 63, v11 bitop3:0x40
	v_dual_add_nc_u32 v0, 36, v8 :: v_dual_add_nc_u32 v35, 59, v8
	v_add_nc_u32_e32 v36, 60, v8
	s_delay_alu instid0(VALU_DEP_3)
	v_lshl_or_b32 v7, v7, 2, v1
	scratch_store_b32 off, v9, off offset:8 ; 4-byte Folded Spill
	s_wait_xcnt 0x0
	v_and_b32_e32 v9, 63, v12
	v_dual_add_nc_u32 v12, 10, v8 :: v_dual_add_nc_u32 v37, 61, v8
	v_add_nc_u32_e32 v38, 62, v8
	s_mul_u64 s[28:29], s[34:35], s[38:39]
	s_delay_alu instid0(VALU_DEP_3)
	v_lshl_or_b32 v9, v9, 2, v1
	scratch_store_b32 off, v7, off offset:12 ; 4-byte Folded Spill
	s_wait_xcnt 0x0
	v_add_nc_u32_e32 v7, 8, v8
	s_add_nc_u64 s[30:31], s[18:19], s[30:31]
	s_lshl_b64 s[28:29], s[28:29], 2
	v_or_b32_e32 v73, v1, v2
	s_add_nc_u64 s[30:31], s[30:31], s[28:29]
	v_and_b32_e32 v7, 63, v7
	s_mul_u64 s[18:19], s[24:25], s[38:39]
	s_lshl_b64 s[28:29], s[22:23], 9
	s_lshl_b64 s[18:19], s[18:19], 2
	s_mov_b32 s9, s3
	v_lshl_or_b32 v7, v7, 2, v1
	scratch_store_b32 off, v9, off offset:16 ; 4-byte Folded Spill
	s_wait_xcnt 0x0
	v_and_b32_e32 v9, 63, v10
	v_dual_add_nc_u32 v11, 9, v8 :: v_dual_bitop2_b32 v10, 63, v11 bitop3:0x40
	scratch_store_b32 off, v7, off offset:28 ; 4-byte Folded Spill
	s_wait_xcnt 0x0
	v_and_b32_e32 v7, 63, v12
	v_lshl_or_b32 v9, v9, 2, v1
	v_add_nc_u32_e32 v12, 15, v8
	s_add_nc_u64 s[18:19], s[36:37], s[18:19]
	s_lshl_b64 s[16:17], s[16:17], 2
	v_lshl_or_b32 v7, v7, 2, v1
	scratch_store_b32 off, v9, off offset:20 ; 4-byte Folded Spill
	s_wait_xcnt 0x0
	v_lshl_or_b32 v9, v10, 2, v1
	v_dual_add_nc_u32 v10, 11, v8 :: v_dual_add_nc_u32 v33, 29, v8
	scratch_store_b32 off, v7, off offset:36 ; 4-byte Folded Spill
	v_dual_add_nc_u32 v31, 28, v8 :: v_dual_add_nc_u32 v16, 27, v8
	s_wait_xcnt 0x0
	v_dual_add_nc_u32 v34, 58, v8 :: v_dual_bitop2_b32 v7, 63, v10 bitop3:0x40
	s_delay_alu instid0(VALU_DEP_2) | instskip(SKIP_1) | instid1(VALU_DEP_3)
	v_dual_add_nc_u32 v75, v2, v25 :: v_dual_bitop2_b32 v31, 63, v31 bitop3:0x40
	v_add_nc_u32_e32 v74, v2, v24
	v_lshl_or_b32 v7, v7, 2, v1
	scratch_store_b32 off, v9, off offset:24 ; 4-byte Folded Spill
	s_wait_xcnt 0x0
	v_dual_add_nc_u32 v11, 12, v8 :: v_dual_bitop2_b32 v9, 63, v11 bitop3:0x40
	scratch_store_b32 off, v7, off offset:40 ; 4-byte Folded Spill
	v_lshl_or_b32 v9, v9, 2, v1
	v_dual_add_nc_u32 v11, 14, v8 :: v_dual_bitop2_b32 v10, 63, v11 bitop3:0x40
	s_wait_xcnt 0x0
	s_delay_alu instid0(VALU_DEP_1) | instskip(SKIP_3) | instid1(VALU_DEP_1)
	v_lshl_or_b32 v7, v10, 2, v1
	scratch_store_b32 off, v9, off offset:32 ; 4-byte Folded Spill
	s_wait_xcnt 0x0
	v_dual_add_nc_u32 v9, 13, v8 :: v_dual_add_nc_u32 v10, 16, v8
	v_and_b32_e32 v9, 63, v9
	s_delay_alu instid0(VALU_DEP_1) | instskip(SKIP_3) | instid1(VALU_DEP_1)
	v_lshl_or_b32 v9, v9, 2, v1
	scratch_store_b32 off, v7, off offset:44 ; 4-byte Folded Spill
	s_wait_xcnt 0x0
	v_dual_add_nc_u32 v11, 17, v8 :: v_dual_bitop2_b32 v7, 63, v11 bitop3:0x40
	v_lshl_or_b32 v7, v7, 2, v1
	scratch_store_b32 off, v9, off offset:48 ; 4-byte Folded Spill
	s_wait_xcnt 0x0
	v_and_b32_e32 v9, 63, v12
	v_add_nc_u32_e32 v12, 20, v8
	s_delay_alu instid0(VALU_DEP_2)
	v_lshl_or_b32 v9, v9, 2, v1
	scratch_store_b32 off, v7, off offset:52 ; 4-byte Folded Spill
	s_wait_xcnt 0x0
	v_add_nc_u32_e32 v7, 18, v8
	scratch_store_b32 off, v9, off offset:56 ; 4-byte Folded Spill
	s_wait_xcnt 0x0
	v_and_b32_e32 v9, 63, v10
	v_dual_add_nc_u32 v11, 19, v8 :: v_dual_bitop2_b32 v10, 63, v11 bitop3:0x40
	v_and_b32_e32 v7, 63, v7
	s_delay_alu instid0(VALU_DEP_3) | instskip(NEXT) | instid1(VALU_DEP_3)
	v_lshl_or_b32 v9, v9, 2, v1
	v_lshl_or_b32 v85, v10, 2, v1
	v_add_nc_u32_e32 v10, 21, v8
	s_delay_alu instid0(VALU_DEP_4)
	v_lshl_or_b32 v86, v7, 2, v1
	v_and_b32_e32 v7, 63, v12
	scratch_store_b32 off, v9, off offset:60 ; 4-byte Folded Spill
	s_wait_xcnt 0x0
	v_dual_add_nc_u32 v11, 22, v8 :: v_dual_bitop2_b32 v9, 63, v11 bitop3:0x40
	v_add_nc_u32_e32 v12, 24, v8
	v_lshl_or_b32 v88, v7, 2, v1
	v_mov_b32_e32 v7, v3
	s_delay_alu instid0(VALU_DEP_4) | instskip(SKIP_2) | instid1(VALU_DEP_4)
	v_lshl_or_b32 v87, v9, 2, v1
	v_and_b32_e32 v9, 63, v10
	v_dual_add_nc_u32 v11, 23, v8 :: v_dual_bitop2_b32 v10, 63, v11 bitop3:0x40
	v_lshl_add_u64 v[22:23], s[38:39], 2, v[6:7]
	v_add_nc_u32_e32 v7, 25, v8
	s_delay_alu instid0(VALU_DEP_4) | instskip(NEXT) | instid1(VALU_DEP_4)
	v_lshl_or_b32 v89, v9, 2, v1
	v_lshl_or_b32 v90, v10, 2, v1
	v_and_b32_e32 v9, 63, v11
	v_mul_lo_u32 v26, v23, s24
	v_and_b32_e32 v6, 63, v12
	v_and_b32_e32 v12, 63, v7
	v_or_b32_e32 v28, 20, v22
	v_and_b32_e32 v29, 63, v16
	v_add_nc_u32_e32 v10, 26, v8
	v_lshl_or_b32 v91, v9, 2, v1
	v_or_b32_e32 v9, 4, v22
	v_mad_nc_u64_u32 v[16:17], v28, s24, s[36:37]
	v_or_b32_e32 v27, 16, v22
	v_or_b32_e32 v20, 8, v22
	v_lshl_or_b32 v92, v6, 2, v1
	v_mad_nc_u64_u32 v[6:7], v22, s24, s[36:37]
	v_lshl_or_b32 v93, v12, 2, v1
	v_or_b32_e32 v32, 28, v22
	v_dual_add_nc_u32 v17, v26, v17 :: v_dual_bitop2_b32 v30, 24, v22 bitop3:0x54
	v_mad_nc_u64_u32 v[18:19], v27, s24, s[36:37]
	v_dual_add_nc_u32 v7, v26, v7 :: v_dual_bitop2_b32 v23, 12, v22 bitop3:0x54
	s_delay_alu instid0(VALU_DEP_3) | instskip(SKIP_1) | instid1(VALU_DEP_3)
	v_mad_u32 v17, v28, s25, v17
	v_add_nc_u32_e32 v28, 31, v8
	v_mad_nc_u64_u32 v[14:15], v23, s24, s[36:37]
	v_and_b32_e32 v13, 63, v10
	v_mad_nc_u64_u32 v[10:11], v9, s24, s[36:37]
	v_mad_u32 v7, v22, s25, v7
	v_add_nc_u64_e32 v[16:17], 0x200, v[16:17]
	v_add_nc_u32_e32 v15, v26, v15
	v_lshl_or_b32 v94, v13, 2, v1
	v_mad_nc_u64_u32 v[12:13], v20, s24, s[36:37]
	v_add_nc_u32_e32 v11, v26, v11
	s_delay_alu instid0(VALU_DEP_1) | instskip(NEXT) | instid1(VALU_DEP_3)
	v_mad_u32 v11, v9, s25, v11
	v_add_nc_u32_e32 v9, v26, v13
	s_delay_alu instid0(VALU_DEP_1) | instskip(SKIP_3) | instid1(VALU_DEP_3)
	v_mad_u32 v13, v20, s25, v9
	v_add_nc_u32_e32 v9, v26, v19
	v_mad_u32 v15, v23, s25, v15
	v_mad_nc_u64_u32 v[22:23], v32, s24, s[36:37]
	v_mad_u32 v19, v27, s25, v9
	v_add_nc_u32_e32 v9, 30, v8
	v_mad_nc_u64_u32 v[20:21], v30, s24, s[36:37]
	v_dual_add_nc_u32 v33, 57, v8 :: v_dual_bitop2_b32 v27, 63, v33 bitop3:0x40
	s_delay_alu instid0(VALU_DEP_3) | instskip(NEXT) | instid1(VALU_DEP_2)
	v_dual_add_nc_u32 v23, v26, v23 :: v_dual_bitop2_b32 v9, 63, v9 bitop3:0x40
	v_lshl_or_b32 v97, v27, 2, v1
	v_add_nc_u32_e32 v27, 33, v8
	v_lshl_or_b32 v96, v31, 2, v1
	v_dual_add_nc_u32 v31, 55, v8 :: v_dual_add_nc_u32 v21, v26, v21
	v_lshl_or_b32 v95, v29, 2, v1
	s_delay_alu instid0(VALU_DEP_4) | instskip(SKIP_3) | instid1(VALU_DEP_4)
	v_dual_add_nc_u32 v27, 34, v8 :: v_dual_bitop2_b32 v26, 63, v27 bitop3:0x40
	v_lshl_or_b32 v98, v9, 2, v1
	v_and_b32_e32 v9, 63, v28
	v_add_nc_u32_e32 v28, 35, v8
	v_lshl_or_b32 v101, v26, 2, v1
	v_dual_add_nc_u32 v26, 38, v8 :: v_dual_bitop2_b32 v27, 63, v27 bitop3:0x40
	s_delay_alu instid0(VALU_DEP_4) | instskip(SKIP_2) | instid1(VALU_DEP_4)
	v_lshl_or_b32 v99, v9, 2, v1
	v_add_nc_u32_e32 v9, 37, v8
	v_and_b32_e32 v0, 63, v0
	v_and_b32_e32 v26, 63, v26
	v_lshl_or_b32 v102, v27, 2, v1
	s_delay_alu instid0(VALU_DEP_4) | instskip(NEXT) | instid1(VALU_DEP_4)
	v_dual_add_nc_u32 v27, 42, v8 :: v_dual_bitop2_b32 v9, 63, v9 bitop3:0x40
	v_lshl_or_b32 v104, v0, 2, v1
	v_add_nc_u32_e32 v0, 39, v8
	v_and_b32_e32 v28, 63, v28
	s_delay_alu instid0(VALU_DEP_4)
	v_and_b32_e32 v27, 63, v27
	v_lshl_or_b32 v105, v9, 2, v1
	v_add_nc_u32_e32 v9, 40, v8
	v_lshl_or_b32 v106, v26, 2, v1
	v_add_nc_u32_e32 v26, 41, v8
	v_and_b32_e32 v0, 63, v0
	v_mad_u32 v21, v30, s25, v21
	v_and_b32_e32 v9, 63, v9
	v_mad_u32 v23, v32, s25, v23
	v_and_b32_e32 v26, 63, v26
	v_lshl_or_b32 v107, v0, 2, v1
	v_add_nc_u32_e32 v0, 44, v8
	v_lshl_or_b32 v108, v9, 2, v1
	v_add_nc_u32_e32 v9, 45, v8
	v_lshl_or_b32 v109, v26, 2, v1
	v_lshl_or_b32 v110, v27, 2, v1
	v_and_b32_e32 v0, 63, v0
	v_dual_add_nc_u32 v26, 46, v8 :: v_dual_add_nc_u32 v27, 47, v8
	v_dual_add_nc_u32 v29, 53, v8 :: v_dual_bitop2_b32 v9, 63, v9 bitop3:0x40
	v_add_nc_u32_e32 v30, 54, v8
	s_delay_alu instid0(VALU_DEP_4) | instskip(SKIP_1) | instid1(VALU_DEP_4)
	v_lshl_or_b32 v112, v0, 2, v1
	v_add_nc_u32_e32 v0, 49, v8
	v_lshl_or_b32 v113, v9, 2, v1
	v_mov_b32_e32 v9, v3
	v_lshl_or_b32 v103, v28, 2, v1
	v_dual_add_nc_u32 v28, 43, v8 :: v_dual_bitop2_b32 v26, 63, v26 bitop3:0x40
	v_dual_add_nc_u32 v32, 56, v8 :: v_dual_bitop2_b32 v27, 63, v27 bitop3:0x40
	v_and_b32_e32 v0, 63, v0
	s_delay_alu instid0(VALU_DEP_3) | instskip(NEXT) | instid1(VALU_DEP_4)
	v_and_b32_e32 v28, 63, v28
	v_lshl_or_b32 v114, v26, 2, v1
	v_add_nc_u32_e32 v26, 50, v8
	v_lshl_or_b32 v115, v27, 2, v1
	v_add_nc_u32_e32 v27, 51, v8
	v_lshl_or_b32 v111, v28, 2, v1
	v_dual_add_nc_u32 v28, 48, v8 :: v_dual_add_nc_u32 v39, -1, v8
	v_and_b32_e32 v26, 63, v26
	v_and_b32_e32 v29, 63, v29
	v_lshl_or_b32 v117, v0, 2, v1
	s_delay_alu instid0(VALU_DEP_4)
	v_and_b32_e32 v28, 63, v28
	v_and_b32_e32 v0, 63, v30
	v_lshl_or_b32 v118, v26, 2, v1
	v_lshl_or_b32 v121, v29, 2, v1
	v_and_b32_e32 v26, 63, v31
	v_lshl_or_b32 v116, v28, 2, v1
	v_add_nc_u32_e32 v28, 52, v8
	v_mul_u64_e32 v[8:9], s[34:35], v[8:9]
	v_and_b32_e32 v27, 63, v27
	v_and_b32_e32 v29, 63, v34
	v_lshl_or_b32 v122, v0, 2, v1
	v_and_b32_e32 v28, 63, v28
	v_lshl_or_b32 v123, v26, 2, v1
	v_lshl_or_b32 v119, v27, 2, v1
	v_and_b32_e32 v27, 63, v32
	v_lshl_or_b32 v126, v29, 2, v1
	v_lshl_or_b32 v120, v28, 2, v1
	v_and_b32_e32 v28, 63, v33
	v_and_b32_e32 v0, 63, v35
	v_lshl_or_b32 v124, v27, 2, v1
	v_and_b32_e32 v26, 63, v36
	v_and_b32_e32 v27, 63, v37
	;; [unrolled: 3-line block ×3, first 2 shown]
	v_lshl_or_b32 v127, v0, 2, v1
	v_lshl_or_b32 v67, v26, 2, v1
	;; [unrolled: 1-line block ×5, first 2 shown]
	s_lshl_b64 s[34:35], s[20:21], 2
	s_lshl_b64 s[20:21], s[12:13], 2
	s_add_nc_u64 s[14:15], s[14:15], s[34:35]
	v_lshl_add_u64 v[0:1], v[8:9], 2, s[30:31]
	v_add_nc_u64_e32 v[8:9], 0x200, v[10:11]
	v_add_nc_u64_e32 v[10:11], 0x200, v[12:13]
	;; [unrolled: 1-line block ×6, first 2 shown]
	s_lshl_b64 s[30:31], s[24:25], 2
	s_branch .LBB42_4
.LBB42_2:                               ;   in Loop: Header=BB42_4 Depth=1
	s_wait_xcnt 0x0
	s_or_b32 exec_lo, exec_lo, s34
.LBB42_3:                               ;   in Loop: Header=BB42_4 Depth=1
	s_add_co_i32 s2, s2, 0x10000
	s_delay_alu instid0(SALU_CYCLE_1)
	s_cmp_lt_u32 s2, s33
	s_cbranch_scc0 .LBB42_15
.LBB42_4:                               ; =>This Loop Header: Depth=1
                                        ;     Child Loop BB42_8 Depth 2
	s_wait_xcnt 0x0
	s_mul_u64 s[34:35], s[6:7], s[2:3]
	s_delay_alu instid0(SALU_CYCLE_1) | instskip(NEXT) | instid1(SALU_CYCLE_1)
	s_lshl_b64 s[34:35], s[34:35], 2
	s_add_nc_u64 s[34:35], s[4:5], s[34:35]
	global_load_b32 v76, v3, s[34:35]
	s_wait_loadcnt 0x0
	v_cmp_eq_f32_e32 vcc_lo, 0, v76
	s_cbranch_vccnz .LBB42_3
; %bb.5:                                ;   in Loop: Header=BB42_4 Depth=1
	s_load_b32 s36, s[10:11], 0x4
	s_wait_kmcnt 0x0
	s_cvt_f32_u32 s34, s36
	s_sub_co_i32 s35, 0, s36
	s_delay_alu instid0(SALU_CYCLE_2) | instskip(SKIP_1) | instid1(TRANS32_DEP_1)
	v_rcp_iflag_f32_e32 v22, s34
	v_nop
	v_readfirstlane_b32 s34, v22
	s_mul_f32 s34, s34, 0x4f7ffffe
	s_delay_alu instid0(SALU_CYCLE_3) | instskip(NEXT) | instid1(SALU_CYCLE_3)
	s_cvt_u32_f32 s34, s34
	s_mul_i32 s35, s35, s34
	s_delay_alu instid0(SALU_CYCLE_1) | instskip(NEXT) | instid1(SALU_CYCLE_1)
	s_mul_hi_u32 s35, s34, s35
	s_add_co_i32 s34, s34, s35
	s_mov_b32 s35, s3
	s_delay_alu instid0(SALU_CYCLE_1) | instskip(NEXT) | instid1(SALU_CYCLE_1)
	s_mul_u64 s[34:35], s[8:9], s[34:35]
	s_mul_i32 s34, s35, s36
	s_add_co_i32 s37, s35, 1
	s_sub_co_i32 s34, s8, s34
	s_delay_alu instid0(SALU_CYCLE_1)
	s_sub_co_i32 s38, s34, s36
	s_cmp_ge_u32 s34, s36
	s_cselect_b32 s35, s37, s35
	s_cselect_b32 s34, s38, s34
	s_add_co_i32 s37, s35, 1
	s_cmp_ge_u32 s34, s36
	s_cselect_b32 s34, s37, s35
	s_delay_alu instid0(SALU_CYCLE_1) | instskip(NEXT) | instid1(SALU_CYCLE_1)
	s_mul_i32 s35, s34, s36
	s_sub_co_i32 s35, s8, s35
	s_delay_alu instid0(SALU_CYCLE_1) | instskip(SKIP_1) | instid1(SALU_CYCLE_1)
	s_cmp_lt_u32 s1, s35
	s_cselect_b32 s36, -1, 0
	s_cmp_lg_u32 s36, 0
	s_add_co_ci_u32 s36, s34, 0
	s_delay_alu instid0(SALU_CYCLE_1)
	s_cmp_eq_u32 s36, 0
	s_cbranch_scc1 .LBB42_3
; %bb.6:                                ;   in Loop: Header=BB42_4 Depth=1
	s_cmp_lt_i32 s36, 1
	s_cbranch_scc1 .LBB42_12
; %bb.7:                                ;   in Loop: Header=BB42_4 Depth=1
	v_cvt_f64_i32_e32 v[22:23], s1
	v_cvt_f64_u32_e32 v[24:25], s35
	s_mul_i32 s34, s34, s1
	v_mov_b32_e32 v44, 0
	v_cvt_f64_u32_e32 v[26:27], s34
	s_mul_u64 s[34:35], s[12:13], s[2:3]
	s_delay_alu instid0(SALU_CYCLE_1) | instskip(NEXT) | instid1(VALU_DEP_2)
	s_lshl_b64 s[34:35], s[34:35], 2
	v_dual_mov_b32 v45, v44 :: v_dual_mov_b32 v54, v44
	s_add_nc_u64 s[34:35], s[18:19], s[34:35]
	v_dual_mov_b32 v55, v44 :: v_dual_mov_b32 v46, v44
	v_dual_mov_b32 v47, v44 :: v_dual_mov_b32 v42, v44
	v_dual_max_num_f64 v[22:23], v[22:23], v[22:23] :: v_dual_mov_b32 v43, v44
	s_delay_alu instid0(VALU_DEP_1) | instskip(NEXT) | instid1(VALU_DEP_1)
	v_min_num_f64_e32 v[22:23], v[22:23], v[24:25]
	v_add_f64_e32 v[22:23], v[22:23], v[26:27]
	s_delay_alu instid0(VALU_DEP_1) | instskip(NEXT) | instid1(VALU_DEP_1)
	v_cvt_i32_f64_e32 v22, v[22:23]
	v_readfirstlane_b32 s37, v22
	s_lshl_b32 s38, s37, 7
	s_add_co_i32 s37, s36, -1
	s_ashr_i32 s39, s38, 31
	s_delay_alu instid0(SALU_CYCLE_1) | instskip(NEXT) | instid1(SALU_CYCLE_1)
	s_lshl_b64 s[38:39], s[38:39], 2
	s_add_nc_u64 s[34:35], s[34:35], s[38:39]
	s_delay_alu instid0(SALU_CYCLE_1) | instskip(SKIP_1) | instid1(SALU_CYCLE_1)
	v_lshl_add_u64 v[22:23], v[4:5], 2, s[34:35]
	s_mul_u64 s[34:35], s[20:21], s[2:3]
	s_add_nc_u64 s[34:35], s[34:35], s[38:39]
	s_delay_alu instid0(VALU_DEP_1) | instskip(SKIP_2) | instid1(VALU_DEP_3)
	v_lshl_add_u64 v[24:25], s[24:25], 2, v[22:23]
	v_add_nc_u64_e32 v[38:39], s[34:35], v[18:19]
	v_add_nc_u64_e32 v[40:41], s[34:35], v[20:21]
	;; [unrolled: 1-line block ×3, first 2 shown]
	s_delay_alu instid0(VALU_DEP_1) | instskip(NEXT) | instid1(VALU_DEP_1)
	v_add_nc_u64_e32 v[28:29], s[30:31], v[26:27]
	v_add_nc_u64_e32 v[30:31], s[30:31], v[28:29]
	s_delay_alu instid0(VALU_DEP_1) | instskip(NEXT) | instid1(VALU_DEP_1)
	v_add_nc_u64_e32 v[32:33], s[30:31], v[30:31]
	v_add_nc_u64_e32 v[34:35], s[30:31], v[32:33]
	s_delay_alu instid0(VALU_DEP_1)
	v_add_nc_u64_e32 v[36:37], s[30:31], v[34:35]
	s_clause 0x5
	global_load_b32 v56, v[22:23], off
	global_load_b32 v57, v[24:25], off
	;; [unrolled: 1-line block ×8, first 2 shown]
	s_wait_xcnt 0x7
	v_or_b32_e32 v22, 0x100, v2
	s_wait_xcnt 0x6
	v_dual_mov_b32 v25, s39 :: v_dual_bitop2_b32 v24, s38, v2 bitop3:0x54
	s_wait_xcnt 0x5
	v_mov_b32_e32 v27, s39
	s_wait_xcnt 0x4
	v_add_nc_u64_e32 v[28:29], s[34:35], v[8:9]
	v_or_b32_e32 v26, s38, v22
	s_wait_xcnt 0x3
	v_add_nc_u64_e32 v[30:31], s[34:35], v[10:11]
	v_mul_u64_e32 v[22:23], s[22:23], v[24:25]
	s_wait_xcnt 0x2
	v_add_nc_u64_e32 v[32:33], s[34:35], v[12:13]
	s_wait_xcnt 0x1
	v_add_nc_u64_e32 v[34:35], s[34:35], v[14:15]
	v_mul_u64_e32 v[24:25], s[22:23], v[26:27]
	v_add_nc_u64_e32 v[26:27], s[34:35], v[6:7]
	s_wait_xcnt 0x0
	v_add_nc_u64_e32 v[36:37], s[34:35], v[16:17]
	s_mul_u64 s[38:39], s[16:17], s[2:3]
	s_delay_alu instid0(SALU_CYCLE_1)
	s_add_nc_u64 s[34:35], s[14:15], s[38:39]
	s_mov_b32 s38, 0
.LBB42_8:                               ;   Parent Loop BB42_4 Depth=1
                                        ; =>  This Inner Loop Header: Depth=2
	s_wait_xcnt 0x0
	v_add_nc_u64_e32 v[68:69], v[26:27], v[2:3]
	s_wait_loadcnt 0x3
	v_dual_mov_b32 v77, v56 :: v_dual_mov_b32 v81, v50
	s_wait_loadcnt 0x1
	v_dual_mov_b32 v82, v51 :: v_dual_mov_b32 v83, v48
	s_wait_loadcnt 0x0
	v_mov_b32_e32 v84, v49
	s_cmp_lg_u32 s37, s38
	v_add_nc_u64_e32 v[60:61], 0x100, v[68:69]
	global_load_b32 v58, v[68:69], off offset:256
	v_mov_b32_e32 v80, v53
	v_add_nc_u64_e32 v[60:61], s[30:31], v[60:61]
	s_delay_alu instid0(VALU_DEP_1)
	v_add_nc_u64_e32 v[62:63], s[30:31], v[60:61]
	s_clause 0x1
	global_load_b32 v59, v[60:61], off
	global_load_b32 v60, v[62:63], off
	s_wait_xcnt 0x0
	v_add_nc_u64_e32 v[62:63], s[30:31], v[62:63]
	s_delay_alu instid0(VALU_DEP_1)
	v_add_nc_u64_e32 v[64:65], s[30:31], v[62:63]
	s_clause 0x1
	global_load_b32 v61, v[62:63], off
	global_load_b32 v62, v[64:65], off
	s_wait_xcnt 0x0
	;; [unrolled: 7-line block ×3, first 2 shown]
	v_add_nc_u64_e32 v[78:79], s[30:31], v[78:79]
	global_load_b32 v65, v[78:79], off
	s_wait_xcnt 0x0
	v_add_nc_u64_e32 v[78:79], s[34:35], v[22:23]
	global_load_b32 v66, v[78:79], off
	s_wait_xcnt 0x0
	v_dual_mov_b32 v78, v57 :: v_dual_mov_b32 v79, v52
	s_cbranch_scc0 .LBB42_10
; %bb.9:                                ;   in Loop: Header=BB42_8 Depth=2
	global_load_b32 v77, v[68:69], off offset:512
	s_wait_xcnt 0x0
	v_add_nc_u64_e32 v[68:69], v[28:29], v[2:3]
	global_load_b32 v78, v[68:69], off
	s_wait_xcnt 0x0
	v_add_nc_u64_e32 v[68:69], v[30:31], v[2:3]
	global_load_b32 v79, v[68:69], off
	;; [unrolled: 3-line block ×7, first 2 shown]
.LBB42_10:                              ;   in Loop: Header=BB42_8 Depth=2
	s_wait_xcnt 0x0
	v_add_nc_u64_e32 v[68:69], s[34:35], v[24:25]
	s_wait_loadcnt 0x0
	v_pk_fma_f32 v[44:45], v[56:57], v[66:67], v[44:45] op_sel_hi:[1,0,1]
	v_pk_fma_f32 v[52:53], v[52:53], v[66:67], v[54:55] op_sel_hi:[1,0,1]
	;; [unrolled: 1-line block ×4, first 2 shown]
	v_add_nc_u64_e32 v[26:27], 0x200, v[26:27]
	v_add_nc_u64_e32 v[28:29], 0x200, v[28:29]
	global_load_b32 v68, v[68:69], off
	v_add_nc_u64_e32 v[30:31], 0x200, v[30:31]
	v_add_nc_u64_e32 v[32:33], 0x200, v[32:33]
	;; [unrolled: 1-line block ×6, first 2 shown]
	s_add_co_i32 s38, s38, 1
	s_add_nc_u64 s[34:35], s[34:35], s[28:29]
	s_cmp_ge_i32 s38, s36
	s_wait_loadcnt 0x0
	v_pk_fma_f32 v[42:43], v[64:65], v[68:69], v[42:43] op_sel_hi:[1,0,1]
	v_pk_fma_f32 v[46:47], v[62:63], v[68:69], v[46:47] op_sel_hi:[1,0,1]
	;; [unrolled: 1-line block ×4, first 2 shown]
	s_cbranch_scc1 .LBB42_13
; %bb.11:                               ;   in Loop: Header=BB42_8 Depth=2
	v_dual_mov_b32 v56, v77 :: v_dual_mov_b32 v57, v78
	v_dual_mov_b32 v52, v79 :: v_dual_mov_b32 v53, v80
	;; [unrolled: 1-line block ×4, first 2 shown]
	s_branch .LBB42_8
.LBB42_12:                              ;   in Loop: Header=BB42_4 Depth=1
	v_mov_b32_e32 v43, 0
	s_delay_alu instid0(VALU_DEP_1)
	v_dual_mov_b32 v42, v43 :: v_dual_mov_b32 v47, v43
	v_dual_mov_b32 v46, v43 :: v_dual_mov_b32 v55, v43
	;; [unrolled: 1-line block ×3, first 2 shown]
	v_mov_b32_e32 v44, v43
.LBB42_13:                              ;   in Loop: Header=BB42_4 Depth=1
	ds_store_2addr_stride64_b32 v74, v44, v45 offset1:1
	ds_store_2addr_stride64_b32 v74, v54, v55 offset0:2 offset1:3
	ds_store_2addr_stride64_b32 v74, v46, v47 offset0:4 offset1:5
	ds_store_b32 v74, v42 offset:1536
	ds_store_b32 v75, v43
	s_wait_storecnt_dscnt 0x0
	s_barrier_signal -1
	s_barrier_wait -1
	s_wait_xcnt 0x0
	s_and_saveexec_b32 s34, s0
	s_cbranch_execz .LBB42_2
; %bb.14:                               ;   in Loop: Header=BB42_4 Depth=1
	s_clause 0x7
	scratch_load_b32 v23, off, off
	scratch_load_b32 v24, off, off offset:4
	scratch_load_b32 v25, off, off offset:8
	;; [unrolled: 1-line block ×7, first 2 shown]
	ds_load_b32 v22, v73
	s_mul_u64 s[36:37], s[26:27], s[2:3]
	s_wait_loadcnt 0x7
	ds_load_b32 v23, v23
	s_wait_loadcnt 0x6
	ds_load_b32 v24, v24
	;; [unrolled: 2-line block ×7, first 2 shown]
	s_wait_dscnt 0x7
	v_add_f32_e32 v22, 0, v22
	s_wait_loadcnt 0x0
	ds_load_b32 v30, v30
	s_wait_dscnt 0x7
	v_add_f32_e32 v22, v22, v23
	scratch_load_b32 v23, off, off offset:28 ; 4-byte Folded Reload
	s_wait_dscnt 0x6
	v_add_f32_e32 v22, v22, v24
	scratch_load_b32 v24, off, off offset:32 ; 4-byte Folded Reload
	;; [unrolled: 3-line block ×7, first 2 shown]
	s_wait_loadcnt 0x6
	ds_load_b32 v23, v23
	s_wait_loadcnt 0x5
	ds_load_b32 v24, v24
	;; [unrolled: 2-line block ×6, first 2 shown]
	s_wait_dscnt 0x5
	v_add_f32_e32 v22, v22, v23
	scratch_load_b32 v23, off, off offset:60 ; 4-byte Folded Reload
	s_wait_loadcnt 0x1
	ds_load_b32 v29, v29
	s_wait_dscnt 0x5
	v_add_f32_e32 v22, v22, v24
	ds_load_b32 v24, v85
	s_wait_loadcnt 0x0
	ds_load_b32 v23, v23
	s_wait_dscnt 0x6
	v_add_f32_e32 v22, v22, v25
	ds_load_b32 v25, v86
	s_wait_dscnt 0x6
	v_add_f32_e32 v22, v22, v26
	s_wait_dscnt 0x5
	s_delay_alu instid0(VALU_DEP_1) | instskip(SKIP_1) | instid1(VALU_DEP_1)
	v_add_f32_e32 v22, v22, v27
	s_wait_dscnt 0x4
	v_add_f32_e32 v22, v22, v28
	s_wait_dscnt 0x3
	s_delay_alu instid0(VALU_DEP_1) | instskip(NEXT) | instid1(VALU_DEP_1)
	v_add_f32_e32 v22, v22, v29
	v_add_f32_e32 v22, v22, v30
	ds_load_b32 v26, v87
	ds_load_b32 v27, v88
	;; [unrolled: 1-line block ×5, first 2 shown]
	s_wait_dscnt 0x6
	v_add_f32_e32 v22, v22, v23
	ds_load_b32 v23, v92
	v_add_f32_e32 v22, v22, v24
	ds_load_b32 v24, v93
	s_wait_dscnt 0x7
	v_add_f32_e32 v22, v22, v25
	ds_load_b32 v25, v94
	s_wait_dscnt 0x7
	v_add_f32_e32 v22, v22, v26
	s_wait_dscnt 0x6
	s_delay_alu instid0(VALU_DEP_1) | instskip(SKIP_1) | instid1(VALU_DEP_1)
	v_add_f32_e32 v22, v22, v27
	s_wait_dscnt 0x5
	v_add_f32_e32 v22, v22, v28
	s_wait_dscnt 0x4
	s_delay_alu instid0(VALU_DEP_1) | instskip(SKIP_1) | instid1(VALU_DEP_1)
	v_add_f32_e32 v22, v22, v29
	s_wait_dscnt 0x3
	v_add_f32_e32 v22, v22, v30
	ds_load_b32 v26, v95
	ds_load_b32 v27, v96
	ds_load_b32 v28, v97
	ds_load_b32 v29, v98
	ds_load_b32 v30, v99
	s_wait_dscnt 0x7
	v_add_f32_e32 v22, v22, v23
	ds_load_b32 v23, v100
	s_wait_dscnt 0x7
	v_add_f32_e32 v22, v22, v24
	ds_load_b32 v24, v101
	s_wait_dscnt 0x7
	v_add_f32_e32 v22, v22, v25
	ds_load_b32 v25, v102
	s_wait_dscnt 0x7
	v_add_f32_e32 v22, v22, v26
	s_wait_dscnt 0x6
	s_delay_alu instid0(VALU_DEP_1) | instskip(SKIP_1) | instid1(VALU_DEP_1)
	v_add_f32_e32 v22, v22, v27
	s_wait_dscnt 0x5
	v_add_f32_e32 v22, v22, v28
	s_wait_dscnt 0x4
	s_delay_alu instid0(VALU_DEP_1) | instskip(SKIP_1) | instid1(VALU_DEP_1)
	v_add_f32_e32 v22, v22, v29
	s_wait_dscnt 0x3
	v_add_f32_e32 v22, v22, v30
	ds_load_b32 v26, v103
	ds_load_b32 v27, v104
	ds_load_b32 v28, v105
	ds_load_b32 v29, v106
	ds_load_b32 v30, v107
	s_wait_dscnt 0x7
	v_add_f32_e32 v22, v22, v23
	ds_load_b32 v23, v108
	s_wait_dscnt 0x7
	;; [unrolled: 26-line block ×4, first 2 shown]
	v_add_f32_e32 v22, v22, v24
	ds_load_b32 v24, v125
	s_wait_dscnt 0x7
	v_add_f32_e32 v22, v22, v25
	ds_load_b32 v25, v126
	s_wait_dscnt 0x7
	v_add_f32_e32 v22, v22, v26
	s_wait_dscnt 0x6
	s_delay_alu instid0(VALU_DEP_1) | instskip(SKIP_1) | instid1(VALU_DEP_1)
	v_add_f32_e32 v22, v22, v27
	s_wait_dscnt 0x5
	v_add_f32_e32 v22, v22, v28
	s_wait_dscnt 0x4
	s_delay_alu instid0(VALU_DEP_1) | instskip(SKIP_1) | instid1(VALU_DEP_1)
	v_add_f32_e32 v22, v22, v29
	s_wait_dscnt 0x3
	v_add_f32_e32 v22, v22, v30
	ds_load_b32 v26, v127
	ds_load_b32 v27, v67
	;; [unrolled: 1-line block ×5, first 2 shown]
	s_wait_dscnt 0x7
	v_add_f32_e32 v22, v22, v23
	s_wait_dscnt 0x6
	s_delay_alu instid0(VALU_DEP_1) | instskip(SKIP_1) | instid1(VALU_DEP_1)
	v_add_f32_e32 v22, v22, v24
	s_wait_dscnt 0x5
	v_add_f32_e32 v22, v22, v25
	s_wait_dscnt 0x4
	s_delay_alu instid0(VALU_DEP_1) | instskip(SKIP_1) | instid1(VALU_DEP_1)
	v_add_f32_e32 v22, v22, v26
	;; [unrolled: 5-line block ×3, first 2 shown]
	s_wait_dscnt 0x1
	v_add_f32_e32 v22, v22, v29
	s_wait_dscnt 0x0
	s_delay_alu instid0(VALU_DEP_1) | instskip(SKIP_1) | instid1(VALU_DEP_2)
	v_add_f32_e32 v24, v22, v30
	v_lshl_add_u64 v[22:23], s[36:37], 2, v[0:1]
	v_mul_f32_e32 v24, v76, v24
	global_atomic_add_f32 v[22:23], v24, off scope:SCOPE_DEV
	s_branch .LBB42_2
.LBB42_15:
	s_sendmsg sendmsg(MSG_DEALLOC_VGPRS)
	s_endpgm
	.section	.rodata,"a",@progbits
	.p2align	6, 0x0
	.amdhsa_kernel _ZL36rocblas_gemvt_double_buffered_kernelILb1ELi128ELi8ELi8EfPKffEviiT4_lPKT3_lilS5_lilPT5_lili
		.amdhsa_group_segment_fixed_size 32768
		.amdhsa_private_segment_fixed_size 68
		.amdhsa_kernarg_size 384
		.amdhsa_user_sgpr_count 2
		.amdhsa_user_sgpr_dispatch_ptr 0
		.amdhsa_user_sgpr_queue_ptr 0
		.amdhsa_user_sgpr_kernarg_segment_ptr 1
		.amdhsa_user_sgpr_dispatch_id 0
		.amdhsa_user_sgpr_kernarg_preload_length 0
		.amdhsa_user_sgpr_kernarg_preload_offset 0
		.amdhsa_user_sgpr_private_segment_size 0
		.amdhsa_wavefront_size32 1
		.amdhsa_uses_dynamic_stack 0
		.amdhsa_enable_private_segment 1
		.amdhsa_system_sgpr_workgroup_id_x 1
		.amdhsa_system_sgpr_workgroup_id_y 1
		.amdhsa_system_sgpr_workgroup_id_z 1
		.amdhsa_system_sgpr_workgroup_info 0
		.amdhsa_system_vgpr_workitem_id 1
		.amdhsa_next_free_vgpr 128
		.amdhsa_next_free_sgpr 43
		.amdhsa_named_barrier_count 0
		.amdhsa_reserve_vcc 1
		.amdhsa_float_round_mode_32 0
		.amdhsa_float_round_mode_16_64 0
		.amdhsa_float_denorm_mode_32 3
		.amdhsa_float_denorm_mode_16_64 3
		.amdhsa_fp16_overflow 0
		.amdhsa_memory_ordered 1
		.amdhsa_forward_progress 1
		.amdhsa_inst_pref_size 39
		.amdhsa_round_robin_scheduling 0
		.amdhsa_exception_fp_ieee_invalid_op 0
		.amdhsa_exception_fp_denorm_src 0
		.amdhsa_exception_fp_ieee_div_zero 0
		.amdhsa_exception_fp_ieee_overflow 0
		.amdhsa_exception_fp_ieee_underflow 0
		.amdhsa_exception_fp_ieee_inexact 0
		.amdhsa_exception_int_div_zero 0
	.end_amdhsa_kernel
	.section	.text._ZL36rocblas_gemvt_double_buffered_kernelILb1ELi128ELi8ELi8EfPKffEviiT4_lPKT3_lilS5_lilPT5_lili,"axG",@progbits,_ZL36rocblas_gemvt_double_buffered_kernelILb1ELi128ELi8ELi8EfPKffEviiT4_lPKT3_lilS5_lilPT5_lili,comdat
.Lfunc_end42:
	.size	_ZL36rocblas_gemvt_double_buffered_kernelILb1ELi128ELi8ELi8EfPKffEviiT4_lPKT3_lilS5_lilPT5_lili, .Lfunc_end42-_ZL36rocblas_gemvt_double_buffered_kernelILb1ELi128ELi8ELi8EfPKffEviiT4_lPKT3_lilS5_lilPT5_lili
                                        ; -- End function
	.set _ZL36rocblas_gemvt_double_buffered_kernelILb1ELi128ELi8ELi8EfPKffEviiT4_lPKT3_lilS5_lilPT5_lili.num_vgpr, 128
	.set _ZL36rocblas_gemvt_double_buffered_kernelILb1ELi128ELi8ELi8EfPKffEviiT4_lPKT3_lilS5_lilPT5_lili.num_agpr, 0
	.set _ZL36rocblas_gemvt_double_buffered_kernelILb1ELi128ELi8ELi8EfPKffEviiT4_lPKT3_lilS5_lilPT5_lili.numbered_sgpr, 43
	.set _ZL36rocblas_gemvt_double_buffered_kernelILb1ELi128ELi8ELi8EfPKffEviiT4_lPKT3_lilS5_lilPT5_lili.num_named_barrier, 0
	.set _ZL36rocblas_gemvt_double_buffered_kernelILb1ELi128ELi8ELi8EfPKffEviiT4_lPKT3_lilS5_lilPT5_lili.private_seg_size, 68
	.set _ZL36rocblas_gemvt_double_buffered_kernelILb1ELi128ELi8ELi8EfPKffEviiT4_lPKT3_lilS5_lilPT5_lili.uses_vcc, 1
	.set _ZL36rocblas_gemvt_double_buffered_kernelILb1ELi128ELi8ELi8EfPKffEviiT4_lPKT3_lilS5_lilPT5_lili.uses_flat_scratch, 1
	.set _ZL36rocblas_gemvt_double_buffered_kernelILb1ELi128ELi8ELi8EfPKffEviiT4_lPKT3_lilS5_lilPT5_lili.has_dyn_sized_stack, 0
	.set _ZL36rocblas_gemvt_double_buffered_kernelILb1ELi128ELi8ELi8EfPKffEviiT4_lPKT3_lilS5_lilPT5_lili.has_recursion, 0
	.set _ZL36rocblas_gemvt_double_buffered_kernelILb1ELi128ELi8ELi8EfPKffEviiT4_lPKT3_lilS5_lilPT5_lili.has_indirect_call, 0
	.section	.AMDGPU.csdata,"",@progbits
; Kernel info:
; codeLenInByte = 4960
; TotalNumSgprs: 45
; NumVgprs: 128
; ScratchSize: 68
; MemoryBound: 0
; FloatMode: 240
; IeeeMode: 1
; LDSByteSize: 32768 bytes/workgroup (compile time only)
; SGPRBlocks: 0
; VGPRBlocks: 7
; NumSGPRsForWavesPerEU: 45
; NumVGPRsForWavesPerEU: 128
; NamedBarCnt: 0
; Occupancy: 8
; WaveLimiterHint : 0
; COMPUTE_PGM_RSRC2:SCRATCH_EN: 1
; COMPUTE_PGM_RSRC2:USER_SGPR: 2
; COMPUTE_PGM_RSRC2:TRAP_HANDLER: 0
; COMPUTE_PGM_RSRC2:TGID_X_EN: 1
; COMPUTE_PGM_RSRC2:TGID_Y_EN: 1
; COMPUTE_PGM_RSRC2:TGID_Z_EN: 1
; COMPUTE_PGM_RSRC2:TIDIG_COMP_CNT: 1
	.section	.text._ZL36rocblas_gemvt_double_buffered_kernelILb1ELi128ELi8ELi8EfffEviiT4_lPKT3_lilS3_lilPT5_lili,"axG",@progbits,_ZL36rocblas_gemvt_double_buffered_kernelILb1ELi128ELi8ELi8EfffEviiT4_lPKT3_lilS3_lilPT5_lili,comdat
	.globl	_ZL36rocblas_gemvt_double_buffered_kernelILb1ELi128ELi8ELi8EfffEviiT4_lPKT3_lilS3_lilPT5_lili ; -- Begin function _ZL36rocblas_gemvt_double_buffered_kernelILb1ELi128ELi8ELi8EfffEviiT4_lPKT3_lilS3_lilPT5_lili
	.p2align	8
	.type	_ZL36rocblas_gemvt_double_buffered_kernelILb1ELi128ELi8ELi8EfffEviiT4_lPKT3_lilS3_lilPT5_lili,@function
_ZL36rocblas_gemvt_double_buffered_kernelILb1ELi128ELi8ELi8EfffEviiT4_lPKT3_lilS3_lilPT5_lili: ; @_ZL36rocblas_gemvt_double_buffered_kernelILb1ELi128ELi8ELi8EfffEviiT4_lPKT3_lilS3_lilPT5_lili
; %bb.0:
	s_load_b32 s33, s[0:1], 0x78
	s_bfe_u32 s2, ttmp6, 0x40014
	s_lshr_b32 s3, ttmp7, 16
	s_add_co_i32 s2, s2, 1
	s_bfe_u32 s4, ttmp6, 0x40008
	s_mul_i32 s2, s3, s2
	s_getreg_b32 s20, hwreg(HW_REG_IB_STS2, 6, 4)
	s_add_co_i32 s4, s4, s2
	s_cmp_eq_u32 s20, 0
	s_cselect_b32 s2, s3, s4
	s_mov_b32 s3, 0
	s_wait_kmcnt 0x0
	s_cmp_ge_u32 s2, s33
	s_cbranch_scc1 .LBB43_15
; %bb.1:
	s_clause 0x8
	s_load_b32 s16, s[0:1], 0x28
	s_load_b96 s[12:14], s[0:1], 0x40
	s_load_b96 s[24:26], s[0:1], 0x60
	s_load_b128 s[28:31], s[0:1], 0x18
	s_load_b32 s36, s[0:1], 0x8
	s_load_b128 s[8:11], s[0:1], 0x50
	s_load_b32 s21, s[0:1], 0x0
	s_load_b128 s[4:7], s[0:1], 0x30
	s_load_b64 s[18:19], s[0:1], 0x70
	v_and_b32_e32 v8, 0x3ff, v0
	v_bfe_u32 v1, v0, 10, 10
	v_dual_mov_b32 v3, 0 :: v_dual_bitop2_b32 v2, 63, v0 bitop3:0x40
	v_bitop3_b32 v0, v0, 32, 63 bitop3:0x6c
	s_delay_alu instid0(VALU_DEP_4) | instskip(NEXT) | instid1(VALU_DEP_4)
	v_dual_add_nc_u32 v35, 59, v8 :: v_dual_add_nc_u32 v36, 60, v8
	v_lshl_add_u32 v6, v1, 7, v8
	v_dual_add_nc_u32 v37, 61, v8 :: v_dual_add_nc_u32 v38, 62, v8
	v_add_nc_u32_e32 v10, 3, v8
	s_wait_kmcnt 0x0
	s_ashr_i32 s17, s16, 31
	s_ashr_i32 s15, s14, 31
	s_ashr_i32 s27, s26, 31
	s_lshl_b64 s[22:23], s[24:25], 2
	s_lshl_b64 s[24:25], s[30:31], 2
	s_cmp_neq_f32 s36, 0
	v_lshrrev_b32_e32 v7, 3, v6
	s_add_nc_u64 s[38:39], s[10:11], s[22:23]
	s_add_nc_u64 s[30:31], s[28:29], s[24:25]
	s_cselect_b32 s37, -1, 0
	s_ashr_i32 s10, s21, 31
	s_bfe_u32 s22, ttmp6, 0x4000c
	s_bfe_u32 s24, ttmp6, 0x40010
	s_lshr_b32 s10, s10, 25
	v_and_b32_e32 v9, 0x7ff8, v7
	s_and_b32 s23, ttmp7, 0xffff
	s_add_co_i32 s22, s22, 1
	s_add_co_i32 s24, s24, 1
	;; [unrolled: 1-line block ×3, first 2 shown]
	s_and_b32 s11, ttmp6, 15
	s_mul_i32 s22, ttmp9, s22
	s_mul_i32 s24, s23, s24
	s_ashr_i32 s10, s21, 7
	s_bfe_u32 s21, ttmp6, 0x40004
	s_add_co_i32 s11, s11, s22
	s_add_co_i32 s22, s21, s24
	v_lshlrev_b32_e32 v24, 8, v9
	v_lshl_or_b32 v25, v7, 8, 0x700
	v_add_nc_u32_e32 v7, 1, v8
	s_cmp_eq_u32 s20, 0
	s_add_nc_u64 s[20:21], s[0:1], 0x80
	s_cselect_b32 s0, ttmp9, s11
	s_cselect_b32 s1, s23, s22
	s_lshl_b32 s34, s0, 7
	v_mad_nc_i64_i32 v[4:5], s16, v9, v[2:3]
	v_add_nc_u32_e32 v9, 2, v8
	v_cmp_eq_u32_e64 s0, 0, v1
	v_dual_lshlrev_b32 v1, 8, v8 :: v_dual_bitop2_b32 v7, 63, v7 bitop3:0x40
	s_delay_alu instid0(VALU_DEP_3) | instskip(SKIP_1) | instid1(VALU_DEP_3)
	v_dual_add_nc_u32 v11, 4, v8 :: v_dual_bitop2_b32 v9, 63, v9 bitop3:0x40
	v_dual_add_nc_u32 v12, 5, v8 :: v_dual_bitop2_b32 v10, 63, v10 bitop3:0x40
	v_lshl_or_b32 v7, v7, 2, v1
	v_lshrrev_b32_e32 v6, 1, v6
	v_lshlrev_b32_e32 v2, 2, v2
	s_ashr_i32 s35, s34, 31
	v_lshl_or_b32 v100, v0, 2, v1
	scratch_store_b32 off, v7, off          ; 4-byte Folded Spill
	s_wait_xcnt 0x0
	v_lshl_or_b32 v7, v9, 2, v1
	v_lshl_or_b32 v9, v10, 2, v1
	v_add_nc_u32_e32 v10, 6, v8
	v_and_b32_e32 v6, 0x1ffe0, v6
	v_add_nc_u32_e32 v0, 36, v8
	scratch_store_b32 off, v7, off offset:4 ; 4-byte Folded Spill
	s_wait_xcnt 0x0
	v_dual_add_nc_u32 v11, 7, v8 :: v_dual_bitop2_b32 v7, 63, v11 bitop3:0x40
	s_mul_u64 s[24:25], s[26:27], s[34:35]
	v_or_b32_e32 v73, v1, v2
	s_lshl_b64 s[24:25], s[24:25], 2
	s_delay_alu instid0(VALU_DEP_2)
	v_lshl_or_b32 v7, v7, 2, v1
	scratch_store_b32 off, v9, off offset:8 ; 4-byte Folded Spill
	s_wait_xcnt 0x0
	v_and_b32_e32 v9, 63, v12
	v_add_nc_u32_e32 v12, 10, v8
	s_add_nc_u64 s[28:29], s[38:39], s[24:25]
	s_mul_u64 s[22:23], s[16:17], s[34:35]
	s_lshl_b64 s[24:25], s[14:15], 9
	v_lshl_or_b32 v9, v9, 2, v1
	scratch_store_b32 off, v7, off offset:12 ; 4-byte Folded Spill
	s_wait_xcnt 0x0
	v_add_nc_u32_e32 v7, 8, v8
	s_lshl_b64 s[22:23], s[22:23], 2
	s_mov_b32 s11, s3
	s_add_nc_u64 s[22:23], s[30:31], s[22:23]
	s_lshl_b64 s[8:9], s[8:9], 2
	v_dual_add_nc_u32 v16, 27, v8 :: v_dual_bitop2_b32 v7, 63, v7 bitop3:0x40
	v_dual_add_nc_u32 v33, 29, v8 :: v_dual_add_nc_u32 v31, 28, v8
	v_add_nc_u32_e32 v34, 58, v8
	s_delay_alu instid0(VALU_DEP_3)
	v_lshl_or_b32 v7, v7, 2, v1
	scratch_store_b32 off, v9, off offset:16 ; 4-byte Folded Spill
	s_wait_xcnt 0x0
	v_and_b32_e32 v9, 63, v10
	v_dual_add_nc_u32 v11, 9, v8 :: v_dual_bitop2_b32 v10, 63, v11 bitop3:0x40
	scratch_store_b32 off, v7, off offset:28 ; 4-byte Folded Spill
	s_wait_xcnt 0x0
	v_and_b32_e32 v7, 63, v12
	v_lshl_or_b32 v9, v9, 2, v1
	v_dual_add_nc_u32 v12, 15, v8 :: v_dual_bitop2_b32 v31, 63, v31 bitop3:0x40
	v_add_nc_u32_e32 v75, v2, v25
	s_delay_alu instid0(VALU_DEP_4)
	v_lshl_or_b32 v7, v7, 2, v1
	scratch_store_b32 off, v9, off offset:20 ; 4-byte Folded Spill
	s_wait_xcnt 0x0
	v_lshl_or_b32 v9, v10, 2, v1
	v_add_nc_u32_e32 v10, 11, v8
	v_add_nc_u32_e32 v74, v2, v24
	scratch_store_b32 off, v7, off offset:36 ; 4-byte Folded Spill
	s_wait_xcnt 0x0
	v_and_b32_e32 v7, 63, v10
	s_delay_alu instid0(VALU_DEP_1)
	v_lshl_or_b32 v7, v7, 2, v1
	scratch_store_b32 off, v9, off offset:24 ; 4-byte Folded Spill
	s_wait_xcnt 0x0
	v_dual_add_nc_u32 v11, 12, v8 :: v_dual_bitop2_b32 v9, 63, v11 bitop3:0x40
	scratch_store_b32 off, v7, off offset:40 ; 4-byte Folded Spill
	v_lshl_or_b32 v9, v9, 2, v1
	v_dual_add_nc_u32 v11, 14, v8 :: v_dual_bitop2_b32 v10, 63, v11 bitop3:0x40
	s_wait_xcnt 0x0
	s_delay_alu instid0(VALU_DEP_1) | instskip(SKIP_3) | instid1(VALU_DEP_1)
	v_lshl_or_b32 v7, v10, 2, v1
	scratch_store_b32 off, v9, off offset:32 ; 4-byte Folded Spill
	s_wait_xcnt 0x0
	v_dual_add_nc_u32 v9, 13, v8 :: v_dual_add_nc_u32 v10, 16, v8
	v_and_b32_e32 v9, 63, v9
	s_delay_alu instid0(VALU_DEP_1) | instskip(SKIP_3) | instid1(VALU_DEP_1)
	v_lshl_or_b32 v9, v9, 2, v1
	scratch_store_b32 off, v7, off offset:44 ; 4-byte Folded Spill
	s_wait_xcnt 0x0
	v_dual_add_nc_u32 v11, 17, v8 :: v_dual_bitop2_b32 v7, 63, v11 bitop3:0x40
	v_lshl_or_b32 v7, v7, 2, v1
	scratch_store_b32 off, v9, off offset:48 ; 4-byte Folded Spill
	s_wait_xcnt 0x0
	v_and_b32_e32 v9, 63, v12
	v_add_nc_u32_e32 v12, 20, v8
	s_delay_alu instid0(VALU_DEP_2)
	v_lshl_or_b32 v9, v9, 2, v1
	scratch_store_b32 off, v7, off offset:52 ; 4-byte Folded Spill
	s_wait_xcnt 0x0
	v_add_nc_u32_e32 v7, 18, v8
	scratch_store_b32 off, v9, off offset:56 ; 4-byte Folded Spill
	s_wait_xcnt 0x0
	v_and_b32_e32 v9, 63, v10
	v_dual_add_nc_u32 v11, 19, v8 :: v_dual_bitop2_b32 v10, 63, v11 bitop3:0x40
	v_and_b32_e32 v7, 63, v7
	s_delay_alu instid0(VALU_DEP_3) | instskip(NEXT) | instid1(VALU_DEP_3)
	v_lshl_or_b32 v84, v9, 2, v1
	v_lshl_or_b32 v85, v10, 2, v1
	s_delay_alu instid0(VALU_DEP_4) | instskip(SKIP_3) | instid1(VALU_DEP_4)
	v_dual_add_nc_u32 v11, 22, v8 :: v_dual_bitop2_b32 v9, 63, v11 bitop3:0x40
	v_add_nc_u32_e32 v10, 21, v8
	v_lshl_or_b32 v86, v7, 2, v1
	v_and_b32_e32 v7, 63, v12
	v_lshl_or_b32 v87, v9, 2, v1
	s_delay_alu instid0(VALU_DEP_4) | instskip(SKIP_1) | instid1(VALU_DEP_4)
	v_dual_add_nc_u32 v12, 24, v8 :: v_dual_bitop2_b32 v9, 63, v10 bitop3:0x40
	v_and_b32_e32 v10, 63, v11
	v_lshl_or_b32 v88, v7, 2, v1
	v_dual_add_nc_u32 v11, 23, v8 :: v_dual_mov_b32 v7, v3
	s_delay_alu instid0(VALU_DEP_4) | instskip(NEXT) | instid1(VALU_DEP_4)
	v_lshl_or_b32 v89, v9, 2, v1
	v_lshl_or_b32 v90, v10, 2, v1
	s_delay_alu instid0(VALU_DEP_3) | instskip(NEXT) | instid1(VALU_DEP_4)
	v_and_b32_e32 v9, 63, v11
	v_lshl_add_u64 v[22:23], s[34:35], 2, v[6:7]
	v_dual_add_nc_u32 v7, 25, v8 :: v_dual_add_nc_u32 v10, 26, v8
	s_delay_alu instid0(VALU_DEP_3) | instskip(NEXT) | instid1(VALU_DEP_3)
	v_lshl_or_b32 v91, v9, 2, v1
	v_mul_lo_u32 v26, v23, s16
	v_and_b32_e32 v6, 63, v12
	s_delay_alu instid0(VALU_DEP_4)
	v_and_b32_e32 v12, 63, v7
	v_or_b32_e32 v28, 20, v22
	v_and_b32_e32 v29, 63, v16
	v_or_b32_e32 v9, 4, v22
	v_or_b32_e32 v20, 8, v22
	v_lshl_or_b32 v92, v6, 2, v1
	v_mad_nc_u64_u32 v[16:17], v28, s16, s[30:31]
	v_or_b32_e32 v27, 16, v22
	v_mad_nc_u64_u32 v[6:7], v22, s16, s[30:31]
	v_lshl_or_b32 v93, v12, 2, v1
	v_or_b32_e32 v32, 28, v22
	v_dual_add_nc_u32 v17, v26, v17 :: v_dual_bitop2_b32 v30, 24, v22 bitop3:0x54
	v_mad_nc_u64_u32 v[18:19], v27, s16, s[30:31]
	v_dual_add_nc_u32 v7, v26, v7 :: v_dual_bitop2_b32 v23, 12, v22 bitop3:0x54
	s_delay_alu instid0(VALU_DEP_3) | instskip(SKIP_1) | instid1(VALU_DEP_3)
	v_mad_u32 v17, v28, s17, v17
	v_add_nc_u32_e32 v28, 31, v8
	v_mad_nc_u64_u32 v[14:15], v23, s16, s[30:31]
	v_and_b32_e32 v13, 63, v10
	v_mad_nc_u64_u32 v[10:11], v9, s16, s[30:31]
	v_mad_u32 v7, v22, s17, v7
	v_add_nc_u64_e32 v[16:17], 0x200, v[16:17]
	v_add_nc_u32_e32 v15, v26, v15
	v_lshl_or_b32 v94, v13, 2, v1
	v_mad_nc_u64_u32 v[12:13], v20, s16, s[30:31]
	v_add_nc_u32_e32 v11, v26, v11
	s_delay_alu instid0(VALU_DEP_1) | instskip(NEXT) | instid1(VALU_DEP_3)
	v_mad_u32 v11, v9, s17, v11
	v_add_nc_u32_e32 v9, v26, v13
	s_delay_alu instid0(VALU_DEP_1) | instskip(SKIP_3) | instid1(VALU_DEP_3)
	v_mad_u32 v13, v20, s17, v9
	v_add_nc_u32_e32 v9, v26, v19
	v_mad_u32 v15, v23, s17, v15
	v_mad_nc_u64_u32 v[22:23], v32, s16, s[30:31]
	v_mad_u32 v19, v27, s17, v9
	v_add_nc_u32_e32 v9, 30, v8
	v_mad_nc_u64_u32 v[20:21], v30, s16, s[30:31]
	v_dual_add_nc_u32 v33, 57, v8 :: v_dual_bitop2_b32 v27, 63, v33 bitop3:0x40
	s_delay_alu instid0(VALU_DEP_3) | instskip(NEXT) | instid1(VALU_DEP_2)
	v_dual_add_nc_u32 v23, v26, v23 :: v_dual_bitop2_b32 v9, 63, v9 bitop3:0x40
	v_lshl_or_b32 v97, v27, 2, v1
	v_add_nc_u32_e32 v27, 33, v8
	v_lshl_or_b32 v96, v31, 2, v1
	v_dual_add_nc_u32 v31, 55, v8 :: v_dual_add_nc_u32 v21, v26, v21
	v_lshl_or_b32 v95, v29, 2, v1
	s_delay_alu instid0(VALU_DEP_4) | instskip(SKIP_3) | instid1(VALU_DEP_4)
	v_dual_add_nc_u32 v27, 34, v8 :: v_dual_bitop2_b32 v26, 63, v27 bitop3:0x40
	v_lshl_or_b32 v98, v9, 2, v1
	v_and_b32_e32 v9, 63, v28
	v_add_nc_u32_e32 v28, 35, v8
	v_lshl_or_b32 v101, v26, 2, v1
	v_dual_add_nc_u32 v26, 38, v8 :: v_dual_bitop2_b32 v27, 63, v27 bitop3:0x40
	s_delay_alu instid0(VALU_DEP_4) | instskip(SKIP_2) | instid1(VALU_DEP_4)
	v_lshl_or_b32 v99, v9, 2, v1
	v_add_nc_u32_e32 v9, 37, v8
	v_and_b32_e32 v0, 63, v0
	v_and_b32_e32 v26, 63, v26
	v_lshl_or_b32 v102, v27, 2, v1
	s_delay_alu instid0(VALU_DEP_4) | instskip(NEXT) | instid1(VALU_DEP_4)
	v_dual_add_nc_u32 v27, 42, v8 :: v_dual_bitop2_b32 v9, 63, v9 bitop3:0x40
	v_lshl_or_b32 v104, v0, 2, v1
	v_add_nc_u32_e32 v0, 39, v8
	v_and_b32_e32 v28, 63, v28
	s_delay_alu instid0(VALU_DEP_4)
	v_and_b32_e32 v27, 63, v27
	v_lshl_or_b32 v105, v9, 2, v1
	v_add_nc_u32_e32 v9, 40, v8
	v_lshl_or_b32 v106, v26, 2, v1
	v_add_nc_u32_e32 v26, 41, v8
	v_and_b32_e32 v0, 63, v0
	v_mad_u32 v21, v30, s17, v21
	v_and_b32_e32 v9, 63, v9
	v_mad_u32 v23, v32, s17, v23
	v_and_b32_e32 v26, 63, v26
	v_lshl_or_b32 v107, v0, 2, v1
	v_add_nc_u32_e32 v0, 44, v8
	v_lshl_or_b32 v108, v9, 2, v1
	v_add_nc_u32_e32 v9, 45, v8
	v_lshl_or_b32 v109, v26, 2, v1
	v_lshl_or_b32 v110, v27, 2, v1
	v_and_b32_e32 v0, 63, v0
	v_dual_add_nc_u32 v26, 46, v8 :: v_dual_add_nc_u32 v27, 47, v8
	v_dual_add_nc_u32 v29, 53, v8 :: v_dual_bitop2_b32 v9, 63, v9 bitop3:0x40
	v_add_nc_u32_e32 v30, 54, v8
	s_delay_alu instid0(VALU_DEP_4) | instskip(SKIP_1) | instid1(VALU_DEP_4)
	v_lshl_or_b32 v112, v0, 2, v1
	v_add_nc_u32_e32 v0, 49, v8
	v_lshl_or_b32 v113, v9, 2, v1
	v_mov_b32_e32 v9, v3
	v_lshl_or_b32 v103, v28, 2, v1
	v_dual_add_nc_u32 v28, 43, v8 :: v_dual_bitop2_b32 v26, 63, v26 bitop3:0x40
	v_dual_add_nc_u32 v32, 56, v8 :: v_dual_bitop2_b32 v27, 63, v27 bitop3:0x40
	v_and_b32_e32 v0, 63, v0
	s_delay_alu instid0(VALU_DEP_3) | instskip(NEXT) | instid1(VALU_DEP_4)
	v_and_b32_e32 v28, 63, v28
	v_lshl_or_b32 v114, v26, 2, v1
	v_add_nc_u32_e32 v26, 50, v8
	v_lshl_or_b32 v115, v27, 2, v1
	v_add_nc_u32_e32 v27, 51, v8
	v_lshl_or_b32 v111, v28, 2, v1
	v_dual_add_nc_u32 v28, 48, v8 :: v_dual_add_nc_u32 v39, -1, v8
	v_and_b32_e32 v26, 63, v26
	v_and_b32_e32 v29, 63, v29
	v_lshl_or_b32 v117, v0, 2, v1
	s_delay_alu instid0(VALU_DEP_4)
	v_and_b32_e32 v28, 63, v28
	v_and_b32_e32 v0, 63, v30
	v_lshl_or_b32 v118, v26, 2, v1
	v_lshl_or_b32 v121, v29, 2, v1
	v_and_b32_e32 v26, 63, v31
	v_lshl_or_b32 v116, v28, 2, v1
	v_add_nc_u32_e32 v28, 52, v8
	v_mul_u64_e32 v[8:9], s[26:27], v[8:9]
	v_and_b32_e32 v27, 63, v27
	v_and_b32_e32 v29, 63, v34
	v_lshl_or_b32 v122, v0, 2, v1
	v_and_b32_e32 v28, 63, v28
	v_lshl_or_b32 v123, v26, 2, v1
	v_lshl_or_b32 v119, v27, 2, v1
	v_and_b32_e32 v27, 63, v32
	v_lshl_or_b32 v126, v29, 2, v1
	v_lshl_or_b32 v120, v28, 2, v1
	v_and_b32_e32 v28, 63, v33
	v_and_b32_e32 v0, 63, v35
	v_lshl_or_b32 v124, v27, 2, v1
	v_and_b32_e32 v26, 63, v36
	v_and_b32_e32 v27, 63, v37
	;; [unrolled: 3-line block ×3, first 2 shown]
	v_lshl_or_b32 v127, v0, 2, v1
	v_lshl_or_b32 v67, v26, 2, v1
	;; [unrolled: 1-line block ×5, first 2 shown]
	s_lshl_b64 s[26:27], s[16:17], 2
	v_lshl_add_u64 v[0:1], v[8:9], 2, s[28:29]
	v_add_nc_u64_e32 v[8:9], 0x200, v[10:11]
	v_add_nc_u64_e32 v[10:11], 0x200, v[12:13]
	;; [unrolled: 1-line block ×6, first 2 shown]
	s_lshl_b64 s[28:29], s[12:13], 2
	s_lshl_b64 s[12:13], s[4:5], 2
	s_add_nc_u64 s[6:7], s[6:7], s[28:29]
	s_branch .LBB43_4
.LBB43_2:                               ;   in Loop: Header=BB43_4 Depth=1
	s_wait_xcnt 0x0
	s_or_b32 exec_lo, exec_lo, s28
.LBB43_3:                               ;   in Loop: Header=BB43_4 Depth=1
	s_add_co_i32 s2, s2, 0x10000
	s_delay_alu instid0(SALU_CYCLE_1)
	s_cmp_lt_u32 s2, s33
	s_cbranch_scc0 .LBB43_15
.LBB43_4:                               ; =>This Loop Header: Depth=1
                                        ;     Child Loop BB43_8 Depth 2
	s_and_not1_b32 vcc_lo, exec_lo, s37
	s_cbranch_vccnz .LBB43_3
; %bb.5:                                ;   in Loop: Header=BB43_4 Depth=1
	s_load_b32 s30, s[20:21], 0x4
	s_wait_kmcnt 0x0
	s_cvt_f32_u32 s28, s30
	s_sub_co_i32 s29, 0, s30
	s_delay_alu instid0(SALU_CYCLE_2) | instskip(SKIP_1) | instid1(TRANS32_DEP_1)
	v_rcp_iflag_f32_e32 v22, s28
	v_nop
	v_readfirstlane_b32 s28, v22
	s_mul_f32 s28, s28, 0x4f7ffffe
	s_delay_alu instid0(SALU_CYCLE_3) | instskip(NEXT) | instid1(SALU_CYCLE_3)
	s_cvt_u32_f32 s28, s28
	s_mul_i32 s29, s29, s28
	s_delay_alu instid0(SALU_CYCLE_1) | instskip(NEXT) | instid1(SALU_CYCLE_1)
	s_mul_hi_u32 s29, s28, s29
	s_add_co_i32 s28, s28, s29
	s_mov_b32 s29, s3
	s_delay_alu instid0(SALU_CYCLE_1) | instskip(NEXT) | instid1(SALU_CYCLE_1)
	s_mul_u64 s[28:29], s[10:11], s[28:29]
	s_mul_i32 s28, s29, s30
	s_add_co_i32 s31, s29, 1
	s_sub_co_i32 s28, s10, s28
	s_delay_alu instid0(SALU_CYCLE_1)
	s_sub_co_i32 s34, s28, s30
	s_cmp_ge_u32 s28, s30
	s_cselect_b32 s29, s31, s29
	s_cselect_b32 s28, s34, s28
	s_add_co_i32 s31, s29, 1
	s_cmp_ge_u32 s28, s30
	s_cselect_b32 s28, s31, s29
	s_delay_alu instid0(SALU_CYCLE_1) | instskip(NEXT) | instid1(SALU_CYCLE_1)
	s_mul_i32 s29, s28, s30
	s_sub_co_i32 s29, s10, s29
	s_delay_alu instid0(SALU_CYCLE_1) | instskip(SKIP_1) | instid1(SALU_CYCLE_1)
	s_cmp_lt_u32 s1, s29
	s_cselect_b32 s30, -1, 0
	s_cmp_lg_u32 s30, 0
	s_add_co_ci_u32 s30, s28, 0
	s_delay_alu instid0(SALU_CYCLE_1)
	s_cmp_eq_u32 s30, 0
	s_cbranch_scc1 .LBB43_3
; %bb.6:                                ;   in Loop: Header=BB43_4 Depth=1
	s_cmp_lt_i32 s30, 1
	s_cbranch_scc1 .LBB43_12
; %bb.7:                                ;   in Loop: Header=BB43_4 Depth=1
	v_cvt_f64_i32_e32 v[22:23], s1
	v_cvt_f64_u32_e32 v[24:25], s29
	s_mul_i32 s28, s28, s1
	v_mov_b32_e32 v44, 0
	v_cvt_f64_u32_e32 v[26:27], s28
	s_mul_u64 s[28:29], s[4:5], s[2:3]
	s_delay_alu instid0(SALU_CYCLE_1) | instskip(NEXT) | instid1(VALU_DEP_2)
	s_lshl_b64 s[28:29], s[28:29], 2
	v_dual_mov_b32 v45, v44 :: v_dual_mov_b32 v54, v44
	s_add_nc_u64 s[28:29], s[22:23], s[28:29]
	v_dual_mov_b32 v55, v44 :: v_dual_mov_b32 v46, v44
	v_dual_mov_b32 v47, v44 :: v_dual_mov_b32 v42, v44
	v_dual_max_num_f64 v[22:23], v[22:23], v[22:23] :: v_dual_mov_b32 v43, v44
	s_delay_alu instid0(VALU_DEP_1) | instskip(NEXT) | instid1(VALU_DEP_1)
	v_min_num_f64_e32 v[22:23], v[22:23], v[24:25]
	v_add_f64_e32 v[22:23], v[22:23], v[26:27]
	s_delay_alu instid0(VALU_DEP_1) | instskip(NEXT) | instid1(VALU_DEP_1)
	v_cvt_i32_f64_e32 v22, v[22:23]
	v_readfirstlane_b32 s31, v22
	s_lshl_b32 s34, s31, 7
	s_add_co_i32 s31, s30, -1
	s_ashr_i32 s35, s34, 31
	s_delay_alu instid0(SALU_CYCLE_1) | instskip(NEXT) | instid1(SALU_CYCLE_1)
	s_lshl_b64 s[34:35], s[34:35], 2
	s_add_nc_u64 s[28:29], s[28:29], s[34:35]
	s_delay_alu instid0(SALU_CYCLE_1) | instskip(SKIP_1) | instid1(SALU_CYCLE_1)
	v_lshl_add_u64 v[22:23], v[4:5], 2, s[28:29]
	s_mul_u64 s[28:29], s[12:13], s[2:3]
	s_add_nc_u64 s[28:29], s[28:29], s[34:35]
	s_delay_alu instid0(VALU_DEP_1) | instskip(SKIP_2) | instid1(VALU_DEP_3)
	v_lshl_add_u64 v[24:25], s[16:17], 2, v[22:23]
	v_add_nc_u64_e32 v[38:39], s[28:29], v[18:19]
	v_add_nc_u64_e32 v[40:41], s[28:29], v[20:21]
	;; [unrolled: 1-line block ×3, first 2 shown]
	s_delay_alu instid0(VALU_DEP_1) | instskip(NEXT) | instid1(VALU_DEP_1)
	v_add_nc_u64_e32 v[28:29], s[26:27], v[26:27]
	v_add_nc_u64_e32 v[30:31], s[26:27], v[28:29]
	s_delay_alu instid0(VALU_DEP_1) | instskip(NEXT) | instid1(VALU_DEP_1)
	v_add_nc_u64_e32 v[32:33], s[26:27], v[30:31]
	v_add_nc_u64_e32 v[34:35], s[26:27], v[32:33]
	s_delay_alu instid0(VALU_DEP_1)
	v_add_nc_u64_e32 v[36:37], s[26:27], v[34:35]
	s_clause 0x5
	global_load_b32 v56, v[22:23], off
	global_load_b32 v57, v[24:25], off
	;; [unrolled: 1-line block ×8, first 2 shown]
	s_wait_xcnt 0x7
	v_or_b32_e32 v22, 0x100, v2
	s_wait_xcnt 0x6
	v_dual_mov_b32 v25, s35 :: v_dual_bitop2_b32 v24, s34, v2 bitop3:0x54
	s_wait_xcnt 0x5
	v_mov_b32_e32 v27, s35
	s_wait_xcnt 0x4
	v_add_nc_u64_e32 v[28:29], s[28:29], v[8:9]
	v_or_b32_e32 v26, s34, v22
	s_wait_xcnt 0x3
	v_add_nc_u64_e32 v[30:31], s[28:29], v[10:11]
	v_mul_u64_e32 v[22:23], s[14:15], v[24:25]
	s_wait_xcnt 0x2
	v_add_nc_u64_e32 v[32:33], s[28:29], v[12:13]
	s_wait_xcnt 0x1
	v_add_nc_u64_e32 v[34:35], s[28:29], v[14:15]
	v_mul_u64_e32 v[24:25], s[14:15], v[26:27]
	v_add_nc_u64_e32 v[26:27], s[28:29], v[6:7]
	s_wait_xcnt 0x0
	v_add_nc_u64_e32 v[36:37], s[28:29], v[16:17]
	s_mul_u64 s[34:35], s[8:9], s[2:3]
	s_delay_alu instid0(SALU_CYCLE_1)
	s_add_nc_u64 s[28:29], s[6:7], s[34:35]
	s_mov_b32 s34, 0
.LBB43_8:                               ;   Parent Loop BB43_4 Depth=1
                                        ; =>  This Inner Loop Header: Depth=2
	s_wait_xcnt 0x0
	v_add_nc_u64_e32 v[68:69], v[26:27], v[2:3]
	s_wait_loadcnt 0x4
	v_dual_mov_b32 v78, v52 :: v_dual_mov_b32 v79, v53
	s_wait_loadcnt 0x2
	v_dual_mov_b32 v80, v50 :: v_dual_mov_b32 v81, v51
	;; [unrolled: 2-line block ×3, first 2 shown]
	v_add_nc_u64_e32 v[60:61], 0x100, v[68:69]
	global_load_b32 v58, v[68:69], off offset:256
	s_cmp_lg_u32 s31, s34
	v_add_nc_u64_e32 v[60:61], s[26:27], v[60:61]
	s_delay_alu instid0(VALU_DEP_1)
	v_add_nc_u64_e32 v[62:63], s[26:27], v[60:61]
	s_clause 0x1
	global_load_b32 v59, v[60:61], off
	global_load_b32 v60, v[62:63], off
	s_wait_xcnt 0x0
	v_add_nc_u64_e32 v[62:63], s[26:27], v[62:63]
	s_delay_alu instid0(VALU_DEP_1)
	v_add_nc_u64_e32 v[64:65], s[26:27], v[62:63]
	s_clause 0x1
	global_load_b32 v61, v[62:63], off
	global_load_b32 v62, v[64:65], off
	s_wait_xcnt 0x0
	;; [unrolled: 7-line block ×3, first 2 shown]
	v_add_nc_u64_e32 v[76:77], s[26:27], v[76:77]
	global_load_b32 v65, v[76:77], off
	s_wait_xcnt 0x0
	v_add_nc_u64_e32 v[76:77], s[28:29], v[22:23]
	global_load_b32 v66, v[76:77], off
	s_wait_xcnt 0x0
	v_dual_mov_b32 v76, v56 :: v_dual_mov_b32 v77, v57
	s_cbranch_scc0 .LBB43_10
; %bb.9:                                ;   in Loop: Header=BB43_8 Depth=2
	global_load_b32 v76, v[68:69], off offset:512
	s_wait_xcnt 0x0
	v_add_nc_u64_e32 v[68:69], v[28:29], v[2:3]
	global_load_b32 v77, v[68:69], off
	s_wait_xcnt 0x0
	v_add_nc_u64_e32 v[68:69], v[30:31], v[2:3]
	global_load_b32 v78, v[68:69], off
	;; [unrolled: 3-line block ×7, first 2 shown]
.LBB43_10:                              ;   in Loop: Header=BB43_8 Depth=2
	s_wait_xcnt 0x0
	v_add_nc_u64_e32 v[68:69], s[28:29], v[24:25]
	s_wait_loadcnt 0x0
	v_pk_fma_f32 v[44:45], v[56:57], v[66:67], v[44:45] op_sel_hi:[1,0,1]
	v_pk_fma_f32 v[52:53], v[52:53], v[66:67], v[54:55] op_sel_hi:[1,0,1]
	v_pk_fma_f32 v[46:47], v[50:51], v[66:67], v[46:47] op_sel_hi:[1,0,1]
	v_pk_fma_f32 v[42:43], v[48:49], v[66:67], v[42:43] op_sel_hi:[1,0,1]
	v_add_nc_u64_e32 v[26:27], 0x200, v[26:27]
	v_add_nc_u64_e32 v[28:29], 0x200, v[28:29]
	global_load_b32 v68, v[68:69], off
	v_add_nc_u64_e32 v[30:31], 0x200, v[30:31]
	v_add_nc_u64_e32 v[32:33], 0x200, v[32:33]
	;; [unrolled: 1-line block ×6, first 2 shown]
	s_add_co_i32 s34, s34, 1
	s_add_nc_u64 s[28:29], s[28:29], s[24:25]
	s_cmp_ge_i32 s34, s30
	s_wait_loadcnt 0x0
	v_pk_fma_f32 v[42:43], v[64:65], v[68:69], v[42:43] op_sel_hi:[1,0,1]
	v_pk_fma_f32 v[46:47], v[62:63], v[68:69], v[46:47] op_sel_hi:[1,0,1]
	;; [unrolled: 1-line block ×4, first 2 shown]
	s_cbranch_scc1 .LBB43_13
; %bb.11:                               ;   in Loop: Header=BB43_8 Depth=2
	v_dual_mov_b32 v56, v76 :: v_dual_mov_b32 v57, v77
	v_dual_mov_b32 v52, v78 :: v_dual_mov_b32 v53, v79
	;; [unrolled: 1-line block ×4, first 2 shown]
	s_branch .LBB43_8
.LBB43_12:                              ;   in Loop: Header=BB43_4 Depth=1
	v_mov_b32_e32 v43, 0
	s_delay_alu instid0(VALU_DEP_1)
	v_dual_mov_b32 v42, v43 :: v_dual_mov_b32 v47, v43
	v_dual_mov_b32 v46, v43 :: v_dual_mov_b32 v55, v43
	;; [unrolled: 1-line block ×3, first 2 shown]
	v_mov_b32_e32 v44, v43
.LBB43_13:                              ;   in Loop: Header=BB43_4 Depth=1
	ds_store_2addr_stride64_b32 v74, v44, v45 offset1:1
	ds_store_2addr_stride64_b32 v74, v54, v55 offset0:2 offset1:3
	ds_store_2addr_stride64_b32 v74, v46, v47 offset0:4 offset1:5
	ds_store_b32 v74, v42 offset:1536
	ds_store_b32 v75, v43
	s_wait_storecnt_dscnt 0x0
	s_barrier_signal -1
	s_barrier_wait -1
	s_wait_xcnt 0x0
	s_and_saveexec_b32 s28, s0
	s_cbranch_execz .LBB43_2
; %bb.14:                               ;   in Loop: Header=BB43_4 Depth=1
	s_clause 0x7
	scratch_load_b32 v23, off, off
	scratch_load_b32 v24, off, off offset:4
	scratch_load_b32 v25, off, off offset:8
	;; [unrolled: 1-line block ×7, first 2 shown]
	ds_load_b32 v22, v73
	s_mul_u64 s[30:31], s[18:19], s[2:3]
	s_wait_dscnt 0x0
	v_add_f32_e32 v22, 0, v22
	s_wait_loadcnt 0x7
	ds_load_b32 v23, v23
	s_wait_loadcnt 0x6
	ds_load_b32 v24, v24
	;; [unrolled: 2-line block ×8, first 2 shown]
	s_wait_dscnt 0x7
	v_add_f32_e32 v22, v22, v23
	scratch_load_b32 v23, off, off offset:28 ; 4-byte Folded Reload
	s_wait_dscnt 0x6
	v_add_f32_e32 v22, v22, v24
	scratch_load_b32 v24, off, off offset:32 ; 4-byte Folded Reload
	;; [unrolled: 3-line block ×7, first 2 shown]
	s_wait_loadcnt 0x6
	ds_load_b32 v23, v23
	s_wait_loadcnt 0x5
	ds_load_b32 v24, v24
	;; [unrolled: 2-line block ×7, first 2 shown]
	s_wait_dscnt 0x6
	v_add_f32_e32 v22, v22, v23
	ds_load_b32 v23, v84
	s_wait_dscnt 0x6
	v_add_f32_e32 v22, v22, v24
	ds_load_b32 v24, v85
	;; [unrolled: 3-line block ×3, first 2 shown]
	s_wait_dscnt 0x6
	v_add_f32_e32 v22, v22, v26
	s_wait_dscnt 0x5
	s_delay_alu instid0(VALU_DEP_1) | instskip(SKIP_1) | instid1(VALU_DEP_1)
	v_add_f32_e32 v22, v22, v27
	s_wait_dscnt 0x4
	v_add_f32_e32 v22, v22, v28
	s_wait_dscnt 0x3
	s_delay_alu instid0(VALU_DEP_1) | instskip(NEXT) | instid1(VALU_DEP_1)
	v_add_f32_e32 v22, v22, v29
	v_add_f32_e32 v22, v22, v30
	ds_load_b32 v26, v87
	ds_load_b32 v27, v88
	ds_load_b32 v28, v89
	ds_load_b32 v29, v90
	ds_load_b32 v30, v91
	s_wait_dscnt 0x7
	v_add_f32_e32 v22, v22, v23
	ds_load_b32 v23, v92
	s_wait_dscnt 0x7
	v_add_f32_e32 v22, v22, v24
	ds_load_b32 v24, v93
	s_wait_dscnt 0x7
	v_add_f32_e32 v22, v22, v25
	ds_load_b32 v25, v94
	s_wait_dscnt 0x7
	v_add_f32_e32 v22, v22, v26
	s_wait_dscnt 0x6
	s_delay_alu instid0(VALU_DEP_1) | instskip(SKIP_1) | instid1(VALU_DEP_1)
	v_add_f32_e32 v22, v22, v27
	s_wait_dscnt 0x5
	v_add_f32_e32 v22, v22, v28
	s_wait_dscnt 0x4
	s_delay_alu instid0(VALU_DEP_1) | instskip(SKIP_1) | instid1(VALU_DEP_1)
	v_add_f32_e32 v22, v22, v29
	s_wait_dscnt 0x3
	v_add_f32_e32 v22, v22, v30
	ds_load_b32 v26, v95
	ds_load_b32 v27, v96
	ds_load_b32 v28, v97
	ds_load_b32 v29, v98
	ds_load_b32 v30, v99
	s_wait_dscnt 0x7
	v_add_f32_e32 v22, v22, v23
	ds_load_b32 v23, v100
	s_wait_dscnt 0x7
	v_add_f32_e32 v22, v22, v24
	ds_load_b32 v24, v101
	s_wait_dscnt 0x7
	v_add_f32_e32 v22, v22, v25
	ds_load_b32 v25, v102
	s_wait_dscnt 0x7
	v_add_f32_e32 v22, v22, v26
	s_wait_dscnt 0x6
	s_delay_alu instid0(VALU_DEP_1) | instskip(SKIP_1) | instid1(VALU_DEP_1)
	v_add_f32_e32 v22, v22, v27
	s_wait_dscnt 0x5
	v_add_f32_e32 v22, v22, v28
	s_wait_dscnt 0x4
	s_delay_alu instid0(VALU_DEP_1) | instskip(SKIP_1) | instid1(VALU_DEP_1)
	v_add_f32_e32 v22, v22, v29
	s_wait_dscnt 0x3
	;; [unrolled: 26-line block ×5, first 2 shown]
	v_add_f32_e32 v22, v22, v30
	ds_load_b32 v26, v127
	ds_load_b32 v27, v67
	;; [unrolled: 1-line block ×5, first 2 shown]
	s_wait_dscnt 0x7
	v_add_f32_e32 v22, v22, v23
	s_wait_dscnt 0x6
	s_delay_alu instid0(VALU_DEP_1) | instskip(SKIP_1) | instid1(VALU_DEP_1)
	v_add_f32_e32 v22, v22, v24
	s_wait_dscnt 0x5
	v_add_f32_e32 v22, v22, v25
	s_wait_dscnt 0x4
	s_delay_alu instid0(VALU_DEP_1) | instskip(SKIP_1) | instid1(VALU_DEP_1)
	v_add_f32_e32 v22, v22, v26
	;; [unrolled: 5-line block ×3, first 2 shown]
	s_wait_dscnt 0x1
	v_add_f32_e32 v22, v22, v29
	s_wait_dscnt 0x0
	s_delay_alu instid0(VALU_DEP_1) | instskip(SKIP_1) | instid1(VALU_DEP_2)
	v_add_f32_e32 v24, v22, v30
	v_lshl_add_u64 v[22:23], s[30:31], 2, v[0:1]
	v_mul_f32_e32 v24, s36, v24
	global_atomic_add_f32 v[22:23], v24, off scope:SCOPE_DEV
	s_branch .LBB43_2
.LBB43_15:
	s_sendmsg sendmsg(MSG_DEALLOC_VGPRS)
	s_endpgm
	.section	.rodata,"a",@progbits
	.p2align	6, 0x0
	.amdhsa_kernel _ZL36rocblas_gemvt_double_buffered_kernelILb1ELi128ELi8ELi8EfffEviiT4_lPKT3_lilS3_lilPT5_lili
		.amdhsa_group_segment_fixed_size 32768
		.amdhsa_private_segment_fixed_size 64
		.amdhsa_kernarg_size 384
		.amdhsa_user_sgpr_count 2
		.amdhsa_user_sgpr_dispatch_ptr 0
		.amdhsa_user_sgpr_queue_ptr 0
		.amdhsa_user_sgpr_kernarg_segment_ptr 1
		.amdhsa_user_sgpr_dispatch_id 0
		.amdhsa_user_sgpr_kernarg_preload_length 0
		.amdhsa_user_sgpr_kernarg_preload_offset 0
		.amdhsa_user_sgpr_private_segment_size 0
		.amdhsa_wavefront_size32 1
		.amdhsa_uses_dynamic_stack 0
		.amdhsa_enable_private_segment 1
		.amdhsa_system_sgpr_workgroup_id_x 1
		.amdhsa_system_sgpr_workgroup_id_y 1
		.amdhsa_system_sgpr_workgroup_id_z 1
		.amdhsa_system_sgpr_workgroup_info 0
		.amdhsa_system_vgpr_workitem_id 1
		.amdhsa_next_free_vgpr 128
		.amdhsa_next_free_sgpr 40
		.amdhsa_named_barrier_count 0
		.amdhsa_reserve_vcc 1
		.amdhsa_float_round_mode_32 0
		.amdhsa_float_round_mode_16_64 0
		.amdhsa_float_denorm_mode_32 3
		.amdhsa_float_denorm_mode_16_64 3
		.amdhsa_fp16_overflow 0
		.amdhsa_memory_ordered 1
		.amdhsa_forward_progress 1
		.amdhsa_inst_pref_size 39
		.amdhsa_round_robin_scheduling 0
		.amdhsa_exception_fp_ieee_invalid_op 0
		.amdhsa_exception_fp_denorm_src 0
		.amdhsa_exception_fp_ieee_div_zero 0
		.amdhsa_exception_fp_ieee_overflow 0
		.amdhsa_exception_fp_ieee_underflow 0
		.amdhsa_exception_fp_ieee_inexact 0
		.amdhsa_exception_int_div_zero 0
	.end_amdhsa_kernel
	.section	.text._ZL36rocblas_gemvt_double_buffered_kernelILb1ELi128ELi8ELi8EfffEviiT4_lPKT3_lilS3_lilPT5_lili,"axG",@progbits,_ZL36rocblas_gemvt_double_buffered_kernelILb1ELi128ELi8ELi8EfffEviiT4_lPKT3_lilS3_lilPT5_lili,comdat
.Lfunc_end43:
	.size	_ZL36rocblas_gemvt_double_buffered_kernelILb1ELi128ELi8ELi8EfffEviiT4_lPKT3_lilS3_lilPT5_lili, .Lfunc_end43-_ZL36rocblas_gemvt_double_buffered_kernelILb1ELi128ELi8ELi8EfffEviiT4_lPKT3_lilS3_lilPT5_lili
                                        ; -- End function
	.set _ZL36rocblas_gemvt_double_buffered_kernelILb1ELi128ELi8ELi8EfffEviiT4_lPKT3_lilS3_lilPT5_lili.num_vgpr, 128
	.set _ZL36rocblas_gemvt_double_buffered_kernelILb1ELi128ELi8ELi8EfffEviiT4_lPKT3_lilS3_lilPT5_lili.num_agpr, 0
	.set _ZL36rocblas_gemvt_double_buffered_kernelILb1ELi128ELi8ELi8EfffEviiT4_lPKT3_lilS3_lilPT5_lili.numbered_sgpr, 40
	.set _ZL36rocblas_gemvt_double_buffered_kernelILb1ELi128ELi8ELi8EfffEviiT4_lPKT3_lilS3_lilPT5_lili.num_named_barrier, 0
	.set _ZL36rocblas_gemvt_double_buffered_kernelILb1ELi128ELi8ELi8EfffEviiT4_lPKT3_lilS3_lilPT5_lili.private_seg_size, 64
	.set _ZL36rocblas_gemvt_double_buffered_kernelILb1ELi128ELi8ELi8EfffEviiT4_lPKT3_lilS3_lilPT5_lili.uses_vcc, 1
	.set _ZL36rocblas_gemvt_double_buffered_kernelILb1ELi128ELi8ELi8EfffEviiT4_lPKT3_lilS3_lilPT5_lili.uses_flat_scratch, 1
	.set _ZL36rocblas_gemvt_double_buffered_kernelILb1ELi128ELi8ELi8EfffEviiT4_lPKT3_lilS3_lilPT5_lili.has_dyn_sized_stack, 0
	.set _ZL36rocblas_gemvt_double_buffered_kernelILb1ELi128ELi8ELi8EfffEviiT4_lPKT3_lilS3_lilPT5_lili.has_recursion, 0
	.set _ZL36rocblas_gemvt_double_buffered_kernelILb1ELi128ELi8ELi8EfffEviiT4_lPKT3_lilS3_lilPT5_lili.has_indirect_call, 0
	.section	.AMDGPU.csdata,"",@progbits
; Kernel info:
; codeLenInByte = 4916
; TotalNumSgprs: 42
; NumVgprs: 128
; ScratchSize: 64
; MemoryBound: 0
; FloatMode: 240
; IeeeMode: 1
; LDSByteSize: 32768 bytes/workgroup (compile time only)
; SGPRBlocks: 0
; VGPRBlocks: 7
; NumSGPRsForWavesPerEU: 42
; NumVGPRsForWavesPerEU: 128
; NamedBarCnt: 0
; Occupancy: 8
; WaveLimiterHint : 0
; COMPUTE_PGM_RSRC2:SCRATCH_EN: 1
; COMPUTE_PGM_RSRC2:USER_SGPR: 2
; COMPUTE_PGM_RSRC2:TRAP_HANDLER: 0
; COMPUTE_PGM_RSRC2:TGID_X_EN: 1
; COMPUTE_PGM_RSRC2:TGID_Y_EN: 1
; COMPUTE_PGM_RSRC2:TGID_Z_EN: 1
; COMPUTE_PGM_RSRC2:TIDIG_COMP_CNT: 1
	.section	.text._ZL20rocblas_gemvt_kernelILb1ELi256EfPKffEviiT2_lPKT1_lilS5_lilS2_lPT3_lili,"axG",@progbits,_ZL20rocblas_gemvt_kernelILb1ELi256EfPKffEviiT2_lPKT1_lilS5_lilS2_lPT3_lili,comdat
	.globl	_ZL20rocblas_gemvt_kernelILb1ELi256EfPKffEviiT2_lPKT1_lilS5_lilS2_lPT3_lili ; -- Begin function _ZL20rocblas_gemvt_kernelILb1ELi256EfPKffEviiT2_lPKT1_lilS5_lilS2_lPT3_lili
	.p2align	8
	.type	_ZL20rocblas_gemvt_kernelILb1ELi256EfPKffEviiT2_lPKT1_lilS5_lilS2_lPT3_lili,@function
_ZL20rocblas_gemvt_kernelILb1ELi256EfPKffEviiT2_lPKT1_lilS5_lilS2_lPT3_lili: ; @_ZL20rocblas_gemvt_kernelILb1ELi256EfPKffEviiT2_lPKT1_lilS5_lilS2_lPT3_lili
; %bb.0:
	s_load_b32 s33, s[0:1], 0x88
	s_bfe_u32 s2, ttmp6, 0x40014
	s_lshr_b32 s3, ttmp7, 16
	s_add_co_i32 s2, s2, 1
	s_bfe_u32 s4, ttmp6, 0x40008
	s_mul_i32 s2, s3, s2
	s_getreg_b32 s7, hwreg(HW_REG_IB_STS2, 6, 4)
	s_add_co_i32 s4, s4, s2
	s_cmp_eq_u32 s7, 0
	s_mov_b32 s35, 0
	s_cselect_b32 s34, s3, s4
	s_wait_kmcnt 0x0
	s_cmp_ge_u32 s34, s33
	s_cbranch_scc1 .LBB44_41
; %bb.1:
	s_clause 0x4
	s_load_b32 s2, s[0:1], 0x28
	s_load_b96 s[4:6], s[0:1], 0x40
	s_load_b96 s[8:10], s[0:1], 0x70
	s_load_b256 s[12:19], s[0:1], 0x8
	s_load_b32 s46, s[0:1], 0x0
	s_bfe_u32 s3, ttmp6, 0x4000c
	s_and_b32 s11, ttmp6, 15
	s_add_co_i32 s3, s3, 1
	s_load_b128 s[28:31], s[0:1], 0x30
	s_mul_i32 s3, ttmp9, s3
	s_load_b64 s[36:37], s[0:1], 0x80
	s_add_co_i32 s11, s11, s3
	s_load_b256 s[20:27], s[0:1], 0x50
	v_lshlrev_b32_e32 v14, 2, v0
	s_wait_kmcnt 0x0
	s_ashr_i32 s3, s2, 31
	s_ashr_i32 s39, s6, 31
	;; [unrolled: 1-line block ×3, first 2 shown]
	s_lshl_b64 s[4:5], s[4:5], 2
	s_lshl_b64 s[8:9], s[8:9], 2
	;; [unrolled: 1-line block ×3, first 2 shown]
	s_cmp_eq_u32 s7, 0
	s_mov_b32 s38, s6
	s_cselect_b32 s44, ttmp9, s11
	s_ashr_i32 s7, s46, 31
	v_cmp_gt_i32_e32 vcc_lo, s46, v0
	s_lshr_b32 s0, s7, 24
	s_ashr_i32 s45, s44, 31
	s_add_co_i32 s0, s46, s0
	s_mul_u64 s[2:3], s[2:3], s[44:45]
	s_and_b32 s18, s0, 0xffffff00
	s_delay_alu instid0(SALU_CYCLE_1) | instskip(SKIP_3) | instid1(VALU_DEP_1)
	v_dual_mov_b32 v3, 0 :: v_dual_bitop2_b32 v8, s18, v0 bitop3:0x54
	s_add_nc_u64 s[0:1], s[16:17], s[42:43]
	s_add_nc_u64 s[26:27], s[26:27], s[8:9]
	s_lshl_b64 s[8:9], s[2:3], 2
	v_dual_mov_b32 v1, v3 :: v_dual_ashrrev_i32 v9, 31, v8
	s_mov_b32 s40, s10
	s_add_nc_u64 s[10:11], s[30:31], s[4:5]
	s_add_nc_u64 s[30:31], s[8:9], s[42:43]
	s_delay_alu instid0(VALU_DEP_1)
	v_mul_u64_e32 v[10:11], s[38:39], v[0:1]
	v_mul_u64_e32 v[4:5], s[38:39], v[8:9]
	v_cndmask_b32_e32 v1, 0, v0, vcc_lo
	s_add_nc_u64 s[16:17], s[16:17], s[30:31]
	v_cmp_gt_u32_e64 s2, 0x80, v0
	v_cmp_gt_u32_e64 s3, 64, v0
	;; [unrolled: 1-line block ×3, first 2 shown]
	v_lshlrev_b32_e32 v2, 2, v1
	v_cmp_gt_u32_e64 s5, 16, v0
	v_cmp_gt_u32_e64 s6, 8, v0
	;; [unrolled: 1-line block ×3, first 2 shown]
	s_mul_u64 s[40:41], s[40:41], s[44:45]
	v_add_nc_u64_e32 v[6:7], s[0:1], v[2:3]
	v_cmp_gt_i32_e64 s1, s46, v8
	v_add_nc_u64_e32 v[8:9], s[16:17], v[2:3]
	v_cmp_eq_u32_e64 s0, 0, v0
	s_cmp_gt_i32 s46, 0xff
	s_cselect_b32 s44, -1, 0
	v_add_nc_u64_e32 v[6:7], s[8:9], v[6:7]
	v_cmp_gt_u32_e64 s8, 2, v0
	s_ashr_i32 s19, s18, 31
	s_lshl_b64 s[16:17], s[20:21], 2
	s_lshl_b64 s[30:31], s[38:39], 10
	;; [unrolled: 1-line block ×4, first 2 shown]
	v_lshl_add_u64 v[0:1], v[10:11], 2, s[10:11]
	s_branch .LBB44_4
.LBB44_2:                               ;   in Loop: Header=BB44_4 Depth=1
	s_wait_xcnt 0x0
	s_or_b32 exec_lo, exec_lo, s45
.LBB44_3:                               ;   in Loop: Header=BB44_4 Depth=1
	s_add_co_i32 s34, s34, 0x10000
	s_delay_alu instid0(SALU_CYCLE_1)
	s_cmp_lt_u32 s34, s33
	s_cbranch_scc0 .LBB44_41
.LBB44_4:                               ; =>This Loop Header: Depth=1
                                        ;     Child Loop BB44_15 Depth 2
	s_wait_xcnt 0x1
	s_mul_u64 s[42:43], s[14:15], s[34:35]
	s_wait_xcnt 0x0
	s_mul_u64 s[46:47], s[24:25], s[34:35]
	s_lshl_b64 s[42:43], s[42:43], 2
	s_lshl_b64 s[46:47], s[46:47], 2
	s_add_nc_u64 s[42:43], s[12:13], s[42:43]
	s_add_nc_u64 s[46:47], s[22:23], s[46:47]
	s_clause 0x1
	global_load_b32 v15, v3, s[42:43]
	global_load_b32 v2, v3, s[46:47]
	s_wait_loadcnt 0x1
	v_cmp_eq_f32_e32 vcc_lo, 0, v15
	s_wait_loadcnt 0x0
	v_cmp_eq_f32_e64 s9, 1.0, v2
	s_and_b32 s9, vcc_lo, s9
	s_delay_alu instid0(SALU_CYCLE_1)
	s_and_b32 vcc_lo, exec_lo, s9
	s_cbranch_vccnz .LBB44_3
; %bb.5:                                ;   in Loop: Header=BB44_4 Depth=1
	v_cmp_neq_f32_e32 vcc_lo, 0, v15
	s_wait_xcnt 0x1
	s_mul_u64 s[42:43], s[36:37], s[34:35]
	s_delay_alu instid0(SALU_CYCLE_1) | instskip(NEXT) | instid1(SALU_CYCLE_1)
	s_lshl_b64 s[42:43], s[42:43], 2
	s_add_nc_u64 s[42:43], s[26:27], s[42:43]
	s_cbranch_vccnz .LBB44_9
; %bb.6:                                ;   in Loop: Header=BB44_4 Depth=1
	s_mov_b32 s45, 0
	s_mov_b32 s9, 0
                                        ; implicit-def: $vgpr10
	s_wait_xcnt 0x0
	s_and_saveexec_b32 s46, s0
	s_cbranch_execz .LBB44_10
; %bb.7:                                ;   in Loop: Header=BB44_4 Depth=1
	v_cmp_eq_f32_e32 vcc_lo, 0, v2
	s_cbranch_vccnz .LBB44_11
; %bb.8:                                ;   in Loop: Header=BB44_4 Depth=1
	s_add_nc_u64 s[48:49], s[42:43], s[40:41]
	global_load_b32 v10, v3, s[48:49]
	s_wait_loadcnt 0x0
	v_mul_f32_e32 v10, v2, v10
	s_branch .LBB44_12
.LBB44_9:                               ;   in Loop: Header=BB44_4 Depth=1
	s_mov_b32 s9, 0
                                        ; implicit-def: $vgpr10
	s_cbranch_execnz .LBB44_13
	s_branch .LBB44_39
.LBB44_10:                              ;   in Loop: Header=BB44_4 Depth=1
	s_or_b32 exec_lo, exec_lo, s46
	s_delay_alu instid0(SALU_CYCLE_1)
	s_and_b32 vcc_lo, exec_lo, s45
	s_cbranch_vccnz .LBB44_13
	s_branch .LBB44_39
.LBB44_11:                              ;   in Loop: Header=BB44_4 Depth=1
	v_mov_b32_e32 v10, 0
.LBB44_12:                              ;   in Loop: Header=BB44_4 Depth=1
	s_mov_b32 s9, exec_lo
	s_wait_xcnt 0x0
	s_or_b32 exec_lo, exec_lo, s46
	s_delay_alu instid0(SALU_CYCLE_1)
	s_and_b32 vcc_lo, exec_lo, s45
	s_cbranch_vccz .LBB44_39
.LBB44_13:                              ;   in Loop: Header=BB44_4 Depth=1
	v_mov_b32_e32 v16, 0
	s_and_not1_b32 vcc_lo, exec_lo, s44
	s_cbranch_vccnz .LBB44_16
; %bb.14:                               ;   in Loop: Header=BB44_4 Depth=1
	v_mad_nc_u64_u32 v[10:11], s16, s34, v[0:1]
	v_mad_nc_u64_u32 v[12:13], s38, s34, v[8:9]
	v_mov_b32_e32 v16, 0
	s_mov_b32 s45, 0
	s_delay_alu instid0(VALU_DEP_3) | instskip(NEXT) | instid1(VALU_DEP_3)
	v_mad_u32 v11, s17, s34, v11
	v_mad_u32 v13, s39, s34, v13
.LBB44_15:                              ;   Parent Loop BB44_4 Depth=1
                                        ; =>  This Inner Loop Header: Depth=2
	global_load_b32 v17, v[12:13], off
	global_load_b32 v18, v[10:11], off
	s_wait_xcnt 0x0
	v_add_nc_u64_e32 v[10:11], s[30:31], v[10:11]
	v_add_nc_u64_e32 v[12:13], 0x400, v[12:13]
	s_addk_co_i32 s45, 0x100
	s_delay_alu instid0(SALU_CYCLE_1)
	s_cmp_ge_i32 s45, s18
	s_wait_loadcnt 0x0
	v_fmac_f32_e32 v16, v17, v18
	s_cbranch_scc0 .LBB44_15
.LBB44_16:                              ;   in Loop: Header=BB44_4 Depth=1
	s_wait_xcnt 0x0
	s_and_saveexec_b32 s45, s1
	s_cbranch_execz .LBB44_18
; %bb.17:                               ;   in Loop: Header=BB44_4 Depth=1
	s_mul_u64 s[46:47], s[28:29], s[34:35]
	s_mul_u64 s[48:49], s[20:21], s[34:35]
	v_lshl_add_u64 v[10:11], s[46:47], 2, v[6:7]
	s_lshl_b64 s[46:47], s[48:49], 2
	s_delay_alu instid0(SALU_CYCLE_1) | instskip(NEXT) | instid1(SALU_CYCLE_1)
	s_add_nc_u64 s[46:47], s[10:11], s[46:47]
	v_lshl_add_u64 v[12:13], v[4:5], 2, s[46:47]
	s_delay_alu instid0(VALU_DEP_2)
	v_lshl_add_u64 v[10:11], s[18:19], 2, v[10:11]
	global_load_b32 v17, v[10:11], off
	global_load_b32 v18, v[12:13], off
	s_wait_loadcnt 0x0
	v_fmac_f32_e32 v16, v17, v18
.LBB44_18:                              ;   in Loop: Header=BB44_4 Depth=1
	s_wait_xcnt 0x0
	s_or_b32 exec_lo, exec_lo, s45
	ds_store_b32 v14, v16
	s_wait_dscnt 0x0
	s_barrier_signal -1
	s_barrier_wait -1
	s_and_saveexec_b32 s45, s2
	s_cbranch_execz .LBB44_20
; %bb.19:                               ;   in Loop: Header=BB44_4 Depth=1
	ds_load_2addr_stride64_b32 v[10:11], v14 offset1:2
	s_wait_dscnt 0x0
	v_add_f32_e32 v10, v11, v10
	ds_store_b32 v14, v10
.LBB44_20:                              ;   in Loop: Header=BB44_4 Depth=1
	s_or_b32 exec_lo, exec_lo, s45
	s_wait_dscnt 0x0
	s_barrier_signal -1
	s_barrier_wait -1
	s_and_saveexec_b32 s45, s3
	s_cbranch_execz .LBB44_22
; %bb.21:                               ;   in Loop: Header=BB44_4 Depth=1
	ds_load_2addr_stride64_b32 v[10:11], v14 offset1:1
	s_wait_dscnt 0x0
	v_add_f32_e32 v10, v11, v10
	ds_store_b32 v14, v10
.LBB44_22:                              ;   in Loop: Header=BB44_4 Depth=1
	s_or_b32 exec_lo, exec_lo, s45
	s_wait_dscnt 0x0
	s_barrier_signal -1
	s_barrier_wait -1
	s_and_saveexec_b32 s45, s4
	s_cbranch_execz .LBB44_24
; %bb.23:                               ;   in Loop: Header=BB44_4 Depth=1
	ds_load_2addr_b32 v[10:11], v14 offset1:32
	s_wait_dscnt 0x0
	v_add_f32_e32 v10, v11, v10
	ds_store_b32 v14, v10
.LBB44_24:                              ;   in Loop: Header=BB44_4 Depth=1
	s_or_b32 exec_lo, exec_lo, s45
	s_wait_dscnt 0x0
	s_barrier_signal -1
	s_barrier_wait -1
	s_and_saveexec_b32 s45, s5
	s_cbranch_execz .LBB44_26
; %bb.25:                               ;   in Loop: Header=BB44_4 Depth=1
	ds_load_2addr_b32 v[10:11], v14 offset1:16
	s_wait_dscnt 0x0
	v_add_f32_e32 v10, v11, v10
	ds_store_b32 v14, v10
.LBB44_26:                              ;   in Loop: Header=BB44_4 Depth=1
	;; [unrolled: 12-line block ×5, first 2 shown]
	s_or_b32 exec_lo, exec_lo, s45
	s_wait_dscnt 0x0
	s_barrier_signal -1
	s_barrier_wait -1
	s_and_saveexec_b32 s45, s0
	s_cbranch_execz .LBB44_34
; %bb.33:                               ;   in Loop: Header=BB44_4 Depth=1
	ds_load_b64 v[10:11], v3
	s_wait_dscnt 0x0
	v_add_f32_e32 v10, v11, v10
	ds_store_b32 v3, v10
.LBB44_34:                              ;   in Loop: Header=BB44_4 Depth=1
	s_or_b32 exec_lo, exec_lo, s45
	s_wait_dscnt 0x0
	s_barrier_signal -1
	s_barrier_wait -1
                                        ; implicit-def: $vgpr10
	s_and_saveexec_b32 s45, s0
	s_cbranch_execz .LBB44_38
; %bb.35:                               ;   in Loop: Header=BB44_4 Depth=1
	ds_load_b32 v10, v3
	v_cmp_eq_f32_e32 vcc_lo, 0, v2
	s_wait_dscnt 0x0
	v_mul_f32_e32 v10, v15, v10
	s_cbranch_vccnz .LBB44_37
; %bb.36:                               ;   in Loop: Header=BB44_4 Depth=1
	s_add_nc_u64 s[46:47], s[42:43], s[40:41]
	global_load_b32 v11, v3, s[46:47]
	s_wait_loadcnt 0x0
	v_fmac_f32_e32 v10, v2, v11
.LBB44_37:                              ;   in Loop: Header=BB44_4 Depth=1
	s_or_b32 s9, s9, exec_lo
.LBB44_38:                              ;   in Loop: Header=BB44_4 Depth=1
	s_wait_xcnt 0x0
	s_or_b32 exec_lo, exec_lo, s45
.LBB44_39:                              ;   in Loop: Header=BB44_4 Depth=1
	s_wait_xcnt 0x0
	s_and_saveexec_b32 s45, s9
	s_cbranch_execz .LBB44_2
; %bb.40:                               ;   in Loop: Header=BB44_4 Depth=1
	s_add_nc_u64 s[42:43], s[42:43], s[40:41]
	global_store_b32 v3, v10, s[42:43]
	s_branch .LBB44_2
.LBB44_41:
	s_endpgm
	.section	.rodata,"a",@progbits
	.p2align	6, 0x0
	.amdhsa_kernel _ZL20rocblas_gemvt_kernelILb1ELi256EfPKffEviiT2_lPKT1_lilS5_lilS2_lPT3_lili
		.amdhsa_group_segment_fixed_size 1024
		.amdhsa_private_segment_fixed_size 0
		.amdhsa_kernarg_size 140
		.amdhsa_user_sgpr_count 2
		.amdhsa_user_sgpr_dispatch_ptr 0
		.amdhsa_user_sgpr_queue_ptr 0
		.amdhsa_user_sgpr_kernarg_segment_ptr 1
		.amdhsa_user_sgpr_dispatch_id 0
		.amdhsa_user_sgpr_kernarg_preload_length 0
		.amdhsa_user_sgpr_kernarg_preload_offset 0
		.amdhsa_user_sgpr_private_segment_size 0
		.amdhsa_wavefront_size32 1
		.amdhsa_uses_dynamic_stack 0
		.amdhsa_enable_private_segment 0
		.amdhsa_system_sgpr_workgroup_id_x 1
		.amdhsa_system_sgpr_workgroup_id_y 0
		.amdhsa_system_sgpr_workgroup_id_z 1
		.amdhsa_system_sgpr_workgroup_info 0
		.amdhsa_system_vgpr_workitem_id 0
		.amdhsa_next_free_vgpr 19
		.amdhsa_next_free_sgpr 50
		.amdhsa_named_barrier_count 0
		.amdhsa_reserve_vcc 1
		.amdhsa_float_round_mode_32 0
		.amdhsa_float_round_mode_16_64 0
		.amdhsa_float_denorm_mode_32 3
		.amdhsa_float_denorm_mode_16_64 3
		.amdhsa_fp16_overflow 0
		.amdhsa_memory_ordered 1
		.amdhsa_forward_progress 1
		.amdhsa_inst_pref_size 12
		.amdhsa_round_robin_scheduling 0
		.amdhsa_exception_fp_ieee_invalid_op 0
		.amdhsa_exception_fp_denorm_src 0
		.amdhsa_exception_fp_ieee_div_zero 0
		.amdhsa_exception_fp_ieee_overflow 0
		.amdhsa_exception_fp_ieee_underflow 0
		.amdhsa_exception_fp_ieee_inexact 0
		.amdhsa_exception_int_div_zero 0
	.end_amdhsa_kernel
	.section	.text._ZL20rocblas_gemvt_kernelILb1ELi256EfPKffEviiT2_lPKT1_lilS5_lilS2_lPT3_lili,"axG",@progbits,_ZL20rocblas_gemvt_kernelILb1ELi256EfPKffEviiT2_lPKT1_lilS5_lilS2_lPT3_lili,comdat
.Lfunc_end44:
	.size	_ZL20rocblas_gemvt_kernelILb1ELi256EfPKffEviiT2_lPKT1_lilS5_lilS2_lPT3_lili, .Lfunc_end44-_ZL20rocblas_gemvt_kernelILb1ELi256EfPKffEviiT2_lPKT1_lilS5_lilS2_lPT3_lili
                                        ; -- End function
	.set _ZL20rocblas_gemvt_kernelILb1ELi256EfPKffEviiT2_lPKT1_lilS5_lilS2_lPT3_lili.num_vgpr, 19
	.set _ZL20rocblas_gemvt_kernelILb1ELi256EfPKffEviiT2_lPKT1_lilS5_lilS2_lPT3_lili.num_agpr, 0
	.set _ZL20rocblas_gemvt_kernelILb1ELi256EfPKffEviiT2_lPKT1_lilS5_lilS2_lPT3_lili.numbered_sgpr, 50
	.set _ZL20rocblas_gemvt_kernelILb1ELi256EfPKffEviiT2_lPKT1_lilS5_lilS2_lPT3_lili.num_named_barrier, 0
	.set _ZL20rocblas_gemvt_kernelILb1ELi256EfPKffEviiT2_lPKT1_lilS5_lilS2_lPT3_lili.private_seg_size, 0
	.set _ZL20rocblas_gemvt_kernelILb1ELi256EfPKffEviiT2_lPKT1_lilS5_lilS2_lPT3_lili.uses_vcc, 1
	.set _ZL20rocblas_gemvt_kernelILb1ELi256EfPKffEviiT2_lPKT1_lilS5_lilS2_lPT3_lili.uses_flat_scratch, 0
	.set _ZL20rocblas_gemvt_kernelILb1ELi256EfPKffEviiT2_lPKT1_lilS5_lilS2_lPT3_lili.has_dyn_sized_stack, 0
	.set _ZL20rocblas_gemvt_kernelILb1ELi256EfPKffEviiT2_lPKT1_lilS5_lilS2_lPT3_lili.has_recursion, 0
	.set _ZL20rocblas_gemvt_kernelILb1ELi256EfPKffEviiT2_lPKT1_lilS5_lilS2_lPT3_lili.has_indirect_call, 0
	.section	.AMDGPU.csdata,"",@progbits
; Kernel info:
; codeLenInByte = 1444
; TotalNumSgprs: 52
; NumVgprs: 19
; ScratchSize: 0
; MemoryBound: 0
; FloatMode: 240
; IeeeMode: 1
; LDSByteSize: 1024 bytes/workgroup (compile time only)
; SGPRBlocks: 0
; VGPRBlocks: 1
; NumSGPRsForWavesPerEU: 52
; NumVGPRsForWavesPerEU: 19
; NamedBarCnt: 0
; Occupancy: 16
; WaveLimiterHint : 0
; COMPUTE_PGM_RSRC2:SCRATCH_EN: 0
; COMPUTE_PGM_RSRC2:USER_SGPR: 2
; COMPUTE_PGM_RSRC2:TRAP_HANDLER: 0
; COMPUTE_PGM_RSRC2:TGID_X_EN: 1
; COMPUTE_PGM_RSRC2:TGID_Y_EN: 0
; COMPUTE_PGM_RSRC2:TGID_Z_EN: 1
; COMPUTE_PGM_RSRC2:TIDIG_COMP_CNT: 0
	.section	.text._ZL20rocblas_gemvt_kernelILb1ELi256EfffEviiT2_lPKT1_lilS3_lilS0_lPT3_lili,"axG",@progbits,_ZL20rocblas_gemvt_kernelILb1ELi256EfffEviiT2_lPKT1_lilS3_lilS0_lPT3_lili,comdat
	.globl	_ZL20rocblas_gemvt_kernelILb1ELi256EfffEviiT2_lPKT1_lilS3_lilS0_lPT3_lili ; -- Begin function _ZL20rocblas_gemvt_kernelILb1ELi256EfffEviiT2_lPKT1_lilS3_lilS0_lPT3_lili
	.p2align	8
	.type	_ZL20rocblas_gemvt_kernelILb1ELi256EfffEviiT2_lPKT1_lilS3_lilS0_lPT3_lili,@function
_ZL20rocblas_gemvt_kernelILb1ELi256EfffEviiT2_lPKT1_lilS3_lilS0_lPT3_lili: ; @_ZL20rocblas_gemvt_kernelILb1ELi256EfffEviiT2_lPKT1_lilS3_lilS0_lPT3_lili
; %bb.0:
	s_load_b32 s23, s[0:1], 0x88
	s_bfe_u32 s2, ttmp6, 0x40014
	s_lshr_b32 s3, ttmp7, 16
	s_add_co_i32 s2, s2, 1
	s_bfe_u32 s4, ttmp6, 0x40008
	s_mul_i32 s2, s3, s2
	s_getreg_b32 s11, hwreg(HW_REG_IB_STS2, 6, 4)
	s_add_co_i32 s4, s4, s2
	s_cmp_eq_u32 s11, 0
	s_mov_b32 s25, 0
	s_cselect_b32 s24, s3, s4
	s_wait_kmcnt 0x0
	s_cmp_ge_u32 s24, s23
	s_cbranch_scc1 .LBB45_41
; %bb.1:
	s_clause 0x8
	s_load_b32 s2, s[0:1], 0x28
	s_load_b96 s[8:10], s[0:1], 0x40
	s_load_b32 s30, s[0:1], 0x78
	s_load_b128 s[4:7], s[0:1], 0x68
	s_load_b128 s[16:19], s[0:1], 0x18
	s_load_b32 s33, s[0:1], 0x8
	s_load_b96 s[20:22], s[0:1], 0x50
	s_load_b64 s[26:27], s[0:1], 0x80
	s_load_b32 s42, s[0:1], 0x0
	v_lshlrev_b32_e32 v14, 2, v0
	s_wait_kmcnt 0x0
	s_ashr_i32 s3, s2, 31
	s_ashr_i32 s29, s10, 31
	;; [unrolled: 1-line block ×3, first 2 shown]
	s_lshl_b64 s[34:35], s[8:9], 2
	s_lshl_b64 s[6:7], s[6:7], 2
	s_lshl_b64 s[36:37], s[18:19], 2
	s_cmp_eq_f32 s33, 0
	s_mov_b32 s28, s10
	s_cselect_b32 s9, -1, 0
	s_cmp_neq_f32 s33, 0
	s_cselect_b32 s8, -1, 0
	s_cmp_neq_f32 s22, 1.0
	s_cselect_b32 s12, -1, 0
	s_delay_alu instid0(SALU_CYCLE_1)
	s_or_b32 s38, s8, s12
	s_cmp_neq_f32 s22, 0
	s_load_b128 s[12:15], s[0:1], 0x30
	v_cmp_gt_i32_e32 vcc_lo, s42, v0
	v_mov_b32_e32 v3, 0
	s_cselect_b32 s39, -1, 0
	s_bfe_u32 s8, ttmp6, 0x4000c
	s_and_b32 s18, ttmp6, 15
	s_add_co_i32 s8, s8, 1
	s_delay_alu instid0(SALU_CYCLE_1) | instskip(NEXT) | instid1(SALU_CYCLE_1)
	s_mul_i32 s8, ttmp9, s8
	s_add_co_i32 s18, s18, s8
	s_cmp_eq_u32 s11, 0
	v_cmp_gt_u32_e64 s8, 2, v0
	s_cselect_b32 s40, ttmp9, s18
	s_wait_xcnt 0x0
	s_ashr_i32 s0, s42, 31
	s_ashr_i32 s41, s40, 31
	s_lshr_b32 s0, s0, 24
	s_mul_u64 s[2:3], s[2:3], s[40:41]
	s_add_co_i32 s0, s42, s0
	s_add_nc_u64 s[18:19], s[4:5], s[6:7]
	s_and_b32 s10, s0, 0xffffff00
	s_delay_alu instid0(SALU_CYCLE_1)
	v_dual_mov_b32 v1, v3 :: v_dual_bitop2_b32 v10, s10, v0 bitop3:0x54
	s_add_nc_u64 s[0:1], s[16:17], s[36:37]
	s_wait_kmcnt 0x0
	s_add_nc_u64 s[14:15], s[14:15], s[34:35]
	s_mul_u64 s[34:35], s[30:31], s[40:41]
	v_mul_u64_e32 v[8:9], s[28:29], v[0:1]
	v_dual_cndmask_b32 v1, 0, v0, vcc_lo :: v_dual_ashrrev_i32 v11, 31, v10
	s_lshl_b64 s[30:31], s[2:3], 2
	v_cmp_gt_u32_e64 s2, 0x80, v0
	v_cmp_gt_u32_e64 s3, 64, v0
	s_delay_alu instid0(VALU_DEP_3)
	v_lshlrev_b32_e32 v2, 2, v1
	v_mul_u64_e32 v[4:5], s[28:29], v[10:11]
	v_cmp_gt_u32_e64 s4, 32, v0
	v_cmp_gt_u32_e64 s5, 16, v0
	v_cmp_gt_u32_e64 s6, 8, v0
	v_add_nc_u64_e32 v[6:7], s[0:1], v[2:3]
	v_cmp_eq_u32_e64 s0, 0, v0
	v_cmp_gt_u32_e64 s7, 4, v0
	v_cmp_gt_i32_e64 s1, s42, v10
	s_cmp_gt_i32 s42, 0xff
	s_cselect_b32 s40, -1, 0
	v_add_nc_u64_e32 v[6:7], s[30:31], v[6:7]
	s_add_nc_u64 s[30:31], s[30:31], s[36:37]
	s_ashr_i32 s11, s10, 31
	s_add_nc_u64 s[30:31], s[16:17], s[30:31]
	s_lshl_b64 s[16:17], s[20:21], 2
	s_lshl_b64 s[28:29], s[28:29], 10
	;; [unrolled: 1-line block ×3, first 2 shown]
	v_lshl_add_u64 v[0:1], v[8:9], 2, s[14:15]
	v_add_nc_u64_e32 v[8:9], s[30:31], v[2:3]
	s_lshl_b64 s[30:31], s[12:13], 2
	s_branch .LBB45_4
.LBB45_2:                               ;   in Loop: Header=BB45_4 Depth=1
	s_wait_xcnt 0x0
	s_or_b32 exec_lo, exec_lo, s42
.LBB45_3:                               ;   in Loop: Header=BB45_4 Depth=1
	s_add_co_i32 s24, s24, 0x10000
	s_delay_alu instid0(SALU_CYCLE_1)
	s_cmp_lt_u32 s24, s23
	s_cbranch_scc0 .LBB45_41
.LBB45_4:                               ; =>This Loop Header: Depth=1
                                        ;     Child Loop BB45_15 Depth 2
	s_and_not1_b32 vcc_lo, exec_lo, s38
	s_cbranch_vccnz .LBB45_3
; %bb.5:                                ;   in Loop: Header=BB45_4 Depth=1
	s_mul_u64 s[36:37], s[26:27], s[24:25]
	s_and_not1_b32 vcc_lo, exec_lo, s9
	s_lshl_b64 s[36:37], s[36:37], 2
	s_delay_alu instid0(SALU_CYCLE_1)
	s_add_nc_u64 s[36:37], s[18:19], s[36:37]
	s_cbranch_vccnz .LBB45_9
; %bb.6:                                ;   in Loop: Header=BB45_4 Depth=1
	s_mov_b32 s42, 0
	s_mov_b32 s41, 0
                                        ; implicit-def: $vgpr2
	s_and_saveexec_b32 s43, s0
	s_cbranch_execz .LBB45_10
; %bb.7:                                ;   in Loop: Header=BB45_4 Depth=1
	s_and_not1_b32 vcc_lo, exec_lo, s39
	s_cbranch_vccnz .LBB45_11
; %bb.8:                                ;   in Loop: Header=BB45_4 Depth=1
	s_add_nc_u64 s[44:45], s[36:37], s[34:35]
	global_load_b32 v2, v3, s[44:45]
	s_wait_loadcnt 0x0
	v_mul_f32_e32 v2, s22, v2
	s_branch .LBB45_12
.LBB45_9:                               ;   in Loop: Header=BB45_4 Depth=1
	s_mov_b32 s41, 0
                                        ; implicit-def: $vgpr2
	s_cbranch_execnz .LBB45_13
	s_branch .LBB45_39
.LBB45_10:                              ;   in Loop: Header=BB45_4 Depth=1
	s_or_b32 exec_lo, exec_lo, s43
	s_delay_alu instid0(SALU_CYCLE_1)
	s_and_b32 vcc_lo, exec_lo, s42
	s_cbranch_vccnz .LBB45_13
	s_branch .LBB45_39
.LBB45_11:                              ;   in Loop: Header=BB45_4 Depth=1
	v_mov_b32_e32 v2, 0
.LBB45_12:                              ;   in Loop: Header=BB45_4 Depth=1
	s_mov_b32 s41, exec_lo
	s_wait_xcnt 0x0
	s_or_b32 exec_lo, exec_lo, s43
	s_delay_alu instid0(SALU_CYCLE_1)
	s_and_b32 vcc_lo, exec_lo, s42
	s_cbranch_vccz .LBB45_39
.LBB45_13:                              ;   in Loop: Header=BB45_4 Depth=1
	v_mov_b32_e32 v2, 0
	s_and_not1_b32 vcc_lo, exec_lo, s40
	s_cbranch_vccnz .LBB45_16
; %bb.14:                               ;   in Loop: Header=BB45_4 Depth=1
	v_mad_nc_u64_u32 v[10:11], s16, s24, v[0:1]
	v_mad_nc_u64_u32 v[12:13], s30, s24, v[8:9]
	v_mov_b32_e32 v2, 0
	s_mov_b32 s42, 0
	s_delay_alu instid0(VALU_DEP_3) | instskip(NEXT) | instid1(VALU_DEP_3)
	v_mad_u32 v11, s17, s24, v11
	v_mad_u32 v13, s31, s24, v13
.LBB45_15:                              ;   Parent Loop BB45_4 Depth=1
                                        ; =>  This Inner Loop Header: Depth=2
	global_load_b32 v15, v[12:13], off
	global_load_b32 v16, v[10:11], off
	s_wait_xcnt 0x0
	v_add_nc_u64_e32 v[10:11], s[28:29], v[10:11]
	v_add_nc_u64_e32 v[12:13], 0x400, v[12:13]
	s_addk_co_i32 s42, 0x100
	s_delay_alu instid0(SALU_CYCLE_1)
	s_cmp_ge_i32 s42, s10
	s_wait_loadcnt 0x0
	v_fmac_f32_e32 v2, v15, v16
	s_cbranch_scc0 .LBB45_15
.LBB45_16:                              ;   in Loop: Header=BB45_4 Depth=1
	s_and_saveexec_b32 s42, s1
	s_cbranch_execz .LBB45_18
; %bb.17:                               ;   in Loop: Header=BB45_4 Depth=1
	s_mul_u64 s[44:45], s[12:13], s[24:25]
	s_mul_u64 s[46:47], s[20:21], s[24:25]
	v_lshl_add_u64 v[10:11], s[44:45], 2, v[6:7]
	s_lshl_b64 s[44:45], s[46:47], 2
	s_delay_alu instid0(SALU_CYCLE_1) | instskip(NEXT) | instid1(SALU_CYCLE_1)
	s_add_nc_u64 s[44:45], s[14:15], s[44:45]
	v_lshl_add_u64 v[12:13], v[4:5], 2, s[44:45]
	s_delay_alu instid0(VALU_DEP_2)
	v_lshl_add_u64 v[10:11], s[10:11], 2, v[10:11]
	global_load_b32 v15, v[10:11], off
	global_load_b32 v16, v[12:13], off
	s_wait_loadcnt 0x0
	v_fmac_f32_e32 v2, v15, v16
.LBB45_18:                              ;   in Loop: Header=BB45_4 Depth=1
	s_wait_xcnt 0x0
	s_or_b32 exec_lo, exec_lo, s42
	ds_store_b32 v14, v2
	s_wait_dscnt 0x0
	s_barrier_signal -1
	s_barrier_wait -1
	s_and_saveexec_b32 s42, s2
	s_cbranch_execz .LBB45_20
; %bb.19:                               ;   in Loop: Header=BB45_4 Depth=1
	ds_load_2addr_stride64_b32 v[10:11], v14 offset1:2
	s_wait_dscnt 0x0
	v_add_f32_e32 v2, v11, v10
	ds_store_b32 v14, v2
.LBB45_20:                              ;   in Loop: Header=BB45_4 Depth=1
	s_or_b32 exec_lo, exec_lo, s42
	s_wait_dscnt 0x0
	s_barrier_signal -1
	s_barrier_wait -1
	s_and_saveexec_b32 s42, s3
	s_cbranch_execz .LBB45_22
; %bb.21:                               ;   in Loop: Header=BB45_4 Depth=1
	ds_load_2addr_stride64_b32 v[10:11], v14 offset1:1
	s_wait_dscnt 0x0
	v_add_f32_e32 v2, v11, v10
	ds_store_b32 v14, v2
.LBB45_22:                              ;   in Loop: Header=BB45_4 Depth=1
	s_or_b32 exec_lo, exec_lo, s42
	s_wait_dscnt 0x0
	s_barrier_signal -1
	s_barrier_wait -1
	s_and_saveexec_b32 s42, s4
	s_cbranch_execz .LBB45_24
; %bb.23:                               ;   in Loop: Header=BB45_4 Depth=1
	ds_load_2addr_b32 v[10:11], v14 offset1:32
	s_wait_dscnt 0x0
	v_add_f32_e32 v2, v11, v10
	ds_store_b32 v14, v2
.LBB45_24:                              ;   in Loop: Header=BB45_4 Depth=1
	s_or_b32 exec_lo, exec_lo, s42
	s_wait_dscnt 0x0
	s_barrier_signal -1
	s_barrier_wait -1
	s_and_saveexec_b32 s42, s5
	s_cbranch_execz .LBB45_26
; %bb.25:                               ;   in Loop: Header=BB45_4 Depth=1
	ds_load_2addr_b32 v[10:11], v14 offset1:16
	s_wait_dscnt 0x0
	v_add_f32_e32 v2, v11, v10
	ds_store_b32 v14, v2
.LBB45_26:                              ;   in Loop: Header=BB45_4 Depth=1
	;; [unrolled: 12-line block ×5, first 2 shown]
	s_or_b32 exec_lo, exec_lo, s42
	s_wait_dscnt 0x0
	s_barrier_signal -1
	s_barrier_wait -1
	s_and_saveexec_b32 s42, s0
	s_cbranch_execz .LBB45_34
; %bb.33:                               ;   in Loop: Header=BB45_4 Depth=1
	ds_load_b64 v[10:11], v3
	s_wait_dscnt 0x0
	v_add_f32_e32 v2, v11, v10
	ds_store_b32 v3, v2
.LBB45_34:                              ;   in Loop: Header=BB45_4 Depth=1
	s_or_b32 exec_lo, exec_lo, s42
	s_wait_dscnt 0x0
	s_barrier_signal -1
	s_barrier_wait -1
                                        ; implicit-def: $vgpr2
	s_and_saveexec_b32 s42, s0
	s_cbranch_execz .LBB45_38
; %bb.35:                               ;   in Loop: Header=BB45_4 Depth=1
	ds_load_b32 v2, v3
	s_and_not1_b32 vcc_lo, exec_lo, s39
	s_wait_dscnt 0x0
	v_mul_f32_e32 v2, s33, v2
	s_cbranch_vccnz .LBB45_37
; %bb.36:                               ;   in Loop: Header=BB45_4 Depth=1
	s_add_nc_u64 s[44:45], s[36:37], s[34:35]
	global_load_b32 v10, v3, s[44:45]
	s_wait_loadcnt 0x0
	v_fmac_f32_e32 v2, s22, v10
.LBB45_37:                              ;   in Loop: Header=BB45_4 Depth=1
	s_or_b32 s41, s41, exec_lo
.LBB45_38:                              ;   in Loop: Header=BB45_4 Depth=1
	s_wait_xcnt 0x0
	s_or_b32 exec_lo, exec_lo, s42
.LBB45_39:                              ;   in Loop: Header=BB45_4 Depth=1
	s_and_saveexec_b32 s42, s41
	s_cbranch_execz .LBB45_2
; %bb.40:                               ;   in Loop: Header=BB45_4 Depth=1
	s_add_nc_u64 s[36:37], s[36:37], s[34:35]
	global_store_b32 v3, v2, s[36:37]
	s_branch .LBB45_2
.LBB45_41:
	s_endpgm
	.section	.rodata,"a",@progbits
	.p2align	6, 0x0
	.amdhsa_kernel _ZL20rocblas_gemvt_kernelILb1ELi256EfffEviiT2_lPKT1_lilS3_lilS0_lPT3_lili
		.amdhsa_group_segment_fixed_size 1024
		.amdhsa_private_segment_fixed_size 0
		.amdhsa_kernarg_size 140
		.amdhsa_user_sgpr_count 2
		.amdhsa_user_sgpr_dispatch_ptr 0
		.amdhsa_user_sgpr_queue_ptr 0
		.amdhsa_user_sgpr_kernarg_segment_ptr 1
		.amdhsa_user_sgpr_dispatch_id 0
		.amdhsa_user_sgpr_kernarg_preload_length 0
		.amdhsa_user_sgpr_kernarg_preload_offset 0
		.amdhsa_user_sgpr_private_segment_size 0
		.amdhsa_wavefront_size32 1
		.amdhsa_uses_dynamic_stack 0
		.amdhsa_enable_private_segment 0
		.amdhsa_system_sgpr_workgroup_id_x 1
		.amdhsa_system_sgpr_workgroup_id_y 0
		.amdhsa_system_sgpr_workgroup_id_z 1
		.amdhsa_system_sgpr_workgroup_info 0
		.amdhsa_system_vgpr_workitem_id 0
		.amdhsa_next_free_vgpr 17
		.amdhsa_next_free_sgpr 48
		.amdhsa_named_barrier_count 0
		.amdhsa_reserve_vcc 1
		.amdhsa_float_round_mode_32 0
		.amdhsa_float_round_mode_16_64 0
		.amdhsa_float_denorm_mode_32 3
		.amdhsa_float_denorm_mode_16_64 3
		.amdhsa_fp16_overflow 0
		.amdhsa_memory_ordered 1
		.amdhsa_forward_progress 1
		.amdhsa_inst_pref_size 11
		.amdhsa_round_robin_scheduling 0
		.amdhsa_exception_fp_ieee_invalid_op 0
		.amdhsa_exception_fp_denorm_src 0
		.amdhsa_exception_fp_ieee_div_zero 0
		.amdhsa_exception_fp_ieee_overflow 0
		.amdhsa_exception_fp_ieee_underflow 0
		.amdhsa_exception_fp_ieee_inexact 0
		.amdhsa_exception_int_div_zero 0
	.end_amdhsa_kernel
	.section	.text._ZL20rocblas_gemvt_kernelILb1ELi256EfffEviiT2_lPKT1_lilS3_lilS0_lPT3_lili,"axG",@progbits,_ZL20rocblas_gemvt_kernelILb1ELi256EfffEviiT2_lPKT1_lilS3_lilS0_lPT3_lili,comdat
.Lfunc_end45:
	.size	_ZL20rocblas_gemvt_kernelILb1ELi256EfffEviiT2_lPKT1_lilS3_lilS0_lPT3_lili, .Lfunc_end45-_ZL20rocblas_gemvt_kernelILb1ELi256EfffEviiT2_lPKT1_lilS3_lilS0_lPT3_lili
                                        ; -- End function
	.set _ZL20rocblas_gemvt_kernelILb1ELi256EfffEviiT2_lPKT1_lilS3_lilS0_lPT3_lili.num_vgpr, 17
	.set _ZL20rocblas_gemvt_kernelILb1ELi256EfffEviiT2_lPKT1_lilS3_lilS0_lPT3_lili.num_agpr, 0
	.set _ZL20rocblas_gemvt_kernelILb1ELi256EfffEviiT2_lPKT1_lilS3_lilS0_lPT3_lili.numbered_sgpr, 48
	.set _ZL20rocblas_gemvt_kernelILb1ELi256EfffEviiT2_lPKT1_lilS3_lilS0_lPT3_lili.num_named_barrier, 0
	.set _ZL20rocblas_gemvt_kernelILb1ELi256EfffEviiT2_lPKT1_lilS3_lilS0_lPT3_lili.private_seg_size, 0
	.set _ZL20rocblas_gemvt_kernelILb1ELi256EfffEviiT2_lPKT1_lilS3_lilS0_lPT3_lili.uses_vcc, 1
	.set _ZL20rocblas_gemvt_kernelILb1ELi256EfffEviiT2_lPKT1_lilS3_lilS0_lPT3_lili.uses_flat_scratch, 0
	.set _ZL20rocblas_gemvt_kernelILb1ELi256EfffEviiT2_lPKT1_lilS3_lilS0_lPT3_lili.has_dyn_sized_stack, 0
	.set _ZL20rocblas_gemvt_kernelILb1ELi256EfffEviiT2_lPKT1_lilS3_lilS0_lPT3_lili.has_recursion, 0
	.set _ZL20rocblas_gemvt_kernelILb1ELi256EfffEviiT2_lPKT1_lilS3_lilS0_lPT3_lili.has_indirect_call, 0
	.section	.AMDGPU.csdata,"",@progbits
; Kernel info:
; codeLenInByte = 1404
; TotalNumSgprs: 50
; NumVgprs: 17
; ScratchSize: 0
; MemoryBound: 0
; FloatMode: 240
; IeeeMode: 1
; LDSByteSize: 1024 bytes/workgroup (compile time only)
; SGPRBlocks: 0
; VGPRBlocks: 1
; NumSGPRsForWavesPerEU: 50
; NumVGPRsForWavesPerEU: 17
; NamedBarCnt: 0
; Occupancy: 16
; WaveLimiterHint : 0
; COMPUTE_PGM_RSRC2:SCRATCH_EN: 0
; COMPUTE_PGM_RSRC2:USER_SGPR: 2
; COMPUTE_PGM_RSRC2:TRAP_HANDLER: 0
; COMPUTE_PGM_RSRC2:TGID_X_EN: 1
; COMPUTE_PGM_RSRC2:TGID_Y_EN: 0
; COMPUTE_PGM_RSRC2:TGID_Z_EN: 1
; COMPUTE_PGM_RSRC2:TIDIG_COMP_CNT: 0
	.section	.text._ZL32rocblas_gemvt_warp_reduce_kernelILb1ELi1024EifPKffEviiT3_lPKT2_lT1_lS5_lS6_lS2_lPT4_lS6_li,"axG",@progbits,_ZL32rocblas_gemvt_warp_reduce_kernelILb1ELi1024EifPKffEviiT3_lPKT2_lT1_lS5_lS6_lS2_lPT4_lS6_li,comdat
	.globl	_ZL32rocblas_gemvt_warp_reduce_kernelILb1ELi1024EifPKffEviiT3_lPKT2_lT1_lS5_lS6_lS2_lPT4_lS6_li ; -- Begin function _ZL32rocblas_gemvt_warp_reduce_kernelILb1ELi1024EifPKffEviiT3_lPKT2_lT1_lS5_lS6_lS2_lPT4_lS6_li
	.p2align	8
	.type	_ZL32rocblas_gemvt_warp_reduce_kernelILb1ELi1024EifPKffEviiT3_lPKT2_lT1_lS5_lS6_lS2_lPT4_lS6_li,@function
_ZL32rocblas_gemvt_warp_reduce_kernelILb1ELi1024EifPKffEviiT3_lPKT2_lT1_lS5_lS6_lS2_lPT4_lS6_li: ; @_ZL32rocblas_gemvt_warp_reduce_kernelILb1ELi1024EifPKffEviiT3_lPKT2_lT1_lS5_lS6_lS2_lPT4_lS6_li
; %bb.0:
	s_load_b32 s33, s[0:1], 0x88
	s_bfe_u32 s2, ttmp6, 0x40014
	s_lshr_b32 s3, ttmp7, 16
	s_add_co_i32 s2, s2, 1
	s_bfe_u32 s5, ttmp6, 0x40008
	s_mul_i32 s4, s3, s2
	s_getreg_b32 s2, hwreg(HW_REG_IB_STS2, 6, 4)
	s_add_co_i32 s5, s5, s4
	s_cmp_eq_u32 s2, 0
	s_mov_b32 s35, 0
	s_cselect_b32 s34, s3, s5
	s_wait_kmcnt 0x0
	s_cmp_ge_u32 s34, s33
	s_cbranch_scc1 .LBB46_34
; %bb.1:
	s_clause 0x7
	s_load_b96 s[4:6], s[0:1], 0x40
	s_load_b96 s[28:30], s[0:1], 0x70
	s_load_b256 s[8:15], s[0:1], 0x8
	s_load_b32 s7, s[0:1], 0x0
	s_load_b32 s31, s[0:1], 0x28
	s_load_b128 s[24:27], s[0:1], 0x30
	s_load_b256 s[16:23], s[0:1], 0x50
	s_load_b64 s[36:37], s[0:1], 0x80
	s_wait_xcnt 0x0
	s_bfe_u32 s1, ttmp6, 0x4000c
	s_and_b32 s3, ttmp6, 15
	s_add_co_i32 s1, s1, 1
	v_dual_mov_b32 v3, 0 :: v_dual_bitop2_b32 v8, 31, v0 bitop3:0x40
	s_mul_i32 s1, ttmp9, s1
	v_mbcnt_lo_u32_b32 v13, -1, 0
	s_add_co_i32 s3, s3, s1
	v_cmp_eq_u32_e64 s0, 0, v0
	v_cmp_gt_u32_e64 s1, 32, v0
	s_delay_alu instid0(VALU_DEP_3)
	v_lshl_or_b32 v14, v13, 2, 64
	s_wait_kmcnt 0x0
	s_lshl_b64 s[4:5], s[4:5], 2
	s_lshl_b64 s[28:29], s[28:29], 2
	;; [unrolled: 1-line block ×3, first 2 shown]
	v_cmp_gt_i32_e32 vcc_lo, s7, v0
	s_cmp_eq_u32 s2, 0
	v_lshrrev_b32_e32 v10, 3, v0
	s_cselect_b32 s15, ttmp9, s3
	s_ashr_i32 s2, s7, 31
	v_cndmask_b32_e32 v2, 0, v0, vcc_lo
	s_lshr_b32 s2, s2, 22
	v_lshlrev_b32_e32 v1, 2, v8
	s_add_co_i32 s2, s7, s2
	s_add_nc_u64 s[26:27], s[26:27], s[4:5]
	s_and_b32 s14, s2, 0xfffffc00
	s_delay_alu instid0(SALU_CYCLE_1) | instskip(SKIP_3) | instid1(VALU_DEP_2)
	v_dual_lshlrev_b32 v2, 2, v2 :: v_dual_bitop2_b32 v5, s14, v0 bitop3:0x54
	s_add_nc_u64 s[2:3], s[12:13], s[38:39]
	s_mul_i32 s4, s31, s15
	v_mul_lo_u32 v12, v0, s6
	v_add_nc_u64_e32 v[6:7], s[2:3], v[2:3]
	v_mul_lo_u32 v4, s6, v5
	s_ashr_i32 s5, s4, 31
	s_add_nc_u64 s[22:23], s[22:23], s[28:29]
	s_lshl_b64 s[4:5], s[4:5], 2
	s_mul_i32 s28, s30, s15
	v_cmp_gt_i32_e64 s2, s14, v0
	v_add_nc_u64_e32 v[6:7], s[4:5], v[6:7]
	s_add_nc_u64 s[4:5], s[38:39], s[4:5]
	v_cmp_gt_i32_e64 s3, s7, v5
	s_add_nc_u64 s[12:13], s[12:13], s[4:5]
	v_cmp_eq_u32_e64 s4, 0, v8
	v_add_nc_u64_e32 v[8:9], s[12:13], v[2:3]
	v_ashrrev_i32_e32 v5, 31, v4
	v_and_b32_e32 v2, 0x7c, v10
	s_ashr_i32 s29, s28, 31
	s_ashr_i32 s15, s14, 31
	s_lshl_b32 s38, s6, 10
	s_lshl_b64 s[6:7], s[24:25], 2
	s_lshl_b64 s[12:13], s[28:29], 2
	s_branch .LBB46_4
.LBB46_2:                               ;   in Loop: Header=BB46_4 Depth=1
	s_wait_xcnt 0x0
	s_or_b32 exec_lo, exec_lo, s5
.LBB46_3:                               ;   in Loop: Header=BB46_4 Depth=1
	s_add_co_i32 s34, s34, 0x10000
	s_delay_alu instid0(SALU_CYCLE_1)
	s_cmp_lt_u32 s34, s33
	s_cbranch_scc0 .LBB46_34
.LBB46_4:                               ; =>This Loop Header: Depth=1
                                        ;     Child Loop BB46_23 Depth 2
	s_mul_u64 s[28:29], s[10:11], s[34:35]
	s_wait_xcnt 0x0
	s_mul_u64 s[30:31], s[20:21], s[34:35]
	s_lshl_b64 s[28:29], s[28:29], 2
	s_lshl_b64 s[30:31], s[30:31], 2
	s_add_nc_u64 s[28:29], s[8:9], s[28:29]
	s_add_nc_u64 s[30:31], s[18:19], s[30:31]
	s_clause 0x1
	global_load_b32 v15, v3, s[28:29]
	global_load_b32 v10, v3, s[30:31]
	s_wait_loadcnt 0x1
	v_cmp_eq_f32_e32 vcc_lo, 0, v15
	s_wait_loadcnt 0x0
	v_cmp_eq_f32_e64 s5, 1.0, v10
	s_wait_xcnt 0x1
	s_and_b32 s28, vcc_lo, s5
	v_readfirstlane_b32 s5, v10
	s_and_b32 vcc_lo, exec_lo, s28
	s_cbranch_vccnz .LBB46_3
; %bb.5:                                ;   in Loop: Header=BB46_4 Depth=1
	v_cmp_neq_f32_e32 vcc_lo, 0, v15
	s_mul_u64 s[28:29], s[36:37], s[34:35]
	s_delay_alu instid0(SALU_CYCLE_1) | instskip(NEXT) | instid1(SALU_CYCLE_1)
	s_lshl_b64 s[28:29], s[28:29], 2
	s_add_nc_u64 s[28:29], s[22:23], s[28:29]
	s_cbranch_vccnz .LBB46_9
; %bb.6:                                ;   in Loop: Header=BB46_4 Depth=1
	s_wait_xcnt 0x0
	s_mov_b32 s30, 0
	s_mov_b32 s39, 0
                                        ; implicit-def: $vgpr10
	s_and_saveexec_b32 s31, s0
	s_cbranch_execz .LBB46_10
; %bb.7:                                ;   in Loop: Header=BB46_4 Depth=1
	s_cmp_eq_f32 s5, 0
	s_cbranch_scc1 .LBB46_11
; %bb.8:                                ;   in Loop: Header=BB46_4 Depth=1
	s_add_nc_u64 s[40:41], s[28:29], s[12:13]
	global_load_b32 v10, v3, s[40:41]
	s_wait_loadcnt 0x0
	v_mul_f32_e32 v10, s5, v10
	s_branch .LBB46_12
.LBB46_9:                               ;   in Loop: Header=BB46_4 Depth=1
	s_wait_xcnt 0x0
	s_mov_b32 s39, 0
                                        ; implicit-def: $vgpr10
	s_cbranch_execnz .LBB46_13
	s_branch .LBB46_32
.LBB46_10:                              ;   in Loop: Header=BB46_4 Depth=1
	s_or_b32 exec_lo, exec_lo, s31
	s_delay_alu instid0(SALU_CYCLE_1)
	s_and_b32 vcc_lo, exec_lo, s30
	s_cbranch_vccnz .LBB46_13
	s_branch .LBB46_32
.LBB46_11:                              ;   in Loop: Header=BB46_4 Depth=1
	v_mov_b32_e32 v10, 0
.LBB46_12:                              ;   in Loop: Header=BB46_4 Depth=1
	s_mov_b32 s39, exec_lo
	s_wait_xcnt 0x0
	s_or_b32 exec_lo, exec_lo, s31
	s_delay_alu instid0(SALU_CYCLE_1)
	s_and_b32 vcc_lo, exec_lo, s30
	s_cbranch_vccz .LBB46_32
.LBB46_13:                              ;   in Loop: Header=BB46_4 Depth=1
	s_mul_u64 s[30:31], s[16:17], s[34:35]
	v_mov_b32_e32 v16, 0
	s_lshl_b64 s[30:31], s[30:31], 2
	s_delay_alu instid0(SALU_CYCLE_1)
	s_add_nc_u64 s[30:31], s[26:27], s[30:31]
	s_and_saveexec_b32 s40, s2
	s_cbranch_execnz .LBB46_22
; %bb.14:                               ;   in Loop: Header=BB46_4 Depth=1
	s_or_b32 exec_lo, exec_lo, s40
	s_and_saveexec_b32 s40, s3
	s_cbranch_execnz .LBB46_25
.LBB46_15:                              ;   in Loop: Header=BB46_4 Depth=1
	s_or_b32 exec_lo, exec_lo, s40
	s_and_saveexec_b32 s30, s1
.LBB46_16:                              ;   in Loop: Header=BB46_4 Depth=1
	ds_store_b32 v1, v3
.LBB46_17:                              ;   in Loop: Header=BB46_4 Depth=1
	s_or_b32 exec_lo, exec_lo, s30
	ds_bpermute_b32 v11, v14, v16
	v_cmp_gt_u32_e32 vcc_lo, 24, v13
	s_wait_dscnt 0x0
	s_barrier_signal -1
	s_barrier_wait -1
	v_cndmask_b32_e64 v10, 0, 8, vcc_lo
	v_cmp_gt_u32_e32 vcc_lo, 28, v13
	s_delay_alu instid0(VALU_DEP_2)
	v_add_lshl_u32 v10, v10, v13, 2
	v_add_f32_e32 v16, v16, v11
	v_cndmask_b32_e64 v11, 0, 4, vcc_lo
	v_cmp_gt_u32_e32 vcc_lo, 30, v13
	ds_bpermute_b32 v17, v10, v16
	v_add_lshl_u32 v11, v11, v13, 2
	s_wait_dscnt 0x0
	v_add_f32_e32 v17, v16, v17
	v_cndmask_b32_e64 v16, 0, 2, vcc_lo
	v_cmp_ne_u32_e32 vcc_lo, 31, v13
	ds_bpermute_b32 v18, v11, v17
	v_add_lshl_u32 v16, v16, v13, 2
	v_add_co_ci_u32_e64 v19, null, 0, v13, vcc_lo
	s_wait_dscnt 0x0
	v_add_f32_e32 v17, v17, v18
	ds_bpermute_b32 v18, v16, v17
	s_wait_dscnt 0x0
	v_dual_add_f32 v18, v17, v18 :: v_dual_lshlrev_b32 v17, 2, v19
	ds_bpermute_b32 v19, v17, v18
	s_and_saveexec_b32 s30, s4
	s_cbranch_execz .LBB46_19
; %bb.18:                               ;   in Loop: Header=BB46_4 Depth=1
	s_wait_dscnt 0x0
	v_add_f32_e32 v18, v18, v19
	ds_store_b32 v2, v18
.LBB46_19:                              ;   in Loop: Header=BB46_4 Depth=1
	s_or_b32 exec_lo, exec_lo, s30
	v_mov_b32_e32 v18, 0
	s_wait_dscnt 0x0
	s_barrier_signal -1
	s_barrier_wait -1
	s_and_saveexec_b32 s30, s1
	s_cbranch_execnz .LBB46_26
; %bb.20:                               ;   in Loop: Header=BB46_4 Depth=1
	s_or_b32 exec_lo, exec_lo, s30
	s_and_saveexec_b32 s30, s1
	s_cbranch_execnz .LBB46_27
.LBB46_21:                              ;   in Loop: Header=BB46_4 Depth=1
	s_or_b32 exec_lo, exec_lo, s30
                                        ; implicit-def: $vgpr10
	s_and_saveexec_b32 s30, s0
	s_cbranch_execnz .LBB46_28
	s_branch .LBB46_31
.LBB46_22:                              ;   in Loop: Header=BB46_4 Depth=1
	v_mad_nc_u64_u32 v[10:11], s6, s34, v[8:9]
	v_dual_mov_b32 v16, 0 :: v_dual_mov_b32 v17, v0
	s_wait_dscnt 0x0
	v_mov_b32_e32 v18, v12
	s_mov_b32 s41, 0
	s_delay_alu instid0(VALU_DEP_3)
	v_mad_u32 v11, s7, s34, v11
.LBB46_23:                              ;   Parent Loop BB46_4 Depth=1
                                        ; =>  This Inner Loop Header: Depth=2
	global_load_b32 v19, v[10:11], off
	global_load_b32 v20, v18, s[30:31] scale_offset
	v_add_nc_u32_e32 v17, 0x400, v17
	s_wait_xcnt 0x1
	v_add_nc_u64_e32 v[10:11], 0x1000, v[10:11]
	s_wait_loadcnt 0x0
	s_wait_xcnt 0x0
	v_dual_add_nc_u32 v18, s38, v18 :: v_dual_fmac_f32 v16, v19, v20
	v_cmp_le_i32_e32 vcc_lo, s14, v17
	s_or_b32 s41, vcc_lo, s41
	s_delay_alu instid0(SALU_CYCLE_1)
	s_and_not1_b32 exec_lo, exec_lo, s41
	s_cbranch_execnz .LBB46_23
; %bb.24:                               ;   in Loop: Header=BB46_4 Depth=1
	s_or_b32 exec_lo, exec_lo, s41
	s_delay_alu instid0(SALU_CYCLE_1)
	s_or_b32 exec_lo, exec_lo, s40
	s_and_saveexec_b32 s40, s3
	s_cbranch_execz .LBB46_15
.LBB46_25:                              ;   in Loop: Header=BB46_4 Depth=1
	s_mul_u64 s[42:43], s[24:25], s[34:35]
	s_wait_dscnt 0x0
	v_lshl_add_u64 v[18:19], v[4:5], 2, s[30:31]
	v_lshl_add_u64 v[10:11], s[42:43], 2, v[6:7]
	s_delay_alu instid0(VALU_DEP_1)
	v_lshl_add_u64 v[10:11], s[14:15], 2, v[10:11]
	global_load_b32 v17, v[10:11], off
	global_load_b32 v20, v[18:19], off
	s_wait_loadcnt 0x0
	v_fmac_f32_e32 v16, v17, v20
	s_wait_xcnt 0x0
	s_or_b32 exec_lo, exec_lo, s40
	s_and_saveexec_b32 s30, s1
	s_cbranch_execnz .LBB46_16
	s_branch .LBB46_17
.LBB46_26:                              ;   in Loop: Header=BB46_4 Depth=1
	ds_load_b32 v18, v1
	s_or_b32 exec_lo, exec_lo, s30
	s_and_saveexec_b32 s30, s1
	s_cbranch_execz .LBB46_21
.LBB46_27:                              ;   in Loop: Header=BB46_4 Depth=1
	s_wait_dscnt 0x0
	ds_bpermute_b32 v19, v14, v18
	s_wait_dscnt 0x0
	v_add_f32_e32 v18, v18, v19
	ds_bpermute_b32 v10, v10, v18
	s_wait_dscnt 0x0
	v_add_f32_e32 v10, v18, v10
	;; [unrolled: 3-line block ×5, first 2 shown]
	s_or_b32 exec_lo, exec_lo, s30
                                        ; implicit-def: $vgpr10
	s_and_saveexec_b32 s30, s0
	s_cbranch_execz .LBB46_31
.LBB46_28:                              ;   in Loop: Header=BB46_4 Depth=1
	s_wait_dscnt 0x0
	v_mul_f32_e32 v10, v15, v18
	s_cmp_eq_f32 s5, 0
	s_cbranch_scc1 .LBB46_30
; %bb.29:                               ;   in Loop: Header=BB46_4 Depth=1
	s_add_nc_u64 s[40:41], s[28:29], s[12:13]
	global_load_b32 v11, v3, s[40:41]
	s_wait_loadcnt 0x0
	v_fmac_f32_e32 v10, s5, v11
.LBB46_30:                              ;   in Loop: Header=BB46_4 Depth=1
	s_or_b32 s39, s39, exec_lo
.LBB46_31:                              ;   in Loop: Header=BB46_4 Depth=1
	s_wait_xcnt 0x0
	s_or_b32 exec_lo, exec_lo, s30
.LBB46_32:                              ;   in Loop: Header=BB46_4 Depth=1
	s_and_saveexec_b32 s5, s39
	s_cbranch_execz .LBB46_2
; %bb.33:                               ;   in Loop: Header=BB46_4 Depth=1
	s_add_nc_u64 s[28:29], s[28:29], s[12:13]
	global_store_b32 v3, v10, s[28:29]
	s_branch .LBB46_2
.LBB46_34:
	s_endpgm
	.section	.rodata,"a",@progbits
	.p2align	6, 0x0
	.amdhsa_kernel _ZL32rocblas_gemvt_warp_reduce_kernelILb1ELi1024EifPKffEviiT3_lPKT2_lT1_lS5_lS6_lS2_lPT4_lS6_li
		.amdhsa_group_segment_fixed_size 128
		.amdhsa_private_segment_fixed_size 0
		.amdhsa_kernarg_size 140
		.amdhsa_user_sgpr_count 2
		.amdhsa_user_sgpr_dispatch_ptr 0
		.amdhsa_user_sgpr_queue_ptr 0
		.amdhsa_user_sgpr_kernarg_segment_ptr 1
		.amdhsa_user_sgpr_dispatch_id 0
		.amdhsa_user_sgpr_kernarg_preload_length 0
		.amdhsa_user_sgpr_kernarg_preload_offset 0
		.amdhsa_user_sgpr_private_segment_size 0
		.amdhsa_wavefront_size32 1
		.amdhsa_uses_dynamic_stack 0
		.amdhsa_enable_private_segment 0
		.amdhsa_system_sgpr_workgroup_id_x 1
		.amdhsa_system_sgpr_workgroup_id_y 0
		.amdhsa_system_sgpr_workgroup_id_z 1
		.amdhsa_system_sgpr_workgroup_info 0
		.amdhsa_system_vgpr_workitem_id 0
		.amdhsa_next_free_vgpr 21
		.amdhsa_next_free_sgpr 44
		.amdhsa_named_barrier_count 0
		.amdhsa_reserve_vcc 1
		.amdhsa_float_round_mode_32 0
		.amdhsa_float_round_mode_16_64 0
		.amdhsa_float_denorm_mode_32 3
		.amdhsa_float_denorm_mode_16_64 3
		.amdhsa_fp16_overflow 0
		.amdhsa_memory_ordered 1
		.amdhsa_forward_progress 1
		.amdhsa_inst_pref_size 12
		.amdhsa_round_robin_scheduling 0
		.amdhsa_exception_fp_ieee_invalid_op 0
		.amdhsa_exception_fp_denorm_src 0
		.amdhsa_exception_fp_ieee_div_zero 0
		.amdhsa_exception_fp_ieee_overflow 0
		.amdhsa_exception_fp_ieee_underflow 0
		.amdhsa_exception_fp_ieee_inexact 0
		.amdhsa_exception_int_div_zero 0
	.end_amdhsa_kernel
	.section	.text._ZL32rocblas_gemvt_warp_reduce_kernelILb1ELi1024EifPKffEviiT3_lPKT2_lT1_lS5_lS6_lS2_lPT4_lS6_li,"axG",@progbits,_ZL32rocblas_gemvt_warp_reduce_kernelILb1ELi1024EifPKffEviiT3_lPKT2_lT1_lS5_lS6_lS2_lPT4_lS6_li,comdat
.Lfunc_end46:
	.size	_ZL32rocblas_gemvt_warp_reduce_kernelILb1ELi1024EifPKffEviiT3_lPKT2_lT1_lS5_lS6_lS2_lPT4_lS6_li, .Lfunc_end46-_ZL32rocblas_gemvt_warp_reduce_kernelILb1ELi1024EifPKffEviiT3_lPKT2_lT1_lS5_lS6_lS2_lPT4_lS6_li
                                        ; -- End function
	.set _ZL32rocblas_gemvt_warp_reduce_kernelILb1ELi1024EifPKffEviiT3_lPKT2_lT1_lS5_lS6_lS2_lPT4_lS6_li.num_vgpr, 21
	.set _ZL32rocblas_gemvt_warp_reduce_kernelILb1ELi1024EifPKffEviiT3_lPKT2_lT1_lS5_lS6_lS2_lPT4_lS6_li.num_agpr, 0
	.set _ZL32rocblas_gemvt_warp_reduce_kernelILb1ELi1024EifPKffEviiT3_lPKT2_lT1_lS5_lS6_lS2_lPT4_lS6_li.numbered_sgpr, 44
	.set _ZL32rocblas_gemvt_warp_reduce_kernelILb1ELi1024EifPKffEviiT3_lPKT2_lT1_lS5_lS6_lS2_lPT4_lS6_li.num_named_barrier, 0
	.set _ZL32rocblas_gemvt_warp_reduce_kernelILb1ELi1024EifPKffEviiT3_lPKT2_lT1_lS5_lS6_lS2_lPT4_lS6_li.private_seg_size, 0
	.set _ZL32rocblas_gemvt_warp_reduce_kernelILb1ELi1024EifPKffEviiT3_lPKT2_lT1_lS5_lS6_lS2_lPT4_lS6_li.uses_vcc, 1
	.set _ZL32rocblas_gemvt_warp_reduce_kernelILb1ELi1024EifPKffEviiT3_lPKT2_lT1_lS5_lS6_lS2_lPT4_lS6_li.uses_flat_scratch, 0
	.set _ZL32rocblas_gemvt_warp_reduce_kernelILb1ELi1024EifPKffEviiT3_lPKT2_lT1_lS5_lS6_lS2_lPT4_lS6_li.has_dyn_sized_stack, 0
	.set _ZL32rocblas_gemvt_warp_reduce_kernelILb1ELi1024EifPKffEviiT3_lPKT2_lT1_lS5_lS6_lS2_lPT4_lS6_li.has_recursion, 0
	.set _ZL32rocblas_gemvt_warp_reduce_kernelILb1ELi1024EifPKffEviiT3_lPKT2_lT1_lS5_lS6_lS2_lPT4_lS6_li.has_indirect_call, 0
	.section	.AMDGPU.csdata,"",@progbits
; Kernel info:
; codeLenInByte = 1412
; TotalNumSgprs: 46
; NumVgprs: 21
; ScratchSize: 0
; MemoryBound: 0
; FloatMode: 240
; IeeeMode: 1
; LDSByteSize: 128 bytes/workgroup (compile time only)
; SGPRBlocks: 0
; VGPRBlocks: 1
; NumSGPRsForWavesPerEU: 46
; NumVGPRsForWavesPerEU: 21
; NamedBarCnt: 0
; Occupancy: 16
; WaveLimiterHint : 0
; COMPUTE_PGM_RSRC2:SCRATCH_EN: 0
; COMPUTE_PGM_RSRC2:USER_SGPR: 2
; COMPUTE_PGM_RSRC2:TRAP_HANDLER: 0
; COMPUTE_PGM_RSRC2:TGID_X_EN: 1
; COMPUTE_PGM_RSRC2:TGID_Y_EN: 0
; COMPUTE_PGM_RSRC2:TGID_Z_EN: 1
; COMPUTE_PGM_RSRC2:TIDIG_COMP_CNT: 0
	.section	.text._ZL32rocblas_gemvt_warp_reduce_kernelILb1ELi1024ElfPKffEviiT3_lPKT2_lT1_lS5_lS6_lS2_lPT4_lS6_li,"axG",@progbits,_ZL32rocblas_gemvt_warp_reduce_kernelILb1ELi1024ElfPKffEviiT3_lPKT2_lT1_lS5_lS6_lS2_lPT4_lS6_li,comdat
	.globl	_ZL32rocblas_gemvt_warp_reduce_kernelILb1ELi1024ElfPKffEviiT3_lPKT2_lT1_lS5_lS6_lS2_lPT4_lS6_li ; -- Begin function _ZL32rocblas_gemvt_warp_reduce_kernelILb1ELi1024ElfPKffEviiT3_lPKT2_lT1_lS5_lS6_lS2_lPT4_lS6_li
	.p2align	8
	.type	_ZL32rocblas_gemvt_warp_reduce_kernelILb1ELi1024ElfPKffEviiT3_lPKT2_lT1_lS5_lS6_lS2_lPT4_lS6_li,@function
_ZL32rocblas_gemvt_warp_reduce_kernelILb1ELi1024ElfPKffEviiT3_lPKT2_lT1_lS5_lS6_lS2_lPT4_lS6_li: ; @_ZL32rocblas_gemvt_warp_reduce_kernelILb1ELi1024ElfPKffEviiT3_lPKT2_lT1_lS5_lS6_lS2_lPT4_lS6_li
; %bb.0:
	s_load_b32 s30, s[0:1], 0x88
	s_bfe_u32 s2, ttmp6, 0x40014
	s_lshr_b32 s3, ttmp7, 16
	s_add_co_i32 s2, s2, 1
	s_bfe_u32 s5, ttmp6, 0x40008
	s_mul_i32 s4, s3, s2
	s_getreg_b32 s2, hwreg(HW_REG_IB_STS2, 6, 4)
	s_add_co_i32 s5, s5, s4
	s_cmp_eq_u32 s2, 0
	s_mov_b32 s7, 0
	s_cselect_b32 s6, s3, s5
	s_wait_kmcnt 0x0
	s_cmp_ge_u32 s6, s30
	s_cbranch_scc1 .LBB47_34
; %bb.1:
	s_clause 0x2
	s_load_b512 s[8:23], s[0:1], 0x8
	s_load_b512 s[36:51], s[0:1], 0x48
	s_load_b32 s28, s[0:1], 0x0
	s_wait_xcnt 0x0
	s_bfe_u32 s0, ttmp6, 0x4000c
	s_and_b32 s1, ttmp6, 15
	s_add_co_i32 s0, s0, 1
	v_mbcnt_lo_u32_b32 v16, -1, 0
	s_mul_i32 s0, ttmp9, s0
	s_delay_alu instid0(SALU_CYCLE_1)
	s_add_co_i32 s3, s1, s0
	s_wait_kmcnt 0x0
	s_lshl_b64 s[0:1], s[22:23], 2
	s_lshl_b64 s[4:5], s[46:47], 2
	;; [unrolled: 1-line block ×3, first 2 shown]
	s_cmp_eq_u32 s2, 0
	v_cmp_gt_i32_e32 vcc_lo, s28, v0
	s_cselect_b32 s2, ttmp9, s3
	s_ashr_i32 s3, s28, 31
	s_add_nc_u64 s[22:23], s[12:13], s[24:25]
	s_lshr_b32 s3, s3, 22
	s_add_nc_u64 s[20:21], s[20:21], s[0:1]
	s_add_co_i32 s3, s28, s3
	v_cmp_eq_u32_e64 s0, 0, v0
	s_and_b32 s14, s3, 0xfffffc00
	s_delay_alu instid0(SALU_CYCLE_1) | instskip(SKIP_3) | instid1(VALU_DEP_3)
	v_dual_mov_b32 v3, 0 :: v_dual_bitop2_b32 v8, s14, v0 bitop3:0x54
	v_cndmask_b32_e32 v2, 0, v0, vcc_lo
	s_ashr_i32 s3, s2, 31
	v_cmp_gt_i32_e64 s1, s14, v0
	v_dual_mov_b32 v1, v3 :: v_dual_ashrrev_i32 v9, 31, v8
	s_delay_alu instid0(VALU_DEP_3) | instskip(SKIP_2) | instid1(VALU_DEP_2)
	v_lshlrev_b32_e32 v2, 2, v2
	s_mul_u64 s[26:27], s[48:49], s[2:3]
	s_ashr_i32 s15, s14, 31
	v_mul_u64_e32 v[10:11], s[36:37], v[0:1]
	v_mul_u64_e32 v[4:5], s[36:37], v[8:9]
	v_add_nc_u64_e32 v[6:7], s[22:23], v[2:3]
	s_add_nc_u64 s[22:23], s[44:45], s[4:5]
	s_mul_u64 s[4:5], s[16:17], s[2:3]
	v_and_b32_e32 v9, 31, v0
	s_lshl_b64 s[4:5], s[4:5], 2
	v_cmp_gt_i32_e64 s2, s28, v8
	v_lshrrev_b32_e32 v8, 3, v0
	s_add_nc_u64 s[16:17], s[4:5], s[24:25]
	v_add_nc_u64_e32 v[6:7], s[4:5], v[6:7]
	s_add_nc_u64 s[12:13], s[12:13], s[16:17]
	v_lshlrev_b32_e32 v1, 2, v9
	v_cmp_eq_u32_e64 s4, 0, v9
	v_and_b32_e32 v17, 0x7c, v8
	v_add_nc_u64_e32 v[8:9], s[12:13], v[2:3]
	v_cmp_gt_u32_e64 s3, 32, v0
	v_lshl_or_b32 v2, v16, 2, 64
	s_lshl_b64 s[12:13], s[18:19], 2
	s_lshl_b64 s[16:17], s[38:39], 2
	;; [unrolled: 1-line block ×4, first 2 shown]
	v_lshl_add_u64 v[10:11], v[10:11], 2, s[20:21]
	s_branch .LBB47_4
.LBB47_2:                               ;   in Loop: Header=BB47_4 Depth=1
	s_wait_xcnt 0x0
	s_or_b32 exec_lo, exec_lo, s5
.LBB47_3:                               ;   in Loop: Header=BB47_4 Depth=1
	s_add_co_i32 s6, s6, 0x10000
	s_delay_alu instid0(SALU_CYCLE_1)
	s_cmp_lt_u32 s6, s30
	s_cbranch_scc0 .LBB47_34
.LBB47_4:                               ; =>This Loop Header: Depth=1
                                        ;     Child Loop BB47_23 Depth 2
	s_mul_u64 s[28:29], s[10:11], s[6:7]
	s_wait_xcnt 0x0
	s_mul_u64 s[34:35], s[42:43], s[6:7]
	s_lshl_b64 s[28:29], s[28:29], 2
	s_lshl_b64 s[34:35], s[34:35], 2
	s_add_nc_u64 s[28:29], s[8:9], s[28:29]
	s_add_nc_u64 s[34:35], s[40:41], s[34:35]
	s_clause 0x1
	global_load_b32 v18, v3, s[28:29]
	global_load_b32 v12, v3, s[34:35]
	s_wait_loadcnt 0x1
	v_cmp_eq_f32_e32 vcc_lo, 0, v18
	s_wait_loadcnt 0x0
	v_cmp_eq_f32_e64 s5, 1.0, v12
	s_wait_xcnt 0x1
	s_and_b32 s28, vcc_lo, s5
	v_readfirstlane_b32 s5, v12
	s_and_b32 vcc_lo, exec_lo, s28
	s_cbranch_vccnz .LBB47_3
; %bb.5:                                ;   in Loop: Header=BB47_4 Depth=1
	v_cmp_neq_f32_e32 vcc_lo, 0, v18
	s_mul_u64 s[28:29], s[50:51], s[6:7]
	s_delay_alu instid0(SALU_CYCLE_1) | instskip(NEXT) | instid1(SALU_CYCLE_1)
	s_lshl_b64 s[28:29], s[28:29], 2
	s_add_nc_u64 s[28:29], s[22:23], s[28:29]
	s_cbranch_vccnz .LBB47_9
; %bb.6:                                ;   in Loop: Header=BB47_4 Depth=1
	s_mov_b32 s33, 0
	s_mov_b32 s31, 0
                                        ; implicit-def: $vgpr12
	s_wait_xcnt 0x0
	s_and_saveexec_b32 s34, s0
	s_cbranch_execz .LBB47_10
; %bb.7:                                ;   in Loop: Header=BB47_4 Depth=1
	s_cmp_eq_f32 s5, 0
	s_cbranch_scc1 .LBB47_11
; %bb.8:                                ;   in Loop: Header=BB47_4 Depth=1
	s_add_nc_u64 s[36:37], s[28:29], s[26:27]
	global_load_b32 v12, v3, s[36:37]
	s_wait_loadcnt 0x0
	v_mul_f32_e32 v12, s5, v12
	s_branch .LBB47_12
.LBB47_9:                               ;   in Loop: Header=BB47_4 Depth=1
	s_mov_b32 s31, 0
                                        ; implicit-def: $vgpr12
	s_cbranch_execnz .LBB47_13
	s_branch .LBB47_32
.LBB47_10:                              ;   in Loop: Header=BB47_4 Depth=1
	s_or_b32 exec_lo, exec_lo, s34
	s_delay_alu instid0(SALU_CYCLE_1)
	s_and_b32 vcc_lo, exec_lo, s33
	s_cbranch_vccnz .LBB47_13
	s_branch .LBB47_32
.LBB47_11:                              ;   in Loop: Header=BB47_4 Depth=1
	v_mov_b32_e32 v12, 0
.LBB47_12:                              ;   in Loop: Header=BB47_4 Depth=1
	s_mov_b32 s31, exec_lo
	s_wait_xcnt 0x0
	s_or_b32 exec_lo, exec_lo, s34
	s_delay_alu instid0(SALU_CYCLE_1)
	s_and_b32 vcc_lo, exec_lo, s33
	s_cbranch_vccz .LBB47_32
.LBB47_13:                              ;   in Loop: Header=BB47_4 Depth=1
	s_wait_dscnt 0x0
	v_mov_b32_e32 v19, 0
	s_wait_xcnt 0x0
	s_and_saveexec_b32 s33, s1
	s_cbranch_execnz .LBB47_22
; %bb.14:                               ;   in Loop: Header=BB47_4 Depth=1
	s_or_b32 exec_lo, exec_lo, s33
	s_and_saveexec_b32 s33, s2
	s_cbranch_execnz .LBB47_25
.LBB47_15:                              ;   in Loop: Header=BB47_4 Depth=1
	s_or_b32 exec_lo, exec_lo, s33
	s_and_saveexec_b32 s33, s3
.LBB47_16:                              ;   in Loop: Header=BB47_4 Depth=1
	ds_store_b32 v1, v3
.LBB47_17:                              ;   in Loop: Header=BB47_4 Depth=1
	s_or_b32 exec_lo, exec_lo, s33
	ds_bpermute_b32 v13, v2, v19
	v_cmp_gt_u32_e32 vcc_lo, 24, v16
	s_wait_dscnt 0x0
	s_barrier_signal -1
	s_barrier_wait -1
	v_cndmask_b32_e64 v12, 0, 8, vcc_lo
	v_cmp_gt_u32_e32 vcc_lo, 28, v16
	s_delay_alu instid0(VALU_DEP_2)
	v_add_lshl_u32 v12, v12, v16, 2
	v_add_f32_e32 v14, v19, v13
	v_cndmask_b32_e64 v13, 0, 4, vcc_lo
	v_cmp_gt_u32_e32 vcc_lo, 30, v16
	ds_bpermute_b32 v15, v12, v14
	v_add_lshl_u32 v13, v13, v16, 2
	s_wait_dscnt 0x0
	v_add_f32_e32 v15, v14, v15
	v_cndmask_b32_e64 v14, 0, 2, vcc_lo
	v_cmp_ne_u32_e32 vcc_lo, 31, v16
	ds_bpermute_b32 v19, v13, v15
	v_add_lshl_u32 v14, v14, v16, 2
	v_add_co_ci_u32_e64 v20, null, 0, v16, vcc_lo
	s_wait_dscnt 0x0
	v_add_f32_e32 v15, v15, v19
	ds_bpermute_b32 v19, v14, v15
	s_wait_dscnt 0x0
	v_dual_add_f32 v19, v15, v19 :: v_dual_lshlrev_b32 v15, 2, v20
	ds_bpermute_b32 v20, v15, v19
	s_and_saveexec_b32 s33, s4
	s_cbranch_execz .LBB47_19
; %bb.18:                               ;   in Loop: Header=BB47_4 Depth=1
	s_wait_dscnt 0x0
	v_add_f32_e32 v19, v19, v20
	ds_store_b32 v17, v19
.LBB47_19:                              ;   in Loop: Header=BB47_4 Depth=1
	s_or_b32 exec_lo, exec_lo, s33
	v_mov_b32_e32 v19, 0
	s_wait_dscnt 0x0
	s_barrier_signal -1
	s_barrier_wait -1
	s_and_saveexec_b32 s33, s3
	s_cbranch_execnz .LBB47_26
; %bb.20:                               ;   in Loop: Header=BB47_4 Depth=1
	s_or_b32 exec_lo, exec_lo, s33
	s_and_saveexec_b32 s33, s3
	s_cbranch_execnz .LBB47_27
.LBB47_21:                              ;   in Loop: Header=BB47_4 Depth=1
	s_or_b32 exec_lo, exec_lo, s33
                                        ; implicit-def: $vgpr12
	s_and_saveexec_b32 s33, s0
	s_cbranch_execnz .LBB47_28
	s_branch .LBB47_31
.LBB47_22:                              ;   in Loop: Header=BB47_4 Depth=1
	v_mad_nc_u64_u32 v[12:13], s12, s6, v[8:9]
	v_mad_nc_u64_u32 v[14:15], s16, s6, v[10:11]
	v_dual_mov_b32 v19, 0 :: v_dual_mov_b32 v20, v0
	s_mov_b32 s34, 0
	s_delay_alu instid0(VALU_DEP_3) | instskip(NEXT) | instid1(VALU_DEP_3)
	v_mad_u32 v13, s13, s6, v13
	v_mad_u32 v15, s17, s6, v15
.LBB47_23:                              ;   Parent Loop BB47_4 Depth=1
                                        ; =>  This Inner Loop Header: Depth=2
	global_load_b32 v21, v[12:13], off
	global_load_b32 v22, v[14:15], off
	v_add_nc_u32_e32 v20, 0x400, v20
	s_wait_xcnt 0x1
	v_add_nc_u64_e32 v[12:13], 0x1000, v[12:13]
	s_wait_xcnt 0x0
	v_add_nc_u64_e32 v[14:15], s[24:25], v[14:15]
	s_wait_loadcnt 0x0
	v_fmac_f32_e32 v19, v21, v22
	v_cmp_le_i32_e32 vcc_lo, s14, v20
	s_or_b32 s34, vcc_lo, s34
	s_delay_alu instid0(SALU_CYCLE_1)
	s_and_not1_b32 exec_lo, exec_lo, s34
	s_cbranch_execnz .LBB47_23
; %bb.24:                               ;   in Loop: Header=BB47_4 Depth=1
	s_or_b32 exec_lo, exec_lo, s34
	s_delay_alu instid0(SALU_CYCLE_1)
	s_or_b32 exec_lo, exec_lo, s33
	s_and_saveexec_b32 s33, s2
	s_cbranch_execz .LBB47_15
.LBB47_25:                              ;   in Loop: Header=BB47_4 Depth=1
	s_mul_u64 s[34:35], s[18:19], s[6:7]
	s_mul_u64 s[36:37], s[38:39], s[6:7]
	v_lshl_add_u64 v[12:13], s[34:35], 2, v[6:7]
	s_lshl_b64 s[34:35], s[36:37], 2
	s_delay_alu instid0(SALU_CYCLE_1) | instskip(NEXT) | instid1(SALU_CYCLE_1)
	s_add_nc_u64 s[34:35], s[20:21], s[34:35]
	v_lshl_add_u64 v[14:15], v[4:5], 2, s[34:35]
	s_delay_alu instid0(VALU_DEP_2)
	v_lshl_add_u64 v[12:13], s[14:15], 2, v[12:13]
	global_load_b32 v20, v[12:13], off
	global_load_b32 v21, v[14:15], off
	s_wait_loadcnt 0x0
	v_fmac_f32_e32 v19, v20, v21
	s_wait_xcnt 0x0
	s_or_b32 exec_lo, exec_lo, s33
	s_and_saveexec_b32 s33, s3
	s_cbranch_execnz .LBB47_16
	s_branch .LBB47_17
.LBB47_26:                              ;   in Loop: Header=BB47_4 Depth=1
	ds_load_b32 v19, v1
	s_or_b32 exec_lo, exec_lo, s33
	s_and_saveexec_b32 s33, s3
	s_cbranch_execz .LBB47_21
.LBB47_27:                              ;   in Loop: Header=BB47_4 Depth=1
	s_wait_dscnt 0x0
	ds_bpermute_b32 v20, v2, v19
	s_wait_dscnt 0x0
	v_add_f32_e32 v19, v19, v20
	ds_bpermute_b32 v12, v12, v19
	s_wait_dscnt 0x0
	v_add_f32_e32 v12, v19, v12
	;; [unrolled: 3-line block ×5, first 2 shown]
	s_or_b32 exec_lo, exec_lo, s33
                                        ; implicit-def: $vgpr12
	s_and_saveexec_b32 s33, s0
	s_cbranch_execz .LBB47_31
.LBB47_28:                              ;   in Loop: Header=BB47_4 Depth=1
	s_wait_dscnt 0x0
	v_mul_f32_e32 v12, v18, v19
	s_cmp_eq_f32 s5, 0
	s_cbranch_scc1 .LBB47_30
; %bb.29:                               ;   in Loop: Header=BB47_4 Depth=1
	s_add_nc_u64 s[34:35], s[28:29], s[26:27]
	global_load_b32 v13, v3, s[34:35]
	s_wait_loadcnt 0x0
	v_fmac_f32_e32 v12, s5, v13
.LBB47_30:                              ;   in Loop: Header=BB47_4 Depth=1
	s_or_b32 s31, s31, exec_lo
.LBB47_31:                              ;   in Loop: Header=BB47_4 Depth=1
	s_wait_xcnt 0x0
	s_or_b32 exec_lo, exec_lo, s33
.LBB47_32:                              ;   in Loop: Header=BB47_4 Depth=1
	s_wait_xcnt 0x0
	s_and_saveexec_b32 s5, s31
	s_cbranch_execz .LBB47_2
; %bb.33:                               ;   in Loop: Header=BB47_4 Depth=1
	s_add_nc_u64 s[28:29], s[28:29], s[26:27]
	global_store_b32 v3, v12, s[28:29]
	s_branch .LBB47_2
.LBB47_34:
	s_endpgm
	.section	.rodata,"a",@progbits
	.p2align	6, 0x0
	.amdhsa_kernel _ZL32rocblas_gemvt_warp_reduce_kernelILb1ELi1024ElfPKffEviiT3_lPKT2_lT1_lS5_lS6_lS2_lPT4_lS6_li
		.amdhsa_group_segment_fixed_size 128
		.amdhsa_private_segment_fixed_size 0
		.amdhsa_kernarg_size 140
		.amdhsa_user_sgpr_count 2
		.amdhsa_user_sgpr_dispatch_ptr 0
		.amdhsa_user_sgpr_queue_ptr 0
		.amdhsa_user_sgpr_kernarg_segment_ptr 1
		.amdhsa_user_sgpr_dispatch_id 0
		.amdhsa_user_sgpr_kernarg_preload_length 0
		.amdhsa_user_sgpr_kernarg_preload_offset 0
		.amdhsa_user_sgpr_private_segment_size 0
		.amdhsa_wavefront_size32 1
		.amdhsa_uses_dynamic_stack 0
		.amdhsa_enable_private_segment 0
		.amdhsa_system_sgpr_workgroup_id_x 1
		.amdhsa_system_sgpr_workgroup_id_y 0
		.amdhsa_system_sgpr_workgroup_id_z 1
		.amdhsa_system_sgpr_workgroup_info 0
		.amdhsa_system_vgpr_workitem_id 0
		.amdhsa_next_free_vgpr 23
		.amdhsa_next_free_sgpr 52
		.amdhsa_named_barrier_count 0
		.amdhsa_reserve_vcc 1
		.amdhsa_float_round_mode_32 0
		.amdhsa_float_round_mode_16_64 0
		.amdhsa_float_denorm_mode_32 3
		.amdhsa_float_denorm_mode_16_64 3
		.amdhsa_fp16_overflow 0
		.amdhsa_memory_ordered 1
		.amdhsa_forward_progress 1
		.amdhsa_inst_pref_size 11
		.amdhsa_round_robin_scheduling 0
		.amdhsa_exception_fp_ieee_invalid_op 0
		.amdhsa_exception_fp_denorm_src 0
		.amdhsa_exception_fp_ieee_div_zero 0
		.amdhsa_exception_fp_ieee_overflow 0
		.amdhsa_exception_fp_ieee_underflow 0
		.amdhsa_exception_fp_ieee_inexact 0
		.amdhsa_exception_int_div_zero 0
	.end_amdhsa_kernel
	.section	.text._ZL32rocblas_gemvt_warp_reduce_kernelILb1ELi1024ElfPKffEviiT3_lPKT2_lT1_lS5_lS6_lS2_lPT4_lS6_li,"axG",@progbits,_ZL32rocblas_gemvt_warp_reduce_kernelILb1ELi1024ElfPKffEviiT3_lPKT2_lT1_lS5_lS6_lS2_lPT4_lS6_li,comdat
.Lfunc_end47:
	.size	_ZL32rocblas_gemvt_warp_reduce_kernelILb1ELi1024ElfPKffEviiT3_lPKT2_lT1_lS5_lS6_lS2_lPT4_lS6_li, .Lfunc_end47-_ZL32rocblas_gemvt_warp_reduce_kernelILb1ELi1024ElfPKffEviiT3_lPKT2_lT1_lS5_lS6_lS2_lPT4_lS6_li
                                        ; -- End function
	.set _ZL32rocblas_gemvt_warp_reduce_kernelILb1ELi1024ElfPKffEviiT3_lPKT2_lT1_lS5_lS6_lS2_lPT4_lS6_li.num_vgpr, 23
	.set _ZL32rocblas_gemvt_warp_reduce_kernelILb1ELi1024ElfPKffEviiT3_lPKT2_lT1_lS5_lS6_lS2_lPT4_lS6_li.num_agpr, 0
	.set _ZL32rocblas_gemvt_warp_reduce_kernelILb1ELi1024ElfPKffEviiT3_lPKT2_lT1_lS5_lS6_lS2_lPT4_lS6_li.numbered_sgpr, 52
	.set _ZL32rocblas_gemvt_warp_reduce_kernelILb1ELi1024ElfPKffEviiT3_lPKT2_lT1_lS5_lS6_lS2_lPT4_lS6_li.num_named_barrier, 0
	.set _ZL32rocblas_gemvt_warp_reduce_kernelILb1ELi1024ElfPKffEviiT3_lPKT2_lT1_lS5_lS6_lS2_lPT4_lS6_li.private_seg_size, 0
	.set _ZL32rocblas_gemvt_warp_reduce_kernelILb1ELi1024ElfPKffEviiT3_lPKT2_lT1_lS5_lS6_lS2_lPT4_lS6_li.uses_vcc, 1
	.set _ZL32rocblas_gemvt_warp_reduce_kernelILb1ELi1024ElfPKffEviiT3_lPKT2_lT1_lS5_lS6_lS2_lPT4_lS6_li.uses_flat_scratch, 0
	.set _ZL32rocblas_gemvt_warp_reduce_kernelILb1ELi1024ElfPKffEviiT3_lPKT2_lT1_lS5_lS6_lS2_lPT4_lS6_li.has_dyn_sized_stack, 0
	.set _ZL32rocblas_gemvt_warp_reduce_kernelILb1ELi1024ElfPKffEviiT3_lPKT2_lT1_lS5_lS6_lS2_lPT4_lS6_li.has_recursion, 0
	.set _ZL32rocblas_gemvt_warp_reduce_kernelILb1ELi1024ElfPKffEviiT3_lPKT2_lT1_lS5_lS6_lS2_lPT4_lS6_li.has_indirect_call, 0
	.section	.AMDGPU.csdata,"",@progbits
; Kernel info:
; codeLenInByte = 1392
; TotalNumSgprs: 54
; NumVgprs: 23
; ScratchSize: 0
; MemoryBound: 0
; FloatMode: 240
; IeeeMode: 1
; LDSByteSize: 128 bytes/workgroup (compile time only)
; SGPRBlocks: 0
; VGPRBlocks: 1
; NumSGPRsForWavesPerEU: 54
; NumVGPRsForWavesPerEU: 23
; NamedBarCnt: 0
; Occupancy: 16
; WaveLimiterHint : 0
; COMPUTE_PGM_RSRC2:SCRATCH_EN: 0
; COMPUTE_PGM_RSRC2:USER_SGPR: 2
; COMPUTE_PGM_RSRC2:TRAP_HANDLER: 0
; COMPUTE_PGM_RSRC2:TGID_X_EN: 1
; COMPUTE_PGM_RSRC2:TGID_Y_EN: 0
; COMPUTE_PGM_RSRC2:TGID_Z_EN: 1
; COMPUTE_PGM_RSRC2:TIDIG_COMP_CNT: 0
	.section	.text._ZL32rocblas_gemvt_warp_reduce_kernelILb1ELi1024EifffEviiT3_lPKT2_lT1_lS3_lS4_lS0_lPT4_lS4_li,"axG",@progbits,_ZL32rocblas_gemvt_warp_reduce_kernelILb1ELi1024EifffEviiT3_lPKT2_lT1_lS3_lS4_lS0_lPT4_lS4_li,comdat
	.globl	_ZL32rocblas_gemvt_warp_reduce_kernelILb1ELi1024EifffEviiT3_lPKT2_lT1_lS3_lS4_lS0_lPT4_lS4_li ; -- Begin function _ZL32rocblas_gemvt_warp_reduce_kernelILb1ELi1024EifffEviiT3_lPKT2_lT1_lS3_lS4_lS0_lPT4_lS4_li
	.p2align	8
	.type	_ZL32rocblas_gemvt_warp_reduce_kernelILb1ELi1024EifffEviiT3_lPKT2_lT1_lS3_lS4_lS0_lPT4_lS4_li,@function
_ZL32rocblas_gemvt_warp_reduce_kernelILb1ELi1024EifffEviiT3_lPKT2_lT1_lS3_lS4_lS0_lPT4_lS4_li: ; @_ZL32rocblas_gemvt_warp_reduce_kernelILb1ELi1024EifffEviiT3_lPKT2_lT1_lS3_lS4_lS0_lPT4_lS4_li
; %bb.0:
	s_load_b32 s19, s[0:1], 0x88
	s_bfe_u32 s2, ttmp6, 0x40014
	s_lshr_b32 s4, ttmp7, 16
	s_add_co_i32 s2, s2, 1
	s_bfe_u32 s5, ttmp6, 0x40008
	s_mul_i32 s2, s4, s2
	s_getreg_b32 s3, hwreg(HW_REG_IB_STS2, 6, 4)
	s_add_co_i32 s5, s5, s2
	s_cmp_eq_u32 s3, 0
	s_mov_b32 s25, 0
	s_cselect_b32 s24, s4, s5
	s_wait_kmcnt 0x0
	s_cmp_ge_u32 s24, s19
	s_cbranch_scc1 .LBB48_34
; %bb.1:
	s_clause 0x7
	s_load_b96 s[20:22], s[0:1], 0x40
	s_load_b128 s[12:15], s[0:1], 0x68
	s_load_b128 s[4:7], s[0:1], 0x18
	s_load_b32 s30, s[0:1], 0x8
	s_load_b96 s[16:18], s[0:1], 0x50
	s_load_b128 s[8:11], s[0:1], 0x30
	s_load_b32 s23, s[0:1], 0x0
	s_load_b32 s28, s[0:1], 0x28
	v_dual_mov_b32 v3, 0 :: v_dual_bitop2_b32 v2, 31, v0 bitop3:0x40
	v_lshrrev_b32_e32 v4, 3, v0
	v_mbcnt_lo_u32_b32 v1, -1, 0
	s_delay_alu instid0(VALU_DEP_3) | instskip(SKIP_1) | instid1(VALU_DEP_4)
	v_lshlrev_b32_e32 v12, 2, v2
	v_cmp_eq_u32_e64 s2, 0, v2
	v_and_b32_e32 v13, 0x7c, v4
	s_wait_kmcnt 0x0
	s_lshl_b64 s[26:27], s[20:21], 2
	s_lshl_b64 s[14:15], s[14:15], 2
	;; [unrolled: 1-line block ×3, first 2 shown]
	s_cmp_eq_f32 s30, 0
	s_add_nc_u64 s[12:13], s[12:13], s[14:15]
	s_clause 0x1
	s_load_b32 s29, s[0:1], 0x78
	s_load_b64 s[6:7], s[0:1], 0x80
	v_cmp_gt_i32_e32 vcc_lo, s23, v0
	s_cselect_b32 s31, -1, 0
	s_cmp_neq_f32 s30, 0
	s_add_nc_u64 s[10:11], s[10:11], s[26:27]
	s_add_nc_u64 s[26:27], s[4:5], s[20:21]
	v_mul_lo_u32 v14, v0, s22
	s_cselect_b32 s33, -1, 0
	s_cmp_neq_f32 s18, 1.0
	s_wait_xcnt 0x0
	v_cmp_eq_u32_e64 s0, 0, v0
	v_cmp_gt_u32_e64 s1, 32, v0
	s_cselect_b32 s34, -1, 0
	s_delay_alu instid0(SALU_CYCLE_1)
	s_or_b32 s33, s33, s34
	s_cmp_neq_f32 s18, 0
	s_cselect_b32 s34, -1, 0
	s_bfe_u32 s35, ttmp6, 0x4000c
	s_and_b32 s36, ttmp6, 15
	s_add_co_i32 s35, s35, 1
	s_delay_alu instid0(SALU_CYCLE_1) | instskip(NEXT) | instid1(SALU_CYCLE_1)
	s_mul_i32 s35, ttmp9, s35
	s_add_co_i32 s36, s36, s35
	s_cmp_eq_u32 s3, 0
	s_cselect_b32 s3, ttmp9, s36
	s_ashr_i32 s14, s23, 31
	s_delay_alu instid0(SALU_CYCLE_1) | instskip(NEXT) | instid1(SALU_CYCLE_1)
	s_lshr_b32 s14, s14, 22
	s_add_co_i32 s14, s23, s14
	s_delay_alu instid0(SALU_CYCLE_1) | instskip(NEXT) | instid1(SALU_CYCLE_1)
	s_and_b32 s14, s14, 0xfffffc00
	v_dual_cndmask_b32 v2, 0, v0, vcc_lo :: v_dual_bitop2_b32 v5, s14, v0 bitop3:0x54
	s_ashr_i32 s15, s14, 31
	s_delay_alu instid0(VALU_DEP_1) | instskip(NEXT) | instid1(VALU_DEP_2)
	v_mul_lo_u32 v4, s22, v5
	v_lshlrev_b32_e32 v2, 2, v2
	s_delay_alu instid0(VALU_DEP_1)
	v_add_nc_u64_e32 v[6:7], s[26:27], v[2:3]
	s_mul_i32 s26, s28, s3
	s_wait_kmcnt 0x0
	s_mul_i32 s28, s29, s3
	s_ashr_i32 s27, s26, 31
	v_cmp_gt_i32_e64 s3, s14, v0
	s_lshl_b64 s[26:27], s[26:27], 2
	s_ashr_i32 s29, s28, 31
	s_add_nc_u64 s[20:21], s[20:21], s[26:27]
	v_add_nc_u64_e32 v[6:7], s[26:27], v[6:7]
	s_add_nc_u64 s[4:5], s[4:5], s[20:21]
	s_lshl_b64 s[20:21], s[8:9], 2
	v_add_nc_u64_e32 v[8:9], s[4:5], v[2:3]
	v_cmp_gt_i32_e64 s4, s23, v5
	v_ashrrev_i32_e32 v5, 31, v4
	v_lshl_or_b32 v2, v1, 2, 64
	s_lshl_b32 s5, s22, 10
	s_lshl_b64 s[22:23], s[28:29], 2
	s_branch .LBB48_4
.LBB48_2:                               ;   in Loop: Header=BB48_4 Depth=1
	s_wait_xcnt 0x0
	s_or_b32 exec_lo, exec_lo, s28
.LBB48_3:                               ;   in Loop: Header=BB48_4 Depth=1
	s_add_co_i32 s24, s24, 0x10000
	s_delay_alu instid0(SALU_CYCLE_1)
	s_cmp_lt_u32 s24, s19
	s_cbranch_scc0 .LBB48_34
.LBB48_4:                               ; =>This Loop Header: Depth=1
                                        ;     Child Loop BB48_23 Depth 2
	s_and_not1_b32 vcc_lo, exec_lo, s33
	s_cbranch_vccnz .LBB48_3
; %bb.5:                                ;   in Loop: Header=BB48_4 Depth=1
	s_mul_u64 s[26:27], s[6:7], s[24:25]
	s_and_not1_b32 vcc_lo, exec_lo, s31
	s_lshl_b64 s[26:27], s[26:27], 2
	s_delay_alu instid0(SALU_CYCLE_1)
	s_add_nc_u64 s[26:27], s[12:13], s[26:27]
	s_cbranch_vccnz .LBB48_9
; %bb.6:                                ;   in Loop: Header=BB48_4 Depth=1
	s_mov_b32 s28, 0
	s_mov_b32 s35, 0
                                        ; implicit-def: $vgpr10
	s_and_saveexec_b32 s29, s0
	s_cbranch_execz .LBB48_10
; %bb.7:                                ;   in Loop: Header=BB48_4 Depth=1
	s_and_not1_b32 vcc_lo, exec_lo, s34
	s_cbranch_vccnz .LBB48_11
; %bb.8:                                ;   in Loop: Header=BB48_4 Depth=1
	s_add_nc_u64 s[36:37], s[26:27], s[22:23]
	global_load_b32 v10, v3, s[36:37]
	s_wait_loadcnt 0x0
	v_mul_f32_e32 v10, s18, v10
	s_branch .LBB48_12
.LBB48_9:                               ;   in Loop: Header=BB48_4 Depth=1
	s_mov_b32 s35, 0
                                        ; implicit-def: $vgpr10
	s_cbranch_execnz .LBB48_13
	s_branch .LBB48_32
.LBB48_10:                              ;   in Loop: Header=BB48_4 Depth=1
	s_or_b32 exec_lo, exec_lo, s29
	s_delay_alu instid0(SALU_CYCLE_1)
	s_and_b32 vcc_lo, exec_lo, s28
	s_cbranch_vccnz .LBB48_13
	s_branch .LBB48_32
.LBB48_11:                              ;   in Loop: Header=BB48_4 Depth=1
	v_mov_b32_e32 v10, 0
.LBB48_12:                              ;   in Loop: Header=BB48_4 Depth=1
	s_mov_b32 s35, exec_lo
	s_wait_xcnt 0x0
	s_or_b32 exec_lo, exec_lo, s29
	s_delay_alu instid0(SALU_CYCLE_1)
	s_and_b32 vcc_lo, exec_lo, s28
	s_cbranch_vccz .LBB48_32
.LBB48_13:                              ;   in Loop: Header=BB48_4 Depth=1
	s_mul_u64 s[28:29], s[16:17], s[24:25]
	v_mov_b32_e32 v15, 0
	s_lshl_b64 s[28:29], s[28:29], 2
	s_delay_alu instid0(SALU_CYCLE_1)
	s_add_nc_u64 s[28:29], s[10:11], s[28:29]
	s_and_saveexec_b32 s36, s3
	s_cbranch_execnz .LBB48_22
; %bb.14:                               ;   in Loop: Header=BB48_4 Depth=1
	s_or_b32 exec_lo, exec_lo, s36
	s_and_saveexec_b32 s36, s4
	s_cbranch_execnz .LBB48_25
.LBB48_15:                              ;   in Loop: Header=BB48_4 Depth=1
	s_or_b32 exec_lo, exec_lo, s36
	s_and_saveexec_b32 s28, s1
.LBB48_16:                              ;   in Loop: Header=BB48_4 Depth=1
	ds_store_b32 v12, v3
.LBB48_17:                              ;   in Loop: Header=BB48_4 Depth=1
	s_or_b32 exec_lo, exec_lo, s28
	ds_bpermute_b32 v11, v2, v15
	v_cmp_gt_u32_e32 vcc_lo, 24, v1
	s_wait_dscnt 0x0
	s_barrier_signal -1
	s_barrier_wait -1
	v_cndmask_b32_e64 v10, 0, 8, vcc_lo
	v_cmp_gt_u32_e32 vcc_lo, 28, v1
	s_delay_alu instid0(VALU_DEP_2)
	v_add_lshl_u32 v10, v10, v1, 2
	v_add_f32_e32 v15, v15, v11
	v_cndmask_b32_e64 v11, 0, 4, vcc_lo
	v_cmp_gt_u32_e32 vcc_lo, 30, v1
	ds_bpermute_b32 v16, v10, v15
	v_add_lshl_u32 v11, v11, v1, 2
	s_wait_dscnt 0x0
	v_add_f32_e32 v16, v15, v16
	v_cndmask_b32_e64 v15, 0, 2, vcc_lo
	v_cmp_ne_u32_e32 vcc_lo, 31, v1
	ds_bpermute_b32 v17, v11, v16
	v_add_lshl_u32 v15, v15, v1, 2
	v_add_co_ci_u32_e64 v18, null, 0, v1, vcc_lo
	s_wait_dscnt 0x0
	v_add_f32_e32 v16, v16, v17
	ds_bpermute_b32 v17, v15, v16
	s_wait_dscnt 0x0
	v_dual_add_f32 v17, v16, v17 :: v_dual_lshlrev_b32 v16, 2, v18
	ds_bpermute_b32 v18, v16, v17
	s_and_saveexec_b32 s28, s2
	s_cbranch_execz .LBB48_19
; %bb.18:                               ;   in Loop: Header=BB48_4 Depth=1
	s_wait_dscnt 0x0
	v_add_f32_e32 v17, v17, v18
	ds_store_b32 v13, v17
.LBB48_19:                              ;   in Loop: Header=BB48_4 Depth=1
	s_or_b32 exec_lo, exec_lo, s28
	v_mov_b32_e32 v17, 0
	s_wait_dscnt 0x0
	s_barrier_signal -1
	s_barrier_wait -1
	s_and_saveexec_b32 s28, s1
	s_cbranch_execnz .LBB48_26
; %bb.20:                               ;   in Loop: Header=BB48_4 Depth=1
	s_or_b32 exec_lo, exec_lo, s28
	s_and_saveexec_b32 s28, s1
	s_cbranch_execnz .LBB48_27
.LBB48_21:                              ;   in Loop: Header=BB48_4 Depth=1
	s_or_b32 exec_lo, exec_lo, s28
                                        ; implicit-def: $vgpr10
	s_and_saveexec_b32 s28, s0
	s_cbranch_execnz .LBB48_28
	s_branch .LBB48_31
.LBB48_22:                              ;   in Loop: Header=BB48_4 Depth=1
	v_mad_nc_u64_u32 v[10:11], s20, s24, v[8:9]
	v_dual_mov_b32 v15, 0 :: v_dual_mov_b32 v16, v0
	s_wait_dscnt 0x0
	v_mov_b32_e32 v17, v14
	s_mov_b32 s37, 0
	s_delay_alu instid0(VALU_DEP_3)
	v_mad_u32 v11, s21, s24, v11
.LBB48_23:                              ;   Parent Loop BB48_4 Depth=1
                                        ; =>  This Inner Loop Header: Depth=2
	global_load_b32 v18, v[10:11], off
	global_load_b32 v19, v17, s[28:29] scale_offset
	v_add_nc_u32_e32 v16, 0x400, v16
	s_wait_xcnt 0x1
	v_add_nc_u64_e32 v[10:11], 0x1000, v[10:11]
	s_wait_loadcnt 0x0
	s_wait_xcnt 0x0
	v_dual_add_nc_u32 v17, s5, v17 :: v_dual_fmac_f32 v15, v18, v19
	v_cmp_le_i32_e32 vcc_lo, s14, v16
	s_or_b32 s37, vcc_lo, s37
	s_delay_alu instid0(SALU_CYCLE_1)
	s_and_not1_b32 exec_lo, exec_lo, s37
	s_cbranch_execnz .LBB48_23
; %bb.24:                               ;   in Loop: Header=BB48_4 Depth=1
	s_or_b32 exec_lo, exec_lo, s37
	s_delay_alu instid0(SALU_CYCLE_1)
	s_or_b32 exec_lo, exec_lo, s36
	s_and_saveexec_b32 s36, s4
	s_cbranch_execz .LBB48_15
.LBB48_25:                              ;   in Loop: Header=BB48_4 Depth=1
	s_mul_u64 s[38:39], s[8:9], s[24:25]
	s_wait_dscnt 0x0
	v_lshl_add_u64 v[16:17], v[4:5], 2, s[28:29]
	v_lshl_add_u64 v[10:11], s[38:39], 2, v[6:7]
	s_delay_alu instid0(VALU_DEP_1)
	v_lshl_add_u64 v[10:11], s[14:15], 2, v[10:11]
	global_load_b32 v18, v[10:11], off
	global_load_b32 v19, v[16:17], off
	s_wait_loadcnt 0x0
	v_fmac_f32_e32 v15, v18, v19
	s_wait_xcnt 0x0
	s_or_b32 exec_lo, exec_lo, s36
	s_and_saveexec_b32 s28, s1
	s_cbranch_execnz .LBB48_16
	s_branch .LBB48_17
.LBB48_26:                              ;   in Loop: Header=BB48_4 Depth=1
	ds_load_b32 v17, v12
	s_or_b32 exec_lo, exec_lo, s28
	s_and_saveexec_b32 s28, s1
	s_cbranch_execz .LBB48_21
.LBB48_27:                              ;   in Loop: Header=BB48_4 Depth=1
	s_wait_dscnt 0x0
	ds_bpermute_b32 v18, v2, v17
	s_wait_dscnt 0x0
	v_add_f32_e32 v17, v17, v18
	ds_bpermute_b32 v10, v10, v17
	s_wait_dscnt 0x0
	v_add_f32_e32 v10, v17, v10
	ds_bpermute_b32 v11, v11, v10
	s_wait_dscnt 0x0
	v_add_f32_e32 v10, v10, v11
	ds_bpermute_b32 v11, v15, v10
	s_wait_dscnt 0x0
	v_add_f32_e32 v10, v10, v11
	ds_bpermute_b32 v11, v16, v10
	s_wait_dscnt 0x0
	v_add_f32_e32 v17, v10, v11
	s_or_b32 exec_lo, exec_lo, s28
                                        ; implicit-def: $vgpr10
	s_and_saveexec_b32 s28, s0
	s_cbranch_execz .LBB48_31
.LBB48_28:                              ;   in Loop: Header=BB48_4 Depth=1
	s_wait_dscnt 0x0
	v_mul_f32_e32 v10, s30, v17
	s_and_not1_b32 vcc_lo, exec_lo, s34
	s_cbranch_vccnz .LBB48_30
; %bb.29:                               ;   in Loop: Header=BB48_4 Depth=1
	s_add_nc_u64 s[36:37], s[26:27], s[22:23]
	global_load_b32 v11, v3, s[36:37]
	s_wait_loadcnt 0x0
	v_fmac_f32_e32 v10, s18, v11
.LBB48_30:                              ;   in Loop: Header=BB48_4 Depth=1
	s_or_b32 s35, s35, exec_lo
.LBB48_31:                              ;   in Loop: Header=BB48_4 Depth=1
	s_wait_xcnt 0x0
	s_or_b32 exec_lo, exec_lo, s28
.LBB48_32:                              ;   in Loop: Header=BB48_4 Depth=1
	s_and_saveexec_b32 s28, s35
	s_cbranch_execz .LBB48_2
; %bb.33:                               ;   in Loop: Header=BB48_4 Depth=1
	s_add_nc_u64 s[26:27], s[26:27], s[22:23]
	global_store_b32 v3, v10, s[26:27]
	s_branch .LBB48_2
.LBB48_34:
	s_endpgm
	.section	.rodata,"a",@progbits
	.p2align	6, 0x0
	.amdhsa_kernel _ZL32rocblas_gemvt_warp_reduce_kernelILb1ELi1024EifffEviiT3_lPKT2_lT1_lS3_lS4_lS0_lPT4_lS4_li
		.amdhsa_group_segment_fixed_size 128
		.amdhsa_private_segment_fixed_size 0
		.amdhsa_kernarg_size 140
		.amdhsa_user_sgpr_count 2
		.amdhsa_user_sgpr_dispatch_ptr 0
		.amdhsa_user_sgpr_queue_ptr 0
		.amdhsa_user_sgpr_kernarg_segment_ptr 1
		.amdhsa_user_sgpr_dispatch_id 0
		.amdhsa_user_sgpr_kernarg_preload_length 0
		.amdhsa_user_sgpr_kernarg_preload_offset 0
		.amdhsa_user_sgpr_private_segment_size 0
		.amdhsa_wavefront_size32 1
		.amdhsa_uses_dynamic_stack 0
		.amdhsa_enable_private_segment 0
		.amdhsa_system_sgpr_workgroup_id_x 1
		.amdhsa_system_sgpr_workgroup_id_y 0
		.amdhsa_system_sgpr_workgroup_id_z 1
		.amdhsa_system_sgpr_workgroup_info 0
		.amdhsa_system_vgpr_workitem_id 0
		.amdhsa_next_free_vgpr 20
		.amdhsa_next_free_sgpr 40
		.amdhsa_named_barrier_count 0
		.amdhsa_reserve_vcc 1
		.amdhsa_float_round_mode_32 0
		.amdhsa_float_round_mode_16_64 0
		.amdhsa_float_denorm_mode_32 3
		.amdhsa_float_denorm_mode_16_64 3
		.amdhsa_fp16_overflow 0
		.amdhsa_memory_ordered 1
		.amdhsa_forward_progress 1
		.amdhsa_inst_pref_size 11
		.amdhsa_round_robin_scheduling 0
		.amdhsa_exception_fp_ieee_invalid_op 0
		.amdhsa_exception_fp_denorm_src 0
		.amdhsa_exception_fp_ieee_div_zero 0
		.amdhsa_exception_fp_ieee_overflow 0
		.amdhsa_exception_fp_ieee_underflow 0
		.amdhsa_exception_fp_ieee_inexact 0
		.amdhsa_exception_int_div_zero 0
	.end_amdhsa_kernel
	.section	.text._ZL32rocblas_gemvt_warp_reduce_kernelILb1ELi1024EifffEviiT3_lPKT2_lT1_lS3_lS4_lS0_lPT4_lS4_li,"axG",@progbits,_ZL32rocblas_gemvt_warp_reduce_kernelILb1ELi1024EifffEviiT3_lPKT2_lT1_lS3_lS4_lS0_lPT4_lS4_li,comdat
.Lfunc_end48:
	.size	_ZL32rocblas_gemvt_warp_reduce_kernelILb1ELi1024EifffEviiT3_lPKT2_lT1_lS3_lS4_lS0_lPT4_lS4_li, .Lfunc_end48-_ZL32rocblas_gemvt_warp_reduce_kernelILb1ELi1024EifffEviiT3_lPKT2_lT1_lS3_lS4_lS0_lPT4_lS4_li
                                        ; -- End function
	.set _ZL32rocblas_gemvt_warp_reduce_kernelILb1ELi1024EifffEviiT3_lPKT2_lT1_lS3_lS4_lS0_lPT4_lS4_li.num_vgpr, 20
	.set _ZL32rocblas_gemvt_warp_reduce_kernelILb1ELi1024EifffEviiT3_lPKT2_lT1_lS3_lS4_lS0_lPT4_lS4_li.num_agpr, 0
	.set _ZL32rocblas_gemvt_warp_reduce_kernelILb1ELi1024EifffEviiT3_lPKT2_lT1_lS3_lS4_lS0_lPT4_lS4_li.numbered_sgpr, 40
	.set _ZL32rocblas_gemvt_warp_reduce_kernelILb1ELi1024EifffEviiT3_lPKT2_lT1_lS3_lS4_lS0_lPT4_lS4_li.num_named_barrier, 0
	.set _ZL32rocblas_gemvt_warp_reduce_kernelILb1ELi1024EifffEviiT3_lPKT2_lT1_lS3_lS4_lS0_lPT4_lS4_li.private_seg_size, 0
	.set _ZL32rocblas_gemvt_warp_reduce_kernelILb1ELi1024EifffEviiT3_lPKT2_lT1_lS3_lS4_lS0_lPT4_lS4_li.uses_vcc, 1
	.set _ZL32rocblas_gemvt_warp_reduce_kernelILb1ELi1024EifffEviiT3_lPKT2_lT1_lS3_lS4_lS0_lPT4_lS4_li.uses_flat_scratch, 0
	.set _ZL32rocblas_gemvt_warp_reduce_kernelILb1ELi1024EifffEviiT3_lPKT2_lT1_lS3_lS4_lS0_lPT4_lS4_li.has_dyn_sized_stack, 0
	.set _ZL32rocblas_gemvt_warp_reduce_kernelILb1ELi1024EifffEviiT3_lPKT2_lT1_lS3_lS4_lS0_lPT4_lS4_li.has_recursion, 0
	.set _ZL32rocblas_gemvt_warp_reduce_kernelILb1ELi1024EifffEviiT3_lPKT2_lT1_lS3_lS4_lS0_lPT4_lS4_li.has_indirect_call, 0
	.section	.AMDGPU.csdata,"",@progbits
; Kernel info:
; codeLenInByte = 1396
; TotalNumSgprs: 42
; NumVgprs: 20
; ScratchSize: 0
; MemoryBound: 0
; FloatMode: 240
; IeeeMode: 1
; LDSByteSize: 128 bytes/workgroup (compile time only)
; SGPRBlocks: 0
; VGPRBlocks: 1
; NumSGPRsForWavesPerEU: 42
; NumVGPRsForWavesPerEU: 20
; NamedBarCnt: 0
; Occupancy: 16
; WaveLimiterHint : 0
; COMPUTE_PGM_RSRC2:SCRATCH_EN: 0
; COMPUTE_PGM_RSRC2:USER_SGPR: 2
; COMPUTE_PGM_RSRC2:TRAP_HANDLER: 0
; COMPUTE_PGM_RSRC2:TGID_X_EN: 1
; COMPUTE_PGM_RSRC2:TGID_Y_EN: 0
; COMPUTE_PGM_RSRC2:TGID_Z_EN: 1
; COMPUTE_PGM_RSRC2:TIDIG_COMP_CNT: 0
	.section	.text._ZL32rocblas_gemvt_warp_reduce_kernelILb1ELi1024ElfffEviiT3_lPKT2_lT1_lS3_lS4_lS0_lPT4_lS4_li,"axG",@progbits,_ZL32rocblas_gemvt_warp_reduce_kernelILb1ELi1024ElfffEviiT3_lPKT2_lT1_lS3_lS4_lS0_lPT4_lS4_li,comdat
	.globl	_ZL32rocblas_gemvt_warp_reduce_kernelILb1ELi1024ElfffEviiT3_lPKT2_lT1_lS3_lS4_lS0_lPT4_lS4_li ; -- Begin function _ZL32rocblas_gemvt_warp_reduce_kernelILb1ELi1024ElfffEviiT3_lPKT2_lT1_lS3_lS4_lS0_lPT4_lS4_li
	.p2align	8
	.type	_ZL32rocblas_gemvt_warp_reduce_kernelILb1ELi1024ElfffEviiT3_lPKT2_lT1_lS3_lS4_lS0_lPT4_lS4_li,@function
_ZL32rocblas_gemvt_warp_reduce_kernelILb1ELi1024ElfffEviiT3_lPKT2_lT1_lS3_lS4_lS0_lPT4_lS4_li: ; @_ZL32rocblas_gemvt_warp_reduce_kernelILb1ELi1024ElfffEviiT3_lPKT2_lT1_lS3_lS4_lS0_lPT4_lS4_li
; %bb.0:
	s_load_b32 s5, s[0:1], 0x88
	s_bfe_u32 s2, ttmp6, 0x40014
	s_lshr_b32 s3, ttmp7, 16
	s_add_co_i32 s2, s2, 1
	s_bfe_u32 s6, ttmp6, 0x40008
	s_mul_i32 s4, s3, s2
	s_getreg_b32 s2, hwreg(HW_REG_IB_STS2, 6, 4)
	s_add_co_i32 s6, s6, s4
	s_cmp_eq_u32 s2, 0
	s_mov_b32 s7, 0
	s_cselect_b32 s6, s3, s6
	s_wait_kmcnt 0x0
	s_cmp_ge_u32 s6, s5
	s_cbranch_scc1 .LBB49_34
; %bb.1:
	s_clause 0x4
	s_load_b512 s[8:23], s[0:1], 0x18
	s_load_b256 s[24:31], s[0:1], 0x68
	s_load_b32 s33, s[0:1], 0x8
	s_load_b32 s34, s[0:1], 0x58
	;; [unrolled: 1-line block ×3, first 2 shown]
	s_wait_kmcnt 0x0
	s_lshl_b64 s[18:19], s[18:19], 2
	s_lshl_b64 s[26:27], s[26:27], 2
	;; [unrolled: 1-line block ×3, first 2 shown]
	s_cmp_eq_f32 s33, 0
	v_cmp_gt_i32_e32 vcc_lo, s4, v0
	v_mov_b32_e32 v3, 0
	s_add_nc_u64 s[16:17], s[16:17], s[18:19]
	s_cselect_b32 s35, -1, 0
	s_cmp_neq_f32 s33, 0
	v_cndmask_b32_e32 v2, 0, v0, vcc_lo
	s_add_nc_u64 s[18:19], s[24:25], s[26:27]
	s_cselect_b32 s3, -1, 0
	s_cmp_neq_f32 s34, 1.0
	s_delay_alu instid0(VALU_DEP_1) | instskip(SKIP_1) | instid1(SALU_CYCLE_1)
	v_lshlrev_b32_e32 v2, 2, v2
	s_cselect_b32 s0, -1, 0
	s_or_b32 s36, s3, s0
	s_cmp_neq_f32 s34, 0
	s_cselect_b32 s37, -1, 0
	s_bfe_u32 s0, ttmp6, 0x4000c
	s_and_b32 s1, ttmp6, 15
	s_add_co_i32 s0, s0, 1
	s_delay_alu instid0(SALU_CYCLE_1) | instskip(NEXT) | instid1(SALU_CYCLE_1)
	s_mul_i32 s0, ttmp9, s0
	s_add_co_i32 s1, s1, s0
	s_cmp_eq_u32 s2, 0
	s_cselect_b32 s2, ttmp9, s1
	s_ashr_i32 s0, s4, 31
	s_ashr_i32 s3, s2, 31
	s_lshr_b32 s0, s0, 22
	s_mul_u64 s[12:13], s[12:13], s[2:3]
	s_add_co_i32 s0, s4, s0
	s_lshl_b64 s[12:13], s[12:13], 2
	s_and_b32 s10, s0, 0xfffffc00
	s_delay_alu instid0(SALU_CYCLE_1) | instskip(SKIP_3) | instid1(VALU_DEP_2)
	v_dual_mov_b32 v1, v3 :: v_dual_bitop2_b32 v8, s10, v0 bitop3:0x54
	s_add_nc_u64 s[0:1], s[8:9], s[38:39]
	s_mul_u64 s[24:25], s[28:29], s[2:3]
	v_cmp_gt_u32_e64 s3, 32, v0
	v_mul_u64_e32 v[10:11], s[20:21], v[0:1]
	v_ashrrev_i32_e32 v9, 31, v8
	v_add_nc_u64_e32 v[6:7], s[0:1], v[2:3]
	v_cmp_gt_i32_e64 s2, s4, v8
	v_cmp_eq_u32_e64 s0, 0, v0
	v_cmp_gt_i32_e64 s1, s10, v0
	v_mul_u64_e32 v[4:5], s[20:21], v[8:9]
	v_dual_lshrrev_b32 v8, 3, v0 :: v_dual_bitop2_b32 v9, 31, v0 bitop3:0x40
	v_add_nc_u64_e32 v[6:7], s[12:13], v[6:7]
	s_add_nc_u64 s[12:13], s[12:13], s[38:39]
	s_ashr_i32 s11, s10, 31
	s_add_nc_u64 s[8:9], s[8:9], s[12:13]
	v_lshlrev_b32_e32 v1, 2, v9
	v_cmp_eq_u32_e64 s4, 0, v9
	v_and_b32_e32 v16, 0x7c, v8
	v_add_nc_u64_e32 v[8:9], s[8:9], v[2:3]
	v_mbcnt_lo_u32_b32 v2, -1, 0
	s_lshl_b64 s[8:9], s[14:15], 2
	s_lshl_b64 s[12:13], s[22:23], 2
	;; [unrolled: 1-line block ×4, first 2 shown]
	v_lshl_or_b32 v17, v2, 2, 64
	v_lshl_add_u64 v[10:11], v[10:11], 2, s[16:17]
	s_branch .LBB49_4
.LBB49_2:                               ;   in Loop: Header=BB49_4 Depth=1
	s_wait_xcnt 0x0
	s_or_b32 exec_lo, exec_lo, s29
.LBB49_3:                               ;   in Loop: Header=BB49_4 Depth=1
	s_add_co_i32 s6, s6, 0x10000
	s_delay_alu instid0(SALU_CYCLE_1)
	s_cmp_lt_u32 s6, s5
	s_cbranch_scc0 .LBB49_34
.LBB49_4:                               ; =>This Loop Header: Depth=1
                                        ;     Child Loop BB49_23 Depth 2
	s_and_not1_b32 vcc_lo, exec_lo, s36
	s_cbranch_vccnz .LBB49_3
; %bb.5:                                ;   in Loop: Header=BB49_4 Depth=1
	s_mul_u64 s[26:27], s[30:31], s[6:7]
	s_and_not1_b32 vcc_lo, exec_lo, s35
	s_lshl_b64 s[26:27], s[26:27], 2
	s_delay_alu instid0(SALU_CYCLE_1)
	s_add_nc_u64 s[26:27], s[18:19], s[26:27]
	s_cbranch_vccnz .LBB49_9
; %bb.6:                                ;   in Loop: Header=BB49_4 Depth=1
	s_mov_b32 s29, 0
	s_mov_b32 s28, 0
                                        ; implicit-def: $vgpr12
	s_and_saveexec_b32 s38, s0
	s_cbranch_execz .LBB49_10
; %bb.7:                                ;   in Loop: Header=BB49_4 Depth=1
	s_and_not1_b32 vcc_lo, exec_lo, s37
	s_cbranch_vccnz .LBB49_11
; %bb.8:                                ;   in Loop: Header=BB49_4 Depth=1
	s_add_nc_u64 s[40:41], s[26:27], s[24:25]
	global_load_b32 v12, v3, s[40:41]
	s_wait_loadcnt 0x0
	v_mul_f32_e32 v12, s34, v12
	s_branch .LBB49_12
.LBB49_9:                               ;   in Loop: Header=BB49_4 Depth=1
	s_mov_b32 s28, 0
                                        ; implicit-def: $vgpr12
	s_cbranch_execnz .LBB49_13
	s_branch .LBB49_32
.LBB49_10:                              ;   in Loop: Header=BB49_4 Depth=1
	s_or_b32 exec_lo, exec_lo, s38
	s_delay_alu instid0(SALU_CYCLE_1)
	s_and_b32 vcc_lo, exec_lo, s29
	s_cbranch_vccnz .LBB49_13
	s_branch .LBB49_32
.LBB49_11:                              ;   in Loop: Header=BB49_4 Depth=1
	v_mov_b32_e32 v12, 0
.LBB49_12:                              ;   in Loop: Header=BB49_4 Depth=1
	s_mov_b32 s28, exec_lo
	s_wait_xcnt 0x0
	s_or_b32 exec_lo, exec_lo, s38
	s_delay_alu instid0(SALU_CYCLE_1)
	s_and_b32 vcc_lo, exec_lo, s29
	s_cbranch_vccz .LBB49_32
.LBB49_13:                              ;   in Loop: Header=BB49_4 Depth=1
	s_wait_dscnt 0x0
	v_mov_b32_e32 v18, 0
	s_and_saveexec_b32 s29, s1
	s_cbranch_execnz .LBB49_22
; %bb.14:                               ;   in Loop: Header=BB49_4 Depth=1
	s_or_b32 exec_lo, exec_lo, s29
	s_and_saveexec_b32 s29, s2
	s_cbranch_execnz .LBB49_25
.LBB49_15:                              ;   in Loop: Header=BB49_4 Depth=1
	s_or_b32 exec_lo, exec_lo, s29
	s_and_saveexec_b32 s29, s3
.LBB49_16:                              ;   in Loop: Header=BB49_4 Depth=1
	ds_store_b32 v1, v3
.LBB49_17:                              ;   in Loop: Header=BB49_4 Depth=1
	s_or_b32 exec_lo, exec_lo, s29
	ds_bpermute_b32 v13, v17, v18
	v_cmp_gt_u32_e32 vcc_lo, 24, v2
	s_wait_dscnt 0x0
	s_barrier_signal -1
	s_barrier_wait -1
	v_cndmask_b32_e64 v12, 0, 8, vcc_lo
	v_cmp_gt_u32_e32 vcc_lo, 28, v2
	s_delay_alu instid0(VALU_DEP_2)
	v_add_lshl_u32 v12, v12, v2, 2
	v_add_f32_e32 v14, v18, v13
	v_cndmask_b32_e64 v13, 0, 4, vcc_lo
	v_cmp_gt_u32_e32 vcc_lo, 30, v2
	ds_bpermute_b32 v15, v12, v14
	v_add_lshl_u32 v13, v13, v2, 2
	s_wait_dscnt 0x0
	v_add_f32_e32 v15, v14, v15
	v_cndmask_b32_e64 v14, 0, 2, vcc_lo
	v_cmp_ne_u32_e32 vcc_lo, 31, v2
	ds_bpermute_b32 v18, v13, v15
	v_add_lshl_u32 v14, v14, v2, 2
	v_add_co_ci_u32_e64 v19, null, 0, v2, vcc_lo
	s_wait_dscnt 0x0
	v_add_f32_e32 v15, v15, v18
	ds_bpermute_b32 v18, v14, v15
	s_wait_dscnt 0x0
	v_dual_add_f32 v18, v15, v18 :: v_dual_lshlrev_b32 v15, 2, v19
	ds_bpermute_b32 v19, v15, v18
	s_and_saveexec_b32 s29, s4
	s_cbranch_execz .LBB49_19
; %bb.18:                               ;   in Loop: Header=BB49_4 Depth=1
	s_wait_dscnt 0x0
	v_add_f32_e32 v18, v18, v19
	ds_store_b32 v16, v18
.LBB49_19:                              ;   in Loop: Header=BB49_4 Depth=1
	s_or_b32 exec_lo, exec_lo, s29
	v_mov_b32_e32 v18, 0
	s_wait_dscnt 0x0
	s_barrier_signal -1
	s_barrier_wait -1
	s_and_saveexec_b32 s29, s3
	s_cbranch_execnz .LBB49_26
; %bb.20:                               ;   in Loop: Header=BB49_4 Depth=1
	s_or_b32 exec_lo, exec_lo, s29
	s_and_saveexec_b32 s29, s3
	s_cbranch_execnz .LBB49_27
.LBB49_21:                              ;   in Loop: Header=BB49_4 Depth=1
	s_or_b32 exec_lo, exec_lo, s29
                                        ; implicit-def: $vgpr12
	s_and_saveexec_b32 s29, s0
	s_cbranch_execnz .LBB49_28
	s_branch .LBB49_31
.LBB49_22:                              ;   in Loop: Header=BB49_4 Depth=1
	v_mad_nc_u64_u32 v[12:13], s8, s6, v[8:9]
	v_mad_nc_u64_u32 v[14:15], s12, s6, v[10:11]
	v_dual_mov_b32 v18, 0 :: v_dual_mov_b32 v19, v0
	s_mov_b32 s38, 0
	s_delay_alu instid0(VALU_DEP_3) | instskip(NEXT) | instid1(VALU_DEP_3)
	v_mad_u32 v13, s9, s6, v13
	v_mad_u32 v15, s13, s6, v15
.LBB49_23:                              ;   Parent Loop BB49_4 Depth=1
                                        ; =>  This Inner Loop Header: Depth=2
	global_load_b32 v20, v[12:13], off
	global_load_b32 v21, v[14:15], off
	v_add_nc_u32_e32 v19, 0x400, v19
	s_wait_xcnt 0x1
	v_add_nc_u64_e32 v[12:13], 0x1000, v[12:13]
	s_wait_xcnt 0x0
	v_add_nc_u64_e32 v[14:15], s[20:21], v[14:15]
	s_wait_loadcnt 0x0
	v_fmac_f32_e32 v18, v20, v21
	v_cmp_le_i32_e32 vcc_lo, s10, v19
	s_or_b32 s38, vcc_lo, s38
	s_delay_alu instid0(SALU_CYCLE_1)
	s_and_not1_b32 exec_lo, exec_lo, s38
	s_cbranch_execnz .LBB49_23
; %bb.24:                               ;   in Loop: Header=BB49_4 Depth=1
	s_or_b32 exec_lo, exec_lo, s38
	s_delay_alu instid0(SALU_CYCLE_1)
	s_or_b32 exec_lo, exec_lo, s29
	s_and_saveexec_b32 s29, s2
	s_cbranch_execz .LBB49_15
.LBB49_25:                              ;   in Loop: Header=BB49_4 Depth=1
	s_mul_u64 s[38:39], s[14:15], s[6:7]
	s_mul_u64 s[40:41], s[22:23], s[6:7]
	v_lshl_add_u64 v[12:13], s[38:39], 2, v[6:7]
	s_lshl_b64 s[38:39], s[40:41], 2
	s_delay_alu instid0(SALU_CYCLE_1) | instskip(NEXT) | instid1(SALU_CYCLE_1)
	s_add_nc_u64 s[38:39], s[16:17], s[38:39]
	v_lshl_add_u64 v[14:15], v[4:5], 2, s[38:39]
	s_delay_alu instid0(VALU_DEP_2)
	v_lshl_add_u64 v[12:13], s[10:11], 2, v[12:13]
	global_load_b32 v19, v[12:13], off
	global_load_b32 v20, v[14:15], off
	s_wait_loadcnt 0x0
	v_fmac_f32_e32 v18, v19, v20
	s_wait_xcnt 0x0
	s_or_b32 exec_lo, exec_lo, s29
	s_and_saveexec_b32 s29, s3
	s_cbranch_execnz .LBB49_16
	s_branch .LBB49_17
.LBB49_26:                              ;   in Loop: Header=BB49_4 Depth=1
	ds_load_b32 v18, v1
	s_or_b32 exec_lo, exec_lo, s29
	s_and_saveexec_b32 s29, s3
	s_cbranch_execz .LBB49_21
.LBB49_27:                              ;   in Loop: Header=BB49_4 Depth=1
	s_wait_dscnt 0x0
	ds_bpermute_b32 v19, v17, v18
	s_wait_dscnt 0x0
	v_add_f32_e32 v18, v18, v19
	ds_bpermute_b32 v12, v12, v18
	s_wait_dscnt 0x0
	v_add_f32_e32 v12, v18, v12
	;; [unrolled: 3-line block ×5, first 2 shown]
	s_or_b32 exec_lo, exec_lo, s29
                                        ; implicit-def: $vgpr12
	s_and_saveexec_b32 s29, s0
	s_cbranch_execz .LBB49_31
.LBB49_28:                              ;   in Loop: Header=BB49_4 Depth=1
	s_wait_dscnt 0x0
	v_mul_f32_e32 v12, s33, v18
	s_and_not1_b32 vcc_lo, exec_lo, s37
	s_cbranch_vccnz .LBB49_30
; %bb.29:                               ;   in Loop: Header=BB49_4 Depth=1
	s_add_nc_u64 s[38:39], s[26:27], s[24:25]
	global_load_b32 v13, v3, s[38:39]
	s_wait_loadcnt 0x0
	v_fmac_f32_e32 v12, s34, v13
.LBB49_30:                              ;   in Loop: Header=BB49_4 Depth=1
	s_or_b32 s28, s28, exec_lo
.LBB49_31:                              ;   in Loop: Header=BB49_4 Depth=1
	s_wait_xcnt 0x0
	s_or_b32 exec_lo, exec_lo, s29
.LBB49_32:                              ;   in Loop: Header=BB49_4 Depth=1
	s_and_saveexec_b32 s29, s28
	s_cbranch_execz .LBB49_2
; %bb.33:                               ;   in Loop: Header=BB49_4 Depth=1
	s_add_nc_u64 s[26:27], s[26:27], s[24:25]
	global_store_b32 v3, v12, s[26:27]
	s_branch .LBB49_2
.LBB49_34:
	s_endpgm
	.section	.rodata,"a",@progbits
	.p2align	6, 0x0
	.amdhsa_kernel _ZL32rocblas_gemvt_warp_reduce_kernelILb1ELi1024ElfffEviiT3_lPKT2_lT1_lS3_lS4_lS0_lPT4_lS4_li
		.amdhsa_group_segment_fixed_size 128
		.amdhsa_private_segment_fixed_size 0
		.amdhsa_kernarg_size 140
		.amdhsa_user_sgpr_count 2
		.amdhsa_user_sgpr_dispatch_ptr 0
		.amdhsa_user_sgpr_queue_ptr 0
		.amdhsa_user_sgpr_kernarg_segment_ptr 1
		.amdhsa_user_sgpr_dispatch_id 0
		.amdhsa_user_sgpr_kernarg_preload_length 0
		.amdhsa_user_sgpr_kernarg_preload_offset 0
		.amdhsa_user_sgpr_private_segment_size 0
		.amdhsa_wavefront_size32 1
		.amdhsa_uses_dynamic_stack 0
		.amdhsa_enable_private_segment 0
		.amdhsa_system_sgpr_workgroup_id_x 1
		.amdhsa_system_sgpr_workgroup_id_y 0
		.amdhsa_system_sgpr_workgroup_id_z 1
		.amdhsa_system_sgpr_workgroup_info 0
		.amdhsa_system_vgpr_workitem_id 0
		.amdhsa_next_free_vgpr 22
		.amdhsa_next_free_sgpr 42
		.amdhsa_named_barrier_count 0
		.amdhsa_reserve_vcc 1
		.amdhsa_float_round_mode_32 0
		.amdhsa_float_round_mode_16_64 0
		.amdhsa_float_denorm_mode_32 3
		.amdhsa_float_denorm_mode_16_64 3
		.amdhsa_fp16_overflow 0
		.amdhsa_memory_ordered 1
		.amdhsa_forward_progress 1
		.amdhsa_inst_pref_size 11
		.amdhsa_round_robin_scheduling 0
		.amdhsa_exception_fp_ieee_invalid_op 0
		.amdhsa_exception_fp_denorm_src 0
		.amdhsa_exception_fp_ieee_div_zero 0
		.amdhsa_exception_fp_ieee_overflow 0
		.amdhsa_exception_fp_ieee_underflow 0
		.amdhsa_exception_fp_ieee_inexact 0
		.amdhsa_exception_int_div_zero 0
	.end_amdhsa_kernel
	.section	.text._ZL32rocblas_gemvt_warp_reduce_kernelILb1ELi1024ElfffEviiT3_lPKT2_lT1_lS3_lS4_lS0_lPT4_lS4_li,"axG",@progbits,_ZL32rocblas_gemvt_warp_reduce_kernelILb1ELi1024ElfffEviiT3_lPKT2_lT1_lS3_lS4_lS0_lPT4_lS4_li,comdat
.Lfunc_end49:
	.size	_ZL32rocblas_gemvt_warp_reduce_kernelILb1ELi1024ElfffEviiT3_lPKT2_lT1_lS3_lS4_lS0_lPT4_lS4_li, .Lfunc_end49-_ZL32rocblas_gemvt_warp_reduce_kernelILb1ELi1024ElfffEviiT3_lPKT2_lT1_lS3_lS4_lS0_lPT4_lS4_li
                                        ; -- End function
	.set _ZL32rocblas_gemvt_warp_reduce_kernelILb1ELi1024ElfffEviiT3_lPKT2_lT1_lS3_lS4_lS0_lPT4_lS4_li.num_vgpr, 22
	.set _ZL32rocblas_gemvt_warp_reduce_kernelILb1ELi1024ElfffEviiT3_lPKT2_lT1_lS3_lS4_lS0_lPT4_lS4_li.num_agpr, 0
	.set _ZL32rocblas_gemvt_warp_reduce_kernelILb1ELi1024ElfffEviiT3_lPKT2_lT1_lS3_lS4_lS0_lPT4_lS4_li.numbered_sgpr, 42
	.set _ZL32rocblas_gemvt_warp_reduce_kernelILb1ELi1024ElfffEviiT3_lPKT2_lT1_lS3_lS4_lS0_lPT4_lS4_li.num_named_barrier, 0
	.set _ZL32rocblas_gemvt_warp_reduce_kernelILb1ELi1024ElfffEviiT3_lPKT2_lT1_lS3_lS4_lS0_lPT4_lS4_li.private_seg_size, 0
	.set _ZL32rocblas_gemvt_warp_reduce_kernelILb1ELi1024ElfffEviiT3_lPKT2_lT1_lS3_lS4_lS0_lPT4_lS4_li.uses_vcc, 1
	.set _ZL32rocblas_gemvt_warp_reduce_kernelILb1ELi1024ElfffEviiT3_lPKT2_lT1_lS3_lS4_lS0_lPT4_lS4_li.uses_flat_scratch, 0
	.set _ZL32rocblas_gemvt_warp_reduce_kernelILb1ELi1024ElfffEviiT3_lPKT2_lT1_lS3_lS4_lS0_lPT4_lS4_li.has_dyn_sized_stack, 0
	.set _ZL32rocblas_gemvt_warp_reduce_kernelILb1ELi1024ElfffEviiT3_lPKT2_lT1_lS3_lS4_lS0_lPT4_lS4_li.has_recursion, 0
	.set _ZL32rocblas_gemvt_warp_reduce_kernelILb1ELi1024ElfffEviiT3_lPKT2_lT1_lS3_lS4_lS0_lPT4_lS4_li.has_indirect_call, 0
	.section	.AMDGPU.csdata,"",@progbits
; Kernel info:
; codeLenInByte = 1336
; TotalNumSgprs: 44
; NumVgprs: 22
; ScratchSize: 0
; MemoryBound: 0
; FloatMode: 240
; IeeeMode: 1
; LDSByteSize: 128 bytes/workgroup (compile time only)
; SGPRBlocks: 0
; VGPRBlocks: 1
; NumSGPRsForWavesPerEU: 44
; NumVGPRsForWavesPerEU: 22
; NamedBarCnt: 0
; Occupancy: 16
; WaveLimiterHint : 0
; COMPUTE_PGM_RSRC2:SCRATCH_EN: 0
; COMPUTE_PGM_RSRC2:USER_SGPR: 2
; COMPUTE_PGM_RSRC2:TRAP_HANDLER: 0
; COMPUTE_PGM_RSRC2:TGID_X_EN: 1
; COMPUTE_PGM_RSRC2:TGID_Y_EN: 0
; COMPUTE_PGM_RSRC2:TGID_Z_EN: 1
; COMPUTE_PGM_RSRC2:TIDIG_COMP_CNT: 0
	.section	.text._ZL34rocblas_gemvn_sm_mn_batched_kernelILi32ELi24EdPKddEviiT2_lPKT1_lilS5_lilS2_lPT3_lili,"axG",@progbits,_ZL34rocblas_gemvn_sm_mn_batched_kernelILi32ELi24EdPKddEviiT2_lPKT1_lilS5_lilS2_lPT3_lili,comdat
	.globl	_ZL34rocblas_gemvn_sm_mn_batched_kernelILi32ELi24EdPKddEviiT2_lPKT1_lilS5_lilS2_lPT3_lili ; -- Begin function _ZL34rocblas_gemvn_sm_mn_batched_kernelILi32ELi24EdPKddEviiT2_lPKT1_lilS5_lilS2_lPT3_lili
	.p2align	8
	.type	_ZL34rocblas_gemvn_sm_mn_batched_kernelILi32ELi24EdPKddEviiT2_lPKT1_lilS5_lilS2_lPT3_lili,@function
_ZL34rocblas_gemvn_sm_mn_batched_kernelILi32ELi24EdPKddEviiT2_lPKT1_lilS5_lilS2_lPT3_lili: ; @_ZL34rocblas_gemvn_sm_mn_batched_kernelILi32ELi24EdPKddEviiT2_lPKT1_lilS5_lilS2_lPT3_lili
; %bb.0:
	s_endpgm
	.section	.rodata,"a",@progbits
	.p2align	6, 0x0
	.amdhsa_kernel _ZL34rocblas_gemvn_sm_mn_batched_kernelILi32ELi24EdPKddEviiT2_lPKT1_lilS5_lilS2_lPT3_lili
		.amdhsa_group_segment_fixed_size 0
		.amdhsa_private_segment_fixed_size 0
		.amdhsa_kernarg_size 140
		.amdhsa_user_sgpr_count 2
		.amdhsa_user_sgpr_dispatch_ptr 0
		.amdhsa_user_sgpr_queue_ptr 0
		.amdhsa_user_sgpr_kernarg_segment_ptr 1
		.amdhsa_user_sgpr_dispatch_id 0
		.amdhsa_user_sgpr_kernarg_preload_length 0
		.amdhsa_user_sgpr_kernarg_preload_offset 0
		.amdhsa_user_sgpr_private_segment_size 0
		.amdhsa_wavefront_size32 1
		.amdhsa_uses_dynamic_stack 0
		.amdhsa_enable_private_segment 0
		.amdhsa_system_sgpr_workgroup_id_x 1
		.amdhsa_system_sgpr_workgroup_id_y 0
		.amdhsa_system_sgpr_workgroup_id_z 0
		.amdhsa_system_sgpr_workgroup_info 0
		.amdhsa_system_vgpr_workitem_id 0
		.amdhsa_next_free_vgpr 1
		.amdhsa_next_free_sgpr 1
		.amdhsa_named_barrier_count 0
		.amdhsa_reserve_vcc 0
		.amdhsa_float_round_mode_32 0
		.amdhsa_float_round_mode_16_64 0
		.amdhsa_float_denorm_mode_32 3
		.amdhsa_float_denorm_mode_16_64 3
		.amdhsa_fp16_overflow 0
		.amdhsa_memory_ordered 1
		.amdhsa_forward_progress 1
		.amdhsa_inst_pref_size 1
		.amdhsa_round_robin_scheduling 0
		.amdhsa_exception_fp_ieee_invalid_op 0
		.amdhsa_exception_fp_denorm_src 0
		.amdhsa_exception_fp_ieee_div_zero 0
		.amdhsa_exception_fp_ieee_overflow 0
		.amdhsa_exception_fp_ieee_underflow 0
		.amdhsa_exception_fp_ieee_inexact 0
		.amdhsa_exception_int_div_zero 0
	.end_amdhsa_kernel
	.section	.text._ZL34rocblas_gemvn_sm_mn_batched_kernelILi32ELi24EdPKddEviiT2_lPKT1_lilS5_lilS2_lPT3_lili,"axG",@progbits,_ZL34rocblas_gemvn_sm_mn_batched_kernelILi32ELi24EdPKddEviiT2_lPKT1_lilS5_lilS2_lPT3_lili,comdat
.Lfunc_end50:
	.size	_ZL34rocblas_gemvn_sm_mn_batched_kernelILi32ELi24EdPKddEviiT2_lPKT1_lilS5_lilS2_lPT3_lili, .Lfunc_end50-_ZL34rocblas_gemvn_sm_mn_batched_kernelILi32ELi24EdPKddEviiT2_lPKT1_lilS5_lilS2_lPT3_lili
                                        ; -- End function
	.set _ZL34rocblas_gemvn_sm_mn_batched_kernelILi32ELi24EdPKddEviiT2_lPKT1_lilS5_lilS2_lPT3_lili.num_vgpr, 0
	.set _ZL34rocblas_gemvn_sm_mn_batched_kernelILi32ELi24EdPKddEviiT2_lPKT1_lilS5_lilS2_lPT3_lili.num_agpr, 0
	.set _ZL34rocblas_gemvn_sm_mn_batched_kernelILi32ELi24EdPKddEviiT2_lPKT1_lilS5_lilS2_lPT3_lili.numbered_sgpr, 0
	.set _ZL34rocblas_gemvn_sm_mn_batched_kernelILi32ELi24EdPKddEviiT2_lPKT1_lilS5_lilS2_lPT3_lili.num_named_barrier, 0
	.set _ZL34rocblas_gemvn_sm_mn_batched_kernelILi32ELi24EdPKddEviiT2_lPKT1_lilS5_lilS2_lPT3_lili.private_seg_size, 0
	.set _ZL34rocblas_gemvn_sm_mn_batched_kernelILi32ELi24EdPKddEviiT2_lPKT1_lilS5_lilS2_lPT3_lili.uses_vcc, 0
	.set _ZL34rocblas_gemvn_sm_mn_batched_kernelILi32ELi24EdPKddEviiT2_lPKT1_lilS5_lilS2_lPT3_lili.uses_flat_scratch, 0
	.set _ZL34rocblas_gemvn_sm_mn_batched_kernelILi32ELi24EdPKddEviiT2_lPKT1_lilS5_lilS2_lPT3_lili.has_dyn_sized_stack, 0
	.set _ZL34rocblas_gemvn_sm_mn_batched_kernelILi32ELi24EdPKddEviiT2_lPKT1_lilS5_lilS2_lPT3_lili.has_recursion, 0
	.set _ZL34rocblas_gemvn_sm_mn_batched_kernelILi32ELi24EdPKddEviiT2_lPKT1_lilS5_lilS2_lPT3_lili.has_indirect_call, 0
	.section	.AMDGPU.csdata,"",@progbits
; Kernel info:
; codeLenInByte = 4
; TotalNumSgprs: 0
; NumVgprs: 0
; ScratchSize: 0
; MemoryBound: 0
; FloatMode: 240
; IeeeMode: 1
; LDSByteSize: 0 bytes/workgroup (compile time only)
; SGPRBlocks: 0
; VGPRBlocks: 0
; NumSGPRsForWavesPerEU: 1
; NumVGPRsForWavesPerEU: 1
; NamedBarCnt: 0
; Occupancy: 16
; WaveLimiterHint : 0
; COMPUTE_PGM_RSRC2:SCRATCH_EN: 0
; COMPUTE_PGM_RSRC2:USER_SGPR: 2
; COMPUTE_PGM_RSRC2:TRAP_HANDLER: 0
; COMPUTE_PGM_RSRC2:TGID_X_EN: 1
; COMPUTE_PGM_RSRC2:TGID_Y_EN: 0
; COMPUTE_PGM_RSRC2:TGID_Z_EN: 0
; COMPUTE_PGM_RSRC2:TIDIG_COMP_CNT: 0
	.section	.text._ZL34rocblas_gemvn_sm_mn_batched_kernelILi32ELi24EdddEviiT2_lPKT1_lilS3_lilS0_lPT3_lili,"axG",@progbits,_ZL34rocblas_gemvn_sm_mn_batched_kernelILi32ELi24EdddEviiT2_lPKT1_lilS3_lilS0_lPT3_lili,comdat
	.globl	_ZL34rocblas_gemvn_sm_mn_batched_kernelILi32ELi24EdddEviiT2_lPKT1_lilS3_lilS0_lPT3_lili ; -- Begin function _ZL34rocblas_gemvn_sm_mn_batched_kernelILi32ELi24EdddEviiT2_lPKT1_lilS3_lilS0_lPT3_lili
	.p2align	8
	.type	_ZL34rocblas_gemvn_sm_mn_batched_kernelILi32ELi24EdddEviiT2_lPKT1_lilS3_lilS0_lPT3_lili,@function
_ZL34rocblas_gemvn_sm_mn_batched_kernelILi32ELi24EdddEviiT2_lPKT1_lilS3_lilS0_lPT3_lili: ; @_ZL34rocblas_gemvn_sm_mn_batched_kernelILi32ELi24EdddEviiT2_lPKT1_lilS3_lilS0_lPT3_lili
; %bb.0:
	s_endpgm
	.section	.rodata,"a",@progbits
	.p2align	6, 0x0
	.amdhsa_kernel _ZL34rocblas_gemvn_sm_mn_batched_kernelILi32ELi24EdddEviiT2_lPKT1_lilS3_lilS0_lPT3_lili
		.amdhsa_group_segment_fixed_size 0
		.amdhsa_private_segment_fixed_size 0
		.amdhsa_kernarg_size 140
		.amdhsa_user_sgpr_count 2
		.amdhsa_user_sgpr_dispatch_ptr 0
		.amdhsa_user_sgpr_queue_ptr 0
		.amdhsa_user_sgpr_kernarg_segment_ptr 1
		.amdhsa_user_sgpr_dispatch_id 0
		.amdhsa_user_sgpr_kernarg_preload_length 0
		.amdhsa_user_sgpr_kernarg_preload_offset 0
		.amdhsa_user_sgpr_private_segment_size 0
		.amdhsa_wavefront_size32 1
		.amdhsa_uses_dynamic_stack 0
		.amdhsa_enable_private_segment 0
		.amdhsa_system_sgpr_workgroup_id_x 1
		.amdhsa_system_sgpr_workgroup_id_y 0
		.amdhsa_system_sgpr_workgroup_id_z 0
		.amdhsa_system_sgpr_workgroup_info 0
		.amdhsa_system_vgpr_workitem_id 0
		.amdhsa_next_free_vgpr 1
		.amdhsa_next_free_sgpr 1
		.amdhsa_named_barrier_count 0
		.amdhsa_reserve_vcc 0
		.amdhsa_float_round_mode_32 0
		.amdhsa_float_round_mode_16_64 0
		.amdhsa_float_denorm_mode_32 3
		.amdhsa_float_denorm_mode_16_64 3
		.amdhsa_fp16_overflow 0
		.amdhsa_memory_ordered 1
		.amdhsa_forward_progress 1
		.amdhsa_inst_pref_size 1
		.amdhsa_round_robin_scheduling 0
		.amdhsa_exception_fp_ieee_invalid_op 0
		.amdhsa_exception_fp_denorm_src 0
		.amdhsa_exception_fp_ieee_div_zero 0
		.amdhsa_exception_fp_ieee_overflow 0
		.amdhsa_exception_fp_ieee_underflow 0
		.amdhsa_exception_fp_ieee_inexact 0
		.amdhsa_exception_int_div_zero 0
	.end_amdhsa_kernel
	.section	.text._ZL34rocblas_gemvn_sm_mn_batched_kernelILi32ELi24EdddEviiT2_lPKT1_lilS3_lilS0_lPT3_lili,"axG",@progbits,_ZL34rocblas_gemvn_sm_mn_batched_kernelILi32ELi24EdddEviiT2_lPKT1_lilS3_lilS0_lPT3_lili,comdat
.Lfunc_end51:
	.size	_ZL34rocblas_gemvn_sm_mn_batched_kernelILi32ELi24EdddEviiT2_lPKT1_lilS3_lilS0_lPT3_lili, .Lfunc_end51-_ZL34rocblas_gemvn_sm_mn_batched_kernelILi32ELi24EdddEviiT2_lPKT1_lilS3_lilS0_lPT3_lili
                                        ; -- End function
	.set _ZL34rocblas_gemvn_sm_mn_batched_kernelILi32ELi24EdddEviiT2_lPKT1_lilS3_lilS0_lPT3_lili.num_vgpr, 0
	.set _ZL34rocblas_gemvn_sm_mn_batched_kernelILi32ELi24EdddEviiT2_lPKT1_lilS3_lilS0_lPT3_lili.num_agpr, 0
	.set _ZL34rocblas_gemvn_sm_mn_batched_kernelILi32ELi24EdddEviiT2_lPKT1_lilS3_lilS0_lPT3_lili.numbered_sgpr, 0
	.set _ZL34rocblas_gemvn_sm_mn_batched_kernelILi32ELi24EdddEviiT2_lPKT1_lilS3_lilS0_lPT3_lili.num_named_barrier, 0
	.set _ZL34rocblas_gemvn_sm_mn_batched_kernelILi32ELi24EdddEviiT2_lPKT1_lilS3_lilS0_lPT3_lili.private_seg_size, 0
	.set _ZL34rocblas_gemvn_sm_mn_batched_kernelILi32ELi24EdddEviiT2_lPKT1_lilS3_lilS0_lPT3_lili.uses_vcc, 0
	.set _ZL34rocblas_gemvn_sm_mn_batched_kernelILi32ELi24EdddEviiT2_lPKT1_lilS3_lilS0_lPT3_lili.uses_flat_scratch, 0
	.set _ZL34rocblas_gemvn_sm_mn_batched_kernelILi32ELi24EdddEviiT2_lPKT1_lilS3_lilS0_lPT3_lili.has_dyn_sized_stack, 0
	.set _ZL34rocblas_gemvn_sm_mn_batched_kernelILi32ELi24EdddEviiT2_lPKT1_lilS3_lilS0_lPT3_lili.has_recursion, 0
	.set _ZL34rocblas_gemvn_sm_mn_batched_kernelILi32ELi24EdddEviiT2_lPKT1_lilS3_lilS0_lPT3_lili.has_indirect_call, 0
	.section	.AMDGPU.csdata,"",@progbits
; Kernel info:
; codeLenInByte = 4
; TotalNumSgprs: 0
; NumVgprs: 0
; ScratchSize: 0
; MemoryBound: 0
; FloatMode: 240
; IeeeMode: 1
; LDSByteSize: 0 bytes/workgroup (compile time only)
; SGPRBlocks: 0
; VGPRBlocks: 0
; NumSGPRsForWavesPerEU: 1
; NumVGPRsForWavesPerEU: 1
; NamedBarCnt: 0
; Occupancy: 16
; WaveLimiterHint : 0
; COMPUTE_PGM_RSRC2:SCRATCH_EN: 0
; COMPUTE_PGM_RSRC2:USER_SGPR: 2
; COMPUTE_PGM_RSRC2:TRAP_HANDLER: 0
; COMPUTE_PGM_RSRC2:TGID_X_EN: 1
; COMPUTE_PGM_RSRC2:TGID_Y_EN: 0
; COMPUTE_PGM_RSRC2:TGID_Z_EN: 0
; COMPUTE_PGM_RSRC2:TIDIG_COMP_CNT: 0
	.section	.text._ZL20rocblas_gemvn_kernelILi64ELi4EidPKddEviiT3_lPKT2_lT1_lS5_lS6_lS2_lPT4_lS6_li,"axG",@progbits,_ZL20rocblas_gemvn_kernelILi64ELi4EidPKddEviiT3_lPKT2_lT1_lS5_lS6_lS2_lPT4_lS6_li,comdat
	.globl	_ZL20rocblas_gemvn_kernelILi64ELi4EidPKddEviiT3_lPKT2_lT1_lS5_lS6_lS2_lPT4_lS6_li ; -- Begin function _ZL20rocblas_gemvn_kernelILi64ELi4EidPKddEviiT3_lPKT2_lT1_lS5_lS6_lS2_lPT4_lS6_li
	.p2align	8
	.type	_ZL20rocblas_gemvn_kernelILi64ELi4EidPKddEviiT3_lPKT2_lT1_lS5_lS6_lS2_lPT4_lS6_li,@function
_ZL20rocblas_gemvn_kernelILi64ELi4EidPKddEviiT3_lPKT2_lT1_lS5_lS6_lS2_lPT4_lS6_li: ; @_ZL20rocblas_gemvn_kernelILi64ELi4EidPKddEviiT3_lPKT2_lT1_lS5_lS6_lS2_lPT4_lS6_li
; %bb.0:
	s_load_b64 s[2:3], s[0:1], 0x9c
	s_wait_kmcnt 0x0
	s_lshr_b32 s4, s2, 16
	s_and_b32 s2, s2, 0xffff
	s_and_b32 s3, s3, 0xffff
	s_mul_i32 s2, s4, s2
	s_delay_alu instid0(SALU_CYCLE_1) | instskip(NEXT) | instid1(SALU_CYCLE_1)
	s_mul_i32 s2, s2, s3
	s_cmp_lg_u32 s2, 0x100
	s_cbranch_scc1 .LBB52_52
; %bb.1:
	s_load_b32 s31, s[0:1], 0x88
	s_bfe_u32 s2, ttmp6, 0x40014
	s_lshr_b32 s3, ttmp7, 16
	s_add_co_i32 s2, s2, 1
	s_bfe_u32 s5, ttmp6, 0x40008
	s_mul_i32 s4, s3, s2
	s_getreg_b32 s2, hwreg(HW_REG_IB_STS2, 6, 4)
	s_add_co_i32 s5, s5, s4
	s_cmp_eq_u32 s2, 0
	s_mov_b32 s35, 0
	s_cselect_b32 s34, s3, s5
	s_wait_kmcnt 0x0
	s_cmp_ge_u32 s34, s31
	s_cbranch_scc1 .LBB52_52
; %bb.2:
	s_clause 0x7
	s_load_b256 s[8:15], s[0:1], 0x8
	s_load_b96 s[28:30], s[0:1], 0x40
	s_load_b96 s[4:6], s[0:1], 0x70
	s_load_b64 s[36:37], s[0:1], 0x0
	s_load_b32 s33, s[0:1], 0x28
	s_load_b128 s[24:27], s[0:1], 0x30
	s_load_b256 s[16:23], s[0:1], 0x50
	s_load_b64 s[38:39], s[0:1], 0x80
	s_wait_xcnt 0x0
	s_bfe_u32 s0, ttmp6, 0x4000c
	v_and_b32_e32 v6, 0x3ff, v0
	s_add_co_i32 s0, s0, 1
	v_bfe_u32 v5, v0, 10, 10
	s_and_b32 s1, ttmp6, 15
	s_mul_i32 s0, ttmp9, s0
	s_delay_alu instid0(SALU_CYCLE_1) | instskip(NEXT) | instid1(VALU_DEP_1)
	s_add_co_i32 s7, s1, s0
	v_lshl_add_u32 v4, v5, 6, v6
	s_wait_kmcnt 0x0
	s_lshl_b64 s[0:1], s[14:15], 3
	s_lshl_b64 s[14:15], s[28:29], 3
	;; [unrolled: 1-line block ×3, first 2 shown]
	s_ashr_i32 s3, s6, 31
	s_cmp_eq_u32 s2, 0
	s_mov_b32 s2, s6
	s_cselect_b32 s7, ttmp9, s7
	s_mov_b32 s28, s36
	s_lshl_b32 s42, s7, 8
	s_delay_alu instid0(SALU_CYCLE_1)
	v_dual_mov_b32 v1, 0 :: v_dual_add_nc_u32 v0, s42, v4
	v_or_b32_e32 v58, s42, v6
	s_ashr_i32 s29, s36, 31
	s_add_nc_u64 s[12:13], s[12:13], s[0:1]
	s_ashr_i32 s0, s37, 31
	v_mul_u64_e32 v[2:3], s[2:3], v[0:1]
	v_cmp_gt_i64_e32 vcc_lo, s[28:29], v[0:1]
	v_dual_lshlrev_b32 v0, 2, v5 :: v_dual_add_nc_u32 v7, 64, v58
	v_or_b32_e32 v9, s42, v4
	s_lshr_b32 s0, s0, 28
	v_mul_lo_u32 v13, v5, s30
	s_add_co_i32 s0, s37, s0
	v_add_nc_u32_e32 v8, 0x80, v58
	v_cmp_gt_i32_e64 s2, s36, v7
	v_add_nc_u32_e32 v7, 0xc0, v58
	s_and_b32 s43, s0, -16
	s_add_nc_u64 s[22:23], s[22:23], s[4:5]
	s_sub_co_i32 s4, s37, s43
	v_cmp_gt_i32_e64 s3, s36, v8
	v_lshlrev_b32_e32 v8, 3, v6
	s_cmp_gt_i32 s4, 0
	v_cmp_gt_i32_e64 s4, s36, v7
	v_cmp_gt_u32_e64 s5, 0x100, v4
	v_mul_lo_u32 v4, s6, v9
	v_or_b32_e32 v7, 2, v0
	v_dual_lshlrev_b32 v68, 2, v13 :: v_dual_bitop2_b32 v10, 3, v0 bitop3:0x54
	v_mul_lo_u32 v11, s33, v0
	v_mul_lo_u32 v12, v5, s33
	s_delay_alu instid0(VALU_DEP_4) | instskip(NEXT) | instid1(VALU_DEP_4)
	v_mad_u32 v60, s33, v7, v6
	v_mad_u32 v61, s33, v10, v6
	;; [unrolled: 1-line block ×3, first 2 shown]
	v_mul_lo_u32 v63, s30, v7
	v_mul_lo_u32 v64, s30, v10
	v_cmp_gt_i32_e64 s0, s43, v0
	v_cmp_gt_i32_e64 s1, s36, v58
	v_lshl_add_u32 v59, v5, 11, v8
	v_lshl_add_u32 v65, v5, 9, v8
	v_cmp_gt_i32_e64 s6, s36, v9
	v_ashrrev_i32_e32 v5, 31, v4
	v_add3_u32 v66, v11, s33, v6
	v_lshl_add_u32 v67, v12, 2, v6
	s_add_nc_u64 s[14:15], s[26:27], s[14:15]
	s_cselect_b32 s44, -1, 0
	s_and_b32 s36, s5, vcc_lo
	s_lshl_b32 s45, s33, 4
	s_lshl_b32 s46, s30, 4
	s_branch .LBB52_5
.LBB52_3:                               ;   in Loop: Header=BB52_5 Depth=1
	s_wait_xcnt 0x0
	s_or_b32 exec_lo, exec_lo, s7
.LBB52_4:                               ;   in Loop: Header=BB52_5 Depth=1
	s_add_co_i32 s34, s34, 0x10000
	s_delay_alu instid0(SALU_CYCLE_1)
	s_cmp_lt_u32 s34, s31
	s_cbranch_scc0 .LBB52_52
.LBB52_5:                               ; =>This Loop Header: Depth=1
                                        ;     Child Loop BB52_18 Depth 2
	s_wait_xcnt 0x1
	s_mul_u64 s[26:27], s[10:11], s[34:35]
	s_wait_xcnt 0x0
	s_mul_u64 s[28:29], s[20:21], s[34:35]
	s_lshl_b64 s[26:27], s[26:27], 3
	s_lshl_b64 s[28:29], s[28:29], 3
	s_add_nc_u64 s[26:27], s[8:9], s[26:27]
	s_add_nc_u64 s[28:29], s[18:19], s[28:29]
	s_clause 0x1
	global_load_b64 v[8:9], v1, s[26:27]
	global_load_b64 v[6:7], v1, s[28:29]
	s_wait_loadcnt 0x1
	v_cmp_eq_f64_e32 vcc_lo, 0, v[8:9]
	s_wait_loadcnt 0x0
	v_cmp_eq_f64_e64 s7, 1.0, v[6:7]
	s_and_b32 s7, vcc_lo, s7
	s_delay_alu instid0(SALU_CYCLE_1)
	s_and_b32 vcc_lo, exec_lo, s7
	s_cbranch_vccnz .LBB52_4
; %bb.6:                                ;   in Loop: Header=BB52_5 Depth=1
	v_cmp_neq_f64_e32 vcc_lo, 0, v[8:9]
	s_wait_xcnt 0x1
	s_mul_u64 s[26:27], s[38:39], s[34:35]
	s_delay_alu instid0(SALU_CYCLE_1) | instskip(NEXT) | instid1(SALU_CYCLE_1)
	s_lshl_b64 s[26:27], s[26:27], 3
	s_add_nc_u64 s[26:27], s[22:23], s[26:27]
	s_cbranch_vccnz .LBB52_11
; %bb.7:                                ;   in Loop: Header=BB52_5 Depth=1
	s_mov_b32 s7, 0
	s_mov_b32 s47, 0
                                        ; implicit-def: $vgpr10_vgpr11
	s_wait_xcnt 0x0
	s_and_saveexec_b32 s28, s36
	s_cbranch_execz .LBB52_23
; %bb.8:                                ;   in Loop: Header=BB52_5 Depth=1
	v_cmp_eq_f64_e32 vcc_lo, 0, v[6:7]
	v_mov_b64_e32 v[10:11], 0
	s_cbranch_vccnz .LBB52_10
; %bb.9:                                ;   in Loop: Header=BB52_5 Depth=1
	v_lshl_add_u64 v[10:11], v[2:3], 3, s[26:27]
	global_load_b64 v[10:11], v[10:11], off
	s_wait_loadcnt 0x0
	s_wait_xcnt 0x0
	v_mul_f64_e32 v[10:11], v[6:7], v[10:11]
.LBB52_10:                              ;   in Loop: Header=BB52_5 Depth=1
	s_mov_b32 s47, exec_lo
	s_or_b32 exec_lo, exec_lo, s28
	s_delay_alu instid0(SALU_CYCLE_1)
	s_and_b32 vcc_lo, exec_lo, s7
	s_cbranch_vccnz .LBB52_12
	s_branch .LBB52_24
.LBB52_11:                              ;   in Loop: Header=BB52_5 Depth=1
	s_mov_b32 s47, 0
                                        ; implicit-def: $vgpr10_vgpr11
	s_cbranch_execz .LBB52_24
.LBB52_12:                              ;   in Loop: Header=BB52_5 Depth=1
	v_mov_b64_e32 v[10:11], 0
	v_mov_b64_e32 v[12:13], 0
	;; [unrolled: 1-line block ×4, first 2 shown]
	s_wait_xcnt 0x0
	s_mul_u64 s[28:29], s[24:25], s[34:35]
	s_mul_u64 s[40:41], s[16:17], s[34:35]
	v_mov_b32_e32 v69, v0
	s_lshl_b64 s[28:29], s[28:29], 3
	s_lshl_b64 s[40:41], s[40:41], 3
	s_add_nc_u64 s[28:29], s[12:13], s[28:29]
	s_add_nc_u64 s[40:41], s[14:15], s[40:41]
	s_and_saveexec_b32 s7, s0
	s_cbranch_execz .LBB52_26
; %bb.13:                               ;   in Loop: Header=BB52_5 Depth=1
	v_mov_b64_e32 v[10:11], 0
	v_mov_b64_e32 v[12:13], 0
	;; [unrolled: 1-line block ×4, first 2 shown]
	v_dual_mov_b32 v70, v67 :: v_dual_mov_b32 v71, v61
	v_dual_mov_b32 v72, v60 :: v_dual_mov_b32 v73, v66
	v_mov_b32_e32 v69, v0
	s_mov_b32 s48, 0
	s_mov_b32 s49, 0
	s_branch .LBB52_18
.LBB52_14:                              ;   in Loop: Header=BB52_18 Depth=2
	s_wait_xcnt 0x0
	s_or_b32 exec_lo, exec_lo, s53
	s_wait_loadcnt 0x3
	v_fmac_f64_e32 v[14:15], v[24:25], v[54:55]
	s_wait_loadcnt 0x2
	s_delay_alu instid0(VALU_DEP_1) | instskip(SKIP_1) | instid1(VALU_DEP_1)
	v_fmac_f64_e32 v[14:15], v[22:23], v[50:51]
	s_wait_loadcnt 0x1
	v_fmac_f64_e32 v[14:15], v[20:21], v[48:49]
	s_wait_loadcnt 0x0
	s_delay_alu instid0(VALU_DEP_1)
	v_fmac_f64_e32 v[14:15], v[18:19], v[42:43]
.LBB52_15:                              ;   in Loop: Header=BB52_18 Depth=2
	s_or_b32 exec_lo, exec_lo, s52
	s_wait_loadcnt 0x3
	v_fmac_f64_e32 v[12:13], v[24:25], v[40:41]
	s_wait_loadcnt 0x2
	s_delay_alu instid0(VALU_DEP_1) | instskip(SKIP_1) | instid1(VALU_DEP_1)
	v_fmac_f64_e32 v[12:13], v[22:23], v[38:39]
	s_wait_loadcnt 0x1
	v_fmac_f64_e32 v[12:13], v[20:21], v[36:37]
	s_wait_loadcnt 0x0
	s_delay_alu instid0(VALU_DEP_1)
	v_fmac_f64_e32 v[12:13], v[18:19], v[34:35]
.LBB52_16:                              ;   in Loop: Header=BB52_18 Depth=2
	s_or_b32 exec_lo, exec_lo, s51
	s_wait_loadcnt 0x3
	v_fmac_f64_e32 v[10:11], v[24:25], v[32:33]
	s_wait_loadcnt 0x2
	s_delay_alu instid0(VALU_DEP_1) | instskip(SKIP_1) | instid1(VALU_DEP_1)
	v_fmac_f64_e32 v[10:11], v[22:23], v[30:31]
	s_wait_loadcnt 0x1
	v_fmac_f64_e32 v[10:11], v[20:21], v[28:29]
	s_wait_loadcnt 0x0
	s_delay_alu instid0(VALU_DEP_1)
	v_fmac_f64_e32 v[10:11], v[18:19], v[26:27]
.LBB52_17:                              ;   in Loop: Header=BB52_18 Depth=2
	s_or_b32 exec_lo, exec_lo, s50
	v_dual_add_nc_u32 v69, 16, v69 :: v_dual_add_nc_u32 v72, s45, v72
	v_dual_add_nc_u32 v73, s45, v73 :: v_dual_add_nc_u32 v71, s45, v71
	v_add_nc_u32_e32 v70, s45, v70
	s_delay_alu instid0(VALU_DEP_3) | instskip(SKIP_2) | instid1(SALU_CYCLE_1)
	v_cmp_le_i32_e32 vcc_lo, s43, v69
	s_add_co_i32 s49, s49, s46
	s_or_b32 s48, vcc_lo, s48
	s_and_not1_b32 exec_lo, exec_lo, s48
	s_cbranch_execz .LBB52_25
.LBB52_18:                              ;   Parent Loop BB52_5 Depth=1
                                        ; =>  This Inner Loop Header: Depth=2
	s_and_saveexec_b32 s50, s1
	s_cbranch_execz .LBB52_17
; %bb.19:                               ;   in Loop: Header=BB52_18 Depth=2
	v_dual_add_nc_u32 v35, s49, v68 :: v_dual_add_nc_u32 v37, s49, v62
	v_dual_add_nc_u32 v39, s49, v63 :: v_dual_add_nc_u32 v41, s49, v64
	;; [unrolled: 1-line block ×4, first 2 shown]
	s_clause 0x3
	global_load_b64 v[24:25], v35, s[40:41] scale_offset
	global_load_b64 v[22:23], v37, s[40:41] scale_offset
	;; [unrolled: 1-line block ×4, first 2 shown]
	s_clause 0x3
	global_load_b64 v[32:33], v34, s[28:29] scale_offset
	global_load_b64 v[30:31], v36, s[28:29] scale_offset
	;; [unrolled: 1-line block ×4, first 2 shown]
	s_wait_xcnt 0x0
	s_and_saveexec_b32 s51, s2
	s_cbranch_execz .LBB52_16
; %bb.20:                               ;   in Loop: Header=BB52_18 Depth=2
	v_dual_ashrrev_i32 v35, 31, v34 :: v_dual_ashrrev_i32 v37, 31, v36
	v_dual_ashrrev_i32 v41, 31, v40 :: v_dual_ashrrev_i32 v39, 31, v38
	s_delay_alu instid0(VALU_DEP_2) | instskip(NEXT) | instid1(VALU_DEP_3)
	v_lshl_add_u64 v[56:57], v[34:35], 3, s[28:29]
	v_lshl_add_u64 v[52:53], v[36:37], 3, s[28:29]
	s_delay_alu instid0(VALU_DEP_3) | instskip(NEXT) | instid1(VALU_DEP_4)
	v_lshl_add_u64 v[44:45], v[40:41], 3, s[28:29]
	v_lshl_add_u64 v[46:47], v[38:39], 3, s[28:29]
	s_clause 0x3
	global_load_b64 v[40:41], v[56:57], off offset:512
	global_load_b64 v[38:39], v[52:53], off offset:512
	global_load_b64 v[36:37], v[44:45], off offset:512
	global_load_b64 v[34:35], v[46:47], off offset:512
	s_wait_xcnt 0x0
	s_and_saveexec_b32 s52, s3
	s_cbranch_execz .LBB52_15
; %bb.21:                               ;   in Loop: Header=BB52_18 Depth=2
	s_clause 0x3
	global_load_b64 v[54:55], v[56:57], off offset:1024
	global_load_b64 v[50:51], v[52:53], off offset:1024
	;; [unrolled: 1-line block ×4, first 2 shown]
	s_wait_xcnt 0x0
	s_and_saveexec_b32 s53, s4
	s_cbranch_execz .LBB52_14
; %bb.22:                               ;   in Loop: Header=BB52_18 Depth=2
	s_clause 0x3
	global_load_b64 v[56:57], v[56:57], off offset:1536
	global_load_b64 v[52:53], v[52:53], off offset:1536
	;; [unrolled: 1-line block ×4, first 2 shown]
	s_wait_loadcnt 0x3
	v_fmac_f64_e32 v[16:17], v[24:25], v[56:57]
	s_wait_loadcnt 0x2
	s_delay_alu instid0(VALU_DEP_1) | instskip(SKIP_1) | instid1(VALU_DEP_1)
	v_fmac_f64_e32 v[16:17], v[22:23], v[52:53]
	s_wait_loadcnt 0x1
	v_fmac_f64_e32 v[16:17], v[20:21], v[44:45]
	s_wait_loadcnt 0x0
	s_delay_alu instid0(VALU_DEP_1)
	v_fmac_f64_e32 v[16:17], v[18:19], v[46:47]
	s_branch .LBB52_14
.LBB52_23:                              ;   in Loop: Header=BB52_5 Depth=1
	s_or_b32 exec_lo, exec_lo, s28
	s_delay_alu instid0(SALU_CYCLE_1)
	s_and_b32 vcc_lo, exec_lo, s7
	s_cbranch_vccnz .LBB52_12
.LBB52_24:                              ;   in Loop: Header=BB52_5 Depth=1
	v_mov_b64_e32 v[6:7], v[2:3]
	s_wait_xcnt 0x0
	s_and_saveexec_b32 s7, s47
	s_cbranch_execz .LBB52_3
	s_branch .LBB52_51
.LBB52_25:                              ;   in Loop: Header=BB52_5 Depth=1
	s_or_b32 exec_lo, exec_lo, s48
.LBB52_26:                              ;   in Loop: Header=BB52_5 Depth=1
	s_delay_alu instid0(SALU_CYCLE_1) | instskip(NEXT) | instid1(SALU_CYCLE_1)
	s_or_b32 exec_lo, exec_lo, s7
	s_and_not1_b32 vcc_lo, exec_lo, s44
	s_cbranch_vccnz .LBB52_44
; %bb.27:                               ;   in Loop: Header=BB52_5 Depth=1
	v_mov_b64_e32 v[24:25], 0
	v_mov_b64_e32 v[22:23], 0
	;; [unrolled: 1-line block ×4, first 2 shown]
	v_cmp_gt_i32_e32 vcc_lo, s37, v69
	v_or_b32_e32 v26, 1, v69
	s_and_saveexec_b32 s48, vcc_lo
	s_cbranch_execz .LBB52_35
; %bb.28:                               ;   in Loop: Header=BB52_5 Depth=1
	v_mul_lo_u32 v18, v69, s30
	v_mov_b64_e32 v[20:21], 0
	v_mov_b64_e32 v[22:23], 0
	;; [unrolled: 1-line block ×3, first 2 shown]
	s_mov_b32 s49, exec_lo
	global_load_b64 v[18:19], v18, s[40:41] scale_offset
	s_wait_xcnt 0x0
	v_cmpx_gt_i32_e64 s37, v26
	s_cbranch_execz .LBB52_34
; %bb.29:                               ;   in Loop: Header=BB52_5 Depth=1
	v_mul_lo_u32 v20, v26, s30
	v_mov_b64_e32 v[22:23], 0
	v_mov_b64_e32 v[24:25], 0
	v_or_b32_e32 v27, 2, v69
	s_mov_b32 s50, exec_lo
	global_load_b64 v[20:21], v20, s[40:41] scale_offset
	s_wait_xcnt 0x0
	v_cmpx_gt_i32_e64 s37, v27
	s_cbranch_execz .LBB52_33
; %bb.30:                               ;   in Loop: Header=BB52_5 Depth=1
	v_mul_lo_u32 v22, v27, s30
	v_mov_b64_e32 v[24:25], 0
	v_or_b32_e32 v27, 3, v69
	s_mov_b32 s51, exec_lo
	global_load_b64 v[22:23], v22, s[40:41] scale_offset
	s_wait_xcnt 0x0
	v_cmpx_gt_i32_e64 s37, v27
	s_cbranch_execz .LBB52_32
; %bb.31:                               ;   in Loop: Header=BB52_5 Depth=1
	v_mul_lo_u32 v24, v27, s30
	global_load_b64 v[24:25], v24, s[40:41] scale_offset
.LBB52_32:                              ;   in Loop: Header=BB52_5 Depth=1
	s_wait_xcnt 0x0
	s_or_b32 exec_lo, exec_lo, s51
.LBB52_33:                              ;   in Loop: Header=BB52_5 Depth=1
	s_delay_alu instid0(SALU_CYCLE_1)
	s_or_b32 exec_lo, exec_lo, s50
.LBB52_34:                              ;   in Loop: Header=BB52_5 Depth=1
	s_delay_alu instid0(SALU_CYCLE_1)
	s_or_b32 exec_lo, exec_lo, s49
.LBB52_35:                              ;   in Loop: Header=BB52_5 Depth=1
	s_delay_alu instid0(SALU_CYCLE_1)
	s_or_b32 exec_lo, exec_lo, s48
	s_and_saveexec_b32 s7, s1
	s_cbranch_execz .LBB52_43
; %bb.36:                               ;   in Loop: Header=BB52_5 Depth=1
	v_mul_lo_u32 v28, v69, s33
	v_mul_lo_u32 v30, v26, s33
	s_delay_alu instid0(VALU_DEP_2) | instskip(NEXT) | instid1(VALU_DEP_1)
	v_dual_cndmask_b32 v28, 0, v28, vcc_lo :: v_dual_bitop2_b32 v27, 2, v69 bitop3:0x54
	v_mul_lo_u32 v31, v27, s33
	v_cmp_gt_i32_e32 vcc_lo, s37, v26
	s_delay_alu instid0(VALU_DEP_4) | instskip(NEXT) | instid1(VALU_DEP_1)
	v_dual_cndmask_b32 v26, 0, v30, vcc_lo :: v_dual_bitop2_b32 v29, 3, v69 bitop3:0x54
	v_mul_lo_u32 v32, v29, s33
	v_cmp_gt_i32_e32 vcc_lo, s37, v27
	s_delay_alu instid0(VALU_DEP_3) | instskip(SKIP_2) | instid1(VALU_DEP_2)
	v_dual_add_nc_u32 v36, v28, v58 :: v_dual_add_nc_u32 v38, v26, v58
	v_cndmask_b32_e32 v27, 0, v31, vcc_lo
	v_cmp_gt_i32_e32 vcc_lo, s37, v29
	v_dual_cndmask_b32 v29, 0, v32 :: v_dual_add_nc_u32 v40, v27, v58
	s_delay_alu instid0(VALU_DEP_1)
	v_add_nc_u32_e32 v34, v29, v58
	s_clause 0x3
	global_load_b64 v[32:33], v36, s[28:29] scale_offset
	global_load_b64 v[30:31], v38, s[28:29] scale_offset
	;; [unrolled: 1-line block ×4, first 2 shown]
	s_wait_xcnt 0x0
	s_and_saveexec_b32 s40, s2
	s_cbranch_execz .LBB52_42
; %bb.37:                               ;   in Loop: Header=BB52_5 Depth=1
	v_dual_ashrrev_i32 v37, 31, v36 :: v_dual_ashrrev_i32 v39, 31, v38
	v_dual_ashrrev_i32 v41, 31, v40 :: v_dual_ashrrev_i32 v35, 31, v34
	s_delay_alu instid0(VALU_DEP_2) | instskip(NEXT) | instid1(VALU_DEP_3)
	v_lshl_add_u64 v[42:43], v[36:37], 3, s[28:29]
	v_lshl_add_u64 v[44:45], v[38:39], 3, s[28:29]
	s_delay_alu instid0(VALU_DEP_3) | instskip(NEXT) | instid1(VALU_DEP_4)
	v_lshl_add_u64 v[46:47], v[40:41], 3, s[28:29]
	v_lshl_add_u64 v[56:57], v[34:35], 3, s[28:29]
	s_clause 0x3
	global_load_b64 v[40:41], v[42:43], off offset:512
	global_load_b64 v[38:39], v[44:45], off offset:512
	global_load_b64 v[36:37], v[46:47], off offset:512
	global_load_b64 v[34:35], v[56:57], off offset:512
	s_wait_xcnt 0x0
	s_and_saveexec_b32 s28, s3
	s_cbranch_execz .LBB52_41
; %bb.38:                               ;   in Loop: Header=BB52_5 Depth=1
	s_clause 0x3
	global_load_b64 v[54:55], v[42:43], off offset:1024
	global_load_b64 v[52:53], v[44:45], off offset:1024
	;; [unrolled: 1-line block ×4, first 2 shown]
	s_wait_xcnt 0x0
	s_and_saveexec_b32 s29, s4
	s_cbranch_execz .LBB52_40
; %bb.39:                               ;   in Loop: Header=BB52_5 Depth=1
	s_clause 0x3
	global_load_b64 v[70:71], v[42:43], off offset:1536
	global_load_b64 v[72:73], v[44:45], off offset:1536
	;; [unrolled: 1-line block ×4, first 2 shown]
	s_wait_loadcnt 0x3
	v_fmac_f64_e32 v[16:17], v[18:19], v[70:71]
	s_wait_loadcnt 0x2
	s_delay_alu instid0(VALU_DEP_1) | instskip(SKIP_1) | instid1(VALU_DEP_1)
	v_fmac_f64_e32 v[16:17], v[20:21], v[72:73]
	s_wait_loadcnt 0x1
	v_fmac_f64_e32 v[16:17], v[22:23], v[74:75]
	s_wait_loadcnt 0x0
	s_delay_alu instid0(VALU_DEP_1)
	v_fmac_f64_e32 v[16:17], v[24:25], v[76:77]
.LBB52_40:                              ;   in Loop: Header=BB52_5 Depth=1
	s_wait_xcnt 0x0
	s_or_b32 exec_lo, exec_lo, s29
	s_wait_loadcnt 0x3
	v_fmac_f64_e32 v[14:15], v[18:19], v[54:55]
	s_wait_loadcnt 0x2
	s_delay_alu instid0(VALU_DEP_1) | instskip(SKIP_1) | instid1(VALU_DEP_1)
	v_fmac_f64_e32 v[14:15], v[20:21], v[52:53]
	s_wait_loadcnt 0x1
	v_fmac_f64_e32 v[14:15], v[22:23], v[50:51]
	s_wait_loadcnt 0x0
	s_delay_alu instid0(VALU_DEP_1)
	v_fmac_f64_e32 v[14:15], v[24:25], v[48:49]
.LBB52_41:                              ;   in Loop: Header=BB52_5 Depth=1
	s_or_b32 exec_lo, exec_lo, s28
	s_wait_loadcnt 0x3
	v_fmac_f64_e32 v[12:13], v[18:19], v[40:41]
	s_wait_loadcnt 0x2
	s_delay_alu instid0(VALU_DEP_1) | instskip(SKIP_1) | instid1(VALU_DEP_1)
	v_fmac_f64_e32 v[12:13], v[20:21], v[38:39]
	s_wait_loadcnt 0x1
	v_fmac_f64_e32 v[12:13], v[22:23], v[36:37]
	s_wait_loadcnt 0x0
	s_delay_alu instid0(VALU_DEP_1)
	v_fmac_f64_e32 v[12:13], v[24:25], v[34:35]
.LBB52_42:                              ;   in Loop: Header=BB52_5 Depth=1
	s_or_b32 exec_lo, exec_lo, s40
	s_wait_loadcnt 0x3
	v_fmac_f64_e32 v[10:11], v[18:19], v[32:33]
	s_wait_loadcnt 0x2
	s_delay_alu instid0(VALU_DEP_1) | instskip(SKIP_1) | instid1(VALU_DEP_1)
	v_fmac_f64_e32 v[10:11], v[20:21], v[30:31]
	s_wait_loadcnt 0x1
	v_fmac_f64_e32 v[10:11], v[22:23], v[28:29]
	s_wait_loadcnt 0x0
	s_delay_alu instid0(VALU_DEP_1)
	v_fmac_f64_e32 v[10:11], v[24:25], v[26:27]
.LBB52_43:                              ;   in Loop: Header=BB52_5 Depth=1
	s_or_b32 exec_lo, exec_lo, s7
.LBB52_44:                              ;   in Loop: Header=BB52_5 Depth=1
	ds_store_2addr_stride64_b64 v59, v[10:11], v[12:13] offset1:1
	ds_store_2addr_stride64_b64 v59, v[14:15], v[16:17] offset0:2 offset1:3
	s_wait_loadcnt_dscnt 0x0
	s_barrier_signal -1
	s_barrier_wait -1
                                        ; implicit-def: $vgpr10_vgpr11
	s_and_saveexec_b32 s7, s5
	s_cbranch_execz .LBB52_50
; %bb.45:                               ;   in Loop: Header=BB52_5 Depth=1
	ds_load_2addr_stride64_b64 v[10:13], v65 offset1:4
	s_mov_b32 s29, s47
	s_wait_dscnt 0x0
	v_add_f64_e32 v[14:15], v[10:11], v[12:13]
	ds_load_2addr_stride64_b64 v[10:13], v65 offset0:8 offset1:12
	s_wait_dscnt 0x0
	v_add_f64_e32 v[10:11], v[10:11], v[14:15]
	s_delay_alu instid0(VALU_DEP_1)
	v_add_f64_e32 v[12:13], v[12:13], v[10:11]
                                        ; implicit-def: $vgpr10_vgpr11
	ds_store_b64 v65, v[12:13]
	s_and_saveexec_b32 s28, s6
	s_cbranch_execz .LBB52_49
; %bb.46:                               ;   in Loop: Header=BB52_5 Depth=1
	v_cmp_eq_f64_e32 vcc_lo, 0, v[6:7]
	v_mul_f64_e32 v[10:11], v[8:9], v[12:13]
	s_cbranch_vccnz .LBB52_48
; %bb.47:                               ;   in Loop: Header=BB52_5 Depth=1
	v_lshl_add_u64 v[8:9], v[4:5], 3, s[26:27]
	global_load_b64 v[8:9], v[8:9], off
	s_wait_loadcnt 0x0
	v_fmac_f64_e32 v[10:11], v[6:7], v[8:9]
.LBB52_48:                              ;   in Loop: Header=BB52_5 Depth=1
	s_or_b32 s29, s47, exec_lo
.LBB52_49:                              ;   in Loop: Header=BB52_5 Depth=1
	s_wait_xcnt 0x0
	s_or_b32 exec_lo, exec_lo, s28
	s_delay_alu instid0(SALU_CYCLE_1) | instskip(SKIP_1) | instid1(SALU_CYCLE_1)
	s_and_not1_b32 s28, s47, exec_lo
	s_and_b32 s29, s29, exec_lo
	s_or_b32 s47, s28, s29
.LBB52_50:                              ;   in Loop: Header=BB52_5 Depth=1
	s_or_b32 exec_lo, exec_lo, s7
	v_mov_b64_e32 v[6:7], v[4:5]
	s_and_saveexec_b32 s7, s47
	s_cbranch_execz .LBB52_3
.LBB52_51:                              ;   in Loop: Header=BB52_5 Depth=1
	s_delay_alu instid0(VALU_DEP_1)
	v_lshl_add_u64 v[6:7], v[6:7], 3, s[26:27]
	global_store_b64 v[6:7], v[10:11], off
	s_branch .LBB52_3
.LBB52_52:
	s_sendmsg sendmsg(MSG_DEALLOC_VGPRS)
	s_endpgm
	.section	.rodata,"a",@progbits
	.p2align	6, 0x0
	.amdhsa_kernel _ZL20rocblas_gemvn_kernelILi64ELi4EidPKddEviiT3_lPKT2_lT1_lS5_lS6_lS2_lPT4_lS6_li
		.amdhsa_group_segment_fixed_size 8192
		.amdhsa_private_segment_fixed_size 0
		.amdhsa_kernarg_size 400
		.amdhsa_user_sgpr_count 2
		.amdhsa_user_sgpr_dispatch_ptr 0
		.amdhsa_user_sgpr_queue_ptr 0
		.amdhsa_user_sgpr_kernarg_segment_ptr 1
		.amdhsa_user_sgpr_dispatch_id 0
		.amdhsa_user_sgpr_kernarg_preload_length 0
		.amdhsa_user_sgpr_kernarg_preload_offset 0
		.amdhsa_user_sgpr_private_segment_size 0
		.amdhsa_wavefront_size32 1
		.amdhsa_uses_dynamic_stack 0
		.amdhsa_enable_private_segment 0
		.amdhsa_system_sgpr_workgroup_id_x 1
		.amdhsa_system_sgpr_workgroup_id_y 0
		.amdhsa_system_sgpr_workgroup_id_z 1
		.amdhsa_system_sgpr_workgroup_info 0
		.amdhsa_system_vgpr_workitem_id 1
		.amdhsa_next_free_vgpr 78
		.amdhsa_next_free_sgpr 54
		.amdhsa_named_barrier_count 0
		.amdhsa_reserve_vcc 1
		.amdhsa_float_round_mode_32 0
		.amdhsa_float_round_mode_16_64 0
		.amdhsa_float_denorm_mode_32 3
		.amdhsa_float_denorm_mode_16_64 3
		.amdhsa_fp16_overflow 0
		.amdhsa_memory_ordered 1
		.amdhsa_forward_progress 1
		.amdhsa_inst_pref_size 22
		.amdhsa_round_robin_scheduling 0
		.amdhsa_exception_fp_ieee_invalid_op 0
		.amdhsa_exception_fp_denorm_src 0
		.amdhsa_exception_fp_ieee_div_zero 0
		.amdhsa_exception_fp_ieee_overflow 0
		.amdhsa_exception_fp_ieee_underflow 0
		.amdhsa_exception_fp_ieee_inexact 0
		.amdhsa_exception_int_div_zero 0
	.end_amdhsa_kernel
	.section	.text._ZL20rocblas_gemvn_kernelILi64ELi4EidPKddEviiT3_lPKT2_lT1_lS5_lS6_lS2_lPT4_lS6_li,"axG",@progbits,_ZL20rocblas_gemvn_kernelILi64ELi4EidPKddEviiT3_lPKT2_lT1_lS5_lS6_lS2_lPT4_lS6_li,comdat
.Lfunc_end52:
	.size	_ZL20rocblas_gemvn_kernelILi64ELi4EidPKddEviiT3_lPKT2_lT1_lS5_lS6_lS2_lPT4_lS6_li, .Lfunc_end52-_ZL20rocblas_gemvn_kernelILi64ELi4EidPKddEviiT3_lPKT2_lT1_lS5_lS6_lS2_lPT4_lS6_li
                                        ; -- End function
	.set _ZL20rocblas_gemvn_kernelILi64ELi4EidPKddEviiT3_lPKT2_lT1_lS5_lS6_lS2_lPT4_lS6_li.num_vgpr, 78
	.set _ZL20rocblas_gemvn_kernelILi64ELi4EidPKddEviiT3_lPKT2_lT1_lS5_lS6_lS2_lPT4_lS6_li.num_agpr, 0
	.set _ZL20rocblas_gemvn_kernelILi64ELi4EidPKddEviiT3_lPKT2_lT1_lS5_lS6_lS2_lPT4_lS6_li.numbered_sgpr, 54
	.set _ZL20rocblas_gemvn_kernelILi64ELi4EidPKddEviiT3_lPKT2_lT1_lS5_lS6_lS2_lPT4_lS6_li.num_named_barrier, 0
	.set _ZL20rocblas_gemvn_kernelILi64ELi4EidPKddEviiT3_lPKT2_lT1_lS5_lS6_lS2_lPT4_lS6_li.private_seg_size, 0
	.set _ZL20rocblas_gemvn_kernelILi64ELi4EidPKddEviiT3_lPKT2_lT1_lS5_lS6_lS2_lPT4_lS6_li.uses_vcc, 1
	.set _ZL20rocblas_gemvn_kernelILi64ELi4EidPKddEviiT3_lPKT2_lT1_lS5_lS6_lS2_lPT4_lS6_li.uses_flat_scratch, 0
	.set _ZL20rocblas_gemvn_kernelILi64ELi4EidPKddEviiT3_lPKT2_lT1_lS5_lS6_lS2_lPT4_lS6_li.has_dyn_sized_stack, 0
	.set _ZL20rocblas_gemvn_kernelILi64ELi4EidPKddEviiT3_lPKT2_lT1_lS5_lS6_lS2_lPT4_lS6_li.has_recursion, 0
	.set _ZL20rocblas_gemvn_kernelILi64ELi4EidPKddEviiT3_lPKT2_lT1_lS5_lS6_lS2_lPT4_lS6_li.has_indirect_call, 0
	.section	.AMDGPU.csdata,"",@progbits
; Kernel info:
; codeLenInByte = 2716
; TotalNumSgprs: 56
; NumVgprs: 78
; ScratchSize: 0
; MemoryBound: 0
; FloatMode: 240
; IeeeMode: 1
; LDSByteSize: 8192 bytes/workgroup (compile time only)
; SGPRBlocks: 0
; VGPRBlocks: 4
; NumSGPRsForWavesPerEU: 56
; NumVGPRsForWavesPerEU: 78
; NamedBarCnt: 0
; Occupancy: 12
; WaveLimiterHint : 1
; COMPUTE_PGM_RSRC2:SCRATCH_EN: 0
; COMPUTE_PGM_RSRC2:USER_SGPR: 2
; COMPUTE_PGM_RSRC2:TRAP_HANDLER: 0
; COMPUTE_PGM_RSRC2:TGID_X_EN: 1
; COMPUTE_PGM_RSRC2:TGID_Y_EN: 0
; COMPUTE_PGM_RSRC2:TGID_Z_EN: 1
; COMPUTE_PGM_RSRC2:TIDIG_COMP_CNT: 1
	.section	.text._ZL20rocblas_gemvn_kernelILi64ELi4EldPKddEviiT3_lPKT2_lT1_lS5_lS6_lS2_lPT4_lS6_li,"axG",@progbits,_ZL20rocblas_gemvn_kernelILi64ELi4EldPKddEviiT3_lPKT2_lT1_lS5_lS6_lS2_lPT4_lS6_li,comdat
	.globl	_ZL20rocblas_gemvn_kernelILi64ELi4EldPKddEviiT3_lPKT2_lT1_lS5_lS6_lS2_lPT4_lS6_li ; -- Begin function _ZL20rocblas_gemvn_kernelILi64ELi4EldPKddEviiT3_lPKT2_lT1_lS5_lS6_lS2_lPT4_lS6_li
	.p2align	8
	.type	_ZL20rocblas_gemvn_kernelILi64ELi4EldPKddEviiT3_lPKT2_lT1_lS5_lS6_lS2_lPT4_lS6_li,@function
_ZL20rocblas_gemvn_kernelILi64ELi4EldPKddEviiT3_lPKT2_lT1_lS5_lS6_lS2_lPT4_lS6_li: ; @_ZL20rocblas_gemvn_kernelILi64ELi4EldPKddEviiT3_lPKT2_lT1_lS5_lS6_lS2_lPT4_lS6_li
; %bb.0:
	s_load_b64 s[2:3], s[0:1], 0x9c
	s_wait_kmcnt 0x0
	s_lshr_b32 s4, s2, 16
	s_and_b32 s2, s2, 0xffff
	s_and_b32 s3, s3, 0xffff
	s_mul_i32 s2, s4, s2
	s_delay_alu instid0(SALU_CYCLE_1) | instskip(NEXT) | instid1(SALU_CYCLE_1)
	s_mul_i32 s2, s2, s3
	s_cmp_lg_u32 s2, 0x100
	s_cbranch_scc1 .LBB53_52
; %bb.1:
	s_load_b32 s33, s[0:1], 0x88
	s_bfe_u32 s2, ttmp6, 0x40014
	s_lshr_b32 s3, ttmp7, 16
	s_add_co_i32 s2, s2, 1
	s_bfe_u32 s5, ttmp6, 0x40008
	s_mul_i32 s4, s3, s2
	s_getreg_b32 s2, hwreg(HW_REG_IB_STS2, 6, 4)
	s_add_co_i32 s5, s5, s4
	s_cmp_eq_u32 s2, 0
	s_mov_b32 s11, 0
	s_cselect_b32 s10, s3, s5
	s_wait_kmcnt 0x0
	s_cmp_ge_u32 s10, s33
	s_cbranch_scc1 .LBB53_52
; %bb.2:
	s_clause 0x2
	s_load_b512 s[12:27], s[0:1], 0x8
	s_load_b512 s[36:51], s[0:1], 0x48
	s_load_b64 s[28:29], s[0:1], 0x0
	s_wait_xcnt 0x0
	s_bfe_u32 s0, ttmp6, 0x4000c
	v_and_b32_e32 v24, 0x3ff, v0
	s_add_co_i32 s0, s0, 1
	v_bfe_u32 v4, v0, 10, 10
	s_and_b32 s1, ttmp6, 15
	s_mul_i32 s0, ttmp9, s0
	v_mov_b32_e32 v1, 0
	s_add_co_i32 s1, s1, s0
	v_lshl_add_u32 v10, v4, 6, v24
	v_lshlrev_b32_e32 v92, 2, v4
	s_delay_alu instid0(VALU_DEP_3) | instskip(NEXT) | instid1(VALU_DEP_1)
	v_dual_mov_b32 v5, v1 :: v_dual_lshlrev_b32 v2, 3, v24
	v_lshl_add_u32 v93, v4, 11, v2
	v_lshl_add_u32 v94, v4, 9, v2
	s_wait_kmcnt 0x0
	s_lshl_b64 s[4:5], s[18:19], 3
	s_lshl_b64 s[18:19], s[26:27], 3
	;; [unrolled: 1-line block ×3, first 2 shown]
	s_cmp_eq_u32 s2, 0
	s_mov_b32 s2, s28
	s_cselect_b32 s0, ttmp9, s1
	s_ashr_i32 s3, s28, 31
	s_lshl_b32 s1, s0, 8
	v_cmp_gt_u32_e64 s0, 0x100, v10
	v_dual_add_nc_u32 v0, s1, v10 :: v_dual_bitop2_b32 v10, s1, v10 bitop3:0x54
	v_mul_u64_e32 v[6:7], s[36:37], v[4:5]
	v_mul_u64_e32 v[8:9], s[20:21], v[4:5]
	v_mad_nc_u64_u32 v[20:21], s36, v92, s[36:37]
	s_delay_alu instid0(VALU_DEP_4)
	v_cmp_gt_i64_e32 vcc_lo, s[2:3], v[0:1]
	v_mul_u64_e32 v[2:3], s[48:49], v[0:1]
	v_dual_ashrrev_i32 v11, 31, v10 :: v_dual_bitop2_b32 v0, 3, v92 bitop3:0x54
	v_mad_nc_u64_u32 v[22:23], s20, v92, s[20:21]
	s_ashr_i32 s2, s29, 31
	v_or_b32_e32 v24, s1, v24
	s_delay_alu instid0(VALU_DEP_3)
	v_mul_u64_e32 v[12:13], s[20:21], v[0:1]
	v_mul_u64_e32 v[14:15], s[36:37], v[0:1]
	v_or_b32_e32 v0, 2, v92
	v_mul_u64_e32 v[4:5], s[48:49], v[10:11]
	s_lshr_b32 s2, s2, 28
	v_mad_u32 v21, s37, v92, v21
	s_add_co_i32 s2, s29, s2
	v_mul_u64_e32 v[16:17], s[20:21], v[0:1]
	v_mul_u64_e32 v[18:19], s[36:37], v[0:1]
	s_and_b32 s52, s2, -16
	v_mad_u32 v23, s21, v92, v23
	s_sub_co_i32 s3, s29, s52
	v_dual_ashrrev_i32 v25, 31, v24 :: v_dual_add_nc_u32 v0, 64, v24
	s_cmp_gt_i32 s3, 0
	v_cmp_gt_i32_e64 s3, s28, v10
	v_add_nc_u32_e32 v28, 0x80, v24
	v_add_nc_u32_e32 v29, 0xc0, v24
	s_add_nc_u64 s[16:17], s[16:17], s[4:5]
	s_add_nc_u64 s[30:31], s[44:45], s[6:7]
	v_cmp_gt_i32_e64 s1, s52, v92
	v_cmp_gt_i32_e64 s2, s28, v24
	v_lshlrev_b64_e32 v[10:11], 5, v[6:7]
	v_lshlrev_b64_e32 v[26:27], 5, v[8:9]
	;; [unrolled: 1-line block ×3, first 2 shown]
	v_cmp_gt_i32_e64 s4, s28, v0
	v_cmp_gt_i32_e64 s5, s28, v28
	;; [unrolled: 1-line block ×3, first 2 shown]
	v_lshl_add_u64 v[20:21], v[20:21], 3, s[24:25]
	v_add_nc_u64_e32 v[8:9], s[24:25], v[10:11]
	v_add_nc_u64_e32 v[10:11], s[16:17], v[26:27]
	v_lshl_add_u64 v[22:23], v[22:23], 3, s[16:17]
	v_lshl_add_u64 v[12:13], v[12:13], 3, s[16:17]
	;; [unrolled: 1-line block ×3, first 2 shown]
	s_add_nc_u64 s[26:27], s[24:25], s[18:19]
	s_cselect_b32 s53, -1, 0
	s_lshl_b64 s[34:35], s[38:39], 3
	s_and_b32 s28, s0, vcc_lo
	s_lshl_b64 s[44:45], s[22:23], 3
	v_lshl_add_u64 v[16:17], v[16:17], 3, s[16:17]
	v_lshl_add_u64 v[18:19], v[18:19], 3, s[24:25]
	s_lshl_b64 s[24:25], s[36:37], 7
	s_lshl_b64 s[46:47], s[20:21], 7
	s_branch .LBB53_5
.LBB53_3:                               ;   in Loop: Header=BB53_5 Depth=1
	s_wait_xcnt 0x0
	s_or_b32 exec_lo, exec_lo, s7
.LBB53_4:                               ;   in Loop: Header=BB53_5 Depth=1
	s_add_co_i32 s10, s10, 0x10000
	s_delay_alu instid0(SALU_CYCLE_1)
	s_cmp_lt_u32 s10, s33
	s_cbranch_scc0 .LBB53_52
.LBB53_5:                               ; =>This Loop Header: Depth=1
                                        ;     Child Loop BB53_18 Depth 2
	s_wait_xcnt 0x1
	s_mul_u64 s[8:9], s[14:15], s[10:11]
	s_wait_xcnt 0x0
	s_mul_u64 s[48:49], s[42:43], s[10:11]
	s_lshl_b64 s[8:9], s[8:9], 3
	s_lshl_b64 s[48:49], s[48:49], 3
	s_add_nc_u64 s[8:9], s[12:13], s[8:9]
	s_add_nc_u64 s[48:49], s[40:41], s[48:49]
	s_clause 0x1
	global_load_b64 v[26:27], v1, s[8:9]
	global_load_b64 v[24:25], v1, s[48:49]
	s_wait_loadcnt 0x1
	v_cmp_eq_f64_e32 vcc_lo, 0, v[26:27]
	s_wait_loadcnt 0x0
	v_cmp_eq_f64_e64 s7, 1.0, v[24:25]
	s_and_b32 s7, vcc_lo, s7
	s_delay_alu instid0(SALU_CYCLE_1)
	s_and_b32 vcc_lo, exec_lo, s7
	s_cbranch_vccnz .LBB53_4
; %bb.6:                                ;   in Loop: Header=BB53_5 Depth=1
	v_cmp_neq_f64_e32 vcc_lo, 0, v[26:27]
	s_wait_xcnt 0x1
	s_mul_u64 s[8:9], s[50:51], s[10:11]
	s_delay_alu instid0(SALU_CYCLE_1)
	s_lshl_b64 s[8:9], s[8:9], 3
	s_wait_xcnt 0x0
	s_add_nc_u64 s[48:49], s[30:31], s[8:9]
	s_cbranch_vccnz .LBB53_11
; %bb.7:                                ;   in Loop: Header=BB53_5 Depth=1
	s_mov_b32 s7, 0
	s_mov_b32 s54, 0
                                        ; implicit-def: $vgpr28_vgpr29
	s_and_saveexec_b32 s8, s28
	s_cbranch_execz .LBB53_23
; %bb.8:                                ;   in Loop: Header=BB53_5 Depth=1
	v_cmp_eq_f64_e32 vcc_lo, 0, v[24:25]
	v_mov_b64_e32 v[28:29], 0
	s_cbranch_vccnz .LBB53_10
; %bb.9:                                ;   in Loop: Header=BB53_5 Depth=1
	v_lshl_add_u64 v[28:29], v[2:3], 3, s[48:49]
	global_load_b64 v[28:29], v[28:29], off
	s_wait_loadcnt 0x0
	s_wait_xcnt 0x0
	v_mul_f64_e32 v[28:29], v[24:25], v[28:29]
.LBB53_10:                              ;   in Loop: Header=BB53_5 Depth=1
	s_mov_b32 s54, exec_lo
	s_or_b32 exec_lo, exec_lo, s8
	s_delay_alu instid0(SALU_CYCLE_1)
	s_and_b32 vcc_lo, exec_lo, s7
	s_cbranch_vccnz .LBB53_12
	s_branch .LBB53_24
.LBB53_11:                              ;   in Loop: Header=BB53_5 Depth=1
	s_mov_b32 s54, 0
                                        ; implicit-def: $vgpr28_vgpr29
	s_cbranch_execz .LBB53_24
.LBB53_12:                              ;   in Loop: Header=BB53_5 Depth=1
	v_mov_b64_e32 v[28:29], 0
	v_mov_b64_e32 v[30:31], 0
	;; [unrolled: 1-line block ×4, first 2 shown]
	v_mov_b32_e32 v0, v92
	s_and_saveexec_b32 s7, s1
	s_cbranch_execz .LBB53_26
; %bb.13:                               ;   in Loop: Header=BB53_5 Depth=1
	s_mul_u64 s[8:9], s[34:35], s[10:11]
	s_mul_u64 s[56:57], s[44:45], s[10:11]
	v_add_nc_u64_e32 v[36:37], s[8:9], v[8:9]
	v_add_nc_u64_e32 v[38:39], s[56:57], v[12:13]
	;; [unrolled: 1-line block ×8, first 2 shown]
	v_mov_b64_e32 v[28:29], 0
	v_mov_b64_e32 v[30:31], 0
	v_mov_b64_e32 v[32:33], 0
	v_mov_b64_e32 v[34:35], 0
	v_mov_b32_e32 v0, v92
	s_mov_b32 s8, 0
	s_branch .LBB53_18
.LBB53_14:                              ;   in Loop: Header=BB53_18 Depth=2
	s_wait_xcnt 0x0
	s_or_b32 exec_lo, exec_lo, s57
	s_wait_loadcnt 0x3
	v_fmac_f64_e32 v[32:33], v[54:55], v[90:91]
	s_wait_loadcnt 0x2
	s_delay_alu instid0(VALU_DEP_1) | instskip(SKIP_1) | instid1(VALU_DEP_1)
	v_fmac_f64_e32 v[32:33], v[58:59], v[88:89]
	s_wait_loadcnt 0x1
	v_fmac_f64_e32 v[32:33], v[56:57], v[86:87]
	s_wait_loadcnt 0x0
	s_delay_alu instid0(VALU_DEP_1)
	v_fmac_f64_e32 v[32:33], v[52:53], v[84:85]
.LBB53_15:                              ;   in Loop: Header=BB53_18 Depth=2
	s_or_b32 exec_lo, exec_lo, s56
	s_wait_loadcnt 0x3
	v_fmac_f64_e32 v[30:31], v[54:55], v[74:75]
	s_wait_loadcnt 0x2
	s_delay_alu instid0(VALU_DEP_1) | instskip(SKIP_1) | instid1(VALU_DEP_1)
	v_fmac_f64_e32 v[30:31], v[58:59], v[72:73]
	s_wait_loadcnt 0x1
	v_fmac_f64_e32 v[30:31], v[56:57], v[70:71]
	s_wait_loadcnt 0x0
	s_delay_alu instid0(VALU_DEP_1)
	v_fmac_f64_e32 v[30:31], v[52:53], v[68:69]
.LBB53_16:                              ;   in Loop: Header=BB53_18 Depth=2
	s_or_b32 exec_lo, exec_lo, s55
	s_wait_loadcnt 0x3
	v_fmac_f64_e32 v[28:29], v[54:55], v[66:67]
	s_wait_loadcnt 0x2
	s_delay_alu instid0(VALU_DEP_1) | instskip(SKIP_1) | instid1(VALU_DEP_1)
	v_fmac_f64_e32 v[28:29], v[58:59], v[64:65]
	s_wait_loadcnt 0x1
	v_fmac_f64_e32 v[28:29], v[56:57], v[62:63]
	s_wait_loadcnt 0x0
	s_delay_alu instid0(VALU_DEP_1)
	v_fmac_f64_e32 v[28:29], v[52:53], v[60:61]
.LBB53_17:                              ;   in Loop: Header=BB53_18 Depth=2
	s_or_b32 exec_lo, exec_lo, s9
	v_add_nc_u32_e32 v0, 16, v0
	v_add_nc_u64_e32 v[36:37], s[24:25], v[36:37]
	v_add_nc_u64_e32 v[38:39], s[46:47], v[38:39]
	;; [unrolled: 1-line block ×7, first 2 shown]
	v_cmp_le_i32_e32 vcc_lo, s52, v0
	v_add_nc_u64_e32 v[50:51], s[46:47], v[50:51]
	s_or_b32 s8, vcc_lo, s8
	s_delay_alu instid0(SALU_CYCLE_1)
	s_and_not1_b32 exec_lo, exec_lo, s8
	s_cbranch_execz .LBB53_25
.LBB53_18:                              ;   Parent Loop BB53_5 Depth=1
                                        ; =>  This Inner Loop Header: Depth=2
	s_and_saveexec_b32 s9, s2
	s_cbranch_execz .LBB53_17
; %bb.19:                               ;   in Loop: Header=BB53_18 Depth=2
	v_add_nc_u64_e32 v[52:53], s[18:19], v[36:37]
	v_add_nc_u64_e32 v[56:57], s[18:19], v[48:49]
	;; [unrolled: 1-line block ×8, first 2 shown]
	global_load_b64 v[54:55], v[52:53], off
	global_load_b64 v[58:59], v[56:57], off
	;; [unrolled: 1-line block ×8, first 2 shown]
	s_wait_xcnt 0x0
	s_and_saveexec_b32 s55, s4
	s_cbranch_execz .LBB53_16
; %bb.20:                               ;   in Loop: Header=BB53_18 Depth=2
	global_load_b64 v[74:75], v[82:83], off offset:512
	global_load_b64 v[72:73], v[80:81], off offset:512
	global_load_b64 v[70:71], v[76:77], off offset:512
	global_load_b64 v[68:69], v[78:79], off offset:512
	s_wait_xcnt 0x0
	s_and_saveexec_b32 s56, s5
	s_cbranch_execz .LBB53_15
; %bb.21:                               ;   in Loop: Header=BB53_18 Depth=2
	global_load_b64 v[90:91], v[82:83], off offset:1024
	global_load_b64 v[88:89], v[80:81], off offset:1024
	global_load_b64 v[86:87], v[76:77], off offset:1024
	global_load_b64 v[84:85], v[78:79], off offset:1024
	;; [unrolled: 8-line block ×3, first 2 shown]
	s_wait_loadcnt 0x3
	v_fmac_f64_e32 v[34:35], v[54:55], v[82:83]
	s_wait_loadcnt 0x2
	s_delay_alu instid0(VALU_DEP_1) | instskip(SKIP_1) | instid1(VALU_DEP_1)
	v_fmac_f64_e32 v[34:35], v[58:59], v[80:81]
	s_wait_loadcnt 0x1
	v_fmac_f64_e32 v[34:35], v[56:57], v[76:77]
	s_wait_loadcnt 0x0
	s_delay_alu instid0(VALU_DEP_1)
	v_fmac_f64_e32 v[34:35], v[52:53], v[78:79]
	s_branch .LBB53_14
.LBB53_23:                              ;   in Loop: Header=BB53_5 Depth=1
	s_or_b32 exec_lo, exec_lo, s8
	s_delay_alu instid0(SALU_CYCLE_1)
	s_and_b32 vcc_lo, exec_lo, s7
	s_cbranch_vccnz .LBB53_12
.LBB53_24:                              ;   in Loop: Header=BB53_5 Depth=1
	v_mov_b64_e32 v[24:25], v[2:3]
	s_and_saveexec_b32 s7, s54
	s_cbranch_execz .LBB53_3
	s_branch .LBB53_51
.LBB53_25:                              ;   in Loop: Header=BB53_5 Depth=1
	s_or_b32 exec_lo, exec_lo, s8
.LBB53_26:                              ;   in Loop: Header=BB53_5 Depth=1
	s_delay_alu instid0(SALU_CYCLE_1) | instskip(NEXT) | instid1(SALU_CYCLE_1)
	s_or_b32 exec_lo, exec_lo, s7
	s_and_not1_b32 vcc_lo, exec_lo, s53
	s_cbranch_vccnz .LBB53_44
; %bb.27:                               ;   in Loop: Header=BB53_5 Depth=1
	v_mov_b64_e32 v[42:43], 0
	v_mov_b64_e32 v[40:41], 0
	;; [unrolled: 1-line block ×4, first 2 shown]
	v_cmp_gt_i32_e32 vcc_lo, s29, v0
	v_or_b32_e32 v44, 1, v0
	s_and_saveexec_b32 s55, vcc_lo
	s_cbranch_execz .LBB53_35
; %bb.28:                               ;   in Loop: Header=BB53_5 Depth=1
	v_mul_u64_e32 v[36:37], s[36:37], v[0:1]
	s_mul_u64 s[8:9], s[38:39], s[10:11]
	v_mov_b64_e32 v[38:39], 0
	s_lshl_b64 s[8:9], s[8:9], 3
	v_mov_b64_e32 v[40:41], 0
	s_add_nc_u64 s[8:9], s[26:27], s[8:9]
	v_mov_b64_e32 v[42:43], 0
	s_mov_b32 s56, exec_lo
	s_delay_alu instid0(VALU_DEP_4)
	v_lshl_add_u64 v[36:37], v[36:37], 3, s[8:9]
	global_load_b64 v[36:37], v[36:37], off
	s_wait_xcnt 0x0
	v_cmpx_gt_i32_e64 s29, v44
	s_cbranch_execz .LBB53_34
; %bb.29:                               ;   in Loop: Header=BB53_5 Depth=1
	v_dual_mov_b32 v45, v1 :: v_dual_bitop2_b32 v46, 2, v0 bitop3:0x54
	v_mov_b64_e32 v[40:41], 0
	v_mov_b64_e32 v[42:43], 0
	s_mov_b32 s57, exec_lo
	s_delay_alu instid0(VALU_DEP_3) | instskip(NEXT) | instid1(VALU_DEP_1)
	v_mul_u64_e32 v[38:39], s[36:37], v[44:45]
	v_lshl_add_u64 v[38:39], v[38:39], 3, s[8:9]
	global_load_b64 v[38:39], v[38:39], off
	s_wait_xcnt 0x0
	v_cmpx_gt_i32_e64 s29, v46
	s_cbranch_execz .LBB53_33
; %bb.30:                               ;   in Loop: Header=BB53_5 Depth=1
	v_mov_b32_e32 v47, v1
	v_mov_b64_e32 v[42:43], 0
	s_mov_b32 s58, exec_lo
	s_delay_alu instid0(VALU_DEP_2) | instskip(SKIP_1) | instid1(VALU_DEP_2)
	v_mul_u64_e32 v[40:41], s[36:37], v[46:47]
	v_or_b32_e32 v46, 3, v0
	v_lshl_add_u64 v[40:41], v[40:41], 3, s[8:9]
	global_load_b64 v[40:41], v[40:41], off
	s_wait_xcnt 0x0
	v_cmpx_gt_i32_e64 s29, v46
	s_cbranch_execz .LBB53_32
; %bb.31:                               ;   in Loop: Header=BB53_5 Depth=1
	v_mov_b32_e32 v47, v1
	s_delay_alu instid0(VALU_DEP_1) | instskip(NEXT) | instid1(VALU_DEP_1)
	v_mul_u64_e32 v[42:43], s[36:37], v[46:47]
	v_lshl_add_u64 v[42:43], v[42:43], 3, s[8:9]
	global_load_b64 v[42:43], v[42:43], off
.LBB53_32:                              ;   in Loop: Header=BB53_5 Depth=1
	s_wait_xcnt 0x0
	s_or_b32 exec_lo, exec_lo, s58
.LBB53_33:                              ;   in Loop: Header=BB53_5 Depth=1
	s_delay_alu instid0(SALU_CYCLE_1)
	s_or_b32 exec_lo, exec_lo, s57
.LBB53_34:                              ;   in Loop: Header=BB53_5 Depth=1
	s_delay_alu instid0(SALU_CYCLE_1)
	s_or_b32 exec_lo, exec_lo, s56
.LBB53_35:                              ;   in Loop: Header=BB53_5 Depth=1
	s_delay_alu instid0(SALU_CYCLE_1)
	s_or_b32 exec_lo, exec_lo, s55
	s_and_saveexec_b32 s55, s2
	s_cbranch_execz .LBB53_43
; %bb.36:                               ;   in Loop: Header=BB53_5 Depth=1
	v_dual_mov_b32 v45, v1 :: v_dual_bitop2_b32 v46, 2, v0 bitop3:0x54
	v_mov_b32_e32 v47, v1
	v_mul_u64_e32 v[48:49], s[20:21], v[0:1]
	v_or_b32_e32 v0, 3, v0
	s_delay_alu instid0(VALU_DEP_4)
	v_mul_u64_e32 v[50:51], s[20:21], v[44:45]
	s_mul_u64 s[8:9], s[22:23], s[10:11]
	v_mul_u64_e32 v[52:53], s[20:21], v[46:47]
	v_cmp_gt_i32_e64 s7, s29, v44
	v_mul_u64_e32 v[54:55], s[20:21], v[0:1]
	s_lshl_b64 s[56:57], s[8:9], 3
	v_cmp_gt_i32_e64 s8, s29, v46
	v_cmp_gt_i32_e64 s9, s29, v0
	v_dual_cndmask_b32 v45, 0, v49 :: v_dual_cndmask_b32 v44, 0, v48
	v_dual_cndmask_b32 v47, 0, v51, s7 :: v_dual_cndmask_b32 v46, 0, v50, s7
	s_delay_alu instid0(VALU_DEP_4) | instskip(NEXT) | instid1(VALU_DEP_4)
	v_dual_cndmask_b32 v49, 0, v53, s8 :: v_dual_cndmask_b32 v48, 0, v52, s8
	v_dual_cndmask_b32 v51, 0, v55, s9 :: v_dual_cndmask_b32 v50, 0, v54, s9
	s_add_nc_u64 s[8:9], s[16:17], s[56:57]
	s_delay_alu instid0(SALU_CYCLE_1) | instskip(SKIP_3) | instid1(VALU_DEP_4)
	v_lshl_add_u64 v[44:45], v[44:45], 3, s[8:9]
	v_lshl_add_u64 v[46:47], v[46:47], 3, s[8:9]
	;; [unrolled: 1-line block ×4, first 2 shown]
	v_add_nc_u64_e32 v[66:67], v[44:45], v[6:7]
	s_delay_alu instid0(VALU_DEP_4) | instskip(NEXT) | instid1(VALU_DEP_4)
	v_add_nc_u64_e32 v[64:65], v[46:47], v[6:7]
	v_add_nc_u64_e32 v[62:63], v[48:49], v[6:7]
	s_delay_alu instid0(VALU_DEP_4)
	v_add_nc_u64_e32 v[60:61], v[50:51], v[6:7]
	s_clause 0x3
	global_load_b64 v[50:51], v[66:67], off
	global_load_b64 v[48:49], v[64:65], off
	;; [unrolled: 1-line block ×4, first 2 shown]
	s_wait_xcnt 0x0
	s_and_saveexec_b32 s7, s4
	s_cbranch_execz .LBB53_42
; %bb.37:                               ;   in Loop: Header=BB53_5 Depth=1
	s_clause 0x3
	global_load_b64 v[58:59], v[66:67], off offset:512
	global_load_b64 v[56:57], v[64:65], off offset:512
	global_load_b64 v[54:55], v[62:63], off offset:512
	global_load_b64 v[52:53], v[60:61], off offset:512
	s_wait_xcnt 0x0
	s_and_saveexec_b32 s8, s5
	s_cbranch_execz .LBB53_41
; %bb.38:                               ;   in Loop: Header=BB53_5 Depth=1
	s_clause 0x3
	global_load_b64 v[74:75], v[66:67], off offset:1024
	global_load_b64 v[72:73], v[64:65], off offset:1024
	global_load_b64 v[70:71], v[62:63], off offset:1024
	global_load_b64 v[68:69], v[60:61], off offset:1024
	;; [unrolled: 9-line block ×3, first 2 shown]
	s_wait_loadcnt 0x3
	v_fmac_f64_e32 v[34:35], v[36:37], v[66:67]
	s_wait_loadcnt 0x2
	s_delay_alu instid0(VALU_DEP_1) | instskip(SKIP_1) | instid1(VALU_DEP_1)
	v_fmac_f64_e32 v[34:35], v[38:39], v[64:65]
	s_wait_loadcnt 0x1
	v_fmac_f64_e32 v[34:35], v[40:41], v[62:63]
	s_wait_loadcnt 0x0
	s_delay_alu instid0(VALU_DEP_1)
	v_fmac_f64_e32 v[34:35], v[42:43], v[60:61]
.LBB53_40:                              ;   in Loop: Header=BB53_5 Depth=1
	s_wait_xcnt 0x0
	s_or_b32 exec_lo, exec_lo, s9
	s_wait_loadcnt 0x3
	v_fmac_f64_e32 v[32:33], v[36:37], v[74:75]
	s_wait_loadcnt 0x2
	s_delay_alu instid0(VALU_DEP_1) | instskip(SKIP_1) | instid1(VALU_DEP_1)
	v_fmac_f64_e32 v[32:33], v[38:39], v[72:73]
	s_wait_loadcnt 0x1
	v_fmac_f64_e32 v[32:33], v[40:41], v[70:71]
	s_wait_loadcnt 0x0
	s_delay_alu instid0(VALU_DEP_1)
	v_fmac_f64_e32 v[32:33], v[42:43], v[68:69]
.LBB53_41:                              ;   in Loop: Header=BB53_5 Depth=1
	s_or_b32 exec_lo, exec_lo, s8
	s_wait_loadcnt 0x3
	v_fmac_f64_e32 v[30:31], v[36:37], v[58:59]
	s_wait_loadcnt 0x2
	s_delay_alu instid0(VALU_DEP_1) | instskip(SKIP_1) | instid1(VALU_DEP_1)
	v_fmac_f64_e32 v[30:31], v[38:39], v[56:57]
	s_wait_loadcnt 0x1
	v_fmac_f64_e32 v[30:31], v[40:41], v[54:55]
	s_wait_loadcnt 0x0
	s_delay_alu instid0(VALU_DEP_1)
	v_fmac_f64_e32 v[30:31], v[42:43], v[52:53]
.LBB53_42:                              ;   in Loop: Header=BB53_5 Depth=1
	s_or_b32 exec_lo, exec_lo, s7
	s_wait_loadcnt 0x3
	v_fmac_f64_e32 v[28:29], v[36:37], v[50:51]
	s_wait_loadcnt 0x2
	s_delay_alu instid0(VALU_DEP_1) | instskip(SKIP_1) | instid1(VALU_DEP_1)
	v_fmac_f64_e32 v[28:29], v[38:39], v[48:49]
	s_wait_loadcnt 0x1
	v_fmac_f64_e32 v[28:29], v[40:41], v[46:47]
	s_wait_loadcnt 0x0
	s_delay_alu instid0(VALU_DEP_1)
	v_fmac_f64_e32 v[28:29], v[42:43], v[44:45]
.LBB53_43:                              ;   in Loop: Header=BB53_5 Depth=1
	s_or_b32 exec_lo, exec_lo, s55
.LBB53_44:                              ;   in Loop: Header=BB53_5 Depth=1
	ds_store_2addr_stride64_b64 v93, v[28:29], v[30:31] offset1:1
	ds_store_2addr_stride64_b64 v93, v[32:33], v[34:35] offset0:2 offset1:3
	s_wait_loadcnt_dscnt 0x0
	s_barrier_signal -1
	s_barrier_wait -1
                                        ; implicit-def: $vgpr28_vgpr29
	s_and_saveexec_b32 s7, s0
	s_cbranch_execz .LBB53_50
; %bb.45:                               ;   in Loop: Header=BB53_5 Depth=1
	ds_load_2addr_stride64_b64 v[28:31], v94 offset1:4
	s_mov_b32 s9, s54
	s_wait_dscnt 0x0
	v_add_f64_e32 v[32:33], v[28:29], v[30:31]
	ds_load_2addr_stride64_b64 v[28:31], v94 offset0:8 offset1:12
	s_wait_dscnt 0x0
	v_add_f64_e32 v[28:29], v[28:29], v[32:33]
	s_delay_alu instid0(VALU_DEP_1)
	v_add_f64_e32 v[30:31], v[30:31], v[28:29]
                                        ; implicit-def: $vgpr28_vgpr29
	ds_store_b64 v94, v[30:31]
	s_and_saveexec_b32 s8, s3
	s_cbranch_execz .LBB53_49
; %bb.46:                               ;   in Loop: Header=BB53_5 Depth=1
	v_cmp_eq_f64_e32 vcc_lo, 0, v[24:25]
	v_mul_f64_e32 v[28:29], v[26:27], v[30:31]
	s_cbranch_vccnz .LBB53_48
; %bb.47:                               ;   in Loop: Header=BB53_5 Depth=1
	v_lshl_add_u64 v[26:27], v[4:5], 3, s[48:49]
	global_load_b64 v[26:27], v[26:27], off
	s_wait_loadcnt 0x0
	v_fmac_f64_e32 v[28:29], v[24:25], v[26:27]
.LBB53_48:                              ;   in Loop: Header=BB53_5 Depth=1
	s_or_b32 s9, s54, exec_lo
.LBB53_49:                              ;   in Loop: Header=BB53_5 Depth=1
	s_wait_xcnt 0x0
	s_or_b32 exec_lo, exec_lo, s8
	s_delay_alu instid0(SALU_CYCLE_1) | instskip(SKIP_1) | instid1(SALU_CYCLE_1)
	s_and_not1_b32 s8, s54, exec_lo
	s_and_b32 s9, s9, exec_lo
	s_or_b32 s54, s8, s9
.LBB53_50:                              ;   in Loop: Header=BB53_5 Depth=1
	s_or_b32 exec_lo, exec_lo, s7
	v_mov_b64_e32 v[24:25], v[4:5]
	s_and_saveexec_b32 s7, s54
	s_cbranch_execz .LBB53_3
.LBB53_51:                              ;   in Loop: Header=BB53_5 Depth=1
	s_delay_alu instid0(VALU_DEP_1)
	v_lshl_add_u64 v[24:25], v[24:25], 3, s[48:49]
	global_store_b64 v[24:25], v[28:29], off
	s_branch .LBB53_3
.LBB53_52:
	s_sendmsg sendmsg(MSG_DEALLOC_VGPRS)
	s_endpgm
	.section	.rodata,"a",@progbits
	.p2align	6, 0x0
	.amdhsa_kernel _ZL20rocblas_gemvn_kernelILi64ELi4EldPKddEviiT3_lPKT2_lT1_lS5_lS6_lS2_lPT4_lS6_li
		.amdhsa_group_segment_fixed_size 8192
		.amdhsa_private_segment_fixed_size 0
		.amdhsa_kernarg_size 400
		.amdhsa_user_sgpr_count 2
		.amdhsa_user_sgpr_dispatch_ptr 0
		.amdhsa_user_sgpr_queue_ptr 0
		.amdhsa_user_sgpr_kernarg_segment_ptr 1
		.amdhsa_user_sgpr_dispatch_id 0
		.amdhsa_user_sgpr_kernarg_preload_length 0
		.amdhsa_user_sgpr_kernarg_preload_offset 0
		.amdhsa_user_sgpr_private_segment_size 0
		.amdhsa_wavefront_size32 1
		.amdhsa_uses_dynamic_stack 0
		.amdhsa_enable_private_segment 0
		.amdhsa_system_sgpr_workgroup_id_x 1
		.amdhsa_system_sgpr_workgroup_id_y 0
		.amdhsa_system_sgpr_workgroup_id_z 1
		.amdhsa_system_sgpr_workgroup_info 0
		.amdhsa_system_vgpr_workitem_id 1
		.amdhsa_next_free_vgpr 95
		.amdhsa_next_free_sgpr 59
		.amdhsa_named_barrier_count 0
		.amdhsa_reserve_vcc 1
		.amdhsa_float_round_mode_32 0
		.amdhsa_float_round_mode_16_64 0
		.amdhsa_float_denorm_mode_32 3
		.amdhsa_float_denorm_mode_16_64 3
		.amdhsa_fp16_overflow 0
		.amdhsa_memory_ordered 1
		.amdhsa_forward_progress 1
		.amdhsa_inst_pref_size 21
		.amdhsa_round_robin_scheduling 0
		.amdhsa_exception_fp_ieee_invalid_op 0
		.amdhsa_exception_fp_denorm_src 0
		.amdhsa_exception_fp_ieee_div_zero 0
		.amdhsa_exception_fp_ieee_overflow 0
		.amdhsa_exception_fp_ieee_underflow 0
		.amdhsa_exception_fp_ieee_inexact 0
		.amdhsa_exception_int_div_zero 0
	.end_amdhsa_kernel
	.section	.text._ZL20rocblas_gemvn_kernelILi64ELi4EldPKddEviiT3_lPKT2_lT1_lS5_lS6_lS2_lPT4_lS6_li,"axG",@progbits,_ZL20rocblas_gemvn_kernelILi64ELi4EldPKddEviiT3_lPKT2_lT1_lS5_lS6_lS2_lPT4_lS6_li,comdat
.Lfunc_end53:
	.size	_ZL20rocblas_gemvn_kernelILi64ELi4EldPKddEviiT3_lPKT2_lT1_lS5_lS6_lS2_lPT4_lS6_li, .Lfunc_end53-_ZL20rocblas_gemvn_kernelILi64ELi4EldPKddEviiT3_lPKT2_lT1_lS5_lS6_lS2_lPT4_lS6_li
                                        ; -- End function
	.set _ZL20rocblas_gemvn_kernelILi64ELi4EldPKddEviiT3_lPKT2_lT1_lS5_lS6_lS2_lPT4_lS6_li.num_vgpr, 95
	.set _ZL20rocblas_gemvn_kernelILi64ELi4EldPKddEviiT3_lPKT2_lT1_lS5_lS6_lS2_lPT4_lS6_li.num_agpr, 0
	.set _ZL20rocblas_gemvn_kernelILi64ELi4EldPKddEviiT3_lPKT2_lT1_lS5_lS6_lS2_lPT4_lS6_li.numbered_sgpr, 59
	.set _ZL20rocblas_gemvn_kernelILi64ELi4EldPKddEviiT3_lPKT2_lT1_lS5_lS6_lS2_lPT4_lS6_li.num_named_barrier, 0
	.set _ZL20rocblas_gemvn_kernelILi64ELi4EldPKddEviiT3_lPKT2_lT1_lS5_lS6_lS2_lPT4_lS6_li.private_seg_size, 0
	.set _ZL20rocblas_gemvn_kernelILi64ELi4EldPKddEviiT3_lPKT2_lT1_lS5_lS6_lS2_lPT4_lS6_li.uses_vcc, 1
	.set _ZL20rocblas_gemvn_kernelILi64ELi4EldPKddEviiT3_lPKT2_lT1_lS5_lS6_lS2_lPT4_lS6_li.uses_flat_scratch, 0
	.set _ZL20rocblas_gemvn_kernelILi64ELi4EldPKddEviiT3_lPKT2_lT1_lS5_lS6_lS2_lPT4_lS6_li.has_dyn_sized_stack, 0
	.set _ZL20rocblas_gemvn_kernelILi64ELi4EldPKddEviiT3_lPKT2_lT1_lS5_lS6_lS2_lPT4_lS6_li.has_recursion, 0
	.set _ZL20rocblas_gemvn_kernelILi64ELi4EldPKddEviiT3_lPKT2_lT1_lS5_lS6_lS2_lPT4_lS6_li.has_indirect_call, 0
	.section	.AMDGPU.csdata,"",@progbits
; Kernel info:
; codeLenInByte = 2684
; TotalNumSgprs: 61
; NumVgprs: 95
; ScratchSize: 0
; MemoryBound: 1
; FloatMode: 240
; IeeeMode: 1
; LDSByteSize: 8192 bytes/workgroup (compile time only)
; SGPRBlocks: 0
; VGPRBlocks: 5
; NumSGPRsForWavesPerEU: 61
; NumVGPRsForWavesPerEU: 95
; NamedBarCnt: 0
; Occupancy: 10
; WaveLimiterHint : 1
; COMPUTE_PGM_RSRC2:SCRATCH_EN: 0
; COMPUTE_PGM_RSRC2:USER_SGPR: 2
; COMPUTE_PGM_RSRC2:TRAP_HANDLER: 0
; COMPUTE_PGM_RSRC2:TGID_X_EN: 1
; COMPUTE_PGM_RSRC2:TGID_Y_EN: 0
; COMPUTE_PGM_RSRC2:TGID_Z_EN: 1
; COMPUTE_PGM_RSRC2:TIDIG_COMP_CNT: 1
	.section	.text._ZL20rocblas_gemvn_kernelILi64ELi4EidddEviiT3_lPKT2_lT1_lS3_lS4_lS0_lPT4_lS4_li,"axG",@progbits,_ZL20rocblas_gemvn_kernelILi64ELi4EidddEviiT3_lPKT2_lT1_lS3_lS4_lS0_lPT4_lS4_li,comdat
	.globl	_ZL20rocblas_gemvn_kernelILi64ELi4EidddEviiT3_lPKT2_lT1_lS3_lS4_lS0_lPT4_lS4_li ; -- Begin function _ZL20rocblas_gemvn_kernelILi64ELi4EidddEviiT3_lPKT2_lT1_lS3_lS4_lS0_lPT4_lS4_li
	.p2align	8
	.type	_ZL20rocblas_gemvn_kernelILi64ELi4EidddEviiT3_lPKT2_lT1_lS3_lS4_lS0_lPT4_lS4_li,@function
_ZL20rocblas_gemvn_kernelILi64ELi4EidddEviiT3_lPKT2_lT1_lS3_lS4_lS0_lPT4_lS4_li: ; @_ZL20rocblas_gemvn_kernelILi64ELi4EidddEviiT3_lPKT2_lT1_lS3_lS4_lS0_lPT4_lS4_li
; %bb.0:
	s_load_b64 s[2:3], s[0:1], 0x9c
	s_wait_kmcnt 0x0
	s_lshr_b32 s4, s2, 16
	s_and_b32 s2, s2, 0xffff
	s_and_b32 s3, s3, 0xffff
	s_mul_i32 s2, s4, s2
	s_delay_alu instid0(SALU_CYCLE_1) | instskip(NEXT) | instid1(SALU_CYCLE_1)
	s_mul_i32 s2, s2, s3
	s_cmp_lg_u32 s2, 0x100
	s_cbranch_scc1 .LBB54_53
; %bb.1:
	s_load_b32 s27, s[0:1], 0x88
	s_bfe_u32 s2, ttmp6, 0x40014
	s_lshr_b32 s3, ttmp7, 16
	s_add_co_i32 s2, s2, 1
	s_bfe_u32 s5, ttmp6, 0x40008
	s_mul_i32 s4, s3, s2
	s_getreg_b32 s2, hwreg(HW_REG_IB_STS2, 6, 4)
	s_add_co_i32 s5, s5, s4
	s_cmp_eq_u32 s2, 0
	s_mov_b32 s29, 0
	s_cselect_b32 s28, s3, s5
	s_wait_kmcnt 0x0
	s_cmp_ge_u32 s28, s27
	s_cbranch_scc1 .LBB54_53
; %bb.2:
	s_clause 0x8
	s_load_b128 s[8:11], s[0:1], 0x0
	s_load_b128 s[12:15], s[0:1], 0x50
	;; [unrolled: 1-line block ×3, first 2 shown]
	s_load_b96 s[24:26], s[0:1], 0x40
	s_load_b128 s[20:23], s[0:1], 0x68
	s_load_b32 s34, s[0:1], 0x78
	s_load_b32 s33, s[0:1], 0x28
	s_load_b128 s[16:19], s[0:1], 0x30
	s_load_b64 s[30:31], s[0:1], 0x80
	s_wait_xcnt 0x0
	s_bfe_u32 s0, ttmp6, 0x4000c
	s_and_b32 s1, ttmp6, 15
	s_add_co_i32 s0, s0, 1
	v_and_b32_e32 v4, 0x3ff, v0
	s_mul_i32 s0, ttmp9, s0
	v_bfe_u32 v3, v0, 10, 10
	s_add_co_i32 s39, s1, s0
	s_delay_alu instid0(VALU_DEP_1) | instskip(SKIP_2) | instid1(VALU_DEP_2)
	v_dual_mov_b32 v1, 0 :: v_dual_lshlrev_b32 v52, 2, v3
	v_lshl_add_u32 v5, v3, 6, v4
	s_wait_kmcnt 0x0
	v_mad_u32 v60, s26, v52, s26
	v_cmp_neq_f64_e64 s3, s[10:11], 0
	v_cmp_neq_f64_e64 s37, s[14:15], 1.0
	s_lshl_b64 s[0:1], s[6:7], 3
	s_lshl_b64 s[6:7], s[24:25], 3
	;; [unrolled: 1-line block ×3, first 2 shown]
	s_ashr_i32 s35, s34, 31
	s_add_nc_u64 s[22:23], s[4:5], s[0:1]
	v_cmp_gt_u32_e64 s5, 0x100, v5
	s_mov_b32 s36, s8
	s_add_nc_u64 s[18:19], s[18:19], s[6:7]
	v_cmp_neq_f64_e64 s42, s[14:15], 0
	v_mul_lo_u32 v7, s33, v52
	s_add_nc_u64 s[20:21], s[20:21], s[24:25]
	s_delay_alu instid0(VALU_DEP_1)
	v_add3_u32 v56, v7, s33, v4
	s_or_b32 s38, s3, s37
	s_cmp_eq_u32 s2, 0
	s_cselect_b32 s0, ttmp9, s39
	s_ashr_i32 s1, s9, 31
	s_lshl_b32 s39, s0, 8
	s_delay_alu instid0(SALU_CYCLE_1) | instskip(SKIP_3) | instid1(VALU_DEP_1)
	v_dual_lshlrev_b32 v6, 3, v4 :: v_dual_add_nc_u32 v0, s39, v5
	s_lshr_b32 s0, s1, 28
	s_ashr_i32 s37, s8, 31
	s_add_co_i32 s0, s9, s0
	v_lshl_add_u32 v54, v3, 11, v6
	v_lshl_add_u32 v55, v3, 9, v6
	v_mul_lo_u32 v6, v3, s26
	v_or_b32_e32 v8, s39, v5
	s_and_b32 s40, s0, -16
	v_cmp_gt_i64_e32 vcc_lo, s[36:37], v[0:1]
	s_sub_co_i32 s2, s9, s40
	v_mul_u64_e32 v[0:1], s[34:35], v[0:1]
	s_cmp_gt_i32 s2, 0
	v_cmp_gt_i32_e64 s0, s40, v52
	s_cselect_b32 s41, -1, 0
	s_lshl_b32 s44, s33, 4
	s_and_b32 s43, s5, vcc_lo
	v_lshlrev_b32_e32 v63, 2, v6
	v_mul_lo_u32 v2, s34, v8
	v_or_b32_e32 v53, s39, v4
	v_or_b32_e32 v5, 2, v52
	v_cmp_gt_i32_e64 s6, s8, v8
	s_lshl_b32 s45, s26, 4
	v_add_nc_u32_e32 v9, 64, v53
	v_mad_u32 v57, s33, v5, v4
	v_mul_lo_u32 v61, s26, v5
	s_delay_alu instid0(VALU_DEP_3)
	v_cmp_gt_i32_e64 s2, s8, v9
	v_mul_lo_u32 v9, v3, s33
	v_ashrrev_i32_e32 v3, 31, v2
	v_add_nc_u32_e32 v10, 0x80, v53
	v_add_nc_u32_e32 v11, 0xc0, v53
	v_cmp_gt_i32_e64 s1, s8, v53
	s_delay_alu instid0(VALU_DEP_3) | instskip(NEXT) | instid1(VALU_DEP_3)
	v_cmp_gt_i32_e64 s3, s8, v10
	v_cmp_gt_i32_e64 s4, s8, v11
	v_cmp_eq_f64_e64 s8, s[10:11], 0
	v_or_b32_e32 v10, 3, v52
	v_lshl_add_u32 v59, v9, 2, v4
	s_delay_alu instid0(VALU_DEP_2)
	v_mad_u32 v58, s33, v10, v4
	v_mul_lo_u32 v62, s26, v10
	s_branch .LBB54_5
.LBB54_3:                               ;   in Loop: Header=BB54_5 Depth=1
	s_wait_xcnt 0x0
	s_or_b32 exec_lo, exec_lo, s7
.LBB54_4:                               ;   in Loop: Header=BB54_5 Depth=1
	s_add_co_i32 s28, s28, 0x10000
	s_delay_alu instid0(SALU_CYCLE_1)
	s_cmp_lt_u32 s28, s27
	s_cbranch_scc0 .LBB54_53
.LBB54_5:                               ; =>This Loop Header: Depth=1
                                        ;     Child Loop BB54_21 Depth 2
	s_and_not1_b32 vcc_lo, exec_lo, s38
	s_cbranch_vccnz .LBB54_4
; %bb.6:                                ;   in Loop: Header=BB54_5 Depth=1
	s_mul_u64 s[24:25], s[30:31], s[28:29]
	s_and_not1_b32 vcc_lo, exec_lo, s8
	s_lshl_b64 s[24:25], s[24:25], 3
	s_delay_alu instid0(SALU_CYCLE_1)
	s_add_nc_u64 s[24:25], s[20:21], s[24:25]
	s_cbranch_vccnz .LBB54_10
; %bb.7:                                ;   in Loop: Header=BB54_5 Depth=1
	s_mov_b32 s7, 0
	s_mov_b32 s46, 0
                                        ; implicit-def: $vgpr4_vgpr5
	s_and_saveexec_b32 s34, s43
	s_cbranch_execz .LBB54_11
; %bb.8:                                ;   in Loop: Header=BB54_5 Depth=1
	s_and_not1_b32 vcc_lo, exec_lo, s42
	s_cbranch_vccnz .LBB54_13
; %bb.9:                                ;   in Loop: Header=BB54_5 Depth=1
	v_lshl_add_u64 v[4:5], v[0:1], 3, s[24:25]
	global_load_b64 v[4:5], v[4:5], off
	s_wait_loadcnt 0x0
	s_wait_xcnt 0x0
	v_mul_f64_e32 v[4:5], s[14:15], v[4:5]
	s_branch .LBB54_14
.LBB54_10:                              ;   in Loop: Header=BB54_5 Depth=1
	s_mov_b32 s46, 0
                                        ; implicit-def: $vgpr4_vgpr5
	s_cbranch_execz .LBB54_12
	s_branch .LBB54_15
.LBB54_11:                              ;   in Loop: Header=BB54_5 Depth=1
	s_or_b32 exec_lo, exec_lo, s34
	s_delay_alu instid0(SALU_CYCLE_1)
	s_and_b32 vcc_lo, exec_lo, s7
	s_cbranch_vccnz .LBB54_15
.LBB54_12:                              ;   in Loop: Header=BB54_5 Depth=1
	v_mov_b64_e32 v[6:7], v[0:1]
	s_and_saveexec_b32 s7, s46
	s_cbranch_execz .LBB54_3
	s_branch .LBB54_52
.LBB54_13:                              ;   in Loop: Header=BB54_5 Depth=1
	v_mov_b64_e32 v[4:5], 0
.LBB54_14:                              ;   in Loop: Header=BB54_5 Depth=1
	s_mov_b32 s46, exec_lo
	s_or_b32 exec_lo, exec_lo, s34
	s_delay_alu instid0(SALU_CYCLE_1)
	s_and_b32 vcc_lo, exec_lo, s7
	s_cbranch_vccz .LBB54_12
.LBB54_15:                              ;   in Loop: Header=BB54_5 Depth=1
	v_mov_b64_e32 v[4:5], 0
	v_mov_b64_e32 v[6:7], 0
	;; [unrolled: 1-line block ×4, first 2 shown]
	s_mul_u64 s[34:35], s[16:17], s[28:29]
	s_mul_u64 s[36:37], s[12:13], s[28:29]
	v_mov_b32_e32 v64, v52
	s_lshl_b64 s[34:35], s[34:35], 3
	s_lshl_b64 s[36:37], s[36:37], 3
	s_add_nc_u64 s[34:35], s[22:23], s[34:35]
	s_add_nc_u64 s[36:37], s[18:19], s[36:37]
	s_and_saveexec_b32 s7, s0
	s_cbranch_execz .LBB54_27
; %bb.16:                               ;   in Loop: Header=BB54_5 Depth=1
	v_mov_b64_e32 v[4:5], 0
	v_mov_b64_e32 v[6:7], 0
	;; [unrolled: 1-line block ×4, first 2 shown]
	v_dual_mov_b32 v65, v59 :: v_dual_mov_b32 v66, v58
	v_dual_mov_b32 v67, v57 :: v_dual_mov_b32 v68, v56
	v_mov_b32_e32 v64, v52
	s_mov_b32 s47, 0
	s_mov_b32 s48, 0
	s_branch .LBB54_21
.LBB54_17:                              ;   in Loop: Header=BB54_21 Depth=2
	s_wait_xcnt 0x0
	s_or_b32 exec_lo, exec_lo, s52
	s_wait_loadcnt 0x3
	v_fmac_f64_e32 v[8:9], v[18:19], v[48:49]
	s_wait_loadcnt 0x2
	s_delay_alu instid0(VALU_DEP_1) | instskip(SKIP_1) | instid1(VALU_DEP_1)
	v_fmac_f64_e32 v[8:9], v[16:17], v[46:47]
	s_wait_loadcnt 0x1
	v_fmac_f64_e32 v[8:9], v[14:15], v[44:45]
	s_wait_loadcnt 0x0
	s_delay_alu instid0(VALU_DEP_1)
	v_fmac_f64_e32 v[8:9], v[12:13], v[42:43]
.LBB54_18:                              ;   in Loop: Header=BB54_21 Depth=2
	s_or_b32 exec_lo, exec_lo, s51
	s_wait_loadcnt 0x3
	v_fmac_f64_e32 v[6:7], v[18:19], v[34:35]
	s_wait_loadcnt 0x2
	s_delay_alu instid0(VALU_DEP_1) | instskip(SKIP_1) | instid1(VALU_DEP_1)
	v_fmac_f64_e32 v[6:7], v[16:17], v[32:33]
	s_wait_loadcnt 0x1
	v_fmac_f64_e32 v[6:7], v[14:15], v[30:31]
	s_wait_loadcnt 0x0
	s_delay_alu instid0(VALU_DEP_1)
	v_fmac_f64_e32 v[6:7], v[12:13], v[28:29]
.LBB54_19:                              ;   in Loop: Header=BB54_21 Depth=2
	s_or_b32 exec_lo, exec_lo, s50
	s_wait_loadcnt 0x3
	v_fmac_f64_e32 v[4:5], v[18:19], v[26:27]
	s_wait_loadcnt 0x2
	s_delay_alu instid0(VALU_DEP_1) | instskip(SKIP_1) | instid1(VALU_DEP_1)
	v_fmac_f64_e32 v[4:5], v[16:17], v[24:25]
	s_wait_loadcnt 0x1
	v_fmac_f64_e32 v[4:5], v[14:15], v[22:23]
	s_wait_loadcnt 0x0
	s_delay_alu instid0(VALU_DEP_1)
	v_fmac_f64_e32 v[4:5], v[12:13], v[20:21]
.LBB54_20:                              ;   in Loop: Header=BB54_21 Depth=2
	s_or_b32 exec_lo, exec_lo, s49
	v_dual_add_nc_u32 v64, 16, v64 :: v_dual_add_nc_u32 v67, s44, v67
	v_dual_add_nc_u32 v68, s44, v68 :: v_dual_add_nc_u32 v66, s44, v66
	v_add_nc_u32_e32 v65, s44, v65
	s_delay_alu instid0(VALU_DEP_3) | instskip(SKIP_2) | instid1(SALU_CYCLE_1)
	v_cmp_le_i32_e32 vcc_lo, s40, v64
	s_add_co_i32 s48, s48, s45
	s_or_b32 s47, vcc_lo, s47
	s_and_not1_b32 exec_lo, exec_lo, s47
	s_cbranch_execz .LBB54_26
.LBB54_21:                              ;   Parent Loop BB54_5 Depth=1
                                        ; =>  This Inner Loop Header: Depth=2
	s_and_saveexec_b32 s49, s1
	s_cbranch_execz .LBB54_20
; %bb.22:                               ;   in Loop: Header=BB54_21 Depth=2
	v_dual_add_nc_u32 v29, s48, v63 :: v_dual_add_nc_u32 v31, s48, v60
	v_dual_add_nc_u32 v33, s48, v61 :: v_dual_add_nc_u32 v35, s48, v62
	v_dual_add_nc_u32 v28, s39, v65 :: v_dual_add_nc_u32 v30, s39, v68
	v_dual_add_nc_u32 v34, s39, v67 :: v_dual_add_nc_u32 v32, s39, v66
	s_clause 0x3
	global_load_b64 v[18:19], v29, s[36:37] scale_offset
	global_load_b64 v[16:17], v31, s[36:37] scale_offset
	;; [unrolled: 1-line block ×4, first 2 shown]
	s_clause 0x3
	global_load_b64 v[26:27], v28, s[34:35] scale_offset
	global_load_b64 v[24:25], v30, s[34:35] scale_offset
	;; [unrolled: 1-line block ×4, first 2 shown]
	s_wait_xcnt 0x0
	s_and_saveexec_b32 s50, s2
	s_cbranch_execz .LBB54_19
; %bb.23:                               ;   in Loop: Header=BB54_21 Depth=2
	v_dual_ashrrev_i32 v29, 31, v28 :: v_dual_ashrrev_i32 v31, 31, v30
	v_dual_ashrrev_i32 v35, 31, v34 :: v_dual_ashrrev_i32 v33, 31, v32
	s_delay_alu instid0(VALU_DEP_2) | instskip(NEXT) | instid1(VALU_DEP_3)
	v_lshl_add_u64 v[36:37], v[28:29], 3, s[34:35]
	v_lshl_add_u64 v[38:39], v[30:31], 3, s[34:35]
	s_delay_alu instid0(VALU_DEP_3) | instskip(NEXT) | instid1(VALU_DEP_4)
	v_lshl_add_u64 v[40:41], v[34:35], 3, s[34:35]
	v_lshl_add_u64 v[50:51], v[32:33], 3, s[34:35]
	s_clause 0x3
	global_load_b64 v[34:35], v[36:37], off offset:512
	global_load_b64 v[32:33], v[38:39], off offset:512
	;; [unrolled: 1-line block ×4, first 2 shown]
	s_wait_xcnt 0x0
	s_and_saveexec_b32 s51, s3
	s_cbranch_execz .LBB54_18
; %bb.24:                               ;   in Loop: Header=BB54_21 Depth=2
	s_clause 0x3
	global_load_b64 v[48:49], v[36:37], off offset:1024
	global_load_b64 v[46:47], v[38:39], off offset:1024
	;; [unrolled: 1-line block ×4, first 2 shown]
	s_wait_xcnt 0x0
	s_and_saveexec_b32 s52, s4
	s_cbranch_execz .LBB54_17
; %bb.25:                               ;   in Loop: Header=BB54_21 Depth=2
	s_clause 0x3
	global_load_b64 v[70:71], v[36:37], off offset:1536
	global_load_b64 v[72:73], v[38:39], off offset:1536
	;; [unrolled: 1-line block ×4, first 2 shown]
	s_wait_loadcnt 0x3
	v_fmac_f64_e32 v[10:11], v[18:19], v[70:71]
	s_wait_loadcnt 0x2
	s_delay_alu instid0(VALU_DEP_1) | instskip(SKIP_1) | instid1(VALU_DEP_1)
	v_fmac_f64_e32 v[10:11], v[16:17], v[72:73]
	s_wait_loadcnt 0x1
	v_fmac_f64_e32 v[10:11], v[14:15], v[74:75]
	s_wait_loadcnt 0x0
	s_delay_alu instid0(VALU_DEP_1)
	v_fmac_f64_e32 v[10:11], v[12:13], v[76:77]
	s_branch .LBB54_17
.LBB54_26:                              ;   in Loop: Header=BB54_5 Depth=1
	s_or_b32 exec_lo, exec_lo, s47
.LBB54_27:                              ;   in Loop: Header=BB54_5 Depth=1
	s_delay_alu instid0(SALU_CYCLE_1) | instskip(NEXT) | instid1(SALU_CYCLE_1)
	s_or_b32 exec_lo, exec_lo, s7
	s_and_not1_b32 vcc_lo, exec_lo, s41
	s_cbranch_vccnz .LBB54_45
; %bb.28:                               ;   in Loop: Header=BB54_5 Depth=1
	v_mov_b64_e32 v[18:19], 0
	v_mov_b64_e32 v[16:17], 0
	;; [unrolled: 1-line block ×4, first 2 shown]
	v_cmp_gt_i32_e32 vcc_lo, s9, v64
	v_or_b32_e32 v20, 1, v64
	s_and_saveexec_b32 s47, vcc_lo
	s_cbranch_execz .LBB54_36
; %bb.29:                               ;   in Loop: Header=BB54_5 Depth=1
	v_mul_lo_u32 v12, v64, s26
	v_mov_b64_e32 v[14:15], 0
	v_mov_b64_e32 v[16:17], 0
	;; [unrolled: 1-line block ×3, first 2 shown]
	s_mov_b32 s48, exec_lo
	global_load_b64 v[12:13], v12, s[36:37] scale_offset
	s_wait_xcnt 0x0
	v_cmpx_gt_i32_e64 s9, v20
	s_cbranch_execz .LBB54_35
; %bb.30:                               ;   in Loop: Header=BB54_5 Depth=1
	v_mul_lo_u32 v14, v20, s26
	v_mov_b64_e32 v[16:17], 0
	v_mov_b64_e32 v[18:19], 0
	v_or_b32_e32 v21, 2, v64
	s_mov_b32 s49, exec_lo
	global_load_b64 v[14:15], v14, s[36:37] scale_offset
	s_wait_xcnt 0x0
	v_cmpx_gt_i32_e64 s9, v21
	s_cbranch_execz .LBB54_34
; %bb.31:                               ;   in Loop: Header=BB54_5 Depth=1
	v_mul_lo_u32 v16, v21, s26
	v_mov_b64_e32 v[18:19], 0
	v_or_b32_e32 v21, 3, v64
	s_mov_b32 s50, exec_lo
	global_load_b64 v[16:17], v16, s[36:37] scale_offset
	s_wait_xcnt 0x0
	v_cmpx_gt_i32_e64 s9, v21
	s_cbranch_execz .LBB54_33
; %bb.32:                               ;   in Loop: Header=BB54_5 Depth=1
	v_mul_lo_u32 v18, v21, s26
	global_load_b64 v[18:19], v18, s[36:37] scale_offset
.LBB54_33:                              ;   in Loop: Header=BB54_5 Depth=1
	s_wait_xcnt 0x0
	s_or_b32 exec_lo, exec_lo, s50
.LBB54_34:                              ;   in Loop: Header=BB54_5 Depth=1
	s_delay_alu instid0(SALU_CYCLE_1)
	s_or_b32 exec_lo, exec_lo, s49
.LBB54_35:                              ;   in Loop: Header=BB54_5 Depth=1
	s_delay_alu instid0(SALU_CYCLE_1)
	s_or_b32 exec_lo, exec_lo, s48
.LBB54_36:                              ;   in Loop: Header=BB54_5 Depth=1
	s_delay_alu instid0(SALU_CYCLE_1)
	s_or_b32 exec_lo, exec_lo, s47
	s_and_saveexec_b32 s7, s1
	s_cbranch_execz .LBB54_44
; %bb.37:                               ;   in Loop: Header=BB54_5 Depth=1
	v_mul_lo_u32 v22, v64, s33
	v_or_b32_e32 v21, 2, v64
	v_mul_lo_u32 v24, v20, s33
	s_delay_alu instid0(VALU_DEP_3) | instskip(NEXT) | instid1(VALU_DEP_3)
	v_cndmask_b32_e32 v22, 0, v22, vcc_lo
	v_mul_lo_u32 v25, v21, s33
	v_cmp_gt_i32_e32 vcc_lo, s9, v20
	s_delay_alu instid0(VALU_DEP_4) | instskip(SKIP_1) | instid1(VALU_DEP_4)
	v_cndmask_b32_e32 v20, 0, v24, vcc_lo
	v_cmp_gt_i32_e32 vcc_lo, s9, v21
	v_dual_cndmask_b32 v21, 0, v25, vcc_lo :: v_dual_bitop2_b32 v23, 3, v64 bitop3:0x54
	s_delay_alu instid0(VALU_DEP_1) | instskip(SKIP_1) | instid1(VALU_DEP_2)
	v_mul_lo_u32 v26, v23, s33
	v_cmp_gt_i32_e32 vcc_lo, s9, v23
	v_dual_cndmask_b32 v23, 0, v26 :: v_dual_add_nc_u32 v30, v22, v53
	s_delay_alu instid0(VALU_DEP_4) | instskip(NEXT) | instid1(VALU_DEP_2)
	v_dual_add_nc_u32 v32, v20, v53 :: v_dual_add_nc_u32 v34, v21, v53
	v_add_nc_u32_e32 v28, v23, v53
	s_clause 0x3
	global_load_b64 v[26:27], v30, s[34:35] scale_offset
	global_load_b64 v[24:25], v32, s[34:35] scale_offset
	global_load_b64 v[22:23], v34, s[34:35] scale_offset
	global_load_b64 v[20:21], v28, s[34:35] scale_offset
	s_wait_xcnt 0x0
	s_and_saveexec_b32 s36, s2
	s_cbranch_execz .LBB54_43
; %bb.38:                               ;   in Loop: Header=BB54_5 Depth=1
	v_dual_ashrrev_i32 v31, 31, v30 :: v_dual_ashrrev_i32 v33, 31, v32
	v_dual_ashrrev_i32 v35, 31, v34 :: v_dual_ashrrev_i32 v29, 31, v28
	s_delay_alu instid0(VALU_DEP_2) | instskip(NEXT) | instid1(VALU_DEP_3)
	v_lshl_add_u64 v[38:39], v[30:31], 3, s[34:35]
	v_lshl_add_u64 v[36:37], v[32:33], 3, s[34:35]
	s_delay_alu instid0(VALU_DEP_3) | instskip(NEXT) | instid1(VALU_DEP_4)
	v_lshl_add_u64 v[42:43], v[34:35], 3, s[34:35]
	v_lshl_add_u64 v[46:47], v[28:29], 3, s[34:35]
	s_clause 0x3
	global_load_b64 v[34:35], v[38:39], off offset:512
	global_load_b64 v[32:33], v[36:37], off offset:512
	global_load_b64 v[30:31], v[42:43], off offset:512
	global_load_b64 v[28:29], v[46:47], off offset:512
	s_wait_xcnt 0x0
	s_and_saveexec_b32 s34, s3
	s_cbranch_execz .LBB54_42
; %bb.39:                               ;   in Loop: Header=BB54_5 Depth=1
	s_clause 0x3
	global_load_b64 v[50:51], v[38:39], off offset:1024
	global_load_b64 v[48:49], v[36:37], off offset:1024
	;; [unrolled: 1-line block ×4, first 2 shown]
	s_wait_xcnt 0x0
	s_and_saveexec_b32 s35, s4
	s_cbranch_execz .LBB54_41
; %bb.40:                               ;   in Loop: Header=BB54_5 Depth=1
	s_clause 0x3
	global_load_b64 v[64:65], v[38:39], off offset:1536
	global_load_b64 v[66:67], v[36:37], off offset:1536
	;; [unrolled: 1-line block ×4, first 2 shown]
	s_wait_loadcnt 0x3
	v_fmac_f64_e32 v[10:11], v[12:13], v[64:65]
	s_wait_loadcnt 0x2
	s_delay_alu instid0(VALU_DEP_1) | instskip(SKIP_1) | instid1(VALU_DEP_1)
	v_fmac_f64_e32 v[10:11], v[14:15], v[66:67]
	s_wait_loadcnt 0x1
	v_fmac_f64_e32 v[10:11], v[16:17], v[68:69]
	s_wait_loadcnt 0x0
	s_delay_alu instid0(VALU_DEP_1)
	v_fmac_f64_e32 v[10:11], v[18:19], v[70:71]
.LBB54_41:                              ;   in Loop: Header=BB54_5 Depth=1
	s_wait_xcnt 0x0
	s_or_b32 exec_lo, exec_lo, s35
	s_wait_loadcnt 0x3
	v_fmac_f64_e32 v[8:9], v[12:13], v[50:51]
	s_wait_loadcnt 0x2
	s_delay_alu instid0(VALU_DEP_1) | instskip(SKIP_1) | instid1(VALU_DEP_1)
	v_fmac_f64_e32 v[8:9], v[14:15], v[48:49]
	s_wait_loadcnt 0x1
	v_fmac_f64_e32 v[8:9], v[16:17], v[44:45]
	s_wait_loadcnt 0x0
	s_delay_alu instid0(VALU_DEP_1)
	v_fmac_f64_e32 v[8:9], v[18:19], v[40:41]
.LBB54_42:                              ;   in Loop: Header=BB54_5 Depth=1
	s_or_b32 exec_lo, exec_lo, s34
	s_wait_loadcnt 0x3
	v_fmac_f64_e32 v[6:7], v[12:13], v[34:35]
	s_wait_loadcnt 0x2
	s_delay_alu instid0(VALU_DEP_1) | instskip(SKIP_1) | instid1(VALU_DEP_1)
	v_fmac_f64_e32 v[6:7], v[14:15], v[32:33]
	s_wait_loadcnt 0x1
	v_fmac_f64_e32 v[6:7], v[16:17], v[30:31]
	s_wait_loadcnt 0x0
	s_delay_alu instid0(VALU_DEP_1)
	v_fmac_f64_e32 v[6:7], v[18:19], v[28:29]
.LBB54_43:                              ;   in Loop: Header=BB54_5 Depth=1
	s_or_b32 exec_lo, exec_lo, s36
	s_wait_loadcnt 0x3
	v_fmac_f64_e32 v[4:5], v[12:13], v[26:27]
	s_wait_loadcnt 0x2
	s_delay_alu instid0(VALU_DEP_1) | instskip(SKIP_1) | instid1(VALU_DEP_1)
	v_fmac_f64_e32 v[4:5], v[14:15], v[24:25]
	s_wait_loadcnt 0x1
	v_fmac_f64_e32 v[4:5], v[16:17], v[22:23]
	s_wait_loadcnt 0x0
	s_delay_alu instid0(VALU_DEP_1)
	v_fmac_f64_e32 v[4:5], v[18:19], v[20:21]
.LBB54_44:                              ;   in Loop: Header=BB54_5 Depth=1
	s_or_b32 exec_lo, exec_lo, s7
.LBB54_45:                              ;   in Loop: Header=BB54_5 Depth=1
	ds_store_2addr_stride64_b64 v54, v[4:5], v[6:7] offset1:1
	ds_store_2addr_stride64_b64 v54, v[8:9], v[10:11] offset0:2 offset1:3
	s_wait_loadcnt_dscnt 0x0
	s_barrier_signal -1
	s_barrier_wait -1
                                        ; implicit-def: $vgpr4_vgpr5
	s_and_saveexec_b32 s7, s5
	s_cbranch_execz .LBB54_51
; %bb.46:                               ;   in Loop: Header=BB54_5 Depth=1
	ds_load_2addr_stride64_b64 v[4:7], v55 offset1:4
	s_mov_b32 s35, s46
	s_wait_dscnt 0x0
	v_add_f64_e32 v[8:9], v[4:5], v[6:7]
	ds_load_2addr_stride64_b64 v[4:7], v55 offset0:8 offset1:12
	s_wait_dscnt 0x0
	v_add_f64_e32 v[4:5], v[4:5], v[8:9]
	s_delay_alu instid0(VALU_DEP_1)
	v_add_f64_e32 v[6:7], v[6:7], v[4:5]
                                        ; implicit-def: $vgpr4_vgpr5
	ds_store_b64 v55, v[6:7]
	s_and_saveexec_b32 s34, s6
	s_cbranch_execz .LBB54_50
; %bb.47:                               ;   in Loop: Header=BB54_5 Depth=1
	v_mul_f64_e32 v[4:5], s[10:11], v[6:7]
	s_and_not1_b32 vcc_lo, exec_lo, s42
	s_cbranch_vccnz .LBB54_49
; %bb.48:                               ;   in Loop: Header=BB54_5 Depth=1
	v_lshl_add_u64 v[6:7], v[2:3], 3, s[24:25]
	global_load_b64 v[6:7], v[6:7], off
	s_wait_loadcnt 0x0
	v_fmac_f64_e32 v[4:5], s[14:15], v[6:7]
.LBB54_49:                              ;   in Loop: Header=BB54_5 Depth=1
	s_or_b32 s35, s46, exec_lo
.LBB54_50:                              ;   in Loop: Header=BB54_5 Depth=1
	s_wait_xcnt 0x0
	s_or_b32 exec_lo, exec_lo, s34
	s_delay_alu instid0(SALU_CYCLE_1) | instskip(SKIP_1) | instid1(SALU_CYCLE_1)
	s_and_not1_b32 s34, s46, exec_lo
	s_and_b32 s35, s35, exec_lo
	s_or_b32 s46, s34, s35
.LBB54_51:                              ;   in Loop: Header=BB54_5 Depth=1
	s_or_b32 exec_lo, exec_lo, s7
	v_mov_b64_e32 v[6:7], v[2:3]
	s_and_saveexec_b32 s7, s46
	s_cbranch_execz .LBB54_3
.LBB54_52:                              ;   in Loop: Header=BB54_5 Depth=1
	s_delay_alu instid0(VALU_DEP_1)
	v_lshl_add_u64 v[6:7], v[6:7], 3, s[24:25]
	global_store_b64 v[6:7], v[4:5], off
	s_branch .LBB54_3
.LBB54_53:
	s_sendmsg sendmsg(MSG_DEALLOC_VGPRS)
	s_endpgm
	.section	.rodata,"a",@progbits
	.p2align	6, 0x0
	.amdhsa_kernel _ZL20rocblas_gemvn_kernelILi64ELi4EidddEviiT3_lPKT2_lT1_lS3_lS4_lS0_lPT4_lS4_li
		.amdhsa_group_segment_fixed_size 8192
		.amdhsa_private_segment_fixed_size 0
		.amdhsa_kernarg_size 400
		.amdhsa_user_sgpr_count 2
		.amdhsa_user_sgpr_dispatch_ptr 0
		.amdhsa_user_sgpr_queue_ptr 0
		.amdhsa_user_sgpr_kernarg_segment_ptr 1
		.amdhsa_user_sgpr_dispatch_id 0
		.amdhsa_user_sgpr_kernarg_preload_length 0
		.amdhsa_user_sgpr_kernarg_preload_offset 0
		.amdhsa_user_sgpr_private_segment_size 0
		.amdhsa_wavefront_size32 1
		.amdhsa_uses_dynamic_stack 0
		.amdhsa_enable_private_segment 0
		.amdhsa_system_sgpr_workgroup_id_x 1
		.amdhsa_system_sgpr_workgroup_id_y 0
		.amdhsa_system_sgpr_workgroup_id_z 1
		.amdhsa_system_sgpr_workgroup_info 0
		.amdhsa_system_vgpr_workitem_id 1
		.amdhsa_next_free_vgpr 78
		.amdhsa_next_free_sgpr 53
		.amdhsa_named_barrier_count 0
		.amdhsa_reserve_vcc 1
		.amdhsa_float_round_mode_32 0
		.amdhsa_float_round_mode_16_64 0
		.amdhsa_float_denorm_mode_32 3
		.amdhsa_float_denorm_mode_16_64 3
		.amdhsa_fp16_overflow 0
		.amdhsa_memory_ordered 1
		.amdhsa_forward_progress 1
		.amdhsa_inst_pref_size 21
		.amdhsa_round_robin_scheduling 0
		.amdhsa_exception_fp_ieee_invalid_op 0
		.amdhsa_exception_fp_denorm_src 0
		.amdhsa_exception_fp_ieee_div_zero 0
		.amdhsa_exception_fp_ieee_overflow 0
		.amdhsa_exception_fp_ieee_underflow 0
		.amdhsa_exception_fp_ieee_inexact 0
		.amdhsa_exception_int_div_zero 0
	.end_amdhsa_kernel
	.section	.text._ZL20rocblas_gemvn_kernelILi64ELi4EidddEviiT3_lPKT2_lT1_lS3_lS4_lS0_lPT4_lS4_li,"axG",@progbits,_ZL20rocblas_gemvn_kernelILi64ELi4EidddEviiT3_lPKT2_lT1_lS3_lS4_lS0_lPT4_lS4_li,comdat
.Lfunc_end54:
	.size	_ZL20rocblas_gemvn_kernelILi64ELi4EidddEviiT3_lPKT2_lT1_lS3_lS4_lS0_lPT4_lS4_li, .Lfunc_end54-_ZL20rocblas_gemvn_kernelILi64ELi4EidddEviiT3_lPKT2_lT1_lS3_lS4_lS0_lPT4_lS4_li
                                        ; -- End function
	.set _ZL20rocblas_gemvn_kernelILi64ELi4EidddEviiT3_lPKT2_lT1_lS3_lS4_lS0_lPT4_lS4_li.num_vgpr, 78
	.set _ZL20rocblas_gemvn_kernelILi64ELi4EidddEviiT3_lPKT2_lT1_lS3_lS4_lS0_lPT4_lS4_li.num_agpr, 0
	.set _ZL20rocblas_gemvn_kernelILi64ELi4EidddEviiT3_lPKT2_lT1_lS3_lS4_lS0_lPT4_lS4_li.numbered_sgpr, 53
	.set _ZL20rocblas_gemvn_kernelILi64ELi4EidddEviiT3_lPKT2_lT1_lS3_lS4_lS0_lPT4_lS4_li.num_named_barrier, 0
	.set _ZL20rocblas_gemvn_kernelILi64ELi4EidddEviiT3_lPKT2_lT1_lS3_lS4_lS0_lPT4_lS4_li.private_seg_size, 0
	.set _ZL20rocblas_gemvn_kernelILi64ELi4EidddEviiT3_lPKT2_lT1_lS3_lS4_lS0_lPT4_lS4_li.uses_vcc, 1
	.set _ZL20rocblas_gemvn_kernelILi64ELi4EidddEviiT3_lPKT2_lT1_lS3_lS4_lS0_lPT4_lS4_li.uses_flat_scratch, 0
	.set _ZL20rocblas_gemvn_kernelILi64ELi4EidddEviiT3_lPKT2_lT1_lS3_lS4_lS0_lPT4_lS4_li.has_dyn_sized_stack, 0
	.set _ZL20rocblas_gemvn_kernelILi64ELi4EidddEviiT3_lPKT2_lT1_lS3_lS4_lS0_lPT4_lS4_li.has_recursion, 0
	.set _ZL20rocblas_gemvn_kernelILi64ELi4EidddEviiT3_lPKT2_lT1_lS3_lS4_lS0_lPT4_lS4_li.has_indirect_call, 0
	.section	.AMDGPU.csdata,"",@progbits
; Kernel info:
; codeLenInByte = 2660
; TotalNumSgprs: 55
; NumVgprs: 78
; ScratchSize: 0
; MemoryBound: 0
; FloatMode: 240
; IeeeMode: 1
; LDSByteSize: 8192 bytes/workgroup (compile time only)
; SGPRBlocks: 0
; VGPRBlocks: 4
; NumSGPRsForWavesPerEU: 55
; NumVGPRsForWavesPerEU: 78
; NamedBarCnt: 0
; Occupancy: 12
; WaveLimiterHint : 1
; COMPUTE_PGM_RSRC2:SCRATCH_EN: 0
; COMPUTE_PGM_RSRC2:USER_SGPR: 2
; COMPUTE_PGM_RSRC2:TRAP_HANDLER: 0
; COMPUTE_PGM_RSRC2:TGID_X_EN: 1
; COMPUTE_PGM_RSRC2:TGID_Y_EN: 0
; COMPUTE_PGM_RSRC2:TGID_Z_EN: 1
; COMPUTE_PGM_RSRC2:TIDIG_COMP_CNT: 1
	.section	.text._ZL20rocblas_gemvn_kernelILi64ELi4EldddEviiT3_lPKT2_lT1_lS3_lS4_lS0_lPT4_lS4_li,"axG",@progbits,_ZL20rocblas_gemvn_kernelILi64ELi4EldddEviiT3_lPKT2_lT1_lS3_lS4_lS0_lPT4_lS4_li,comdat
	.globl	_ZL20rocblas_gemvn_kernelILi64ELi4EldddEviiT3_lPKT2_lT1_lS3_lS4_lS0_lPT4_lS4_li ; -- Begin function _ZL20rocblas_gemvn_kernelILi64ELi4EldddEviiT3_lPKT2_lT1_lS3_lS4_lS0_lPT4_lS4_li
	.p2align	8
	.type	_ZL20rocblas_gemvn_kernelILi64ELi4EldddEviiT3_lPKT2_lT1_lS3_lS4_lS0_lPT4_lS4_li,@function
_ZL20rocblas_gemvn_kernelILi64ELi4EldddEviiT3_lPKT2_lT1_lS3_lS4_lS0_lPT4_lS4_li: ; @_ZL20rocblas_gemvn_kernelILi64ELi4EldddEviiT3_lPKT2_lT1_lS3_lS4_lS0_lPT4_lS4_li
; %bb.0:
	s_load_b64 s[2:3], s[0:1], 0x9c
	s_wait_kmcnt 0x0
	s_lshr_b32 s4, s2, 16
	s_and_b32 s2, s2, 0xffff
	s_and_b32 s3, s3, 0xffff
	s_mul_i32 s2, s4, s2
	s_delay_alu instid0(SALU_CYCLE_1) | instskip(NEXT) | instid1(SALU_CYCLE_1)
	s_mul_i32 s2, s2, s3
	s_cmp_lg_u32 s2, 0x100
	s_cbranch_scc1 .LBB55_53
; %bb.1:
	s_load_b32 s33, s[0:1], 0x88
	s_bfe_u32 s2, ttmp6, 0x40014
	s_lshr_b32 s3, ttmp7, 16
	s_add_co_i32 s2, s2, 1
	s_bfe_u32 s5, ttmp6, 0x40008
	s_mul_i32 s4, s3, s2
	s_getreg_b32 s2, hwreg(HW_REG_IB_STS2, 6, 4)
	s_add_co_i32 s5, s5, s4
	s_cmp_eq_u32 s2, 0
	s_mov_b32 s35, 0
	s_cselect_b32 s34, s3, s5
	s_wait_kmcnt 0x0
	s_cmp_ge_u32 s34, s33
	s_cbranch_scc1 .LBB55_53
; %bb.2:
	s_clause 0x3
	s_load_b128 s[36:39], s[0:1], 0x0
	s_load_b64 s[40:41], s[0:1], 0x58
	s_load_b512 s[8:23], s[0:1], 0x18
	s_load_b256 s[24:31], s[0:1], 0x68
	v_and_b32_e32 v26, 0x3ff, v0
	v_bfe_u32 v2, v0, 10, 10
	v_mov_b32_e32 v1, 0
	s_wait_xcnt 0x0
	s_bfe_u32 s0, ttmp6, 0x4000c
	s_and_b32 s1, ttmp6, 15
	s_add_co_i32 s0, s0, 1
	v_lshlrev_b32_e32 v88, 2, v2
	v_dual_mov_b32 v3, v1 :: v_dual_lshlrev_b32 v0, 3, v26
	s_mul_i32 s0, ttmp9, s0
	v_lshl_add_u32 v12, v2, 6, v26
	s_add_co_i32 s1, s1, s0
	s_delay_alu instid0(VALU_DEP_2) | instskip(SKIP_1) | instid1(VALU_DEP_3)
	v_lshl_add_u32 v89, v2, 11, v0
	v_lshl_add_u32 v90, v2, 9, v0
	v_cmp_gt_u32_e64 s0, 0x100, v12
	s_wait_kmcnt 0x0
	v_cmp_neq_f64_e64 s3, s[38:39], 0
	v_cmp_neq_f64_e64 s42, s[40:41], 1.0
	v_mul_u64_e32 v[8:9], s[20:21], v[2:3]
	s_lshl_b64 s[4:5], s[10:11], 3
	s_lshl_b64 s[10:11], s[18:19], 3
	;; [unrolled: 1-line block ×3, first 2 shown]
	v_mul_u64_e32 v[10:11], s[12:13], v[2:3]
	v_cmp_eq_f64_e64 s49, s[38:39], 0
	v_cmp_neq_f64_e64 s52, s[40:41], 0
	v_mad_nc_u64_u32 v[4:5], s20, v88, s[20:21]
	v_mad_nc_u64_u32 v[6:7], s12, v88, s[12:13]
	s_add_nc_u64 s[18:19], s[8:9], s[4:5]
	s_add_nc_u64 s[24:25], s[24:25], s[6:7]
	;; [unrolled: 1-line block ×3, first 2 shown]
	s_delay_alu instid0(VALU_DEP_2) | instskip(NEXT) | instid1(VALU_DEP_2)
	v_mad_u32 v5, s21, v88, v5
	v_mad_u32 v7, s13, v88, v7
	s_delay_alu instid0(VALU_DEP_2) | instskip(NEXT) | instid1(VALU_DEP_2)
	v_lshl_add_u64 v[4:5], v[4:5], 3, s[16:17]
	v_lshl_add_u64 v[6:7], v[6:7], 3, s[18:19]
	s_or_b32 s48, s3, s42
	s_cmp_eq_u32 s2, 0
	s_mov_b32 s2, s36
	s_cselect_b32 s1, ttmp9, s1
	s_ashr_i32 s3, s36, 31
	s_lshl_b32 s1, s1, 8
	v_lshlrev_b64_e32 v[24:25], 5, v[10:11]
	v_dual_add_nc_u32 v0, s1, v12 :: v_dual_bitop2_b32 v14, s1, v12 bitop3:0x54
	v_or_b32_e32 v26, s1, v26
	v_lshlrev_b64_e32 v[12:13], 5, v[8:9]
	s_delay_alu instid0(VALU_DEP_3)
	v_cmp_gt_i64_e32 vcc_lo, s[2:3], v[0:1]
	v_mul_u64_e32 v[2:3], s[28:29], v[0:1]
	v_dual_ashrrev_i32 v15, 31, v14 :: v_dual_bitop2_b32 v0, 3, v88 bitop3:0x54
	s_ashr_i32 s2, s37, 31
	v_ashrrev_i32_e32 v27, 31, v26
	s_lshr_b32 s2, s2, 28
	s_delay_alu instid0(VALU_DEP_2)
	v_mul_u64_e32 v[16:17], s[12:13], v[0:1]
	v_mul_u64_e32 v[18:19], s[20:21], v[0:1]
	v_or_b32_e32 v0, 2, v88
	v_mul_u64_e32 v[8:9], s[28:29], v[14:15]
	s_add_co_i32 s1, s37, s2
	v_add_nc_u32_e32 v15, 0x80, v26
	s_and_b32 s50, s1, -16
	v_mul_u64_e32 v[20:21], s[12:13], v[0:1]
	v_mul_u64_e32 v[22:23], s[20:21], v[0:1]
	v_add_nc_u64_e32 v[10:11], s[16:17], v[12:13]
	v_add_nc_u64_e32 v[12:13], s[18:19], v[24:25]
	v_add_nc_u32_e32 v0, 64, v26
	v_add_nc_u32_e32 v24, 0xc0, v26
	s_sub_co_i32 s3, s37, s50
	v_cmp_gt_i32_e64 s5, s36, v15
	s_cmp_gt_i32 s3, 0
	v_cmp_gt_i32_e64 s3, s36, v14
	v_lshlrev_b64_e32 v[14:15], 3, v[26:27]
	v_cmp_gt_i32_e64 s1, s50, v88
	v_cmp_gt_i32_e64 s2, s36, v26
	;; [unrolled: 1-line block ×4, first 2 shown]
	s_cselect_b32 s51, -1, 0
	s_lshl_b64 s[28:29], s[22:23], 3
	s_and_b32 s36, s0, vcc_lo
	s_lshl_b64 s[42:43], s[14:15], 3
	s_lshl_b64 s[44:45], s[12:13], 7
	v_lshl_add_u64 v[16:17], v[16:17], 3, s[18:19]
	v_lshl_add_u64 v[18:19], v[18:19], 3, s[16:17]
	;; [unrolled: 1-line block ×4, first 2 shown]
	s_lshl_b64 s[16:17], s[20:21], 7
	s_branch .LBB55_5
.LBB55_3:                               ;   in Loop: Header=BB55_5 Depth=1
	s_wait_xcnt 0x0
	s_or_b32 exec_lo, exec_lo, s7
.LBB55_4:                               ;   in Loop: Header=BB55_5 Depth=1
	s_add_co_i32 s34, s34, 0x10000
	s_delay_alu instid0(SALU_CYCLE_1)
	s_cmp_lt_u32 s34, s33
	s_cbranch_scc0 .LBB55_53
.LBB55_5:                               ; =>This Loop Header: Depth=1
                                        ;     Child Loop BB55_21 Depth 2
	s_and_not1_b32 vcc_lo, exec_lo, s48
	s_cbranch_vccnz .LBB55_4
; %bb.6:                                ;   in Loop: Header=BB55_5 Depth=1
	s_mul_u64 s[8:9], s[30:31], s[34:35]
	s_and_not1_b32 vcc_lo, exec_lo, s49
	s_lshl_b64 s[8:9], s[8:9], 3
	s_delay_alu instid0(SALU_CYCLE_1)
	s_add_nc_u64 s[46:47], s[24:25], s[8:9]
	s_cbranch_vccnz .LBB55_10
; %bb.7:                                ;   in Loop: Header=BB55_5 Depth=1
	s_mov_b32 s7, 0
	s_mov_b32 s53, 0
                                        ; implicit-def: $vgpr24_vgpr25
	s_and_saveexec_b32 s8, s36
	s_cbranch_execz .LBB55_11
; %bb.8:                                ;   in Loop: Header=BB55_5 Depth=1
	s_and_not1_b32 vcc_lo, exec_lo, s52
	s_cbranch_vccnz .LBB55_13
; %bb.9:                                ;   in Loop: Header=BB55_5 Depth=1
	v_lshl_add_u64 v[24:25], v[2:3], 3, s[46:47]
	global_load_b64 v[24:25], v[24:25], off
	s_wait_loadcnt 0x0
	s_wait_xcnt 0x0
	v_mul_f64_e32 v[24:25], s[40:41], v[24:25]
	s_branch .LBB55_14
.LBB55_10:                              ;   in Loop: Header=BB55_5 Depth=1
	s_mov_b32 s53, 0
                                        ; implicit-def: $vgpr24_vgpr25
	s_cbranch_execz .LBB55_12
	s_branch .LBB55_15
.LBB55_11:                              ;   in Loop: Header=BB55_5 Depth=1
	s_or_b32 exec_lo, exec_lo, s8
	s_delay_alu instid0(SALU_CYCLE_1)
	s_and_b32 vcc_lo, exec_lo, s7
	s_cbranch_vccnz .LBB55_15
.LBB55_12:                              ;   in Loop: Header=BB55_5 Depth=1
	v_mov_b64_e32 v[26:27], v[2:3]
	s_and_saveexec_b32 s7, s53
	s_cbranch_execz .LBB55_3
	s_branch .LBB55_52
.LBB55_13:                              ;   in Loop: Header=BB55_5 Depth=1
	v_mov_b64_e32 v[24:25], 0
.LBB55_14:                              ;   in Loop: Header=BB55_5 Depth=1
	s_mov_b32 s53, exec_lo
	s_or_b32 exec_lo, exec_lo, s8
	s_delay_alu instid0(SALU_CYCLE_1)
	s_and_b32 vcc_lo, exec_lo, s7
	s_cbranch_vccz .LBB55_12
.LBB55_15:                              ;   in Loop: Header=BB55_5 Depth=1
	v_mov_b64_e32 v[24:25], 0
	v_mov_b64_e32 v[26:27], 0
	;; [unrolled: 1-line block ×4, first 2 shown]
	v_mov_b32_e32 v0, v88
	s_and_saveexec_b32 s7, s1
	s_cbranch_execz .LBB55_27
; %bb.16:                               ;   in Loop: Header=BB55_5 Depth=1
	s_mul_u64 s[8:9], s[28:29], s[34:35]
	s_mul_u64 s[54:55], s[42:43], s[34:35]
	v_add_nc_u64_e32 v[32:33], s[8:9], v[10:11]
	v_add_nc_u64_e32 v[34:35], s[54:55], v[16:17]
	;; [unrolled: 1-line block ×8, first 2 shown]
	v_mov_b64_e32 v[24:25], 0
	v_mov_b64_e32 v[26:27], 0
	;; [unrolled: 1-line block ×4, first 2 shown]
	v_mov_b32_e32 v0, v88
	s_mov_b32 s8, 0
	s_branch .LBB55_21
.LBB55_17:                              ;   in Loop: Header=BB55_21 Depth=2
	s_wait_xcnt 0x0
	s_or_b32 exec_lo, exec_lo, s56
	s_wait_loadcnt 0x3
	v_fmac_f64_e32 v[28:29], v[50:51], v[86:87]
	s_wait_loadcnt 0x2
	s_delay_alu instid0(VALU_DEP_1) | instskip(SKIP_1) | instid1(VALU_DEP_1)
	v_fmac_f64_e32 v[28:29], v[54:55], v[84:85]
	s_wait_loadcnt 0x1
	v_fmac_f64_e32 v[28:29], v[52:53], v[82:83]
	s_wait_loadcnt 0x0
	s_delay_alu instid0(VALU_DEP_1)
	v_fmac_f64_e32 v[28:29], v[48:49], v[80:81]
.LBB55_18:                              ;   in Loop: Header=BB55_21 Depth=2
	s_or_b32 exec_lo, exec_lo, s55
	s_wait_loadcnt 0x3
	v_fmac_f64_e32 v[26:27], v[50:51], v[70:71]
	s_wait_loadcnt 0x2
	s_delay_alu instid0(VALU_DEP_1) | instskip(SKIP_1) | instid1(VALU_DEP_1)
	v_fmac_f64_e32 v[26:27], v[54:55], v[68:69]
	s_wait_loadcnt 0x1
	v_fmac_f64_e32 v[26:27], v[52:53], v[66:67]
	s_wait_loadcnt 0x0
	s_delay_alu instid0(VALU_DEP_1)
	v_fmac_f64_e32 v[26:27], v[48:49], v[64:65]
.LBB55_19:                              ;   in Loop: Header=BB55_21 Depth=2
	s_or_b32 exec_lo, exec_lo, s54
	s_wait_loadcnt 0x3
	v_fmac_f64_e32 v[24:25], v[50:51], v[62:63]
	s_wait_loadcnt 0x2
	s_delay_alu instid0(VALU_DEP_1) | instskip(SKIP_1) | instid1(VALU_DEP_1)
	v_fmac_f64_e32 v[24:25], v[54:55], v[60:61]
	s_wait_loadcnt 0x1
	v_fmac_f64_e32 v[24:25], v[52:53], v[58:59]
	s_wait_loadcnt 0x0
	s_delay_alu instid0(VALU_DEP_1)
	v_fmac_f64_e32 v[24:25], v[48:49], v[56:57]
.LBB55_20:                              ;   in Loop: Header=BB55_21 Depth=2
	s_or_b32 exec_lo, exec_lo, s9
	v_add_nc_u32_e32 v0, 16, v0
	v_add_nc_u64_e32 v[32:33], s[16:17], v[32:33]
	v_add_nc_u64_e32 v[34:35], s[44:45], v[34:35]
	;; [unrolled: 1-line block ×7, first 2 shown]
	v_cmp_le_i32_e32 vcc_lo, s50, v0
	v_add_nc_u64_e32 v[46:47], s[44:45], v[46:47]
	s_or_b32 s8, vcc_lo, s8
	s_delay_alu instid0(SALU_CYCLE_1)
	s_and_not1_b32 exec_lo, exec_lo, s8
	s_cbranch_execz .LBB55_26
.LBB55_21:                              ;   Parent Loop BB55_5 Depth=1
                                        ; =>  This Inner Loop Header: Depth=2
	s_and_saveexec_b32 s9, s2
	s_cbranch_execz .LBB55_20
; %bb.22:                               ;   in Loop: Header=BB55_21 Depth=2
	v_add_nc_u64_e32 v[48:49], s[10:11], v[32:33]
	v_add_nc_u64_e32 v[52:53], s[10:11], v[44:45]
	;; [unrolled: 1-line block ×8, first 2 shown]
	global_load_b64 v[50:51], v[48:49], off
	global_load_b64 v[54:55], v[52:53], off
	;; [unrolled: 1-line block ×8, first 2 shown]
	s_wait_xcnt 0x0
	s_and_saveexec_b32 s54, s4
	s_cbranch_execz .LBB55_19
; %bb.23:                               ;   in Loop: Header=BB55_21 Depth=2
	global_load_b64 v[70:71], v[78:79], off offset:512
	global_load_b64 v[68:69], v[76:77], off offset:512
	global_load_b64 v[66:67], v[72:73], off offset:512
	global_load_b64 v[64:65], v[74:75], off offset:512
	s_wait_xcnt 0x0
	s_and_saveexec_b32 s55, s5
	s_cbranch_execz .LBB55_18
; %bb.24:                               ;   in Loop: Header=BB55_21 Depth=2
	global_load_b64 v[86:87], v[78:79], off offset:1024
	global_load_b64 v[84:85], v[76:77], off offset:1024
	global_load_b64 v[82:83], v[72:73], off offset:1024
	global_load_b64 v[80:81], v[74:75], off offset:1024
	;; [unrolled: 8-line block ×3, first 2 shown]
	s_wait_loadcnt 0x3
	v_fmac_f64_e32 v[30:31], v[50:51], v[78:79]
	s_wait_loadcnt 0x2
	s_delay_alu instid0(VALU_DEP_1) | instskip(SKIP_1) | instid1(VALU_DEP_1)
	v_fmac_f64_e32 v[30:31], v[54:55], v[76:77]
	s_wait_loadcnt 0x1
	v_fmac_f64_e32 v[30:31], v[52:53], v[72:73]
	s_wait_loadcnt 0x0
	s_delay_alu instid0(VALU_DEP_1)
	v_fmac_f64_e32 v[30:31], v[48:49], v[74:75]
	s_branch .LBB55_17
.LBB55_26:                              ;   in Loop: Header=BB55_5 Depth=1
	s_or_b32 exec_lo, exec_lo, s8
.LBB55_27:                              ;   in Loop: Header=BB55_5 Depth=1
	s_delay_alu instid0(SALU_CYCLE_1) | instskip(NEXT) | instid1(SALU_CYCLE_1)
	s_or_b32 exec_lo, exec_lo, s7
	s_and_not1_b32 vcc_lo, exec_lo, s51
	s_cbranch_vccnz .LBB55_45
; %bb.28:                               ;   in Loop: Header=BB55_5 Depth=1
	v_mov_b64_e32 v[38:39], 0
	v_mov_b64_e32 v[36:37], 0
	;; [unrolled: 1-line block ×4, first 2 shown]
	v_cmp_gt_i32_e32 vcc_lo, s37, v0
	v_or_b32_e32 v40, 1, v0
	s_and_saveexec_b32 s54, vcc_lo
	s_cbranch_execz .LBB55_36
; %bb.29:                               ;   in Loop: Header=BB55_5 Depth=1
	v_mul_u64_e32 v[32:33], s[20:21], v[0:1]
	s_mul_u64 s[8:9], s[22:23], s[34:35]
	v_mov_b64_e32 v[34:35], 0
	s_lshl_b64 s[8:9], s[8:9], 3
	v_mov_b64_e32 v[36:37], 0
	s_add_nc_u64 s[8:9], s[26:27], s[8:9]
	v_mov_b64_e32 v[38:39], 0
	s_mov_b32 s55, exec_lo
	s_delay_alu instid0(VALU_DEP_4)
	v_lshl_add_u64 v[32:33], v[32:33], 3, s[8:9]
	global_load_b64 v[32:33], v[32:33], off
	s_wait_xcnt 0x0
	v_cmpx_gt_i32_e64 s37, v40
	s_cbranch_execz .LBB55_35
; %bb.30:                               ;   in Loop: Header=BB55_5 Depth=1
	v_dual_mov_b32 v41, v1 :: v_dual_bitop2_b32 v42, 2, v0 bitop3:0x54
	v_mov_b64_e32 v[36:37], 0
	v_mov_b64_e32 v[38:39], 0
	s_mov_b32 s56, exec_lo
	s_delay_alu instid0(VALU_DEP_3) | instskip(NEXT) | instid1(VALU_DEP_1)
	v_mul_u64_e32 v[34:35], s[20:21], v[40:41]
	v_lshl_add_u64 v[34:35], v[34:35], 3, s[8:9]
	global_load_b64 v[34:35], v[34:35], off
	s_wait_xcnt 0x0
	v_cmpx_gt_i32_e64 s37, v42
	s_cbranch_execz .LBB55_34
; %bb.31:                               ;   in Loop: Header=BB55_5 Depth=1
	v_mov_b32_e32 v43, v1
	v_mov_b64_e32 v[38:39], 0
	s_mov_b32 s57, exec_lo
	s_delay_alu instid0(VALU_DEP_2) | instskip(SKIP_1) | instid1(VALU_DEP_2)
	v_mul_u64_e32 v[36:37], s[20:21], v[42:43]
	v_or_b32_e32 v42, 3, v0
	v_lshl_add_u64 v[36:37], v[36:37], 3, s[8:9]
	global_load_b64 v[36:37], v[36:37], off
	s_wait_xcnt 0x0
	v_cmpx_gt_i32_e64 s37, v42
	s_cbranch_execz .LBB55_33
; %bb.32:                               ;   in Loop: Header=BB55_5 Depth=1
	v_mov_b32_e32 v43, v1
	s_delay_alu instid0(VALU_DEP_1) | instskip(NEXT) | instid1(VALU_DEP_1)
	v_mul_u64_e32 v[38:39], s[20:21], v[42:43]
	v_lshl_add_u64 v[38:39], v[38:39], 3, s[8:9]
	global_load_b64 v[38:39], v[38:39], off
.LBB55_33:                              ;   in Loop: Header=BB55_5 Depth=1
	s_wait_xcnt 0x0
	s_or_b32 exec_lo, exec_lo, s57
.LBB55_34:                              ;   in Loop: Header=BB55_5 Depth=1
	s_delay_alu instid0(SALU_CYCLE_1)
	s_or_b32 exec_lo, exec_lo, s56
.LBB55_35:                              ;   in Loop: Header=BB55_5 Depth=1
	s_delay_alu instid0(SALU_CYCLE_1)
	s_or_b32 exec_lo, exec_lo, s55
.LBB55_36:                              ;   in Loop: Header=BB55_5 Depth=1
	s_delay_alu instid0(SALU_CYCLE_1)
	s_or_b32 exec_lo, exec_lo, s54
	s_and_saveexec_b32 s54, s2
	s_cbranch_execz .LBB55_44
; %bb.37:                               ;   in Loop: Header=BB55_5 Depth=1
	v_dual_mov_b32 v41, v1 :: v_dual_bitop2_b32 v42, 2, v0 bitop3:0x54
	v_mov_b32_e32 v43, v1
	v_mul_u64_e32 v[44:45], s[12:13], v[0:1]
	v_or_b32_e32 v0, 3, v0
	s_delay_alu instid0(VALU_DEP_4)
	v_mul_u64_e32 v[46:47], s[12:13], v[40:41]
	s_mul_u64 s[8:9], s[14:15], s[34:35]
	v_mul_u64_e32 v[48:49], s[12:13], v[42:43]
	v_cmp_gt_i32_e64 s7, s37, v40
	v_mul_u64_e32 v[50:51], s[12:13], v[0:1]
	s_lshl_b64 s[56:57], s[8:9], 3
	v_cmp_gt_i32_e64 s8, s37, v42
	v_cmp_gt_i32_e64 s9, s37, v0
	v_dual_cndmask_b32 v41, 0, v45 :: v_dual_cndmask_b32 v40, 0, v44
	v_dual_cndmask_b32 v43, 0, v47, s7 :: v_dual_cndmask_b32 v42, 0, v46, s7
	s_delay_alu instid0(VALU_DEP_4) | instskip(NEXT) | instid1(VALU_DEP_4)
	v_dual_cndmask_b32 v45, 0, v49, s8 :: v_dual_cndmask_b32 v44, 0, v48, s8
	v_dual_cndmask_b32 v47, 0, v51, s9 :: v_dual_cndmask_b32 v46, 0, v50, s9
	s_add_nc_u64 s[8:9], s[18:19], s[56:57]
	s_delay_alu instid0(SALU_CYCLE_1) | instskip(SKIP_3) | instid1(VALU_DEP_4)
	v_lshl_add_u64 v[40:41], v[40:41], 3, s[8:9]
	v_lshl_add_u64 v[42:43], v[42:43], 3, s[8:9]
	;; [unrolled: 1-line block ×4, first 2 shown]
	v_add_nc_u64_e32 v[62:63], v[40:41], v[14:15]
	s_delay_alu instid0(VALU_DEP_4) | instskip(NEXT) | instid1(VALU_DEP_4)
	v_add_nc_u64_e32 v[60:61], v[42:43], v[14:15]
	v_add_nc_u64_e32 v[58:59], v[44:45], v[14:15]
	s_delay_alu instid0(VALU_DEP_4)
	v_add_nc_u64_e32 v[56:57], v[46:47], v[14:15]
	s_clause 0x3
	global_load_b64 v[46:47], v[62:63], off
	global_load_b64 v[44:45], v[60:61], off
	;; [unrolled: 1-line block ×4, first 2 shown]
	s_wait_xcnt 0x0
	s_and_saveexec_b32 s7, s4
	s_cbranch_execz .LBB55_43
; %bb.38:                               ;   in Loop: Header=BB55_5 Depth=1
	s_clause 0x3
	global_load_b64 v[54:55], v[62:63], off offset:512
	global_load_b64 v[52:53], v[60:61], off offset:512
	global_load_b64 v[50:51], v[58:59], off offset:512
	global_load_b64 v[48:49], v[56:57], off offset:512
	s_wait_xcnt 0x0
	s_and_saveexec_b32 s8, s5
	s_cbranch_execz .LBB55_42
; %bb.39:                               ;   in Loop: Header=BB55_5 Depth=1
	s_clause 0x3
	global_load_b64 v[70:71], v[62:63], off offset:1024
	global_load_b64 v[68:69], v[60:61], off offset:1024
	global_load_b64 v[66:67], v[58:59], off offset:1024
	global_load_b64 v[64:65], v[56:57], off offset:1024
	;; [unrolled: 9-line block ×3, first 2 shown]
	s_wait_loadcnt 0x3
	v_fmac_f64_e32 v[30:31], v[32:33], v[62:63]
	s_wait_loadcnt 0x2
	s_delay_alu instid0(VALU_DEP_1) | instskip(SKIP_1) | instid1(VALU_DEP_1)
	v_fmac_f64_e32 v[30:31], v[34:35], v[60:61]
	s_wait_loadcnt 0x1
	v_fmac_f64_e32 v[30:31], v[36:37], v[58:59]
	s_wait_loadcnt 0x0
	s_delay_alu instid0(VALU_DEP_1)
	v_fmac_f64_e32 v[30:31], v[38:39], v[56:57]
.LBB55_41:                              ;   in Loop: Header=BB55_5 Depth=1
	s_wait_xcnt 0x0
	s_or_b32 exec_lo, exec_lo, s9
	s_wait_loadcnt 0x3
	v_fmac_f64_e32 v[28:29], v[32:33], v[70:71]
	s_wait_loadcnt 0x2
	s_delay_alu instid0(VALU_DEP_1) | instskip(SKIP_1) | instid1(VALU_DEP_1)
	v_fmac_f64_e32 v[28:29], v[34:35], v[68:69]
	s_wait_loadcnt 0x1
	v_fmac_f64_e32 v[28:29], v[36:37], v[66:67]
	s_wait_loadcnt 0x0
	s_delay_alu instid0(VALU_DEP_1)
	v_fmac_f64_e32 v[28:29], v[38:39], v[64:65]
.LBB55_42:                              ;   in Loop: Header=BB55_5 Depth=1
	s_or_b32 exec_lo, exec_lo, s8
	s_wait_loadcnt 0x3
	v_fmac_f64_e32 v[26:27], v[32:33], v[54:55]
	s_wait_loadcnt 0x2
	s_delay_alu instid0(VALU_DEP_1) | instskip(SKIP_1) | instid1(VALU_DEP_1)
	v_fmac_f64_e32 v[26:27], v[34:35], v[52:53]
	s_wait_loadcnt 0x1
	v_fmac_f64_e32 v[26:27], v[36:37], v[50:51]
	s_wait_loadcnt 0x0
	s_delay_alu instid0(VALU_DEP_1)
	v_fmac_f64_e32 v[26:27], v[38:39], v[48:49]
.LBB55_43:                              ;   in Loop: Header=BB55_5 Depth=1
	s_or_b32 exec_lo, exec_lo, s7
	s_wait_loadcnt 0x3
	v_fmac_f64_e32 v[24:25], v[32:33], v[46:47]
	s_wait_loadcnt 0x2
	s_delay_alu instid0(VALU_DEP_1) | instskip(SKIP_1) | instid1(VALU_DEP_1)
	v_fmac_f64_e32 v[24:25], v[34:35], v[44:45]
	s_wait_loadcnt 0x1
	v_fmac_f64_e32 v[24:25], v[36:37], v[42:43]
	s_wait_loadcnt 0x0
	s_delay_alu instid0(VALU_DEP_1)
	v_fmac_f64_e32 v[24:25], v[38:39], v[40:41]
.LBB55_44:                              ;   in Loop: Header=BB55_5 Depth=1
	s_or_b32 exec_lo, exec_lo, s54
.LBB55_45:                              ;   in Loop: Header=BB55_5 Depth=1
	ds_store_2addr_stride64_b64 v89, v[24:25], v[26:27] offset1:1
	ds_store_2addr_stride64_b64 v89, v[28:29], v[30:31] offset0:2 offset1:3
	s_wait_loadcnt_dscnt 0x0
	s_barrier_signal -1
	s_barrier_wait -1
                                        ; implicit-def: $vgpr24_vgpr25
	s_and_saveexec_b32 s7, s0
	s_cbranch_execz .LBB55_51
; %bb.46:                               ;   in Loop: Header=BB55_5 Depth=1
	ds_load_2addr_stride64_b64 v[24:27], v90 offset1:4
	s_mov_b32 s9, s53
	s_wait_dscnt 0x0
	v_add_f64_e32 v[28:29], v[24:25], v[26:27]
	ds_load_2addr_stride64_b64 v[24:27], v90 offset0:8 offset1:12
	s_wait_dscnt 0x0
	v_add_f64_e32 v[24:25], v[24:25], v[28:29]
	s_delay_alu instid0(VALU_DEP_1)
	v_add_f64_e32 v[26:27], v[26:27], v[24:25]
                                        ; implicit-def: $vgpr24_vgpr25
	ds_store_b64 v90, v[26:27]
	s_and_saveexec_b32 s8, s3
	s_cbranch_execz .LBB55_50
; %bb.47:                               ;   in Loop: Header=BB55_5 Depth=1
	v_mul_f64_e32 v[24:25], s[38:39], v[26:27]
	s_and_not1_b32 vcc_lo, exec_lo, s52
	s_cbranch_vccnz .LBB55_49
; %bb.48:                               ;   in Loop: Header=BB55_5 Depth=1
	v_lshl_add_u64 v[26:27], v[8:9], 3, s[46:47]
	global_load_b64 v[26:27], v[26:27], off
	s_wait_loadcnt 0x0
	v_fmac_f64_e32 v[24:25], s[40:41], v[26:27]
.LBB55_49:                              ;   in Loop: Header=BB55_5 Depth=1
	s_or_b32 s9, s53, exec_lo
.LBB55_50:                              ;   in Loop: Header=BB55_5 Depth=1
	s_wait_xcnt 0x0
	s_or_b32 exec_lo, exec_lo, s8
	s_delay_alu instid0(SALU_CYCLE_1) | instskip(SKIP_1) | instid1(SALU_CYCLE_1)
	s_and_not1_b32 s8, s53, exec_lo
	s_and_b32 s9, s9, exec_lo
	s_or_b32 s53, s8, s9
.LBB55_51:                              ;   in Loop: Header=BB55_5 Depth=1
	s_or_b32 exec_lo, exec_lo, s7
	v_mov_b64_e32 v[26:27], v[8:9]
	s_and_saveexec_b32 s7, s53
	s_cbranch_execz .LBB55_3
.LBB55_52:                              ;   in Loop: Header=BB55_5 Depth=1
	s_delay_alu instid0(VALU_DEP_1)
	v_lshl_add_u64 v[26:27], v[26:27], 3, s[46:47]
	global_store_b64 v[26:27], v[24:25], off
	s_branch .LBB55_3
.LBB55_53:
	s_sendmsg sendmsg(MSG_DEALLOC_VGPRS)
	s_endpgm
	.section	.rodata,"a",@progbits
	.p2align	6, 0x0
	.amdhsa_kernel _ZL20rocblas_gemvn_kernelILi64ELi4EldddEviiT3_lPKT2_lT1_lS3_lS4_lS0_lPT4_lS4_li
		.amdhsa_group_segment_fixed_size 8192
		.amdhsa_private_segment_fixed_size 0
		.amdhsa_kernarg_size 400
		.amdhsa_user_sgpr_count 2
		.amdhsa_user_sgpr_dispatch_ptr 0
		.amdhsa_user_sgpr_queue_ptr 0
		.amdhsa_user_sgpr_kernarg_segment_ptr 1
		.amdhsa_user_sgpr_dispatch_id 0
		.amdhsa_user_sgpr_kernarg_preload_length 0
		.amdhsa_user_sgpr_kernarg_preload_offset 0
		.amdhsa_user_sgpr_private_segment_size 0
		.amdhsa_wavefront_size32 1
		.amdhsa_uses_dynamic_stack 0
		.amdhsa_enable_private_segment 0
		.amdhsa_system_sgpr_workgroup_id_x 1
		.amdhsa_system_sgpr_workgroup_id_y 0
		.amdhsa_system_sgpr_workgroup_id_z 1
		.amdhsa_system_sgpr_workgroup_info 0
		.amdhsa_system_vgpr_workitem_id 1
		.amdhsa_next_free_vgpr 91
		.amdhsa_next_free_sgpr 58
		.amdhsa_named_barrier_count 0
		.amdhsa_reserve_vcc 1
		.amdhsa_float_round_mode_32 0
		.amdhsa_float_round_mode_16_64 0
		.amdhsa_float_denorm_mode_32 3
		.amdhsa_float_denorm_mode_16_64 3
		.amdhsa_fp16_overflow 0
		.amdhsa_memory_ordered 1
		.amdhsa_forward_progress 1
		.amdhsa_inst_pref_size 21
		.amdhsa_round_robin_scheduling 0
		.amdhsa_exception_fp_ieee_invalid_op 0
		.amdhsa_exception_fp_denorm_src 0
		.amdhsa_exception_fp_ieee_div_zero 0
		.amdhsa_exception_fp_ieee_overflow 0
		.amdhsa_exception_fp_ieee_underflow 0
		.amdhsa_exception_fp_ieee_inexact 0
		.amdhsa_exception_int_div_zero 0
	.end_amdhsa_kernel
	.section	.text._ZL20rocblas_gemvn_kernelILi64ELi4EldddEviiT3_lPKT2_lT1_lS3_lS4_lS0_lPT4_lS4_li,"axG",@progbits,_ZL20rocblas_gemvn_kernelILi64ELi4EldddEviiT3_lPKT2_lT1_lS3_lS4_lS0_lPT4_lS4_li,comdat
.Lfunc_end55:
	.size	_ZL20rocblas_gemvn_kernelILi64ELi4EldddEviiT3_lPKT2_lT1_lS3_lS4_lS0_lPT4_lS4_li, .Lfunc_end55-_ZL20rocblas_gemvn_kernelILi64ELi4EldddEviiT3_lPKT2_lT1_lS3_lS4_lS0_lPT4_lS4_li
                                        ; -- End function
	.set _ZL20rocblas_gemvn_kernelILi64ELi4EldddEviiT3_lPKT2_lT1_lS3_lS4_lS0_lPT4_lS4_li.num_vgpr, 91
	.set _ZL20rocblas_gemvn_kernelILi64ELi4EldddEviiT3_lPKT2_lT1_lS3_lS4_lS0_lPT4_lS4_li.num_agpr, 0
	.set _ZL20rocblas_gemvn_kernelILi64ELi4EldddEviiT3_lPKT2_lT1_lS3_lS4_lS0_lPT4_lS4_li.numbered_sgpr, 58
	.set _ZL20rocblas_gemvn_kernelILi64ELi4EldddEviiT3_lPKT2_lT1_lS3_lS4_lS0_lPT4_lS4_li.num_named_barrier, 0
	.set _ZL20rocblas_gemvn_kernelILi64ELi4EldddEviiT3_lPKT2_lT1_lS3_lS4_lS0_lPT4_lS4_li.private_seg_size, 0
	.set _ZL20rocblas_gemvn_kernelILi64ELi4EldddEviiT3_lPKT2_lT1_lS3_lS4_lS0_lPT4_lS4_li.uses_vcc, 1
	.set _ZL20rocblas_gemvn_kernelILi64ELi4EldddEviiT3_lPKT2_lT1_lS3_lS4_lS0_lPT4_lS4_li.uses_flat_scratch, 0
	.set _ZL20rocblas_gemvn_kernelILi64ELi4EldddEviiT3_lPKT2_lT1_lS3_lS4_lS0_lPT4_lS4_li.has_dyn_sized_stack, 0
	.set _ZL20rocblas_gemvn_kernelILi64ELi4EldddEviiT3_lPKT2_lT1_lS3_lS4_lS0_lPT4_lS4_li.has_recursion, 0
	.set _ZL20rocblas_gemvn_kernelILi64ELi4EldddEviiT3_lPKT2_lT1_lS3_lS4_lS0_lPT4_lS4_li.has_indirect_call, 0
	.section	.AMDGPU.csdata,"",@progbits
; Kernel info:
; codeLenInByte = 2640
; TotalNumSgprs: 60
; NumVgprs: 91
; ScratchSize: 0
; MemoryBound: 1
; FloatMode: 240
; IeeeMode: 1
; LDSByteSize: 8192 bytes/workgroup (compile time only)
; SGPRBlocks: 0
; VGPRBlocks: 5
; NumSGPRsForWavesPerEU: 60
; NumVGPRsForWavesPerEU: 91
; NamedBarCnt: 0
; Occupancy: 10
; WaveLimiterHint : 1
; COMPUTE_PGM_RSRC2:SCRATCH_EN: 0
; COMPUTE_PGM_RSRC2:USER_SGPR: 2
; COMPUTE_PGM_RSRC2:TRAP_HANDLER: 0
; COMPUTE_PGM_RSRC2:TGID_X_EN: 1
; COMPUTE_PGM_RSRC2:TGID_Y_EN: 0
; COMPUTE_PGM_RSRC2:TGID_Z_EN: 1
; COMPUTE_PGM_RSRC2:TIDIG_COMP_CNT: 1
	.section	.text._ZL24rocblas_gemv_scal_kernelILi256EPKdPdEviT0_lT1_lili,"axG",@progbits,_ZL24rocblas_gemv_scal_kernelILi256EPKdPdEviT0_lT1_lili,comdat
	.globl	_ZL24rocblas_gemv_scal_kernelILi256EPKdPdEviT0_lT1_lili ; -- Begin function _ZL24rocblas_gemv_scal_kernelILi256EPKdPdEviT0_lT1_lili
	.p2align	8
	.type	_ZL24rocblas_gemv_scal_kernelILi256EPKdPdEviT0_lT1_lili,@function
_ZL24rocblas_gemv_scal_kernelILi256EPKdPdEviT0_lT1_lili: ; @_ZL24rocblas_gemv_scal_kernelILi256EPKdPdEviT0_lT1_lili
; %bb.0:
	s_load_b32 s18, s[0:1], 0x38
	s_bfe_u32 s2, ttmp6, 0x40014
	s_lshr_b32 s3, ttmp7, 16
	s_add_co_i32 s2, s2, 1
	s_bfe_u32 s4, ttmp6, 0x40008
	s_mul_i32 s2, s3, s2
	s_getreg_b32 s19, hwreg(HW_REG_IB_STS2, 6, 4)
	s_add_co_i32 s4, s4, s2
	s_cmp_eq_u32 s19, 0
	s_cselect_b32 s2, s3, s4
	s_mov_b32 s3, 0
	s_wait_kmcnt 0x0
	s_cmp_ge_u32 s2, s18
	s_cbranch_scc1 .LBB56_9
; %bb.1:
	s_clause 0x3
	s_load_b32 s12, s[0:1], 0x0
	s_load_b32 s14, s[0:1], 0x28
	s_load_b256 s[4:11], s[0:1], 0x8
	s_load_b64 s[16:17], s[0:1], 0x30
	s_bfe_u32 s13, ttmp6, 0x4000c
	s_and_b32 s15, ttmp6, 15
	s_add_co_i32 s13, s13, 1
	v_mov_b32_e32 v3, 0
	s_mul_i32 s13, ttmp9, s13
	s_wait_xcnt 0x0
	s_add_nc_u64 s[0:1], s[0:1], 64
	s_add_co_i32 s20, s15, s13
	s_wait_kmcnt 0x0
	s_ashr_i32 s13, s12, 31
	s_ashr_i32 s15, s14, 31
	s_lshl_b64 s[10:11], s[10:11], 3
	s_cmp_eq_u32 s19, 0
	s_add_nc_u64 s[8:9], s[8:9], s[10:11]
	s_cselect_b32 s10, ttmp9, s20
	s_branch .LBB56_5
.LBB56_2:                               ;   in Loop: Header=BB56_5 Depth=1
	global_store_b64 v[6:7], v[8:9], off
.LBB56_3:                               ;   in Loop: Header=BB56_5 Depth=1
	s_wait_xcnt 0x0
	s_or_b32 exec_lo, exec_lo, s11
.LBB56_4:                               ;   in Loop: Header=BB56_5 Depth=1
	s_add_co_i32 s2, s2, 0x10000
	s_delay_alu instid0(SALU_CYCLE_1)
	s_cmp_lt_u32 s2, s18
	s_cbranch_scc0 .LBB56_9
.LBB56_5:                               ; =>This Inner Loop Header: Depth=1
	s_wait_xcnt 0x0
	s_mul_u64 s[20:21], s[6:7], s[2:3]
	s_delay_alu instid0(SALU_CYCLE_1) | instskip(NEXT) | instid1(SALU_CYCLE_1)
	s_lshl_b64 s[20:21], s[20:21], 3
	s_add_nc_u64 s[20:21], s[4:5], s[20:21]
	global_load_b64 v[4:5], v3, s[20:21]
	s_wait_loadcnt 0x0
	v_cmp_eq_f64_e32 vcc_lo, 1.0, v[4:5]
	s_cbranch_vccnz .LBB56_4
; %bb.6:                                ;   in Loop: Header=BB56_5 Depth=1
	s_load_b32 s11, s[0:1], 0xc
	s_wait_kmcnt 0x0
	s_and_b32 s11, s11, 0xffff
	s_delay_alu instid0(SALU_CYCLE_1) | instskip(SKIP_1) | instid1(VALU_DEP_1)
	v_mad_u32 v2, s10, s11, v0
	s_mov_b32 s11, exec_lo
	v_cmpx_gt_i64_e64 s[12:13], v[2:3]
	s_cbranch_execz .LBB56_3
; %bb.7:                                ;   in Loop: Header=BB56_5 Depth=1
	v_mul_u64_e32 v[6:7], s[14:15], v[2:3]
	v_cmp_eq_f64_e32 vcc_lo, 0, v[4:5]
	s_mul_u64 s[20:21], s[16:17], s[2:3]
	v_mov_b64_e32 v[8:9], 0
	s_lshl_b64 s[20:21], s[20:21], 3
	s_delay_alu instid0(SALU_CYCLE_1)
	s_add_nc_u64 s[20:21], s[8:9], s[20:21]
	s_delay_alu instid0(VALU_DEP_3) | instid1(SALU_CYCLE_1)
	v_lshl_add_u64 v[6:7], v[6:7], 3, s[20:21]
	s_cbranch_vccnz .LBB56_2
; %bb.8:                                ;   in Loop: Header=BB56_5 Depth=1
	global_load_b64 v[8:9], v[6:7], off
	s_wait_loadcnt 0x0
	v_mul_f64_e32 v[8:9], v[4:5], v[8:9]
	s_branch .LBB56_2
.LBB56_9:
	s_endpgm
	.section	.rodata,"a",@progbits
	.p2align	6, 0x0
	.amdhsa_kernel _ZL24rocblas_gemv_scal_kernelILi256EPKdPdEviT0_lT1_lili
		.amdhsa_group_segment_fixed_size 0
		.amdhsa_private_segment_fixed_size 0
		.amdhsa_kernarg_size 320
		.amdhsa_user_sgpr_count 2
		.amdhsa_user_sgpr_dispatch_ptr 0
		.amdhsa_user_sgpr_queue_ptr 0
		.amdhsa_user_sgpr_kernarg_segment_ptr 1
		.amdhsa_user_sgpr_dispatch_id 0
		.amdhsa_user_sgpr_kernarg_preload_length 0
		.amdhsa_user_sgpr_kernarg_preload_offset 0
		.amdhsa_user_sgpr_private_segment_size 0
		.amdhsa_wavefront_size32 1
		.amdhsa_uses_dynamic_stack 0
		.amdhsa_enable_private_segment 0
		.amdhsa_system_sgpr_workgroup_id_x 1
		.amdhsa_system_sgpr_workgroup_id_y 0
		.amdhsa_system_sgpr_workgroup_id_z 1
		.amdhsa_system_sgpr_workgroup_info 0
		.amdhsa_system_vgpr_workitem_id 0
		.amdhsa_next_free_vgpr 10
		.amdhsa_next_free_sgpr 22
		.amdhsa_named_barrier_count 0
		.amdhsa_reserve_vcc 1
		.amdhsa_float_round_mode_32 0
		.amdhsa_float_round_mode_16_64 0
		.amdhsa_float_denorm_mode_32 3
		.amdhsa_float_denorm_mode_16_64 3
		.amdhsa_fp16_overflow 0
		.amdhsa_memory_ordered 1
		.amdhsa_forward_progress 1
		.amdhsa_inst_pref_size 3
		.amdhsa_round_robin_scheduling 0
		.amdhsa_exception_fp_ieee_invalid_op 0
		.amdhsa_exception_fp_denorm_src 0
		.amdhsa_exception_fp_ieee_div_zero 0
		.amdhsa_exception_fp_ieee_overflow 0
		.amdhsa_exception_fp_ieee_underflow 0
		.amdhsa_exception_fp_ieee_inexact 0
		.amdhsa_exception_int_div_zero 0
	.end_amdhsa_kernel
	.section	.text._ZL24rocblas_gemv_scal_kernelILi256EPKdPdEviT0_lT1_lili,"axG",@progbits,_ZL24rocblas_gemv_scal_kernelILi256EPKdPdEviT0_lT1_lili,comdat
.Lfunc_end56:
	.size	_ZL24rocblas_gemv_scal_kernelILi256EPKdPdEviT0_lT1_lili, .Lfunc_end56-_ZL24rocblas_gemv_scal_kernelILi256EPKdPdEviT0_lT1_lili
                                        ; -- End function
	.set _ZL24rocblas_gemv_scal_kernelILi256EPKdPdEviT0_lT1_lili.num_vgpr, 10
	.set _ZL24rocblas_gemv_scal_kernelILi256EPKdPdEviT0_lT1_lili.num_agpr, 0
	.set _ZL24rocblas_gemv_scal_kernelILi256EPKdPdEviT0_lT1_lili.numbered_sgpr, 22
	.set _ZL24rocblas_gemv_scal_kernelILi256EPKdPdEviT0_lT1_lili.num_named_barrier, 0
	.set _ZL24rocblas_gemv_scal_kernelILi256EPKdPdEviT0_lT1_lili.private_seg_size, 0
	.set _ZL24rocblas_gemv_scal_kernelILi256EPKdPdEviT0_lT1_lili.uses_vcc, 1
	.set _ZL24rocblas_gemv_scal_kernelILi256EPKdPdEviT0_lT1_lili.uses_flat_scratch, 0
	.set _ZL24rocblas_gemv_scal_kernelILi256EPKdPdEviT0_lT1_lili.has_dyn_sized_stack, 0
	.set _ZL24rocblas_gemv_scal_kernelILi256EPKdPdEviT0_lT1_lili.has_recursion, 0
	.set _ZL24rocblas_gemv_scal_kernelILi256EPKdPdEviT0_lT1_lili.has_indirect_call, 0
	.section	.AMDGPU.csdata,"",@progbits
; Kernel info:
; codeLenInByte = 376
; TotalNumSgprs: 24
; NumVgprs: 10
; ScratchSize: 0
; MemoryBound: 1
; FloatMode: 240
; IeeeMode: 1
; LDSByteSize: 0 bytes/workgroup (compile time only)
; SGPRBlocks: 0
; VGPRBlocks: 0
; NumSGPRsForWavesPerEU: 24
; NumVGPRsForWavesPerEU: 10
; NamedBarCnt: 0
; Occupancy: 16
; WaveLimiterHint : 0
; COMPUTE_PGM_RSRC2:SCRATCH_EN: 0
; COMPUTE_PGM_RSRC2:USER_SGPR: 2
; COMPUTE_PGM_RSRC2:TRAP_HANDLER: 0
; COMPUTE_PGM_RSRC2:TGID_X_EN: 1
; COMPUTE_PGM_RSRC2:TGID_Y_EN: 0
; COMPUTE_PGM_RSRC2:TGID_Z_EN: 1
; COMPUTE_PGM_RSRC2:TIDIG_COMP_CNT: 0
	.section	.text._ZL24rocblas_gemv_scal_kernelILi256EdPdEviT0_lT1_lili,"axG",@progbits,_ZL24rocblas_gemv_scal_kernelILi256EdPdEviT0_lT1_lili,comdat
	.globl	_ZL24rocblas_gemv_scal_kernelILi256EdPdEviT0_lT1_lili ; -- Begin function _ZL24rocblas_gemv_scal_kernelILi256EdPdEviT0_lT1_lili
	.p2align	8
	.type	_ZL24rocblas_gemv_scal_kernelILi256EdPdEviT0_lT1_lili,@function
_ZL24rocblas_gemv_scal_kernelILi256EdPdEviT0_lT1_lili: ; @_ZL24rocblas_gemv_scal_kernelILi256EdPdEviT0_lT1_lili
; %bb.0:
	s_load_b32 s14, s[0:1], 0x38
	s_bfe_u32 s2, ttmp6, 0x40014
	s_lshr_b32 s3, ttmp7, 16
	s_add_co_i32 s2, s2, 1
	s_bfe_u32 s4, ttmp6, 0x40008
	s_mul_i32 s2, s3, s2
	s_getreg_b32 s12, hwreg(HW_REG_IB_STS2, 6, 4)
	s_add_co_i32 s4, s4, s2
	s_cmp_eq_u32 s12, 0
	s_cselect_b32 s2, s3, s4
	s_mov_b32 s3, 0
	s_wait_kmcnt 0x0
	s_cmp_ge_u32 s2, s14
	s_cbranch_scc1 .LBB57_10
; %bb.1:
	s_clause 0x4
	s_load_b32 s4, s[0:1], 0x0
	s_load_b32 s6, s[0:1], 0x28
	s_load_b128 s[20:23], s[0:1], 0x18
	s_load_b64 s[8:9], s[0:1], 0x8
	s_load_b64 s[10:11], s[0:1], 0x30
	s_bfe_u32 s5, ttmp6, 0x4000c
	s_and_b32 s7, ttmp6, 15
	s_add_co_i32 s5, s5, 1
	v_mov_b32_e32 v3, 0
	s_mul_i32 s5, ttmp9, s5
	s_wait_xcnt 0x0
	s_add_nc_u64 s[0:1], s[0:1], 64
	s_add_co_i32 s17, s7, s5
	s_wait_kmcnt 0x0
	s_ashr_i32 s5, s4, 31
	s_ashr_i32 s7, s6, 31
	s_lshl_b64 s[18:19], s[22:23], 3
	v_cmp_neq_f64_e64 s15, s[8:9], 1.0
	v_cmp_neq_f64_e64 s16, s[8:9], 0
	s_cmp_eq_u32 s12, 0
	s_add_nc_u64 s[12:13], s[20:21], s[18:19]
	s_cselect_b32 s17, ttmp9, s17
	s_branch .LBB57_6
.LBB57_2:                               ;   in Loop: Header=BB57_6 Depth=1
	global_load_b64 v[6:7], v[4:5], off
	s_wait_loadcnt 0x0
	v_mul_f64_e32 v[6:7], s[8:9], v[6:7]
.LBB57_3:                               ;   in Loop: Header=BB57_6 Depth=1
	global_store_b64 v[4:5], v[6:7], off
.LBB57_4:                               ;   in Loop: Header=BB57_6 Depth=1
	s_wait_xcnt 0x0
	s_or_b32 exec_lo, exec_lo, s18
.LBB57_5:                               ;   in Loop: Header=BB57_6 Depth=1
	s_add_co_i32 s2, s2, 0x10000
	s_delay_alu instid0(SALU_CYCLE_1)
	s_cmp_lt_u32 s2, s14
	s_cbranch_scc0 .LBB57_10
.LBB57_6:                               ; =>This Inner Loop Header: Depth=1
	s_and_not1_b32 vcc_lo, exec_lo, s15
	s_cbranch_vccnz .LBB57_5
; %bb.7:                                ;   in Loop: Header=BB57_6 Depth=1
	s_load_b32 s18, s[0:1], 0xc
	s_wait_kmcnt 0x0
	s_and_b32 s18, s18, 0xffff
	s_delay_alu instid0(SALU_CYCLE_1) | instskip(SKIP_1) | instid1(VALU_DEP_1)
	v_mad_u32 v2, s17, s18, v0
	s_mov_b32 s18, exec_lo
	v_cmpx_gt_i64_e64 s[4:5], v[2:3]
	s_cbranch_execz .LBB57_4
; %bb.8:                                ;   in Loop: Header=BB57_6 Depth=1
	v_mul_u64_e32 v[4:5], s[6:7], v[2:3]
	s_mul_u64 s[20:21], s[10:11], s[2:3]
	s_and_not1_b32 vcc_lo, exec_lo, s16
	s_lshl_b64 s[20:21], s[20:21], 3
	s_delay_alu instid0(SALU_CYCLE_1)
	s_add_nc_u64 s[20:21], s[12:13], s[20:21]
	s_delay_alu instid0(VALU_DEP_1) | instid1(SALU_CYCLE_1)
	v_lshl_add_u64 v[4:5], v[4:5], 3, s[20:21]
	s_cbranch_vccz .LBB57_2
; %bb.9:                                ;   in Loop: Header=BB57_6 Depth=1
	v_mov_b64_e32 v[6:7], 0
	s_branch .LBB57_3
.LBB57_10:
	s_endpgm
	.section	.rodata,"a",@progbits
	.p2align	6, 0x0
	.amdhsa_kernel _ZL24rocblas_gemv_scal_kernelILi256EdPdEviT0_lT1_lili
		.amdhsa_group_segment_fixed_size 0
		.amdhsa_private_segment_fixed_size 0
		.amdhsa_kernarg_size 320
		.amdhsa_user_sgpr_count 2
		.amdhsa_user_sgpr_dispatch_ptr 0
		.amdhsa_user_sgpr_queue_ptr 0
		.amdhsa_user_sgpr_kernarg_segment_ptr 1
		.amdhsa_user_sgpr_dispatch_id 0
		.amdhsa_user_sgpr_kernarg_preload_length 0
		.amdhsa_user_sgpr_kernarg_preload_offset 0
		.amdhsa_user_sgpr_private_segment_size 0
		.amdhsa_wavefront_size32 1
		.amdhsa_uses_dynamic_stack 0
		.amdhsa_enable_private_segment 0
		.amdhsa_system_sgpr_workgroup_id_x 1
		.amdhsa_system_sgpr_workgroup_id_y 0
		.amdhsa_system_sgpr_workgroup_id_z 1
		.amdhsa_system_sgpr_workgroup_info 0
		.amdhsa_system_vgpr_workitem_id 0
		.amdhsa_next_free_vgpr 8
		.amdhsa_next_free_sgpr 24
		.amdhsa_named_barrier_count 0
		.amdhsa_reserve_vcc 1
		.amdhsa_float_round_mode_32 0
		.amdhsa_float_round_mode_16_64 0
		.amdhsa_float_denorm_mode_32 3
		.amdhsa_float_denorm_mode_16_64 3
		.amdhsa_fp16_overflow 0
		.amdhsa_memory_ordered 1
		.amdhsa_forward_progress 1
		.amdhsa_inst_pref_size 3
		.amdhsa_round_robin_scheduling 0
		.amdhsa_exception_fp_ieee_invalid_op 0
		.amdhsa_exception_fp_denorm_src 0
		.amdhsa_exception_fp_ieee_div_zero 0
		.amdhsa_exception_fp_ieee_overflow 0
		.amdhsa_exception_fp_ieee_underflow 0
		.amdhsa_exception_fp_ieee_inexact 0
		.amdhsa_exception_int_div_zero 0
	.end_amdhsa_kernel
	.section	.text._ZL24rocblas_gemv_scal_kernelILi256EdPdEviT0_lT1_lili,"axG",@progbits,_ZL24rocblas_gemv_scal_kernelILi256EdPdEviT0_lT1_lili,comdat
.Lfunc_end57:
	.size	_ZL24rocblas_gemv_scal_kernelILi256EdPdEviT0_lT1_lili, .Lfunc_end57-_ZL24rocblas_gemv_scal_kernelILi256EdPdEviT0_lT1_lili
                                        ; -- End function
	.set _ZL24rocblas_gemv_scal_kernelILi256EdPdEviT0_lT1_lili.num_vgpr, 8
	.set _ZL24rocblas_gemv_scal_kernelILi256EdPdEviT0_lT1_lili.num_agpr, 0
	.set _ZL24rocblas_gemv_scal_kernelILi256EdPdEviT0_lT1_lili.numbered_sgpr, 24
	.set _ZL24rocblas_gemv_scal_kernelILi256EdPdEviT0_lT1_lili.num_named_barrier, 0
	.set _ZL24rocblas_gemv_scal_kernelILi256EdPdEviT0_lT1_lili.private_seg_size, 0
	.set _ZL24rocblas_gemv_scal_kernelILi256EdPdEviT0_lT1_lili.uses_vcc, 1
	.set _ZL24rocblas_gemv_scal_kernelILi256EdPdEviT0_lT1_lili.uses_flat_scratch, 0
	.set _ZL24rocblas_gemv_scal_kernelILi256EdPdEviT0_lT1_lili.has_dyn_sized_stack, 0
	.set _ZL24rocblas_gemv_scal_kernelILi256EdPdEviT0_lT1_lili.has_recursion, 0
	.set _ZL24rocblas_gemv_scal_kernelILi256EdPdEviT0_lT1_lili.has_indirect_call, 0
	.section	.AMDGPU.csdata,"",@progbits
; Kernel info:
; codeLenInByte = 364
; TotalNumSgprs: 26
; NumVgprs: 8
; ScratchSize: 0
; MemoryBound: 1
; FloatMode: 240
; IeeeMode: 1
; LDSByteSize: 0 bytes/workgroup (compile time only)
; SGPRBlocks: 0
; VGPRBlocks: 0
; NumSGPRsForWavesPerEU: 26
; NumVGPRsForWavesPerEU: 8
; NamedBarCnt: 0
; Occupancy: 16
; WaveLimiterHint : 0
; COMPUTE_PGM_RSRC2:SCRATCH_EN: 0
; COMPUTE_PGM_RSRC2:USER_SGPR: 2
; COMPUTE_PGM_RSRC2:TRAP_HANDLER: 0
; COMPUTE_PGM_RSRC2:TGID_X_EN: 1
; COMPUTE_PGM_RSRC2:TGID_Y_EN: 0
; COMPUTE_PGM_RSRC2:TGID_Z_EN: 1
; COMPUTE_PGM_RSRC2:TIDIG_COMP_CNT: 0
	.section	.text._ZL36rocblas_gemvn_double_buffered_kernelILi128ELi4ELi16EdPKddEviiT3_lPKT2_lilS5_lilPT4_lili,"axG",@progbits,_ZL36rocblas_gemvn_double_buffered_kernelILi128ELi4ELi16EdPKddEviiT3_lPKT2_lilS5_lilPT4_lili,comdat
	.globl	_ZL36rocblas_gemvn_double_buffered_kernelILi128ELi4ELi16EdPKddEviiT3_lPKT2_lilS5_lilPT4_lili ; -- Begin function _ZL36rocblas_gemvn_double_buffered_kernelILi128ELi4ELi16EdPKddEviiT3_lPKT2_lilS5_lilPT4_lili
	.p2align	8
	.type	_ZL36rocblas_gemvn_double_buffered_kernelILi128ELi4ELi16EdPKddEviiT3_lPKT2_lilS5_lilPT4_lili,@function
_ZL36rocblas_gemvn_double_buffered_kernelILi128ELi4ELi16EdPKddEviiT3_lPKT2_lilS5_lilPT4_lili: ; @_ZL36rocblas_gemvn_double_buffered_kernelILi128ELi4ELi16EdPKddEviiT3_lPKT2_lilS5_lilPT4_lili
; %bb.0:
	s_load_b32 s33, s[0:1], 0x78
	s_bfe_u32 s2, ttmp6, 0x40014
	s_lshr_b32 s3, ttmp7, 16
	s_add_co_i32 s2, s2, 1
	s_bfe_u32 s4, ttmp6, 0x40008
	s_mul_i32 s2, s3, s2
	s_getreg_b32 s23, hwreg(HW_REG_IB_STS2, 6, 4)
	s_add_co_i32 s4, s4, s2
	s_cmp_eq_u32 s23, 0
	s_cselect_b32 s2, s3, s4
	s_mov_b32 s3, 0
	s_wait_kmcnt 0x0
	s_cmp_ge_u32 s2, s33
	s_cbranch_scc1 .LBB58_15
; %bb.1:
	s_clause 0x7
	s_load_b32 s28, s[0:1], 0x28
	s_load_b96 s[20:22], s[0:1], 0x40
	s_load_b32 s34, s[0:1], 0x4
	s_load_b96 s[24:26], s[0:1], 0x60
	s_load_b256 s[4:11], s[0:1], 0x8
	s_load_b128 s[12:15], s[0:1], 0x30
	s_load_b128 s[16:19], s[0:1], 0x50
	s_load_b64 s[30:31], s[0:1], 0x70
	s_bfe_u32 s29, ttmp6, 0x4000c
	s_bfe_u32 s35, ttmp6, 0x40010
	s_and_b32 s38, ttmp7, 0xffff
	s_add_co_i32 s29, s29, 1
	s_add_co_i32 s35, s35, 1
	s_and_b32 s27, ttmp6, 15
	s_bfe_u32 s39, ttmp6, 0x40004
	s_mul_i32 s29, ttmp9, s29
	s_mul_i32 s40, s38, s35
	s_add_co_i32 s41, s27, s29
	s_add_co_i32 s39, s39, s40
	v_mov_b32_e32 v65, 0
	s_wait_kmcnt 0x0
	s_ashr_i32 s29, s28, 31
	s_ashr_i32 s27, s22, 31
	;; [unrolled: 1-line block ×4, first 2 shown]
	s_lshr_b32 s36, s36, 25
	s_lshl_b64 s[24:25], s[24:25], 3
	s_add_co_i32 s34, s34, s36
	s_lshl_b64 s[36:37], s[10:11], 3
	s_ashr_i32 s10, s34, 7
	s_cmp_eq_u32 s23, 0
	v_and_b32_e32 v4, 0x3ff, v0
	s_cselect_b32 s44, s38, s39
	v_dual_mov_b32 v5, v65 :: v_dual_bitop2_b32 v64, 63, v0 bitop3:0x40
	v_cvt_f64_i32_e32 v[2:3], s44
	v_bfe_u32 v1, v0, 10, 10
	s_mov_b32 s34, s26
	s_cselect_b32 s11, ttmp9, s41
	v_mul_u64_e32 v[6:7], s[34:35], v[4:5]
	s_add_nc_u64 s[38:39], s[18:19], s[24:25]
	v_lshl_add_u32 v5, v1, 7, v4
	s_add_nc_u64 s[18:19], s[0:1], 0x80
	s_lshl_b32 s0, s11, 7
	s_add_nc_u64 s[24:25], s[8:9], s[36:37]
	s_ashr_i32 s1, s0, 31
	v_lshrrev_b32_e32 v5, 6, v5
	s_lshl_b64 s[40:41], s[0:1], 3
	s_mul_u64 s[0:1], s[34:35], s[0:1]
	v_dual_lshlrev_b32 v189, 3, v4 :: v_dual_mov_b32 v73, v65
	s_delay_alu instid0(VALU_DEP_2)
	v_lshlrev_b32_e32 v0, 4, v5
	s_lshl_b64 s[0:1], s[0:1], 3
	s_mov_b32 s26, s22
	s_add_nc_u64 s[34:35], s[38:39], s[0:1]
	s_lshl_b32 s38, s22, 7
	v_cmp_eq_u32_e64 s0, 0, v1
	s_add_nc_u64 s[24:25], s[24:25], s[40:41]
	s_ashr_i32 s39, s38, 31
	s_lshl_b64 s[22:23], s[28:29], 10
	s_mov_b32 s11, s3
	s_lshl_b64 s[16:17], s[16:17], 3
	s_lshl_b64 s[38:39], s[38:39], 3
	v_dual_max_num_f64 v[66:67], v[2:3], v[2:3] :: v_dual_lshlrev_b32 v72, 7, v5
	v_mad_nc_i64_i32 v[68:69], s28, v0, v[64:65]
	v_lshlrev_b32_e32 v64, 3, v64
	s_delay_alu instid0(VALU_DEP_3)
	v_add_nc_u64_e32 v[74:75], 0x468, v[72:73]
	v_add_nc_u64_e32 v[76:77], 0x470, v[72:73]
	;; [unrolled: 1-line block ×4, first 2 shown]
	v_lshl_add_u64 v[70:71], v[6:7], 3, s[34:35]
	s_add_nc_u64 s[34:35], s[36:37], s[40:41]
	v_lshl_or_b32 v188, v5, 10, v64
	s_add_nc_u64 s[8:9], s[8:9], s[34:35]
	s_lshl_b64 s[40:41], s[20:21], 3
	s_lshl_b64 s[34:35], s[28:29], 3
	s_add_nc_u64 s[36:37], s[8:9], 0x200
	s_lshl_b64 s[20:21], s[12:13], 3
	s_add_nc_u64 s[14:15], s[14:15], s[40:41]
	s_lshl_b64 s[40:41], s[26:27], 3
	s_branch .LBB58_4
.LBB58_2:                               ;   in Loop: Header=BB58_4 Depth=1
	s_wait_xcnt 0x0
	s_or_b32 exec_lo, exec_lo, s1
.LBB58_3:                               ;   in Loop: Header=BB58_4 Depth=1
	s_add_co_i32 s2, s2, 0x10000
	s_delay_alu instid0(SALU_CYCLE_1)
	s_cmp_lt_u32 s2, s33
	s_cbranch_scc0 .LBB58_15
.LBB58_4:                               ; =>This Loop Header: Depth=1
                                        ;     Child Loop BB58_8 Depth 2
	s_wait_xcnt 0x0
	s_mul_u64 s[42:43], s[6:7], s[2:3]
	s_delay_alu instid0(SALU_CYCLE_1) | instskip(NEXT) | instid1(SALU_CYCLE_1)
	s_lshl_b64 s[42:43], s[42:43], 3
	s_add_nc_u64 s[42:43], s[4:5], s[42:43]
	global_load_b64 v[82:83], v65, s[42:43]
	s_wait_loadcnt 0x0
	v_cmp_eq_f64_e32 vcc_lo, 0, v[82:83]
	s_cbranch_vccnz .LBB58_3
; %bb.5:                                ;   in Loop: Header=BB58_4 Depth=1
	s_load_b32 s1, s[18:19], 0x4
	s_wait_kmcnt 0x0
	s_cvt_f32_u32 s42, s1
	s_sub_co_i32 s43, 0, s1
	s_delay_alu instid0(SALU_CYCLE_2) | instskip(SKIP_1) | instid1(TRANS32_DEP_1)
	v_rcp_iflag_f32_e32 v0, s42
	v_nop
	v_readfirstlane_b32 s42, v0
	s_mul_f32 s42, s42, 0x4f7ffffe
	s_delay_alu instid0(SALU_CYCLE_3) | instskip(NEXT) | instid1(SALU_CYCLE_3)
	s_cvt_u32_f32 s42, s42
	s_mul_i32 s43, s43, s42
	s_delay_alu instid0(SALU_CYCLE_1) | instskip(NEXT) | instid1(SALU_CYCLE_1)
	s_mul_hi_u32 s43, s42, s43
	s_add_co_i32 s42, s42, s43
	s_mov_b32 s43, s3
	s_delay_alu instid0(SALU_CYCLE_1) | instskip(NEXT) | instid1(SALU_CYCLE_1)
	s_mul_u64 s[42:43], s[10:11], s[42:43]
	s_mul_i32 s42, s43, s1
	s_add_co_i32 s45, s43, 1
	s_sub_co_i32 s42, s10, s42
	s_delay_alu instid0(SALU_CYCLE_1)
	s_sub_co_i32 s46, s42, s1
	s_cmp_ge_u32 s42, s1
	s_cselect_b32 s43, s45, s43
	s_cselect_b32 s42, s46, s42
	s_add_co_i32 s45, s43, 1
	s_cmp_ge_u32 s42, s1
	s_cselect_b32 s42, s45, s43
	s_delay_alu instid0(SALU_CYCLE_1) | instskip(NEXT) | instid1(SALU_CYCLE_1)
	s_mul_i32 s1, s42, s1
	s_sub_co_i32 s43, s10, s1
	s_delay_alu instid0(SALU_CYCLE_1) | instskip(SKIP_1) | instid1(SALU_CYCLE_1)
	s_cmp_lt_u32 s44, s43
	s_cselect_b32 s1, -1, 0
	s_cmp_lg_u32 s1, 0
	s_add_co_ci_u32 s1, s42, 0
	s_delay_alu instid0(SALU_CYCLE_1)
	s_cmp_eq_u32 s1, 0
	s_cbranch_scc1 .LBB58_3
; %bb.6:                                ;   in Loop: Header=BB58_4 Depth=1
	s_cmp_lt_i32 s1, 1
	s_cbranch_scc1 .LBB58_12
; %bb.7:                                ;   in Loop: Header=BB58_4 Depth=1
	v_cvt_f64_u32_e32 v[0:1], s43
	s_mul_i32 s42, s42, s44
	s_mul_u64 s[46:47], s[12:13], s[2:3]
	v_cvt_f64_u32_e32 v[2:3], s42
	s_lshl_b64 s[46:47], s[46:47], 3
	v_add_nc_u64_e32 v[48:49], 0x448, v[72:73]
	s_add_nc_u64 s[46:47], s[24:25], s[46:47]
	v_mov_b64_e32 v[120:121], 0
	v_mov_b64_e32 v[122:123], 0
	v_min_num_f64_e32 v[0:1], v[66:67], v[0:1]
	s_delay_alu instid0(VALU_DEP_1) | instskip(NEXT) | instid1(VALU_DEP_1)
	v_add_f64_e32 v[0:1], v[0:1], v[2:3]
	v_cvt_i32_f64_e32 v0, v[0:1]
	s_delay_alu instid0(VALU_DEP_1) | instskip(SKIP_1) | instid1(SALU_CYCLE_1)
	v_readfirstlane_b32 s42, v0
	s_lshl_b32 s42, s42, 7
	s_ashr_i32 s43, s42, 31
	s_delay_alu instid0(SALU_CYCLE_1)
	s_mul_u64 s[48:49], s[42:43], s[28:29]
	s_lshl_b64 s[42:43], s[42:43], 3
	s_lshl_b64 s[48:49], s[48:49], 3
	v_add_nc_u64_e32 v[50:51], s[42:43], v[80:81]
	s_add_nc_u64 s[46:47], s[46:47], s[48:49]
	v_add_nc_u64_e32 v[52:53], s[42:43], v[72:73]
	v_lshl_add_u64 v[18:19], v[68:69], 3, s[46:47]
	s_mul_u64 s[46:47], s[20:21], s[2:3]
	s_delay_alu instid0(SALU_CYCLE_1) | instskip(SKIP_1) | instid1(VALU_DEP_1)
	s_add_nc_u64 s[48:49], s[8:9], s[46:47]
	s_add_nc_u64 s[46:47], s[36:37], s[46:47]
	v_lshl_add_u64 v[20:21], s[28:29], 3, v[18:19]
	v_mad_nc_u64_u32 v[114:115], s28, v50, s[48:49]
	v_mad_nc_u64_u32 v[116:117], s28, v52, s[46:47]
	s_delay_alu instid0(VALU_DEP_3) | instskip(NEXT) | instid1(VALU_DEP_1)
	v_add_nc_u64_e32 v[22:23], s[34:35], v[20:21]
	v_add_nc_u64_e32 v[24:25], s[34:35], v[22:23]
	s_delay_alu instid0(VALU_DEP_1) | instskip(NEXT) | instid1(VALU_DEP_1)
	v_add_nc_u64_e32 v[26:27], s[34:35], v[24:25]
	v_add_nc_u64_e32 v[28:29], s[34:35], v[26:27]
	s_delay_alu instid0(VALU_DEP_1) | instskip(NEXT) | instid1(VALU_DEP_1)
	v_add_nc_u64_e32 v[30:31], s[34:35], v[28:29]
	v_add_nc_u64_e32 v[32:33], s[34:35], v[30:31]
	s_delay_alu instid0(VALU_DEP_1)
	v_add_nc_u64_e32 v[34:35], s[34:35], v[32:33]
	s_clause 0x5
	global_load_b64 v[0:1], v[18:19], off
	global_load_b64 v[2:3], v[20:21], off
	;; [unrolled: 1-line block ×9, first 2 shown]
	v_add_nc_u64_e32 v[36:37], s[34:35], v[34:35]
	s_wait_xcnt 0x0
	v_add_nc_u64_e32 v[34:35], 0x410, v[72:73]
	s_delay_alu instid0(VALU_DEP_2) | instskip(NEXT) | instid1(VALU_DEP_2)
	v_add_nc_u64_e32 v[38:39], s[34:35], v[36:37]
	v_add_nc_u64_e32 v[34:35], s[42:43], v[34:35]
	s_delay_alu instid0(VALU_DEP_2) | instskip(NEXT) | instid1(VALU_DEP_2)
	v_add_nc_u64_e32 v[40:41], s[34:35], v[38:39]
	v_mad_nc_u64_u32 v[86:87], s28, v34, s[48:49]
	s_delay_alu instid0(VALU_DEP_2) | instskip(NEXT) | instid1(VALU_DEP_2)
	v_add_nc_u64_e32 v[42:43], s[34:35], v[40:41]
	v_mad_u32 v34, s29, v34, v87
	s_delay_alu instid0(VALU_DEP_2) | instskip(NEXT) | instid1(VALU_DEP_1)
	v_add_nc_u64_e32 v[44:45], s[34:35], v[42:43]
	v_add_nc_u64_e32 v[46:47], s[34:35], v[44:45]
	s_delay_alu instid0(VALU_DEP_3) | instskip(SKIP_2) | instid1(VALU_DEP_4)
	v_mad_u32 v87, s28, v35, v34
	v_add_nc_u64_e32 v[34:35], s[42:43], v[48:49]
	v_add_nc_u64_e32 v[48:49], s[42:43], v[78:79]
	;; [unrolled: 1-line block ×3, first 2 shown]
	global_load_b64 v[18:19], v[36:37], off
	global_load_b64 v[20:21], v[38:39], off
	;; [unrolled: 1-line block ×7, first 2 shown]
	s_wait_xcnt 0x0
	v_add_nc_u64_e32 v[32:33], 0x400, v[72:73]
	v_add_nc_u64_e32 v[36:37], 0x418, v[72:73]
	;; [unrolled: 1-line block ×14, first 2 shown]
	v_mad_nc_u64_u32 v[84:85], s28, v32, s[48:49]
	v_mad_nc_u64_u32 v[88:89], s28, v36, s[48:49]
	;; [unrolled: 1-line block ×9, first 2 shown]
	v_mad_u32 v32, s29, v32, v85
	v_mad_u32 v36, s29, v36, v89
	v_mad_u32 v38, s29, v38, v91
	v_mad_u32 v40, s29, v40, v93
	v_mad_u32 v42, s29, v42, v95
	v_mad_u32 v44, s29, v44, v97
	v_mad_u32 v46, s29, v46, v99
	v_mad_u32 v34, s29, v34, v101
	v_mad_u32 v85, s28, v33, v32
	v_mad_u32 v89, s28, v37, v36
	v_add_nc_u64_e32 v[32:33], 0x450, v[72:73]
	v_mad_u32 v91, s28, v39, v38
	v_add_nc_u64_e32 v[36:37], 0x458, v[72:73]
	v_add_nc_u64_e32 v[38:39], 0x460, v[72:73]
	v_mad_u32 v93, s28, v41, v40
	v_mad_u32 v95, s28, v43, v42
	v_add_nc_u64_e32 v[40:41], s[42:43], v[74:75]
	v_add_nc_u64_e32 v[32:33], s[42:43], v[32:33]
	v_add_nc_u64_e32 v[42:43], s[42:43], v[76:77]
	v_add_nc_u64_e32 v[36:37], s[42:43], v[36:37]
	v_add_nc_u64_e32 v[38:39], s[42:43], v[38:39]
	s_mul_u64 s[42:43], s[16:17], s[2:3]
	v_mad_u32 v97, s28, v45, v44
	s_add_nc_u64 s[42:43], s[14:15], s[42:43]
	v_mad_nc_u64_u32 v[102:103], s28, v32, s[48:49]
	v_mad_nc_u64_u32 v[108:109], s28, v40, s[48:49]
	;; [unrolled: 1-line block ×6, first 2 shown]
	v_mad_u32 v44, s29, v48, v113
	v_mad_u32 v45, s29, v50, v115
	;; [unrolled: 1-line block ×14, first 2 shown]
	s_add_co_i32 s42, s1, -1
	s_mov_b32 s43, 0
	v_mad_u32 v103, s28, v33, v32
	v_mad_u32 v109, s28, v41, v40
	;; [unrolled: 1-line block ×6, first 2 shown]
	s_wait_loadcnt 0x0
	v_mov_b64_e32 v[62:63], v[30:31]
	v_mov_b64_e32 v[60:61], v[28:29]
	;; [unrolled: 1-line block ×16, first 2 shown]
.LBB58_8:                               ;   Parent Loop BB58_4 Depth=1
                                        ; =>  This Inner Loop Header: Depth=2
	v_add_nc_u64_e32 v[124:125], v[116:117], v[64:65]
	v_add_nc_u64_e32 v[134:135], s[40:41], v[118:119]
	s_cmp_eq_u32 s42, s43
	s_delay_alu instid0(VALU_DEP_2) | instskip(NEXT) | instid1(VALU_DEP_2)
	v_add_nc_u64_e32 v[126:127], s[34:35], v[124:125]
	v_add_nc_u64_e32 v[136:137], s[40:41], v[134:135]
	s_delay_alu instid0(VALU_DEP_2) | instskip(NEXT) | instid1(VALU_DEP_2)
	v_add_nc_u64_e32 v[138:139], s[34:35], v[126:127]
	v_add_nc_u64_e32 v[142:143], s[40:41], v[136:137]
	;; [unrolled: 3-line block ×3, first 2 shown]
	global_load_b64 v[130:131], v[118:119], off
	s_clause 0x3
	global_load_b64 v[132:133], v[124:125], off
	global_load_b64 v[128:129], v[126:127], off
	;; [unrolled: 1-line block ×4, first 2 shown]
	v_add_nc_u64_e32 v[146:147], s[34:35], v[140:141]
	v_add_nc_u64_e32 v[150:151], s[40:41], v[144:145]
	s_delay_alu instid0(VALU_DEP_2) | instskip(NEXT) | instid1(VALU_DEP_2)
	v_add_nc_u64_e32 v[152:153], s[34:35], v[146:147]
	v_add_nc_u64_e32 v[154:155], s[40:41], v[150:151]
	s_delay_alu instid0(VALU_DEP_2) | instskip(NEXT) | instid1(VALU_DEP_2)
	;; [unrolled: 3-line block ×3, first 2 shown]
	v_add_nc_u64_e32 v[160:161], s[34:35], v[156:157]
	v_add_nc_u64_e32 v[162:163], s[40:41], v[158:159]
	s_clause 0x3
	global_load_b64 v[148:149], v[134:135], off
	global_load_b64 v[140:141], v[136:137], off
	;; [unrolled: 1-line block ×4, first 2 shown]
	s_clause 0x3
	global_load_b64 v[136:137], v[146:147], off
	global_load_b64 v[144:145], v[152:153], off
	;; [unrolled: 1-line block ×4, first 2 shown]
	v_add_nc_u64_e32 v[164:165], s[34:35], v[160:161]
	v_add_nc_u64_e32 v[166:167], s[40:41], v[162:163]
	s_delay_alu instid0(VALU_DEP_2) | instskip(NEXT) | instid1(VALU_DEP_2)
	v_add_nc_u64_e32 v[168:169], s[34:35], v[164:165]
	v_add_nc_u64_e32 v[170:171], s[40:41], v[166:167]
	s_clause 0x3
	global_load_b64 v[174:175], v[150:151], off
	global_load_b64 v[160:161], v[154:155], off
	;; [unrolled: 1-line block ×4, first 2 shown]
	s_clause 0x1
	global_load_b64 v[152:153], v[164:165], off
	global_load_b64 v[156:157], v[168:169], off
	v_add_nc_u64_e32 v[172:173], s[34:35], v[168:169]
	v_add_nc_u64_e32 v[178:179], s[40:41], v[170:171]
	s_delay_alu instid0(VALU_DEP_2) | instskip(NEXT) | instid1(VALU_DEP_2)
	v_add_nc_u64_e32 v[182:183], s[34:35], v[172:173]
	v_add_nc_u64_e32 v[184:185], s[40:41], v[178:179]
	s_clause 0x1
	global_load_b64 v[186:187], v[166:167], off
	global_load_b64 v[176:177], v[170:171], off
	;; [unrolled: 1-line block ×6, first 2 shown]
	v_add_nc_u64_e32 v[190:191], s[34:35], v[182:183]
	v_add_nc_u64_e32 v[192:193], s[40:41], v[184:185]
	s_delay_alu instid0(VALU_DEP_2) | instskip(NEXT) | instid1(VALU_DEP_2)
	v_add_nc_u64_e32 v[194:195], s[34:35], v[190:191]
	v_add_nc_u64_e32 v[158:159], s[40:41], v[192:193]
	s_delay_alu instid0(VALU_DEP_2) | instskip(NEXT) | instid1(VALU_DEP_2)
	v_add_nc_u64_e32 v[168:169], s[34:35], v[194:195]
	v_add_nc_u64_e32 v[198:199], s[40:41], v[158:159]
	s_delay_alu instid0(VALU_DEP_2)
	v_add_nc_u64_e32 v[196:197], s[34:35], v[168:169]
	global_load_b64 v[184:185], v[190:191], off
	global_load_b64 v[178:179], v[192:193], off
	;; [unrolled: 1-line block ×7, first 2 shown]
	s_cbranch_scc1 .LBB58_10
; %bb.9:                                ;   in Loop: Header=BB58_8 Depth=2
	v_add_nc_u64_e32 v[32:33], v[84:85], v[64:65]
	v_add_nc_u64_e32 v[36:37], v[86:87], v[64:65]
	;; [unrolled: 1-line block ×16, first 2 shown]
	global_load_b64 v[32:33], v[32:33], off
	global_load_b64 v[34:35], v[34:35], off
	;; [unrolled: 1-line block ×16, first 2 shown]
.LBB58_10:                              ;   in Loop: Header=BB58_8 Depth=2
	s_wait_loadcnt 0x1f
	v_fmac_f64_e32 v[122:123], v[0:1], v[130:131]
	s_wait_loadcnt 0x1e
	v_fmac_f64_e32 v[120:121], v[132:133], v[130:131]
	v_add_nc_u64_e32 v[116:117], s[22:23], v[116:117]
	v_add_nc_u64_e32 v[84:85], s[22:23], v[84:85]
	;; [unrolled: 1-line block ×18, first 2 shown]
	s_add_co_i32 s43, s43, 1
	s_delay_alu instid0(SALU_CYCLE_1) | instskip(SKIP_4) | instid1(VALU_DEP_2)
	s_cmp_lt_i32 s43, s1
	s_wait_loadcnt 0x1a
	v_fmac_f64_e32 v[122:123], v[2:3], v[148:149]
	v_fmac_f64_e32 v[120:121], v[128:129], v[148:149]
	s_wait_loadcnt 0x19
	v_fmac_f64_e32 v[122:123], v[4:5], v[140:141]
	s_delay_alu instid0(VALU_DEP_2) | instskip(SKIP_1) | instid1(VALU_DEP_2)
	v_fmac_f64_e32 v[120:121], v[126:127], v[140:141]
	s_wait_loadcnt 0x18
	v_fmac_f64_e32 v[122:123], v[6:7], v[138:139]
	s_delay_alu instid0(VALU_DEP_2) | instskip(SKIP_1) | instid1(VALU_DEP_2)
	v_fmac_f64_e32 v[120:121], v[124:125], v[138:139]
	s_wait_loadcnt 0x17
	v_fmac_f64_e32 v[122:123], v[8:9], v[134:135]
	s_wait_loadcnt 0x16
	s_delay_alu instid0(VALU_DEP_2) | instskip(SKIP_1) | instid1(VALU_DEP_2)
	v_fmac_f64_e32 v[120:121], v[136:137], v[134:135]
	s_wait_loadcnt 0x12
	v_fmac_f64_e32 v[122:123], v[10:11], v[174:175]
	s_delay_alu instid0(VALU_DEP_2) | instskip(SKIP_1) | instid1(VALU_DEP_2)
	v_fmac_f64_e32 v[120:121], v[144:145], v[174:175]
	s_wait_loadcnt 0x11
	v_fmac_f64_e32 v[122:123], v[12:13], v[160:161]
	;; [unrolled: 4-line block ×4, first 2 shown]
	s_wait_loadcnt 0xe
	s_delay_alu instid0(VALU_DEP_2) | instskip(SKIP_1) | instid1(VALU_DEP_2)
	v_fmac_f64_e32 v[120:121], v[152:153], v[150:151]
	s_wait_loadcnt 0xc
	v_fmac_f64_e32 v[122:123], v[18:19], v[186:187]
	s_delay_alu instid0(VALU_DEP_2) | instskip(SKIP_1) | instid1(VALU_DEP_2)
	v_fmac_f64_e32 v[120:121], v[156:157], v[186:187]
	s_wait_loadcnt 0xb
	v_fmac_f64_e32 v[122:123], v[20:21], v[176:177]
	s_wait_loadcnt 0xa
	s_delay_alu instid0(VALU_DEP_2) | instskip(SKIP_1) | instid1(VALU_DEP_2)
	v_fmac_f64_e32 v[120:121], v[180:181], v[176:177]
	s_wait_loadcnt 0x9
	v_fmac_f64_e32 v[122:123], v[22:23], v[164:165]
	s_wait_loadcnt 0x8
	;; [unrolled: 5-line block ×5, first 2 shown]
	s_delay_alu instid0(VALU_DEP_2) | instskip(SKIP_1) | instid1(VALU_DEP_2)
	v_fmac_f64_e32 v[120:121], v[172:173], v[166:167]
	s_wait_loadcnt 0x0
	v_fmac_f64_e32 v[122:123], v[30:31], v[168:169]
	s_delay_alu instid0(VALU_DEP_2)
	v_fmac_f64_e32 v[120:121], v[158:159], v[168:169]
	s_cbranch_scc0 .LBB58_13
; %bb.11:                               ;   in Loop: Header=BB58_8 Depth=2
	v_mov_b64_e32 v[0:1], v[32:33]
	v_mov_b64_e32 v[2:3], v[34:35]
	;; [unrolled: 1-line block ×16, first 2 shown]
	s_branch .LBB58_8
.LBB58_12:                              ;   in Loop: Header=BB58_4 Depth=1
	v_mov_b64_e32 v[120:121], 0
	v_mov_b64_e32 v[122:123], 0
.LBB58_13:                              ;   in Loop: Header=BB58_4 Depth=1
	ds_store_2addr_stride64_b64 v188, v[122:123], v[120:121] offset1:1
	s_wait_dscnt 0x0
	s_barrier_signal -1
	s_barrier_wait -1
	s_wait_xcnt 0x0
	s_and_saveexec_b32 s1, s0
	s_cbranch_execz .LBB58_2
; %bb.14:                               ;   in Loop: Header=BB58_4 Depth=1
	ds_load_2addr_stride64_b64 v[0:3], v189 offset1:2
	s_mul_u64 s[42:43], s[30:31], s[2:3]
	s_wait_dscnt 0x0
	v_add_f64_e32 v[0:1], 0, v[0:1]
	s_delay_alu instid0(VALU_DEP_1) | instskip(SKIP_3) | instid1(VALU_DEP_1)
	v_add_f64_e32 v[4:5], v[0:1], v[2:3]
	ds_load_2addr_stride64_b64 v[0:3], v189 offset0:4 offset1:6
	s_wait_dscnt 0x0
	v_add_f64_e32 v[0:1], v[4:5], v[0:1]
	v_add_f64_e32 v[4:5], v[0:1], v[2:3]
	ds_load_2addr_stride64_b64 v[0:3], v189 offset0:8 offset1:10
	s_wait_dscnt 0x0
	v_add_f64_e32 v[0:1], v[4:5], v[0:1]
	s_delay_alu instid0(VALU_DEP_1) | instskip(SKIP_3) | instid1(VALU_DEP_1)
	v_add_f64_e32 v[4:5], v[0:1], v[2:3]
	ds_load_2addr_stride64_b64 v[0:3], v189 offset0:12 offset1:14
	s_wait_dscnt 0x0
	v_add_f64_e32 v[0:1], v[4:5], v[0:1]
	v_add_f64_e32 v[0:1], v[0:1], v[2:3]
	v_lshl_add_u64 v[2:3], s[42:43], 3, v[70:71]
	s_delay_alu instid0(VALU_DEP_2)
	v_mul_f64_e32 v[0:1], v[82:83], v[0:1]
	global_atomic_add_f64 v[2:3], v[0:1], off scope:SCOPE_DEV
	s_branch .LBB58_2
.LBB58_15:
	s_sendmsg sendmsg(MSG_DEALLOC_VGPRS)
	s_endpgm
	.section	.rodata,"a",@progbits
	.p2align	6, 0x0
	.amdhsa_kernel _ZL36rocblas_gemvn_double_buffered_kernelILi128ELi4ELi16EdPKddEviiT3_lPKT2_lilS5_lilPT4_lili
		.amdhsa_group_segment_fixed_size 8192
		.amdhsa_private_segment_fixed_size 0
		.amdhsa_kernarg_size 384
		.amdhsa_user_sgpr_count 2
		.amdhsa_user_sgpr_dispatch_ptr 0
		.amdhsa_user_sgpr_queue_ptr 0
		.amdhsa_user_sgpr_kernarg_segment_ptr 1
		.amdhsa_user_sgpr_dispatch_id 0
		.amdhsa_user_sgpr_kernarg_preload_length 0
		.amdhsa_user_sgpr_kernarg_preload_offset 0
		.amdhsa_user_sgpr_private_segment_size 0
		.amdhsa_wavefront_size32 1
		.amdhsa_uses_dynamic_stack 0
		.amdhsa_enable_private_segment 0
		.amdhsa_system_sgpr_workgroup_id_x 1
		.amdhsa_system_sgpr_workgroup_id_y 1
		.amdhsa_system_sgpr_workgroup_id_z 1
		.amdhsa_system_sgpr_workgroup_info 0
		.amdhsa_system_vgpr_workitem_id 1
		.amdhsa_next_free_vgpr 200
		.amdhsa_next_free_sgpr 50
		.amdhsa_named_barrier_count 0
		.amdhsa_reserve_vcc 1
		.amdhsa_float_round_mode_32 0
		.amdhsa_float_round_mode_16_64 0
		.amdhsa_float_denorm_mode_32 3
		.amdhsa_float_denorm_mode_16_64 3
		.amdhsa_fp16_overflow 0
		.amdhsa_memory_ordered 1
		.amdhsa_forward_progress 1
		.amdhsa_inst_pref_size 26
		.amdhsa_round_robin_scheduling 0
		.amdhsa_exception_fp_ieee_invalid_op 0
		.amdhsa_exception_fp_denorm_src 0
		.amdhsa_exception_fp_ieee_div_zero 0
		.amdhsa_exception_fp_ieee_overflow 0
		.amdhsa_exception_fp_ieee_underflow 0
		.amdhsa_exception_fp_ieee_inexact 0
		.amdhsa_exception_int_div_zero 0
	.end_amdhsa_kernel
	.section	.text._ZL36rocblas_gemvn_double_buffered_kernelILi128ELi4ELi16EdPKddEviiT3_lPKT2_lilS5_lilPT4_lili,"axG",@progbits,_ZL36rocblas_gemvn_double_buffered_kernelILi128ELi4ELi16EdPKddEviiT3_lPKT2_lilS5_lilPT4_lili,comdat
.Lfunc_end58:
	.size	_ZL36rocblas_gemvn_double_buffered_kernelILi128ELi4ELi16EdPKddEviiT3_lPKT2_lilS5_lilPT4_lili, .Lfunc_end58-_ZL36rocblas_gemvn_double_buffered_kernelILi128ELi4ELi16EdPKddEviiT3_lPKT2_lilS5_lilPT4_lili
                                        ; -- End function
	.set _ZL36rocblas_gemvn_double_buffered_kernelILi128ELi4ELi16EdPKddEviiT3_lPKT2_lilS5_lilPT4_lili.num_vgpr, 200
	.set _ZL36rocblas_gemvn_double_buffered_kernelILi128ELi4ELi16EdPKddEviiT3_lPKT2_lilS5_lilPT4_lili.num_agpr, 0
	.set _ZL36rocblas_gemvn_double_buffered_kernelILi128ELi4ELi16EdPKddEviiT3_lPKT2_lilS5_lilPT4_lili.numbered_sgpr, 50
	.set _ZL36rocblas_gemvn_double_buffered_kernelILi128ELi4ELi16EdPKddEviiT3_lPKT2_lilS5_lilPT4_lili.num_named_barrier, 0
	.set _ZL36rocblas_gemvn_double_buffered_kernelILi128ELi4ELi16EdPKddEviiT3_lPKT2_lilS5_lilPT4_lili.private_seg_size, 0
	.set _ZL36rocblas_gemvn_double_buffered_kernelILi128ELi4ELi16EdPKddEviiT3_lPKT2_lilS5_lilPT4_lili.uses_vcc, 1
	.set _ZL36rocblas_gemvn_double_buffered_kernelILi128ELi4ELi16EdPKddEviiT3_lPKT2_lilS5_lilPT4_lili.uses_flat_scratch, 0
	.set _ZL36rocblas_gemvn_double_buffered_kernelILi128ELi4ELi16EdPKddEviiT3_lPKT2_lilS5_lilPT4_lili.has_dyn_sized_stack, 0
	.set _ZL36rocblas_gemvn_double_buffered_kernelILi128ELi4ELi16EdPKddEviiT3_lPKT2_lilS5_lilPT4_lili.has_recursion, 0
	.set _ZL36rocblas_gemvn_double_buffered_kernelILi128ELi4ELi16EdPKddEviiT3_lPKT2_lilS5_lilPT4_lili.has_indirect_call, 0
	.section	.AMDGPU.csdata,"",@progbits
; Kernel info:
; codeLenInByte = 3308
; TotalNumSgprs: 52
; NumVgprs: 200
; ScratchSize: 0
; MemoryBound: 1
; FloatMode: 240
; IeeeMode: 1
; LDSByteSize: 8192 bytes/workgroup (compile time only)
; SGPRBlocks: 0
; VGPRBlocks: 12
; NumSGPRsForWavesPerEU: 52
; NumVGPRsForWavesPerEU: 200
; NamedBarCnt: 0
; Occupancy: 4
; WaveLimiterHint : 0
; COMPUTE_PGM_RSRC2:SCRATCH_EN: 0
; COMPUTE_PGM_RSRC2:USER_SGPR: 2
; COMPUTE_PGM_RSRC2:TRAP_HANDLER: 0
; COMPUTE_PGM_RSRC2:TGID_X_EN: 1
; COMPUTE_PGM_RSRC2:TGID_Y_EN: 1
; COMPUTE_PGM_RSRC2:TGID_Z_EN: 1
; COMPUTE_PGM_RSRC2:TIDIG_COMP_CNT: 1
	.section	.text._ZL36rocblas_gemvn_double_buffered_kernelILi128ELi4ELi16EdddEviiT3_lPKT2_lilS3_lilPT4_lili,"axG",@progbits,_ZL36rocblas_gemvn_double_buffered_kernelILi128ELi4ELi16EdddEviiT3_lPKT2_lilS3_lilPT4_lili,comdat
	.globl	_ZL36rocblas_gemvn_double_buffered_kernelILi128ELi4ELi16EdddEviiT3_lPKT2_lilS3_lilPT4_lili ; -- Begin function _ZL36rocblas_gemvn_double_buffered_kernelILi128ELi4ELi16EdddEviiT3_lPKT2_lilS3_lilPT4_lili
	.p2align	8
	.type	_ZL36rocblas_gemvn_double_buffered_kernelILi128ELi4ELi16EdddEviiT3_lPKT2_lilS3_lilPT4_lili,@function
_ZL36rocblas_gemvn_double_buffered_kernelILi128ELi4ELi16EdddEviiT3_lPKT2_lilS3_lilPT4_lili: ; @_ZL36rocblas_gemvn_double_buffered_kernelILi128ELi4ELi16EdddEviiT3_lPKT2_lilS3_lilPT4_lili
; %bb.0:
	s_load_b32 s33, s[0:1], 0x78
	s_bfe_u32 s2, ttmp6, 0x40014
	s_lshr_b32 s3, ttmp7, 16
	s_add_co_i32 s2, s2, 1
	s_bfe_u32 s4, ttmp6, 0x40008
	s_mul_i32 s2, s3, s2
	s_getreg_b32 s19, hwreg(HW_REG_IB_STS2, 6, 4)
	s_add_co_i32 s4, s4, s2
	s_cmp_eq_u32 s19, 0
	s_cselect_b32 s2, s3, s4
	s_mov_b32 s3, 0
	s_wait_kmcnt 0x0
	s_cmp_ge_u32 s2, s33
	s_cbranch_scc1 .LBB59_15
; %bb.1:
	s_clause 0x6
	s_load_b32 s24, s[0:1], 0x28
	s_load_b96 s[16:18], s[0:1], 0x40
	s_load_b32 s28, s[0:1], 0x4
	s_load_b96 s[20:22], s[0:1], 0x60
	s_load_b128 s[12:15], s[0:1], 0x18
	s_load_b64 s[26:27], s[0:1], 0x8
	s_load_b128 s[8:11], s[0:1], 0x50
	s_bfe_u32 s25, ttmp6, 0x4000c
	s_bfe_u32 s29, ttmp6, 0x40010
	s_and_b32 s36, ttmp7, 0xffff
	s_add_co_i32 s25, s25, 1
	s_add_co_i32 s29, s29, 1
	s_and_b32 s23, ttmp6, 15
	s_bfe_u32 s37, ttmp6, 0x40004
	s_mul_i32 s25, ttmp9, s25
	s_mul_i32 s38, s36, s29
	s_add_co_i32 s39, s23, s25
	s_add_co_i32 s37, s37, s38
	v_mov_b32_e32 v65, 0
	v_and_b32_e32 v4, 0x3ff, v0
	s_wait_kmcnt 0x0
	s_ashr_i32 s25, s24, 31
	s_ashr_i32 s23, s18, 31
	;; [unrolled: 1-line block ×4, first 2 shown]
	s_lshr_b32 s34, s30, 25
	s_lshl_b64 s[30:31], s[20:21], 3
	s_add_co_i32 s28, s28, s34
	s_lshl_b64 s[34:35], s[14:15], 3
	s_ashr_i32 s14, s28, 7
	s_cmp_eq_u32 s19, 0
	v_dual_mov_b32 v5, v65 :: v_dual_bitop2_b32 v64, 63, v0 bitop3:0x40
	s_cselect_b32 s42, s36, s37
	v_bfe_u32 v1, v0, 10, 10
	v_cvt_f64_i32_e32 v[2:3], s42
	s_mov_b32 s28, s22
	s_cselect_b32 s15, ttmp9, s39
	v_mul_u64_e32 v[6:7], s[28:29], v[4:5]
	v_lshl_add_u32 v5, v1, 7, v4
	s_clause 0x1
	s_load_b128 s[4:7], s[0:1], 0x30
	s_load_b64 s[20:21], s[0:1], 0x70
	s_add_nc_u64 s[30:31], s[10:11], s[30:31]
	s_add_nc_u64 s[10:11], s[0:1], 0x80
	s_wait_xcnt 0x0
	s_lshl_b32 s0, s15, 7
	v_lshrrev_b32_e32 v5, 6, v5
	s_ashr_i32 s1, s0, 31
	v_dual_lshlrev_b32 v187, 3, v4 :: v_dual_mov_b32 v73, v65
	s_lshl_b64 s[38:39], s[0:1], 3
	s_mul_u64 s[0:1], s[28:29], s[0:1]
	v_lshlrev_b32_e32 v0, 4, v5
	s_lshl_b64 s[0:1], s[0:1], 3
	s_lshl_b32 s40, s18, 7
	s_add_nc_u64 s[30:31], s[30:31], s[0:1]
	v_cmp_neq_f64_e64 s1, s[26:27], 0
	v_cmp_eq_u32_e64 s0, 0, v1
	s_mov_b32 s22, s18
	s_add_nc_u64 s[36:37], s[12:13], s[34:35]
	s_ashr_i32 s41, s40, 31
	s_lshl_b64 s[16:17], s[16:17], 3
	s_add_nc_u64 s[28:29], s[36:37], s[38:39]
	s_lshl_b64 s[18:19], s[24:25], 10
	s_mov_b32 s15, s3
	s_wait_kmcnt 0x0
	s_lshl_b64 s[36:37], s[4:5], 3
	s_add_nc_u64 s[6:7], s[6:7], s[16:17]
	v_dual_max_num_f64 v[66:67], v[2:3], v[2:3] :: v_dual_lshlrev_b32 v72, 7, v5
	v_mad_nc_i64_i32 v[68:69], s24, v0, v[64:65]
	v_lshlrev_b32_e32 v64, 3, v64
	v_lshl_add_u64 v[70:71], v[6:7], 3, s[30:31]
	s_delay_alu instid0(VALU_DEP_4)
	v_add_nc_u64_e32 v[74:75], 0x468, v[72:73]
	v_add_nc_u64_e32 v[76:77], 0x470, v[72:73]
	;; [unrolled: 1-line block ×4, first 2 shown]
	s_add_nc_u64 s[30:31], s[34:35], s[38:39]
	v_lshl_or_b32 v186, v5, 10, v64
	s_add_nc_u64 s[12:13], s[12:13], s[30:31]
	s_lshl_b64 s[30:31], s[24:25], 3
	s_add_nc_u64 s[34:35], s[12:13], 0x200
	s_lshl_b64 s[8:9], s[8:9], 3
	s_lshl_b64 s[16:17], s[40:41], 3
	s_lshl_b64 s[38:39], s[22:23], 3
	s_branch .LBB59_4
.LBB59_2:                               ;   in Loop: Header=BB59_4 Depth=1
	s_wait_xcnt 0x0
	s_or_b32 exec_lo, exec_lo, s40
.LBB59_3:                               ;   in Loop: Header=BB59_4 Depth=1
	s_add_co_i32 s2, s2, 0x10000
	s_delay_alu instid0(SALU_CYCLE_1)
	s_cmp_lt_u32 s2, s33
	s_cbranch_scc0 .LBB59_15
.LBB59_4:                               ; =>This Loop Header: Depth=1
                                        ;     Child Loop BB59_8 Depth 2
	s_and_not1_b32 vcc_lo, exec_lo, s1
	s_cbranch_vccnz .LBB59_3
; %bb.5:                                ;   in Loop: Header=BB59_4 Depth=1
	s_load_b32 s43, s[10:11], 0x4
	s_wait_kmcnt 0x0
	s_cvt_f32_u32 s40, s43
	s_sub_co_i32 s41, 0, s43
	s_delay_alu instid0(SALU_CYCLE_2) | instskip(SKIP_1) | instid1(TRANS32_DEP_1)
	v_rcp_iflag_f32_e32 v0, s40
	v_nop
	v_readfirstlane_b32 s40, v0
	s_mul_f32 s40, s40, 0x4f7ffffe
	s_delay_alu instid0(SALU_CYCLE_3) | instskip(NEXT) | instid1(SALU_CYCLE_3)
	s_cvt_u32_f32 s40, s40
	s_mul_i32 s41, s41, s40
	s_delay_alu instid0(SALU_CYCLE_1) | instskip(NEXT) | instid1(SALU_CYCLE_1)
	s_mul_hi_u32 s41, s40, s41
	s_add_co_i32 s40, s40, s41
	s_mov_b32 s41, s3
	s_delay_alu instid0(SALU_CYCLE_1) | instskip(NEXT) | instid1(SALU_CYCLE_1)
	s_mul_u64 s[40:41], s[14:15], s[40:41]
	s_mul_i32 s40, s41, s43
	s_add_co_i32 s44, s41, 1
	s_sub_co_i32 s40, s14, s40
	s_delay_alu instid0(SALU_CYCLE_1)
	s_sub_co_i32 s45, s40, s43
	s_cmp_ge_u32 s40, s43
	s_cselect_b32 s41, s44, s41
	s_cselect_b32 s40, s45, s40
	s_add_co_i32 s44, s41, 1
	s_cmp_ge_u32 s40, s43
	s_cselect_b32 s40, s44, s41
	s_delay_alu instid0(SALU_CYCLE_1) | instskip(NEXT) | instid1(SALU_CYCLE_1)
	s_mul_i32 s41, s40, s43
	s_sub_co_i32 s41, s14, s41
	s_delay_alu instid0(SALU_CYCLE_1) | instskip(SKIP_1) | instid1(SALU_CYCLE_1)
	s_cmp_lt_u32 s42, s41
	s_cselect_b32 s43, -1, 0
	s_cmp_lg_u32 s43, 0
	s_add_co_ci_u32 s43, s40, 0
	s_delay_alu instid0(SALU_CYCLE_1)
	s_cmp_eq_u32 s43, 0
	s_cbranch_scc1 .LBB59_3
; %bb.6:                                ;   in Loop: Header=BB59_4 Depth=1
	s_cmp_lt_i32 s43, 1
	s_cbranch_scc1 .LBB59_12
; %bb.7:                                ;   in Loop: Header=BB59_4 Depth=1
	v_cvt_f64_u32_e32 v[0:1], s41
	s_mul_i32 s40, s40, s42
	s_mul_u64 s[44:45], s[4:5], s[2:3]
	v_cvt_f64_u32_e32 v[2:3], s40
	s_lshl_b64 s[44:45], s[44:45], 3
	v_add_nc_u64_e32 v[48:49], 0x448, v[72:73]
	s_add_nc_u64 s[44:45], s[28:29], s[44:45]
	v_mov_b64_e32 v[118:119], 0
	v_mov_b64_e32 v[120:121], 0
	v_min_num_f64_e32 v[0:1], v[66:67], v[0:1]
	s_delay_alu instid0(VALU_DEP_1) | instskip(NEXT) | instid1(VALU_DEP_1)
	v_add_f64_e32 v[0:1], v[0:1], v[2:3]
	v_cvt_i32_f64_e32 v0, v[0:1]
	s_delay_alu instid0(VALU_DEP_1) | instskip(SKIP_1) | instid1(SALU_CYCLE_1)
	v_readfirstlane_b32 s40, v0
	s_lshl_b32 s40, s40, 7
	s_ashr_i32 s41, s40, 31
	s_delay_alu instid0(SALU_CYCLE_1)
	s_mul_u64 s[46:47], s[40:41], s[24:25]
	s_lshl_b64 s[40:41], s[40:41], 3
	s_lshl_b64 s[46:47], s[46:47], 3
	v_add_nc_u64_e32 v[50:51], s[40:41], v[80:81]
	s_add_nc_u64 s[44:45], s[44:45], s[46:47]
	v_add_nc_u64_e32 v[52:53], s[40:41], v[72:73]
	v_lshl_add_u64 v[18:19], v[68:69], 3, s[44:45]
	s_mul_u64 s[44:45], s[36:37], s[2:3]
	s_delay_alu instid0(SALU_CYCLE_1) | instskip(SKIP_1) | instid1(VALU_DEP_1)
	s_add_nc_u64 s[46:47], s[12:13], s[44:45]
	s_add_nc_u64 s[44:45], s[34:35], s[44:45]
	v_lshl_add_u64 v[20:21], s[24:25], 3, v[18:19]
	v_mad_nc_u64_u32 v[112:113], s24, v50, s[46:47]
	v_mad_nc_u64_u32 v[114:115], s24, v52, s[44:45]
	s_delay_alu instid0(VALU_DEP_3) | instskip(NEXT) | instid1(VALU_DEP_1)
	v_add_nc_u64_e32 v[22:23], s[30:31], v[20:21]
	v_add_nc_u64_e32 v[24:25], s[30:31], v[22:23]
	s_delay_alu instid0(VALU_DEP_1) | instskip(NEXT) | instid1(VALU_DEP_1)
	v_add_nc_u64_e32 v[26:27], s[30:31], v[24:25]
	v_add_nc_u64_e32 v[28:29], s[30:31], v[26:27]
	s_delay_alu instid0(VALU_DEP_1) | instskip(NEXT) | instid1(VALU_DEP_1)
	v_add_nc_u64_e32 v[30:31], s[30:31], v[28:29]
	v_add_nc_u64_e32 v[32:33], s[30:31], v[30:31]
	s_delay_alu instid0(VALU_DEP_1)
	v_add_nc_u64_e32 v[34:35], s[30:31], v[32:33]
	s_clause 0x5
	global_load_b64 v[0:1], v[18:19], off
	global_load_b64 v[2:3], v[20:21], off
	;; [unrolled: 1-line block ×9, first 2 shown]
	v_add_nc_u64_e32 v[36:37], s[30:31], v[34:35]
	s_wait_xcnt 0x0
	v_add_nc_u64_e32 v[34:35], 0x410, v[72:73]
	s_delay_alu instid0(VALU_DEP_2) | instskip(NEXT) | instid1(VALU_DEP_2)
	v_add_nc_u64_e32 v[38:39], s[30:31], v[36:37]
	v_add_nc_u64_e32 v[34:35], s[40:41], v[34:35]
	s_delay_alu instid0(VALU_DEP_2) | instskip(NEXT) | instid1(VALU_DEP_2)
	v_add_nc_u64_e32 v[40:41], s[30:31], v[38:39]
	v_mad_nc_u64_u32 v[84:85], s24, v34, s[46:47]
	s_delay_alu instid0(VALU_DEP_2) | instskip(NEXT) | instid1(VALU_DEP_2)
	v_add_nc_u64_e32 v[42:43], s[30:31], v[40:41]
	v_mad_u32 v34, s25, v34, v85
	s_delay_alu instid0(VALU_DEP_2) | instskip(NEXT) | instid1(VALU_DEP_1)
	v_add_nc_u64_e32 v[44:45], s[30:31], v[42:43]
	v_add_nc_u64_e32 v[46:47], s[30:31], v[44:45]
	s_delay_alu instid0(VALU_DEP_3) | instskip(SKIP_2) | instid1(VALU_DEP_4)
	v_mad_u32 v85, s24, v35, v34
	v_add_nc_u64_e32 v[34:35], s[40:41], v[48:49]
	v_add_nc_u64_e32 v[48:49], s[40:41], v[78:79]
	;; [unrolled: 1-line block ×3, first 2 shown]
	global_load_b64 v[18:19], v[36:37], off
	global_load_b64 v[20:21], v[38:39], off
	;; [unrolled: 1-line block ×7, first 2 shown]
	s_wait_xcnt 0x0
	v_add_nc_u64_e32 v[32:33], 0x400, v[72:73]
	v_add_nc_u64_e32 v[36:37], 0x418, v[72:73]
	v_add_nc_u64_e32 v[38:39], 0x420, v[72:73]
	v_add_nc_u64_e32 v[40:41], 0x428, v[72:73]
	v_add_nc_u64_e32 v[42:43], 0x430, v[72:73]
	v_add_nc_u64_e32 v[44:45], 0x438, v[72:73]
	v_add_nc_u64_e32 v[46:47], 0x440, v[72:73]
	v_add_nc_u64_e32 v[32:33], s[40:41], v[32:33]
	v_add_nc_u64_e32 v[36:37], s[40:41], v[36:37]
	v_add_nc_u64_e32 v[38:39], s[40:41], v[38:39]
	v_add_nc_u64_e32 v[40:41], s[40:41], v[40:41]
	v_add_nc_u64_e32 v[42:43], s[40:41], v[42:43]
	v_add_nc_u64_e32 v[44:45], s[40:41], v[44:45]
	v_add_nc_u64_e32 v[46:47], s[40:41], v[46:47]
	v_mad_nc_u64_u32 v[82:83], s24, v32, s[46:47]
	v_mad_nc_u64_u32 v[86:87], s24, v36, s[46:47]
	;; [unrolled: 1-line block ×9, first 2 shown]
	v_mad_u32 v32, s25, v32, v83
	v_mad_u32 v36, s25, v36, v87
	v_mad_u32 v38, s25, v38, v89
	v_mad_u32 v40, s25, v40, v91
	v_mad_u32 v42, s25, v42, v93
	v_mad_u32 v44, s25, v44, v95
	v_mad_u32 v46, s25, v46, v97
	v_mad_u32 v34, s25, v34, v99
	v_mad_u32 v83, s24, v33, v32
	v_mad_u32 v87, s24, v37, v36
	v_add_nc_u64_e32 v[32:33], 0x450, v[72:73]
	v_mad_u32 v89, s24, v39, v38
	v_add_nc_u64_e32 v[36:37], 0x458, v[72:73]
	v_add_nc_u64_e32 v[38:39], 0x460, v[72:73]
	v_mad_u32 v91, s24, v41, v40
	v_mad_u32 v93, s24, v43, v42
	v_add_nc_u64_e32 v[40:41], s[40:41], v[74:75]
	v_add_nc_u64_e32 v[32:33], s[40:41], v[32:33]
	;; [unrolled: 1-line block ×5, first 2 shown]
	s_mul_u64 s[40:41], s[8:9], s[2:3]
	v_mad_u32 v95, s24, v45, v44
	s_add_nc_u64 s[40:41], s[6:7], s[40:41]
	v_mad_nc_u64_u32 v[100:101], s24, v32, s[46:47]
	v_mad_nc_u64_u32 v[106:107], s24, v40, s[46:47]
	;; [unrolled: 1-line block ×6, first 2 shown]
	v_mad_u32 v44, s25, v48, v111
	v_mad_u32 v45, s25, v50, v113
	v_mad_u32 v48, s25, v52, v115
	v_mad_u32 v97, s24, v47, v46
	v_mad_u32 v99, s24, v35, v34
	v_mad_u32 v32, s25, v32, v101
	v_mad_u32 v40, s25, v40, v107
	v_mad_u32 v36, s25, v36, v103
	v_mad_u32 v38, s25, v38, v105
	v_mad_u32 v42, s25, v42, v109
	v_mad_u32 v50, s23, v52, v117
	v_mad_u32 v111, s24, v49, v44
	v_mad_u32 v113, s24, v51, v45
	v_mad_u32 v115, s24, v53, v48
	s_add_co_i32 s40, s43, -1
	s_mov_b32 s41, 0
	v_mad_u32 v101, s24, v33, v32
	v_mad_u32 v107, s24, v41, v40
	v_mad_u32 v103, s24, v37, v36
	v_mad_u32 v105, s24, v39, v38
	v_mad_u32 v109, s24, v43, v42
	v_mad_u32 v117, s22, v53, v50
	s_wait_loadcnt 0x0
	v_mov_b64_e32 v[62:63], v[30:31]
	v_mov_b64_e32 v[60:61], v[28:29]
	;; [unrolled: 1-line block ×16, first 2 shown]
.LBB59_8:                               ;   Parent Loop BB59_4 Depth=1
                                        ; =>  This Inner Loop Header: Depth=2
	v_add_nc_u64_e32 v[122:123], v[114:115], v[64:65]
	v_add_nc_u64_e32 v[132:133], s[38:39], v[116:117]
	s_cmp_eq_u32 s40, s41
	s_delay_alu instid0(VALU_DEP_2) | instskip(NEXT) | instid1(VALU_DEP_2)
	v_add_nc_u64_e32 v[124:125], s[30:31], v[122:123]
	v_add_nc_u64_e32 v[134:135], s[38:39], v[132:133]
	s_delay_alu instid0(VALU_DEP_2) | instskip(NEXT) | instid1(VALU_DEP_2)
	v_add_nc_u64_e32 v[136:137], s[30:31], v[124:125]
	v_add_nc_u64_e32 v[140:141], s[38:39], v[134:135]
	;; [unrolled: 3-line block ×3, first 2 shown]
	global_load_b64 v[128:129], v[116:117], off
	s_clause 0x3
	global_load_b64 v[130:131], v[122:123], off
	global_load_b64 v[126:127], v[124:125], off
	;; [unrolled: 1-line block ×4, first 2 shown]
	v_add_nc_u64_e32 v[144:145], s[30:31], v[138:139]
	v_add_nc_u64_e32 v[148:149], s[38:39], v[142:143]
	s_delay_alu instid0(VALU_DEP_2) | instskip(NEXT) | instid1(VALU_DEP_2)
	v_add_nc_u64_e32 v[150:151], s[30:31], v[144:145]
	v_add_nc_u64_e32 v[152:153], s[38:39], v[148:149]
	s_delay_alu instid0(VALU_DEP_2) | instskip(NEXT) | instid1(VALU_DEP_2)
	;; [unrolled: 3-line block ×3, first 2 shown]
	v_add_nc_u64_e32 v[158:159], s[30:31], v[154:155]
	v_add_nc_u64_e32 v[160:161], s[38:39], v[156:157]
	s_clause 0x3
	global_load_b64 v[146:147], v[132:133], off
	global_load_b64 v[138:139], v[134:135], off
	;; [unrolled: 1-line block ×4, first 2 shown]
	s_clause 0x3
	global_load_b64 v[134:135], v[144:145], off
	global_load_b64 v[142:143], v[150:151], off
	;; [unrolled: 1-line block ×4, first 2 shown]
	v_add_nc_u64_e32 v[162:163], s[30:31], v[158:159]
	v_add_nc_u64_e32 v[164:165], s[38:39], v[160:161]
	s_delay_alu instid0(VALU_DEP_2) | instskip(NEXT) | instid1(VALU_DEP_2)
	v_add_nc_u64_e32 v[166:167], s[30:31], v[162:163]
	v_add_nc_u64_e32 v[168:169], s[38:39], v[164:165]
	s_clause 0x3
	global_load_b64 v[172:173], v[148:149], off
	global_load_b64 v[158:159], v[152:153], off
	;; [unrolled: 1-line block ×4, first 2 shown]
	s_clause 0x1
	global_load_b64 v[150:151], v[162:163], off
	global_load_b64 v[154:155], v[166:167], off
	v_add_nc_u64_e32 v[170:171], s[30:31], v[166:167]
	v_add_nc_u64_e32 v[176:177], s[38:39], v[168:169]
	s_delay_alu instid0(VALU_DEP_2) | instskip(NEXT) | instid1(VALU_DEP_2)
	v_add_nc_u64_e32 v[180:181], s[30:31], v[170:171]
	v_add_nc_u64_e32 v[182:183], s[38:39], v[176:177]
	s_clause 0x1
	global_load_b64 v[184:185], v[164:165], off
	global_load_b64 v[174:175], v[168:169], off
	;; [unrolled: 1-line block ×6, first 2 shown]
	v_add_nc_u64_e32 v[188:189], s[30:31], v[180:181]
	v_add_nc_u64_e32 v[190:191], s[38:39], v[182:183]
	s_delay_alu instid0(VALU_DEP_2) | instskip(NEXT) | instid1(VALU_DEP_2)
	v_add_nc_u64_e32 v[192:193], s[30:31], v[188:189]
	v_add_nc_u64_e32 v[156:157], s[38:39], v[190:191]
	s_delay_alu instid0(VALU_DEP_2) | instskip(NEXT) | instid1(VALU_DEP_2)
	v_add_nc_u64_e32 v[166:167], s[30:31], v[192:193]
	v_add_nc_u64_e32 v[196:197], s[38:39], v[156:157]
	s_delay_alu instid0(VALU_DEP_2)
	v_add_nc_u64_e32 v[194:195], s[30:31], v[166:167]
	global_load_b64 v[182:183], v[188:189], off
	global_load_b64 v[176:177], v[190:191], off
	;; [unrolled: 1-line block ×7, first 2 shown]
	s_cbranch_scc1 .LBB59_10
; %bb.9:                                ;   in Loop: Header=BB59_8 Depth=2
	v_add_nc_u64_e32 v[32:33], v[82:83], v[64:65]
	v_add_nc_u64_e32 v[36:37], v[84:85], v[64:65]
	;; [unrolled: 1-line block ×16, first 2 shown]
	global_load_b64 v[32:33], v[32:33], off
	global_load_b64 v[34:35], v[34:35], off
	;; [unrolled: 1-line block ×16, first 2 shown]
.LBB59_10:                              ;   in Loop: Header=BB59_8 Depth=2
	s_wait_loadcnt 0x1f
	v_fmac_f64_e32 v[120:121], v[0:1], v[128:129]
	s_wait_loadcnt 0x1e
	v_fmac_f64_e32 v[118:119], v[130:131], v[128:129]
	v_add_nc_u64_e32 v[114:115], s[18:19], v[114:115]
	v_add_nc_u64_e32 v[82:83], s[18:19], v[82:83]
	;; [unrolled: 1-line block ×18, first 2 shown]
	s_add_co_i32 s41, s41, 1
	s_delay_alu instid0(SALU_CYCLE_1) | instskip(SKIP_4) | instid1(VALU_DEP_2)
	s_cmp_lt_i32 s41, s43
	s_wait_loadcnt 0x1a
	v_fmac_f64_e32 v[120:121], v[2:3], v[146:147]
	v_fmac_f64_e32 v[118:119], v[126:127], v[146:147]
	s_wait_loadcnt 0x19
	v_fmac_f64_e32 v[120:121], v[4:5], v[138:139]
	s_delay_alu instid0(VALU_DEP_2) | instskip(SKIP_1) | instid1(VALU_DEP_2)
	v_fmac_f64_e32 v[118:119], v[124:125], v[138:139]
	s_wait_loadcnt 0x18
	v_fmac_f64_e32 v[120:121], v[6:7], v[136:137]
	s_delay_alu instid0(VALU_DEP_2) | instskip(SKIP_1) | instid1(VALU_DEP_2)
	v_fmac_f64_e32 v[118:119], v[122:123], v[136:137]
	s_wait_loadcnt 0x17
	v_fmac_f64_e32 v[120:121], v[8:9], v[132:133]
	s_wait_loadcnt 0x16
	s_delay_alu instid0(VALU_DEP_2) | instskip(SKIP_1) | instid1(VALU_DEP_2)
	v_fmac_f64_e32 v[118:119], v[134:135], v[132:133]
	s_wait_loadcnt 0x12
	v_fmac_f64_e32 v[120:121], v[10:11], v[172:173]
	s_delay_alu instid0(VALU_DEP_2) | instskip(SKIP_1) | instid1(VALU_DEP_2)
	v_fmac_f64_e32 v[118:119], v[142:143], v[172:173]
	s_wait_loadcnt 0x11
	v_fmac_f64_e32 v[120:121], v[12:13], v[158:159]
	;; [unrolled: 4-line block ×4, first 2 shown]
	s_wait_loadcnt 0xe
	s_delay_alu instid0(VALU_DEP_2) | instskip(SKIP_1) | instid1(VALU_DEP_2)
	v_fmac_f64_e32 v[118:119], v[150:151], v[148:149]
	s_wait_loadcnt 0xc
	v_fmac_f64_e32 v[120:121], v[18:19], v[184:185]
	s_delay_alu instid0(VALU_DEP_2) | instskip(SKIP_1) | instid1(VALU_DEP_2)
	v_fmac_f64_e32 v[118:119], v[154:155], v[184:185]
	s_wait_loadcnt 0xb
	v_fmac_f64_e32 v[120:121], v[20:21], v[174:175]
	s_wait_loadcnt 0xa
	s_delay_alu instid0(VALU_DEP_2) | instskip(SKIP_1) | instid1(VALU_DEP_2)
	v_fmac_f64_e32 v[118:119], v[178:179], v[174:175]
	s_wait_loadcnt 0x9
	v_fmac_f64_e32 v[120:121], v[22:23], v[162:163]
	s_wait_loadcnt 0x8
	;; [unrolled: 5-line block ×5, first 2 shown]
	s_delay_alu instid0(VALU_DEP_2) | instskip(SKIP_1) | instid1(VALU_DEP_2)
	v_fmac_f64_e32 v[118:119], v[170:171], v[164:165]
	s_wait_loadcnt 0x0
	v_fmac_f64_e32 v[120:121], v[30:31], v[166:167]
	s_delay_alu instid0(VALU_DEP_2)
	v_fmac_f64_e32 v[118:119], v[156:157], v[166:167]
	s_cbranch_scc0 .LBB59_13
; %bb.11:                               ;   in Loop: Header=BB59_8 Depth=2
	v_mov_b64_e32 v[0:1], v[32:33]
	v_mov_b64_e32 v[2:3], v[34:35]
	;; [unrolled: 1-line block ×16, first 2 shown]
	s_branch .LBB59_8
.LBB59_12:                              ;   in Loop: Header=BB59_4 Depth=1
	v_mov_b64_e32 v[118:119], 0
	v_mov_b64_e32 v[120:121], 0
.LBB59_13:                              ;   in Loop: Header=BB59_4 Depth=1
	ds_store_2addr_stride64_b64 v186, v[120:121], v[118:119] offset1:1
	s_wait_dscnt 0x0
	s_barrier_signal -1
	s_barrier_wait -1
	s_wait_xcnt 0x0
	s_and_saveexec_b32 s40, s0
	s_cbranch_execz .LBB59_2
; %bb.14:                               ;   in Loop: Header=BB59_4 Depth=1
	ds_load_2addr_stride64_b64 v[0:3], v187 offset1:2
	s_mul_u64 s[44:45], s[20:21], s[2:3]
	s_wait_dscnt 0x0
	v_add_f64_e32 v[0:1], 0, v[0:1]
	s_delay_alu instid0(VALU_DEP_1) | instskip(SKIP_3) | instid1(VALU_DEP_1)
	v_add_f64_e32 v[4:5], v[0:1], v[2:3]
	ds_load_2addr_stride64_b64 v[0:3], v187 offset0:4 offset1:6
	s_wait_dscnt 0x0
	v_add_f64_e32 v[0:1], v[4:5], v[0:1]
	v_add_f64_e32 v[4:5], v[0:1], v[2:3]
	ds_load_2addr_stride64_b64 v[0:3], v187 offset0:8 offset1:10
	s_wait_dscnt 0x0
	v_add_f64_e32 v[0:1], v[4:5], v[0:1]
	s_delay_alu instid0(VALU_DEP_1) | instskip(SKIP_3) | instid1(VALU_DEP_1)
	v_add_f64_e32 v[4:5], v[0:1], v[2:3]
	ds_load_2addr_stride64_b64 v[0:3], v187 offset0:12 offset1:14
	s_wait_dscnt 0x0
	v_add_f64_e32 v[0:1], v[4:5], v[0:1]
	v_add_f64_e32 v[0:1], v[0:1], v[2:3]
	v_lshl_add_u64 v[2:3], s[44:45], 3, v[70:71]
	s_delay_alu instid0(VALU_DEP_2)
	v_mul_f64_e32 v[0:1], s[26:27], v[0:1]
	global_atomic_add_f64 v[2:3], v[0:1], off scope:SCOPE_DEV
	s_branch .LBB59_2
.LBB59_15:
	s_sendmsg sendmsg(MSG_DEALLOC_VGPRS)
	s_endpgm
	.section	.rodata,"a",@progbits
	.p2align	6, 0x0
	.amdhsa_kernel _ZL36rocblas_gemvn_double_buffered_kernelILi128ELi4ELi16EdddEviiT3_lPKT2_lilS3_lilPT4_lili
		.amdhsa_group_segment_fixed_size 8192
		.amdhsa_private_segment_fixed_size 0
		.amdhsa_kernarg_size 384
		.amdhsa_user_sgpr_count 2
		.amdhsa_user_sgpr_dispatch_ptr 0
		.amdhsa_user_sgpr_queue_ptr 0
		.amdhsa_user_sgpr_kernarg_segment_ptr 1
		.amdhsa_user_sgpr_dispatch_id 0
		.amdhsa_user_sgpr_kernarg_preload_length 0
		.amdhsa_user_sgpr_kernarg_preload_offset 0
		.amdhsa_user_sgpr_private_segment_size 0
		.amdhsa_wavefront_size32 1
		.amdhsa_uses_dynamic_stack 0
		.amdhsa_enable_private_segment 0
		.amdhsa_system_sgpr_workgroup_id_x 1
		.amdhsa_system_sgpr_workgroup_id_y 1
		.amdhsa_system_sgpr_workgroup_id_z 1
		.amdhsa_system_sgpr_workgroup_info 0
		.amdhsa_system_vgpr_workitem_id 1
		.amdhsa_next_free_vgpr 198
		.amdhsa_next_free_sgpr 48
		.amdhsa_named_barrier_count 0
		.amdhsa_reserve_vcc 1
		.amdhsa_float_round_mode_32 0
		.amdhsa_float_round_mode_16_64 0
		.amdhsa_float_denorm_mode_32 3
		.amdhsa_float_denorm_mode_16_64 3
		.amdhsa_fp16_overflow 0
		.amdhsa_memory_ordered 1
		.amdhsa_forward_progress 1
		.amdhsa_inst_pref_size 26
		.amdhsa_round_robin_scheduling 0
		.amdhsa_exception_fp_ieee_invalid_op 0
		.amdhsa_exception_fp_denorm_src 0
		.amdhsa_exception_fp_ieee_div_zero 0
		.amdhsa_exception_fp_ieee_overflow 0
		.amdhsa_exception_fp_ieee_underflow 0
		.amdhsa_exception_fp_ieee_inexact 0
		.amdhsa_exception_int_div_zero 0
	.end_amdhsa_kernel
	.section	.text._ZL36rocblas_gemvn_double_buffered_kernelILi128ELi4ELi16EdddEviiT3_lPKT2_lilS3_lilPT4_lili,"axG",@progbits,_ZL36rocblas_gemvn_double_buffered_kernelILi128ELi4ELi16EdddEviiT3_lPKT2_lilS3_lilPT4_lili,comdat
.Lfunc_end59:
	.size	_ZL36rocblas_gemvn_double_buffered_kernelILi128ELi4ELi16EdddEviiT3_lPKT2_lilS3_lilPT4_lili, .Lfunc_end59-_ZL36rocblas_gemvn_double_buffered_kernelILi128ELi4ELi16EdddEviiT3_lPKT2_lilS3_lilPT4_lili
                                        ; -- End function
	.set _ZL36rocblas_gemvn_double_buffered_kernelILi128ELi4ELi16EdddEviiT3_lPKT2_lilS3_lilPT4_lili.num_vgpr, 198
	.set _ZL36rocblas_gemvn_double_buffered_kernelILi128ELi4ELi16EdddEviiT3_lPKT2_lilS3_lilPT4_lili.num_agpr, 0
	.set _ZL36rocblas_gemvn_double_buffered_kernelILi128ELi4ELi16EdddEviiT3_lPKT2_lilS3_lilPT4_lili.numbered_sgpr, 48
	.set _ZL36rocblas_gemvn_double_buffered_kernelILi128ELi4ELi16EdddEviiT3_lPKT2_lilS3_lilPT4_lili.num_named_barrier, 0
	.set _ZL36rocblas_gemvn_double_buffered_kernelILi128ELi4ELi16EdddEviiT3_lPKT2_lilS3_lilPT4_lili.private_seg_size, 0
	.set _ZL36rocblas_gemvn_double_buffered_kernelILi128ELi4ELi16EdddEviiT3_lPKT2_lilS3_lilPT4_lili.uses_vcc, 1
	.set _ZL36rocblas_gemvn_double_buffered_kernelILi128ELi4ELi16EdddEviiT3_lPKT2_lilS3_lilPT4_lili.uses_flat_scratch, 0
	.set _ZL36rocblas_gemvn_double_buffered_kernelILi128ELi4ELi16EdddEviiT3_lPKT2_lilS3_lilPT4_lili.has_dyn_sized_stack, 0
	.set _ZL36rocblas_gemvn_double_buffered_kernelILi128ELi4ELi16EdddEviiT3_lPKT2_lilS3_lilPT4_lili.has_recursion, 0
	.set _ZL36rocblas_gemvn_double_buffered_kernelILi128ELi4ELi16EdddEviiT3_lPKT2_lilS3_lilPT4_lili.has_indirect_call, 0
	.section	.AMDGPU.csdata,"",@progbits
; Kernel info:
; codeLenInByte = 3296
; TotalNumSgprs: 50
; NumVgprs: 198
; ScratchSize: 0
; MemoryBound: 1
; FloatMode: 240
; IeeeMode: 1
; LDSByteSize: 8192 bytes/workgroup (compile time only)
; SGPRBlocks: 0
; VGPRBlocks: 12
; NumSGPRsForWavesPerEU: 50
; NumVGPRsForWavesPerEU: 198
; NamedBarCnt: 0
; Occupancy: 4
; WaveLimiterHint : 0
; COMPUTE_PGM_RSRC2:SCRATCH_EN: 0
; COMPUTE_PGM_RSRC2:USER_SGPR: 2
; COMPUTE_PGM_RSRC2:TRAP_HANDLER: 0
; COMPUTE_PGM_RSRC2:TGID_X_EN: 1
; COMPUTE_PGM_RSRC2:TGID_Y_EN: 1
; COMPUTE_PGM_RSRC2:TGID_Z_EN: 1
; COMPUTE_PGM_RSRC2:TIDIG_COMP_CNT: 1
	.section	.text._ZL20rocblas_gemvn_kernelILi32ELi16EidPKddEviiT3_lPKT2_lT1_lS5_lS6_lS2_lPT4_lS6_li,"axG",@progbits,_ZL20rocblas_gemvn_kernelILi32ELi16EidPKddEviiT3_lPKT2_lT1_lS5_lS6_lS2_lPT4_lS6_li,comdat
	.globl	_ZL20rocblas_gemvn_kernelILi32ELi16EidPKddEviiT3_lPKT2_lT1_lS5_lS6_lS2_lPT4_lS6_li ; -- Begin function _ZL20rocblas_gemvn_kernelILi32ELi16EidPKddEviiT3_lPKT2_lT1_lS5_lS6_lS2_lPT4_lS6_li
	.p2align	8
	.type	_ZL20rocblas_gemvn_kernelILi32ELi16EidPKddEviiT3_lPKT2_lT1_lS5_lS6_lS2_lPT4_lS6_li,@function
_ZL20rocblas_gemvn_kernelILi32ELi16EidPKddEviiT3_lPKT2_lT1_lS5_lS6_lS2_lPT4_lS6_li: ; @_ZL20rocblas_gemvn_kernelILi32ELi16EidPKddEviiT3_lPKT2_lT1_lS5_lS6_lS2_lPT4_lS6_li
; %bb.0:
	s_load_b64 s[2:3], s[0:1], 0x9c
	s_wait_kmcnt 0x0
	s_lshr_b32 s4, s2, 16
	s_and_b32 s2, s2, 0xffff
	s_and_b32 s3, s3, 0xffff
	s_mul_i32 s2, s4, s2
	s_delay_alu instid0(SALU_CYCLE_1) | instskip(NEXT) | instid1(SALU_CYCLE_1)
	s_mul_i32 s2, s2, s3
	s_cmp_lg_u32 s2, 0x200
	s_cbranch_scc1 .LBB60_52
; %bb.1:
	s_load_b32 s31, s[0:1], 0x88
	s_bfe_u32 s2, ttmp6, 0x40014
	s_lshr_b32 s3, ttmp7, 16
	s_add_co_i32 s2, s2, 1
	s_bfe_u32 s5, ttmp6, 0x40008
	s_mul_i32 s4, s3, s2
	s_getreg_b32 s2, hwreg(HW_REG_IB_STS2, 6, 4)
	s_add_co_i32 s5, s5, s4
	s_cmp_eq_u32 s2, 0
	s_mov_b32 s35, 0
	s_cselect_b32 s34, s3, s5
	s_wait_kmcnt 0x0
	s_cmp_ge_u32 s34, s31
	s_cbranch_scc1 .LBB60_52
; %bb.2:
	s_clause 0x7
	s_load_b256 s[8:15], s[0:1], 0x8
	s_load_b96 s[28:30], s[0:1], 0x40
	s_load_b96 s[4:6], s[0:1], 0x70
	s_load_b64 s[36:37], s[0:1], 0x0
	s_load_b32 s33, s[0:1], 0x28
	s_load_b128 s[24:27], s[0:1], 0x30
	s_load_b256 s[16:23], s[0:1], 0x50
	s_load_b64 s[38:39], s[0:1], 0x80
	s_wait_xcnt 0x0
	s_bfe_u32 s0, ttmp6, 0x4000c
	v_and_b32_e32 v6, 0x3ff, v0
	s_add_co_i32 s0, s0, 1
	v_bfe_u32 v5, v0, 10, 10
	s_and_b32 s1, ttmp6, 15
	s_mul_i32 s0, ttmp9, s0
	s_delay_alu instid0(SALU_CYCLE_1) | instskip(NEXT) | instid1(VALU_DEP_1)
	s_add_co_i32 s7, s1, s0
	v_lshl_add_u32 v4, v5, 5, v6
	v_lshlrev_b32_e32 v59, 2, v5
	s_wait_kmcnt 0x0
	s_lshl_b64 s[0:1], s[14:15], 3
	s_lshl_b64 s[14:15], s[28:29], 3
	;; [unrolled: 1-line block ×3, first 2 shown]
	s_ashr_i32 s3, s6, 31
	s_cmp_eq_u32 s2, 0
	s_mov_b32 s2, s6
	s_cselect_b32 s7, ttmp9, s7
	s_mov_b32 s28, s36
	s_lshl_b32 s42, s7, 7
	s_delay_alu instid0(SALU_CYCLE_1)
	v_dual_mov_b32 v1, 0 :: v_dual_add_nc_u32 v0, s42, v4
	v_add_nc_u32_e32 v58, s42, v6
	s_ashr_i32 s29, s36, 31
	s_add_nc_u64 s[12:13], s[12:13], s[0:1]
	s_ashr_i32 s0, s37, 31
	v_cmp_gt_i64_e32 vcc_lo, s[28:29], v[0:1]
	v_mul_u64_e32 v[2:3], s[2:3], v[0:1]
	v_dual_add_nc_u32 v0, 32, v58 :: v_dual_add_nc_u32 v7, 64, v58
	s_lshr_b32 s0, s0, 26
	v_lshlrev_b32_e32 v9, 3, v6
	s_add_co_i32 s43, s37, s0
	s_add_nc_u64 s[22:23], s[22:23], s[4:5]
	v_cmp_gt_i32_e64 s3, s36, v7
	v_or_b32_e32 v7, s42, v4
	s_and_not1_b32 s43, s43, 63
	v_mul_lo_u32 v13, v5, s30
	s_sub_co_i32 s5, s37, s43
	v_add_nc_u32_e32 v8, 0x60, v58
	s_cmp_gt_i32 s5, 0
	v_cmp_gt_u32_e64 s5, 0x80, v4
	v_mul_lo_u32 v4, s6, v7
	v_or_b32_e32 v10, 2, v59
	v_cmp_gt_i32_e64 s4, s36, v8
	v_mul_lo_u32 v8, s33, v59
	v_or_b32_e32 v11, 3, v59
	v_mul_lo_u32 v12, v5, s33
	v_cmp_gt_i32_e64 s2, s36, v0
	v_lshl_add_u32 v0, v5, 10, v9
	v_lshl_add_u32 v60, v5, 8, v9
	v_mad_u32 v63, s30, v59, s30
	v_lshlrev_b32_e32 v68, 2, v13
	v_mad_u32 v62, s33, v11, v6
	v_mul_lo_u32 v65, s30, v11
	v_ashrrev_i32_e32 v5, 31, v4
	v_mad_u32 v61, s33, v10, v6
	v_mul_lo_u32 v64, s30, v10
	v_cmp_gt_i32_e64 s0, s43, v59
	v_cmp_gt_i32_e64 s1, s36, v58
	v_cmp_gt_i32_e64 s6, s36, v7
	v_add3_u32 v66, v8, s33, v6
	v_lshl_add_u32 v67, v12, 2, v6
	s_add_nc_u64 s[14:15], s[26:27], s[14:15]
	s_cselect_b32 s36, -1, 0
	s_and_b32 s44, s5, vcc_lo
	s_lshl_b32 s45, s33, 6
	s_lshl_b32 s46, s30, 6
	s_branch .LBB60_5
.LBB60_3:                               ;   in Loop: Header=BB60_5 Depth=1
	s_wait_xcnt 0x0
	s_or_b32 exec_lo, exec_lo, s7
.LBB60_4:                               ;   in Loop: Header=BB60_5 Depth=1
	s_add_co_i32 s34, s34, 0x10000
	s_delay_alu instid0(SALU_CYCLE_1)
	s_cmp_lt_u32 s34, s31
	s_cbranch_scc0 .LBB60_52
.LBB60_5:                               ; =>This Loop Header: Depth=1
                                        ;     Child Loop BB60_18 Depth 2
	s_wait_xcnt 0x1
	s_mul_u64 s[26:27], s[10:11], s[34:35]
	s_wait_xcnt 0x0
	s_mul_u64 s[28:29], s[20:21], s[34:35]
	s_lshl_b64 s[26:27], s[26:27], 3
	s_lshl_b64 s[28:29], s[28:29], 3
	s_add_nc_u64 s[26:27], s[8:9], s[26:27]
	s_add_nc_u64 s[28:29], s[18:19], s[28:29]
	s_clause 0x1
	global_load_b64 v[8:9], v1, s[26:27]
	global_load_b64 v[6:7], v1, s[28:29]
	s_wait_loadcnt 0x1
	v_cmp_eq_f64_e32 vcc_lo, 0, v[8:9]
	s_wait_loadcnt 0x0
	v_cmp_eq_f64_e64 s7, 1.0, v[6:7]
	s_and_b32 s7, vcc_lo, s7
	s_delay_alu instid0(SALU_CYCLE_1)
	s_and_b32 vcc_lo, exec_lo, s7
	s_cbranch_vccnz .LBB60_4
; %bb.6:                                ;   in Loop: Header=BB60_5 Depth=1
	v_cmp_neq_f64_e32 vcc_lo, 0, v[8:9]
	s_wait_xcnt 0x1
	s_mul_u64 s[26:27], s[38:39], s[34:35]
	s_delay_alu instid0(SALU_CYCLE_1) | instskip(NEXT) | instid1(SALU_CYCLE_1)
	s_lshl_b64 s[26:27], s[26:27], 3
	s_add_nc_u64 s[26:27], s[22:23], s[26:27]
	s_cbranch_vccnz .LBB60_11
; %bb.7:                                ;   in Loop: Header=BB60_5 Depth=1
	s_mov_b32 s7, 0
	s_mov_b32 s47, 0
                                        ; implicit-def: $vgpr10_vgpr11
	s_wait_xcnt 0x0
	s_and_saveexec_b32 s28, s44
	s_cbranch_execz .LBB60_23
; %bb.8:                                ;   in Loop: Header=BB60_5 Depth=1
	v_cmp_eq_f64_e32 vcc_lo, 0, v[6:7]
	v_mov_b64_e32 v[10:11], 0
	s_cbranch_vccnz .LBB60_10
; %bb.9:                                ;   in Loop: Header=BB60_5 Depth=1
	v_lshl_add_u64 v[10:11], v[2:3], 3, s[26:27]
	global_load_b64 v[10:11], v[10:11], off
	s_wait_loadcnt 0x0
	s_wait_xcnt 0x0
	v_mul_f64_e32 v[10:11], v[6:7], v[10:11]
.LBB60_10:                              ;   in Loop: Header=BB60_5 Depth=1
	s_mov_b32 s47, exec_lo
	s_or_b32 exec_lo, exec_lo, s28
	s_delay_alu instid0(SALU_CYCLE_1)
	s_and_b32 vcc_lo, exec_lo, s7
	s_cbranch_vccnz .LBB60_12
	s_branch .LBB60_24
.LBB60_11:                              ;   in Loop: Header=BB60_5 Depth=1
	s_mov_b32 s47, 0
                                        ; implicit-def: $vgpr10_vgpr11
	s_cbranch_execz .LBB60_24
.LBB60_12:                              ;   in Loop: Header=BB60_5 Depth=1
	v_mov_b64_e32 v[10:11], 0
	v_mov_b64_e32 v[12:13], 0
	v_mov_b64_e32 v[14:15], 0
	v_mov_b64_e32 v[16:17], 0
	s_wait_xcnt 0x0
	s_mul_u64 s[28:29], s[24:25], s[34:35]
	s_mul_u64 s[40:41], s[16:17], s[34:35]
	v_mov_b32_e32 v69, v59
	s_lshl_b64 s[28:29], s[28:29], 3
	s_lshl_b64 s[40:41], s[40:41], 3
	s_add_nc_u64 s[28:29], s[12:13], s[28:29]
	s_add_nc_u64 s[40:41], s[14:15], s[40:41]
	s_and_saveexec_b32 s7, s0
	s_cbranch_execz .LBB60_26
; %bb.13:                               ;   in Loop: Header=BB60_5 Depth=1
	v_mov_b64_e32 v[10:11], 0
	v_mov_b64_e32 v[12:13], 0
	;; [unrolled: 1-line block ×4, first 2 shown]
	v_dual_mov_b32 v70, v67 :: v_dual_mov_b32 v71, v62
	v_dual_mov_b32 v72, v61 :: v_dual_mov_b32 v73, v66
	v_mov_b32_e32 v69, v59
	s_mov_b32 s48, 0
	s_mov_b32 s49, 0
	s_branch .LBB60_18
.LBB60_14:                              ;   in Loop: Header=BB60_18 Depth=2
	s_wait_xcnt 0x0
	s_or_b32 exec_lo, exec_lo, s53
	s_wait_loadcnt 0x3
	v_fmac_f64_e32 v[14:15], v[24:25], v[54:55]
	s_wait_loadcnt 0x2
	s_delay_alu instid0(VALU_DEP_1) | instskip(SKIP_1) | instid1(VALU_DEP_1)
	v_fmac_f64_e32 v[14:15], v[22:23], v[50:51]
	s_wait_loadcnt 0x1
	v_fmac_f64_e32 v[14:15], v[20:21], v[48:49]
	s_wait_loadcnt 0x0
	s_delay_alu instid0(VALU_DEP_1)
	v_fmac_f64_e32 v[14:15], v[18:19], v[42:43]
.LBB60_15:                              ;   in Loop: Header=BB60_18 Depth=2
	s_or_b32 exec_lo, exec_lo, s52
	s_wait_loadcnt 0x3
	v_fmac_f64_e32 v[12:13], v[24:25], v[40:41]
	s_wait_loadcnt 0x2
	s_delay_alu instid0(VALU_DEP_1) | instskip(SKIP_1) | instid1(VALU_DEP_1)
	v_fmac_f64_e32 v[12:13], v[22:23], v[38:39]
	s_wait_loadcnt 0x1
	v_fmac_f64_e32 v[12:13], v[20:21], v[36:37]
	s_wait_loadcnt 0x0
	s_delay_alu instid0(VALU_DEP_1)
	v_fmac_f64_e32 v[12:13], v[18:19], v[34:35]
.LBB60_16:                              ;   in Loop: Header=BB60_18 Depth=2
	s_or_b32 exec_lo, exec_lo, s51
	s_wait_loadcnt 0x3
	v_fmac_f64_e32 v[10:11], v[24:25], v[32:33]
	s_wait_loadcnt 0x2
	s_delay_alu instid0(VALU_DEP_1) | instskip(SKIP_1) | instid1(VALU_DEP_1)
	v_fmac_f64_e32 v[10:11], v[22:23], v[30:31]
	s_wait_loadcnt 0x1
	v_fmac_f64_e32 v[10:11], v[20:21], v[28:29]
	s_wait_loadcnt 0x0
	s_delay_alu instid0(VALU_DEP_1)
	v_fmac_f64_e32 v[10:11], v[18:19], v[26:27]
.LBB60_17:                              ;   in Loop: Header=BB60_18 Depth=2
	s_or_b32 exec_lo, exec_lo, s50
	v_dual_add_nc_u32 v69, 64, v69 :: v_dual_add_nc_u32 v72, s45, v72
	v_dual_add_nc_u32 v73, s45, v73 :: v_dual_add_nc_u32 v71, s45, v71
	v_add_nc_u32_e32 v70, s45, v70
	s_delay_alu instid0(VALU_DEP_3) | instskip(SKIP_2) | instid1(SALU_CYCLE_1)
	v_cmp_le_i32_e32 vcc_lo, s43, v69
	s_add_co_i32 s49, s49, s46
	s_or_b32 s48, vcc_lo, s48
	s_and_not1_b32 exec_lo, exec_lo, s48
	s_cbranch_execz .LBB60_25
.LBB60_18:                              ;   Parent Loop BB60_5 Depth=1
                                        ; =>  This Inner Loop Header: Depth=2
	s_and_saveexec_b32 s50, s1
	s_cbranch_execz .LBB60_17
; %bb.19:                               ;   in Loop: Header=BB60_18 Depth=2
	v_dual_add_nc_u32 v35, s49, v68 :: v_dual_add_nc_u32 v37, s49, v63
	v_dual_add_nc_u32 v39, s49, v64 :: v_dual_add_nc_u32 v41, s49, v65
	;; [unrolled: 1-line block ×4, first 2 shown]
	s_clause 0x3
	global_load_b64 v[24:25], v35, s[40:41] scale_offset
	global_load_b64 v[22:23], v37, s[40:41] scale_offset
	;; [unrolled: 1-line block ×4, first 2 shown]
	s_clause 0x3
	global_load_b64 v[32:33], v34, s[28:29] scale_offset
	global_load_b64 v[30:31], v36, s[28:29] scale_offset
	;; [unrolled: 1-line block ×4, first 2 shown]
	s_wait_xcnt 0x0
	s_and_saveexec_b32 s51, s2
	s_cbranch_execz .LBB60_16
; %bb.20:                               ;   in Loop: Header=BB60_18 Depth=2
	v_dual_ashrrev_i32 v35, 31, v34 :: v_dual_ashrrev_i32 v37, 31, v36
	v_dual_ashrrev_i32 v41, 31, v40 :: v_dual_ashrrev_i32 v39, 31, v38
	s_delay_alu instid0(VALU_DEP_2) | instskip(NEXT) | instid1(VALU_DEP_3)
	v_lshl_add_u64 v[56:57], v[34:35], 3, s[28:29]
	v_lshl_add_u64 v[52:53], v[36:37], 3, s[28:29]
	s_delay_alu instid0(VALU_DEP_3) | instskip(NEXT) | instid1(VALU_DEP_4)
	v_lshl_add_u64 v[44:45], v[40:41], 3, s[28:29]
	v_lshl_add_u64 v[46:47], v[38:39], 3, s[28:29]
	s_clause 0x3
	global_load_b64 v[40:41], v[56:57], off offset:256
	global_load_b64 v[38:39], v[52:53], off offset:256
	global_load_b64 v[36:37], v[44:45], off offset:256
	global_load_b64 v[34:35], v[46:47], off offset:256
	s_wait_xcnt 0x0
	s_and_saveexec_b32 s52, s3
	s_cbranch_execz .LBB60_15
; %bb.21:                               ;   in Loop: Header=BB60_18 Depth=2
	s_clause 0x3
	global_load_b64 v[54:55], v[56:57], off offset:512
	global_load_b64 v[50:51], v[52:53], off offset:512
	;; [unrolled: 1-line block ×4, first 2 shown]
	s_wait_xcnt 0x0
	s_and_saveexec_b32 s53, s4
	s_cbranch_execz .LBB60_14
; %bb.22:                               ;   in Loop: Header=BB60_18 Depth=2
	s_clause 0x3
	global_load_b64 v[56:57], v[56:57], off offset:768
	global_load_b64 v[52:53], v[52:53], off offset:768
	global_load_b64 v[44:45], v[44:45], off offset:768
	global_load_b64 v[46:47], v[46:47], off offset:768
	s_wait_loadcnt 0x3
	v_fmac_f64_e32 v[16:17], v[24:25], v[56:57]
	s_wait_loadcnt 0x2
	s_delay_alu instid0(VALU_DEP_1) | instskip(SKIP_1) | instid1(VALU_DEP_1)
	v_fmac_f64_e32 v[16:17], v[22:23], v[52:53]
	s_wait_loadcnt 0x1
	v_fmac_f64_e32 v[16:17], v[20:21], v[44:45]
	s_wait_loadcnt 0x0
	s_delay_alu instid0(VALU_DEP_1)
	v_fmac_f64_e32 v[16:17], v[18:19], v[46:47]
	s_branch .LBB60_14
.LBB60_23:                              ;   in Loop: Header=BB60_5 Depth=1
	s_or_b32 exec_lo, exec_lo, s28
	s_delay_alu instid0(SALU_CYCLE_1)
	s_and_b32 vcc_lo, exec_lo, s7
	s_cbranch_vccnz .LBB60_12
.LBB60_24:                              ;   in Loop: Header=BB60_5 Depth=1
	v_mov_b64_e32 v[6:7], v[2:3]
	s_wait_xcnt 0x0
	s_and_saveexec_b32 s7, s47
	s_cbranch_execz .LBB60_3
	s_branch .LBB60_51
.LBB60_25:                              ;   in Loop: Header=BB60_5 Depth=1
	s_or_b32 exec_lo, exec_lo, s48
.LBB60_26:                              ;   in Loop: Header=BB60_5 Depth=1
	s_delay_alu instid0(SALU_CYCLE_1) | instskip(NEXT) | instid1(SALU_CYCLE_1)
	s_or_b32 exec_lo, exec_lo, s7
	s_and_not1_b32 vcc_lo, exec_lo, s36
	s_cbranch_vccnz .LBB60_44
; %bb.27:                               ;   in Loop: Header=BB60_5 Depth=1
	v_mov_b64_e32 v[24:25], 0
	v_mov_b64_e32 v[22:23], 0
	;; [unrolled: 1-line block ×4, first 2 shown]
	v_cmp_gt_i32_e32 vcc_lo, s37, v69
	v_or_b32_e32 v26, 1, v69
	s_and_saveexec_b32 s48, vcc_lo
	s_cbranch_execz .LBB60_35
; %bb.28:                               ;   in Loop: Header=BB60_5 Depth=1
	v_mul_lo_u32 v18, v69, s30
	v_mov_b64_e32 v[20:21], 0
	v_mov_b64_e32 v[22:23], 0
	;; [unrolled: 1-line block ×3, first 2 shown]
	s_mov_b32 s49, exec_lo
	global_load_b64 v[18:19], v18, s[40:41] scale_offset
	s_wait_xcnt 0x0
	v_cmpx_gt_i32_e64 s37, v26
	s_cbranch_execz .LBB60_34
; %bb.29:                               ;   in Loop: Header=BB60_5 Depth=1
	v_mul_lo_u32 v20, v26, s30
	v_mov_b64_e32 v[22:23], 0
	v_mov_b64_e32 v[24:25], 0
	v_or_b32_e32 v27, 2, v69
	s_mov_b32 s50, exec_lo
	global_load_b64 v[20:21], v20, s[40:41] scale_offset
	s_wait_xcnt 0x0
	v_cmpx_gt_i32_e64 s37, v27
	s_cbranch_execz .LBB60_33
; %bb.30:                               ;   in Loop: Header=BB60_5 Depth=1
	v_mul_lo_u32 v22, v27, s30
	v_mov_b64_e32 v[24:25], 0
	v_or_b32_e32 v27, 3, v69
	s_mov_b32 s51, exec_lo
	global_load_b64 v[22:23], v22, s[40:41] scale_offset
	s_wait_xcnt 0x0
	v_cmpx_gt_i32_e64 s37, v27
	s_cbranch_execz .LBB60_32
; %bb.31:                               ;   in Loop: Header=BB60_5 Depth=1
	v_mul_lo_u32 v24, v27, s30
	global_load_b64 v[24:25], v24, s[40:41] scale_offset
.LBB60_32:                              ;   in Loop: Header=BB60_5 Depth=1
	s_wait_xcnt 0x0
	s_or_b32 exec_lo, exec_lo, s51
.LBB60_33:                              ;   in Loop: Header=BB60_5 Depth=1
	s_delay_alu instid0(SALU_CYCLE_1)
	s_or_b32 exec_lo, exec_lo, s50
.LBB60_34:                              ;   in Loop: Header=BB60_5 Depth=1
	s_delay_alu instid0(SALU_CYCLE_1)
	s_or_b32 exec_lo, exec_lo, s49
.LBB60_35:                              ;   in Loop: Header=BB60_5 Depth=1
	s_delay_alu instid0(SALU_CYCLE_1)
	s_or_b32 exec_lo, exec_lo, s48
	s_and_saveexec_b32 s7, s1
	s_cbranch_execz .LBB60_43
; %bb.36:                               ;   in Loop: Header=BB60_5 Depth=1
	v_mul_lo_u32 v28, v69, s33
	v_mul_lo_u32 v30, v26, s33
	s_delay_alu instid0(VALU_DEP_2) | instskip(NEXT) | instid1(VALU_DEP_1)
	v_dual_cndmask_b32 v28, 0, v28, vcc_lo :: v_dual_bitop2_b32 v27, 2, v69 bitop3:0x54
	v_mul_lo_u32 v31, v27, s33
	v_cmp_gt_i32_e32 vcc_lo, s37, v26
	s_delay_alu instid0(VALU_DEP_4) | instskip(NEXT) | instid1(VALU_DEP_1)
	v_dual_cndmask_b32 v26, 0, v30, vcc_lo :: v_dual_bitop2_b32 v29, 3, v69 bitop3:0x54
	v_mul_lo_u32 v32, v29, s33
	v_cmp_gt_i32_e32 vcc_lo, s37, v27
	s_delay_alu instid0(VALU_DEP_3) | instskip(SKIP_2) | instid1(VALU_DEP_2)
	v_dual_add_nc_u32 v36, v28, v58 :: v_dual_add_nc_u32 v38, v26, v58
	v_cndmask_b32_e32 v27, 0, v31, vcc_lo
	v_cmp_gt_i32_e32 vcc_lo, s37, v29
	v_dual_cndmask_b32 v29, 0, v32 :: v_dual_add_nc_u32 v40, v27, v58
	s_delay_alu instid0(VALU_DEP_1)
	v_add_nc_u32_e32 v34, v29, v58
	s_clause 0x3
	global_load_b64 v[32:33], v36, s[28:29] scale_offset
	global_load_b64 v[30:31], v38, s[28:29] scale_offset
	;; [unrolled: 1-line block ×4, first 2 shown]
	s_wait_xcnt 0x0
	s_and_saveexec_b32 s40, s2
	s_cbranch_execz .LBB60_42
; %bb.37:                               ;   in Loop: Header=BB60_5 Depth=1
	v_dual_ashrrev_i32 v37, 31, v36 :: v_dual_ashrrev_i32 v39, 31, v38
	v_dual_ashrrev_i32 v41, 31, v40 :: v_dual_ashrrev_i32 v35, 31, v34
	s_delay_alu instid0(VALU_DEP_2) | instskip(NEXT) | instid1(VALU_DEP_3)
	v_lshl_add_u64 v[42:43], v[36:37], 3, s[28:29]
	v_lshl_add_u64 v[44:45], v[38:39], 3, s[28:29]
	s_delay_alu instid0(VALU_DEP_3) | instskip(NEXT) | instid1(VALU_DEP_4)
	v_lshl_add_u64 v[46:47], v[40:41], 3, s[28:29]
	v_lshl_add_u64 v[56:57], v[34:35], 3, s[28:29]
	s_clause 0x3
	global_load_b64 v[40:41], v[42:43], off offset:256
	global_load_b64 v[38:39], v[44:45], off offset:256
	;; [unrolled: 1-line block ×4, first 2 shown]
	s_wait_xcnt 0x0
	s_and_saveexec_b32 s28, s3
	s_cbranch_execz .LBB60_41
; %bb.38:                               ;   in Loop: Header=BB60_5 Depth=1
	s_clause 0x3
	global_load_b64 v[54:55], v[42:43], off offset:512
	global_load_b64 v[52:53], v[44:45], off offset:512
	;; [unrolled: 1-line block ×4, first 2 shown]
	s_wait_xcnt 0x0
	s_and_saveexec_b32 s29, s4
	s_cbranch_execz .LBB60_40
; %bb.39:                               ;   in Loop: Header=BB60_5 Depth=1
	s_clause 0x3
	global_load_b64 v[70:71], v[42:43], off offset:768
	global_load_b64 v[72:73], v[44:45], off offset:768
	;; [unrolled: 1-line block ×4, first 2 shown]
	s_wait_loadcnt 0x3
	v_fmac_f64_e32 v[16:17], v[18:19], v[70:71]
	s_wait_loadcnt 0x2
	s_delay_alu instid0(VALU_DEP_1) | instskip(SKIP_1) | instid1(VALU_DEP_1)
	v_fmac_f64_e32 v[16:17], v[20:21], v[72:73]
	s_wait_loadcnt 0x1
	v_fmac_f64_e32 v[16:17], v[22:23], v[74:75]
	s_wait_loadcnt 0x0
	s_delay_alu instid0(VALU_DEP_1)
	v_fmac_f64_e32 v[16:17], v[24:25], v[76:77]
.LBB60_40:                              ;   in Loop: Header=BB60_5 Depth=1
	s_wait_xcnt 0x0
	s_or_b32 exec_lo, exec_lo, s29
	s_wait_loadcnt 0x3
	v_fmac_f64_e32 v[14:15], v[18:19], v[54:55]
	s_wait_loadcnt 0x2
	s_delay_alu instid0(VALU_DEP_1) | instskip(SKIP_1) | instid1(VALU_DEP_1)
	v_fmac_f64_e32 v[14:15], v[20:21], v[52:53]
	s_wait_loadcnt 0x1
	v_fmac_f64_e32 v[14:15], v[22:23], v[50:51]
	s_wait_loadcnt 0x0
	s_delay_alu instid0(VALU_DEP_1)
	v_fmac_f64_e32 v[14:15], v[24:25], v[48:49]
.LBB60_41:                              ;   in Loop: Header=BB60_5 Depth=1
	s_or_b32 exec_lo, exec_lo, s28
	s_wait_loadcnt 0x3
	v_fmac_f64_e32 v[12:13], v[18:19], v[40:41]
	s_wait_loadcnt 0x2
	s_delay_alu instid0(VALU_DEP_1) | instskip(SKIP_1) | instid1(VALU_DEP_1)
	v_fmac_f64_e32 v[12:13], v[20:21], v[38:39]
	s_wait_loadcnt 0x1
	v_fmac_f64_e32 v[12:13], v[22:23], v[36:37]
	s_wait_loadcnt 0x0
	s_delay_alu instid0(VALU_DEP_1)
	v_fmac_f64_e32 v[12:13], v[24:25], v[34:35]
.LBB60_42:                              ;   in Loop: Header=BB60_5 Depth=1
	s_or_b32 exec_lo, exec_lo, s40
	s_wait_loadcnt 0x3
	v_fmac_f64_e32 v[10:11], v[18:19], v[32:33]
	s_wait_loadcnt 0x2
	s_delay_alu instid0(VALU_DEP_1) | instskip(SKIP_1) | instid1(VALU_DEP_1)
	v_fmac_f64_e32 v[10:11], v[20:21], v[30:31]
	s_wait_loadcnt 0x1
	v_fmac_f64_e32 v[10:11], v[22:23], v[28:29]
	s_wait_loadcnt 0x0
	s_delay_alu instid0(VALU_DEP_1)
	v_fmac_f64_e32 v[10:11], v[24:25], v[26:27]
.LBB60_43:                              ;   in Loop: Header=BB60_5 Depth=1
	s_or_b32 exec_lo, exec_lo, s7
.LBB60_44:                              ;   in Loop: Header=BB60_5 Depth=1
	ds_store_2addr_b64 v0, v[10:11], v[12:13] offset1:32
	ds_store_2addr_b64 v0, v[14:15], v[16:17] offset0:64 offset1:96
	s_wait_loadcnt_dscnt 0x0
	s_barrier_signal -1
	s_barrier_wait -1
                                        ; implicit-def: $vgpr10_vgpr11
	s_and_saveexec_b32 s7, s5
	s_cbranch_execz .LBB60_50
; %bb.45:                               ;   in Loop: Header=BB60_5 Depth=1
	ds_load_2addr_stride64_b64 v[10:13], v60 offset1:2
	s_mov_b32 s29, s47
	s_wait_dscnt 0x0
	v_add_f64_e32 v[14:15], v[10:11], v[12:13]
	ds_load_2addr_stride64_b64 v[10:13], v60 offset0:4 offset1:6
	s_wait_dscnt 0x0
	v_add_f64_e32 v[10:11], v[10:11], v[14:15]
	s_delay_alu instid0(VALU_DEP_1) | instskip(SKIP_3) | instid1(VALU_DEP_1)
	v_add_f64_e32 v[14:15], v[12:13], v[10:11]
	ds_load_2addr_stride64_b64 v[10:13], v60 offset0:8 offset1:10
	s_wait_dscnt 0x0
	v_add_f64_e32 v[10:11], v[10:11], v[14:15]
	v_add_f64_e32 v[14:15], v[12:13], v[10:11]
	ds_load_2addr_stride64_b64 v[10:13], v60 offset0:12 offset1:14
	s_wait_dscnt 0x0
	v_add_f64_e32 v[10:11], v[10:11], v[14:15]
	s_delay_alu instid0(VALU_DEP_1) | instskip(SKIP_3) | instid1(VALU_DEP_1)
	v_add_f64_e32 v[14:15], v[12:13], v[10:11]
	ds_load_2addr_stride64_b64 v[10:13], v60 offset0:16 offset1:18
	s_wait_dscnt 0x0
	v_add_f64_e32 v[10:11], v[10:11], v[14:15]
	;; [unrolled: 9-line block ×3, first 2 shown]
	v_add_f64_e32 v[14:15], v[12:13], v[10:11]
	ds_load_2addr_stride64_b64 v[10:13], v60 offset0:28 offset1:30
	s_wait_dscnt 0x0
	v_add_f64_e32 v[10:11], v[10:11], v[14:15]
	s_delay_alu instid0(VALU_DEP_1)
	v_add_f64_e32 v[12:13], v[12:13], v[10:11]
                                        ; implicit-def: $vgpr10_vgpr11
	ds_store_b64 v60, v[12:13]
	s_and_saveexec_b32 s28, s6
	s_cbranch_execz .LBB60_49
; %bb.46:                               ;   in Loop: Header=BB60_5 Depth=1
	v_cmp_eq_f64_e32 vcc_lo, 0, v[6:7]
	v_mul_f64_e32 v[10:11], v[8:9], v[12:13]
	s_cbranch_vccnz .LBB60_48
; %bb.47:                               ;   in Loop: Header=BB60_5 Depth=1
	v_lshl_add_u64 v[8:9], v[4:5], 3, s[26:27]
	global_load_b64 v[8:9], v[8:9], off
	s_wait_loadcnt 0x0
	v_fmac_f64_e32 v[10:11], v[6:7], v[8:9]
.LBB60_48:                              ;   in Loop: Header=BB60_5 Depth=1
	s_or_b32 s29, s47, exec_lo
.LBB60_49:                              ;   in Loop: Header=BB60_5 Depth=1
	s_wait_xcnt 0x0
	s_or_b32 exec_lo, exec_lo, s28
	s_delay_alu instid0(SALU_CYCLE_1) | instskip(SKIP_1) | instid1(SALU_CYCLE_1)
	s_and_not1_b32 s28, s47, exec_lo
	s_and_b32 s29, s29, exec_lo
	s_or_b32 s47, s28, s29
.LBB60_50:                              ;   in Loop: Header=BB60_5 Depth=1
	s_or_b32 exec_lo, exec_lo, s7
	v_mov_b64_e32 v[6:7], v[4:5]
	s_and_saveexec_b32 s7, s47
	s_cbranch_execz .LBB60_3
.LBB60_51:                              ;   in Loop: Header=BB60_5 Depth=1
	s_delay_alu instid0(VALU_DEP_1)
	v_lshl_add_u64 v[6:7], v[6:7], 3, s[26:27]
	global_store_b64 v[6:7], v[10:11], off
	s_branch .LBB60_3
.LBB60_52:
	s_sendmsg sendmsg(MSG_DEALLOC_VGPRS)
	s_endpgm
	.section	.rodata,"a",@progbits
	.p2align	6, 0x0
	.amdhsa_kernel _ZL20rocblas_gemvn_kernelILi32ELi16EidPKddEviiT3_lPKT2_lT1_lS5_lS6_lS2_lPT4_lS6_li
		.amdhsa_group_segment_fixed_size 16384
		.amdhsa_private_segment_fixed_size 0
		.amdhsa_kernarg_size 400
		.amdhsa_user_sgpr_count 2
		.amdhsa_user_sgpr_dispatch_ptr 0
		.amdhsa_user_sgpr_queue_ptr 0
		.amdhsa_user_sgpr_kernarg_segment_ptr 1
		.amdhsa_user_sgpr_dispatch_id 0
		.amdhsa_user_sgpr_kernarg_preload_length 0
		.amdhsa_user_sgpr_kernarg_preload_offset 0
		.amdhsa_user_sgpr_private_segment_size 0
		.amdhsa_wavefront_size32 1
		.amdhsa_uses_dynamic_stack 0
		.amdhsa_enable_private_segment 0
		.amdhsa_system_sgpr_workgroup_id_x 1
		.amdhsa_system_sgpr_workgroup_id_y 0
		.amdhsa_system_sgpr_workgroup_id_z 1
		.amdhsa_system_sgpr_workgroup_info 0
		.amdhsa_system_vgpr_workitem_id 1
		.amdhsa_next_free_vgpr 78
		.amdhsa_next_free_sgpr 54
		.amdhsa_named_barrier_count 0
		.amdhsa_reserve_vcc 1
		.amdhsa_float_round_mode_32 0
		.amdhsa_float_round_mode_16_64 0
		.amdhsa_float_denorm_mode_32 3
		.amdhsa_float_denorm_mode_16_64 3
		.amdhsa_fp16_overflow 0
		.amdhsa_memory_ordered 1
		.amdhsa_forward_progress 1
		.amdhsa_inst_pref_size 23
		.amdhsa_round_robin_scheduling 0
		.amdhsa_exception_fp_ieee_invalid_op 0
		.amdhsa_exception_fp_denorm_src 0
		.amdhsa_exception_fp_ieee_div_zero 0
		.amdhsa_exception_fp_ieee_overflow 0
		.amdhsa_exception_fp_ieee_underflow 0
		.amdhsa_exception_fp_ieee_inexact 0
		.amdhsa_exception_int_div_zero 0
	.end_amdhsa_kernel
	.section	.text._ZL20rocblas_gemvn_kernelILi32ELi16EidPKddEviiT3_lPKT2_lT1_lS5_lS6_lS2_lPT4_lS6_li,"axG",@progbits,_ZL20rocblas_gemvn_kernelILi32ELi16EidPKddEviiT3_lPKT2_lT1_lS5_lS6_lS2_lPT4_lS6_li,comdat
.Lfunc_end60:
	.size	_ZL20rocblas_gemvn_kernelILi32ELi16EidPKddEviiT3_lPKT2_lT1_lS5_lS6_lS2_lPT4_lS6_li, .Lfunc_end60-_ZL20rocblas_gemvn_kernelILi32ELi16EidPKddEviiT3_lPKT2_lT1_lS5_lS6_lS2_lPT4_lS6_li
                                        ; -- End function
	.set _ZL20rocblas_gemvn_kernelILi32ELi16EidPKddEviiT3_lPKT2_lT1_lS5_lS6_lS2_lPT4_lS6_li.num_vgpr, 78
	.set _ZL20rocblas_gemvn_kernelILi32ELi16EidPKddEviiT3_lPKT2_lT1_lS5_lS6_lS2_lPT4_lS6_li.num_agpr, 0
	.set _ZL20rocblas_gemvn_kernelILi32ELi16EidPKddEviiT3_lPKT2_lT1_lS5_lS6_lS2_lPT4_lS6_li.numbered_sgpr, 54
	.set _ZL20rocblas_gemvn_kernelILi32ELi16EidPKddEviiT3_lPKT2_lT1_lS5_lS6_lS2_lPT4_lS6_li.num_named_barrier, 0
	.set _ZL20rocblas_gemvn_kernelILi32ELi16EidPKddEviiT3_lPKT2_lT1_lS5_lS6_lS2_lPT4_lS6_li.private_seg_size, 0
	.set _ZL20rocblas_gemvn_kernelILi32ELi16EidPKddEviiT3_lPKT2_lT1_lS5_lS6_lS2_lPT4_lS6_li.uses_vcc, 1
	.set _ZL20rocblas_gemvn_kernelILi32ELi16EidPKddEviiT3_lPKT2_lT1_lS5_lS6_lS2_lPT4_lS6_li.uses_flat_scratch, 0
	.set _ZL20rocblas_gemvn_kernelILi32ELi16EidPKddEviiT3_lPKT2_lT1_lS5_lS6_lS2_lPT4_lS6_li.has_dyn_sized_stack, 0
	.set _ZL20rocblas_gemvn_kernelILi32ELi16EidPKddEviiT3_lPKT2_lT1_lS5_lS6_lS2_lPT4_lS6_li.has_recursion, 0
	.set _ZL20rocblas_gemvn_kernelILi32ELi16EidPKddEviiT3_lPKT2_lT1_lS5_lS6_lS2_lPT4_lS6_li.has_indirect_call, 0
	.section	.AMDGPU.csdata,"",@progbits
; Kernel info:
; codeLenInByte = 2836
; TotalNumSgprs: 56
; NumVgprs: 78
; ScratchSize: 0
; MemoryBound: 0
; FloatMode: 240
; IeeeMode: 1
; LDSByteSize: 16384 bytes/workgroup (compile time only)
; SGPRBlocks: 0
; VGPRBlocks: 4
; NumSGPRsForWavesPerEU: 56
; NumVGPRsForWavesPerEU: 78
; NamedBarCnt: 0
; Occupancy: 12
; WaveLimiterHint : 1
; COMPUTE_PGM_RSRC2:SCRATCH_EN: 0
; COMPUTE_PGM_RSRC2:USER_SGPR: 2
; COMPUTE_PGM_RSRC2:TRAP_HANDLER: 0
; COMPUTE_PGM_RSRC2:TGID_X_EN: 1
; COMPUTE_PGM_RSRC2:TGID_Y_EN: 0
; COMPUTE_PGM_RSRC2:TGID_Z_EN: 1
; COMPUTE_PGM_RSRC2:TIDIG_COMP_CNT: 1
	.section	.text._ZL20rocblas_gemvn_kernelILi32ELi16EldPKddEviiT3_lPKT2_lT1_lS5_lS6_lS2_lPT4_lS6_li,"axG",@progbits,_ZL20rocblas_gemvn_kernelILi32ELi16EldPKddEviiT3_lPKT2_lT1_lS5_lS6_lS2_lPT4_lS6_li,comdat
	.globl	_ZL20rocblas_gemvn_kernelILi32ELi16EldPKddEviiT3_lPKT2_lT1_lS5_lS6_lS2_lPT4_lS6_li ; -- Begin function _ZL20rocblas_gemvn_kernelILi32ELi16EldPKddEviiT3_lPKT2_lT1_lS5_lS6_lS2_lPT4_lS6_li
	.p2align	8
	.type	_ZL20rocblas_gemvn_kernelILi32ELi16EldPKddEviiT3_lPKT2_lT1_lS5_lS6_lS2_lPT4_lS6_li,@function
_ZL20rocblas_gemvn_kernelILi32ELi16EldPKddEviiT3_lPKT2_lT1_lS5_lS6_lS2_lPT4_lS6_li: ; @_ZL20rocblas_gemvn_kernelILi32ELi16EldPKddEviiT3_lPKT2_lT1_lS5_lS6_lS2_lPT4_lS6_li
; %bb.0:
	s_load_b64 s[2:3], s[0:1], 0x9c
	s_wait_kmcnt 0x0
	s_lshr_b32 s4, s2, 16
	s_and_b32 s2, s2, 0xffff
	s_and_b32 s3, s3, 0xffff
	s_mul_i32 s2, s4, s2
	s_delay_alu instid0(SALU_CYCLE_1) | instskip(NEXT) | instid1(SALU_CYCLE_1)
	s_mul_i32 s2, s2, s3
	s_cmp_lg_u32 s2, 0x200
	s_cbranch_scc1 .LBB61_52
; %bb.1:
	s_load_b32 s33, s[0:1], 0x88
	s_bfe_u32 s2, ttmp6, 0x40014
	s_lshr_b32 s3, ttmp7, 16
	s_add_co_i32 s2, s2, 1
	s_bfe_u32 s5, ttmp6, 0x40008
	s_mul_i32 s4, s3, s2
	s_getreg_b32 s2, hwreg(HW_REG_IB_STS2, 6, 4)
	s_add_co_i32 s5, s5, s4
	s_cmp_eq_u32 s2, 0
	s_mov_b32 s11, 0
	s_cselect_b32 s10, s3, s5
	s_wait_kmcnt 0x0
	s_cmp_ge_u32 s10, s33
	s_cbranch_scc1 .LBB61_52
; %bb.2:
	s_clause 0x2
	s_load_b512 s[12:27], s[0:1], 0x8
	s_load_b512 s[36:51], s[0:1], 0x48
	s_load_b64 s[28:29], s[0:1], 0x0
	s_wait_xcnt 0x0
	s_bfe_u32 s0, ttmp6, 0x4000c
	v_and_b32_e32 v24, 0x3ff, v0
	s_add_co_i32 s0, s0, 1
	v_bfe_u32 v4, v0, 10, 10
	s_and_b32 s1, ttmp6, 15
	s_mul_i32 s0, ttmp9, s0
	v_mov_b32_e32 v1, 0
	s_add_co_i32 s1, s1, s0
	v_lshl_add_u32 v10, v4, 5, v24
	v_lshlrev_b32_e32 v92, 2, v4
	s_delay_alu instid0(VALU_DEP_3) | instskip(NEXT) | instid1(VALU_DEP_1)
	v_dual_mov_b32 v5, v1 :: v_dual_lshlrev_b32 v2, 3, v24
	v_lshl_add_u32 v93, v4, 10, v2
	v_lshl_add_u32 v94, v4, 8, v2
	s_wait_kmcnt 0x0
	s_lshl_b64 s[4:5], s[18:19], 3
	s_lshl_b64 s[18:19], s[26:27], 3
	;; [unrolled: 1-line block ×3, first 2 shown]
	s_cmp_eq_u32 s2, 0
	s_mov_b32 s2, s28
	s_cselect_b32 s0, ttmp9, s1
	s_ashr_i32 s3, s28, 31
	s_lshl_b32 s1, s0, 7
	v_cmp_gt_u32_e64 s0, 0x80, v10
	v_dual_add_nc_u32 v0, s1, v10 :: v_dual_bitop2_b32 v10, s1, v10 bitop3:0x54
	v_mul_u64_e32 v[6:7], s[36:37], v[4:5]
	v_mul_u64_e32 v[8:9], s[20:21], v[4:5]
	v_mad_nc_u64_u32 v[20:21], s36, v92, s[36:37]
	s_delay_alu instid0(VALU_DEP_4)
	v_cmp_gt_i64_e32 vcc_lo, s[2:3], v[0:1]
	v_mul_u64_e32 v[2:3], s[48:49], v[0:1]
	v_dual_ashrrev_i32 v11, 31, v10 :: v_dual_bitop2_b32 v0, 3, v92 bitop3:0x54
	v_mad_nc_u64_u32 v[22:23], s20, v92, s[20:21]
	s_ashr_i32 s2, s29, 31
	v_add_nc_u32_e32 v24, s1, v24
	s_delay_alu instid0(VALU_DEP_3)
	v_mul_u64_e32 v[12:13], s[20:21], v[0:1]
	v_mul_u64_e32 v[14:15], s[36:37], v[0:1]
	v_or_b32_e32 v0, 2, v92
	v_mul_u64_e32 v[4:5], s[48:49], v[10:11]
	s_lshr_b32 s2, s2, 26
	v_mad_u32 v21, s37, v92, v21
	s_add_co_i32 s52, s29, s2
	v_mul_u64_e32 v[16:17], s[20:21], v[0:1]
	v_mul_u64_e32 v[18:19], s[36:37], v[0:1]
	s_and_not1_b32 s52, s52, 63
	v_mad_u32 v23, s21, v92, v23
	s_sub_co_i32 s3, s29, s52
	v_dual_ashrrev_i32 v25, 31, v24 :: v_dual_add_nc_u32 v0, 32, v24
	s_cmp_gt_i32 s3, 0
	v_cmp_gt_i32_e64 s3, s28, v10
	v_add_nc_u32_e32 v28, 64, v24
	v_add_nc_u32_e32 v29, 0x60, v24
	s_add_nc_u64 s[16:17], s[16:17], s[4:5]
	s_add_nc_u64 s[30:31], s[44:45], s[6:7]
	v_cmp_gt_i32_e64 s1, s52, v92
	v_cmp_gt_i32_e64 s2, s28, v24
	v_lshlrev_b64_e32 v[10:11], 5, v[6:7]
	v_lshlrev_b64_e32 v[26:27], 5, v[8:9]
	;; [unrolled: 1-line block ×3, first 2 shown]
	v_cmp_gt_i32_e64 s4, s28, v0
	v_cmp_gt_i32_e64 s5, s28, v28
	;; [unrolled: 1-line block ×3, first 2 shown]
	v_lshl_add_u64 v[20:21], v[20:21], 3, s[24:25]
	v_add_nc_u64_e32 v[8:9], s[24:25], v[10:11]
	v_add_nc_u64_e32 v[10:11], s[16:17], v[26:27]
	v_lshl_add_u64 v[22:23], v[22:23], 3, s[16:17]
	v_lshl_add_u64 v[12:13], v[12:13], 3, s[16:17]
	;; [unrolled: 1-line block ×3, first 2 shown]
	s_add_nc_u64 s[26:27], s[24:25], s[18:19]
	s_cselect_b32 s53, -1, 0
	s_lshl_b64 s[34:35], s[38:39], 3
	s_and_b32 s28, s0, vcc_lo
	s_lshl_b64 s[44:45], s[22:23], 3
	v_lshl_add_u64 v[16:17], v[16:17], 3, s[16:17]
	v_lshl_add_u64 v[18:19], v[18:19], 3, s[24:25]
	s_lshl_b64 s[24:25], s[36:37], 9
	s_lshl_b64 s[46:47], s[20:21], 9
	s_branch .LBB61_5
.LBB61_3:                               ;   in Loop: Header=BB61_5 Depth=1
	s_wait_xcnt 0x0
	s_or_b32 exec_lo, exec_lo, s7
.LBB61_4:                               ;   in Loop: Header=BB61_5 Depth=1
	s_add_co_i32 s10, s10, 0x10000
	s_delay_alu instid0(SALU_CYCLE_1)
	s_cmp_lt_u32 s10, s33
	s_cbranch_scc0 .LBB61_52
.LBB61_5:                               ; =>This Loop Header: Depth=1
                                        ;     Child Loop BB61_18 Depth 2
	s_wait_xcnt 0x1
	s_mul_u64 s[8:9], s[14:15], s[10:11]
	s_wait_xcnt 0x0
	s_mul_u64 s[48:49], s[42:43], s[10:11]
	s_lshl_b64 s[8:9], s[8:9], 3
	s_lshl_b64 s[48:49], s[48:49], 3
	s_add_nc_u64 s[8:9], s[12:13], s[8:9]
	s_add_nc_u64 s[48:49], s[40:41], s[48:49]
	s_clause 0x1
	global_load_b64 v[26:27], v1, s[8:9]
	global_load_b64 v[24:25], v1, s[48:49]
	s_wait_loadcnt 0x1
	v_cmp_eq_f64_e32 vcc_lo, 0, v[26:27]
	s_wait_loadcnt 0x0
	v_cmp_eq_f64_e64 s7, 1.0, v[24:25]
	s_and_b32 s7, vcc_lo, s7
	s_delay_alu instid0(SALU_CYCLE_1)
	s_and_b32 vcc_lo, exec_lo, s7
	s_cbranch_vccnz .LBB61_4
; %bb.6:                                ;   in Loop: Header=BB61_5 Depth=1
	v_cmp_neq_f64_e32 vcc_lo, 0, v[26:27]
	s_wait_xcnt 0x1
	s_mul_u64 s[8:9], s[50:51], s[10:11]
	s_delay_alu instid0(SALU_CYCLE_1)
	s_lshl_b64 s[8:9], s[8:9], 3
	s_wait_xcnt 0x0
	s_add_nc_u64 s[48:49], s[30:31], s[8:9]
	s_cbranch_vccnz .LBB61_11
; %bb.7:                                ;   in Loop: Header=BB61_5 Depth=1
	s_mov_b32 s7, 0
	s_mov_b32 s54, 0
                                        ; implicit-def: $vgpr28_vgpr29
	s_and_saveexec_b32 s8, s28
	s_cbranch_execz .LBB61_23
; %bb.8:                                ;   in Loop: Header=BB61_5 Depth=1
	v_cmp_eq_f64_e32 vcc_lo, 0, v[24:25]
	v_mov_b64_e32 v[28:29], 0
	s_cbranch_vccnz .LBB61_10
; %bb.9:                                ;   in Loop: Header=BB61_5 Depth=1
	v_lshl_add_u64 v[28:29], v[2:3], 3, s[48:49]
	global_load_b64 v[28:29], v[28:29], off
	s_wait_loadcnt 0x0
	s_wait_xcnt 0x0
	v_mul_f64_e32 v[28:29], v[24:25], v[28:29]
.LBB61_10:                              ;   in Loop: Header=BB61_5 Depth=1
	s_mov_b32 s54, exec_lo
	s_or_b32 exec_lo, exec_lo, s8
	s_delay_alu instid0(SALU_CYCLE_1)
	s_and_b32 vcc_lo, exec_lo, s7
	s_cbranch_vccnz .LBB61_12
	s_branch .LBB61_24
.LBB61_11:                              ;   in Loop: Header=BB61_5 Depth=1
	s_mov_b32 s54, 0
                                        ; implicit-def: $vgpr28_vgpr29
	s_cbranch_execz .LBB61_24
.LBB61_12:                              ;   in Loop: Header=BB61_5 Depth=1
	v_mov_b64_e32 v[28:29], 0
	v_mov_b64_e32 v[30:31], 0
	;; [unrolled: 1-line block ×4, first 2 shown]
	v_mov_b32_e32 v0, v92
	s_and_saveexec_b32 s7, s1
	s_cbranch_execz .LBB61_26
; %bb.13:                               ;   in Loop: Header=BB61_5 Depth=1
	s_mul_u64 s[8:9], s[34:35], s[10:11]
	s_mul_u64 s[56:57], s[44:45], s[10:11]
	v_add_nc_u64_e32 v[36:37], s[8:9], v[8:9]
	v_add_nc_u64_e32 v[38:39], s[56:57], v[12:13]
	;; [unrolled: 1-line block ×8, first 2 shown]
	v_mov_b64_e32 v[28:29], 0
	v_mov_b64_e32 v[30:31], 0
	;; [unrolled: 1-line block ×4, first 2 shown]
	v_mov_b32_e32 v0, v92
	s_mov_b32 s8, 0
	s_branch .LBB61_18
.LBB61_14:                              ;   in Loop: Header=BB61_18 Depth=2
	s_wait_xcnt 0x0
	s_or_b32 exec_lo, exec_lo, s57
	s_wait_loadcnt 0x3
	v_fmac_f64_e32 v[32:33], v[54:55], v[90:91]
	s_wait_loadcnt 0x2
	s_delay_alu instid0(VALU_DEP_1) | instskip(SKIP_1) | instid1(VALU_DEP_1)
	v_fmac_f64_e32 v[32:33], v[58:59], v[88:89]
	s_wait_loadcnt 0x1
	v_fmac_f64_e32 v[32:33], v[56:57], v[86:87]
	s_wait_loadcnt 0x0
	s_delay_alu instid0(VALU_DEP_1)
	v_fmac_f64_e32 v[32:33], v[52:53], v[84:85]
.LBB61_15:                              ;   in Loop: Header=BB61_18 Depth=2
	s_or_b32 exec_lo, exec_lo, s56
	s_wait_loadcnt 0x3
	v_fmac_f64_e32 v[30:31], v[54:55], v[74:75]
	s_wait_loadcnt 0x2
	s_delay_alu instid0(VALU_DEP_1) | instskip(SKIP_1) | instid1(VALU_DEP_1)
	v_fmac_f64_e32 v[30:31], v[58:59], v[72:73]
	s_wait_loadcnt 0x1
	v_fmac_f64_e32 v[30:31], v[56:57], v[70:71]
	s_wait_loadcnt 0x0
	s_delay_alu instid0(VALU_DEP_1)
	v_fmac_f64_e32 v[30:31], v[52:53], v[68:69]
.LBB61_16:                              ;   in Loop: Header=BB61_18 Depth=2
	s_or_b32 exec_lo, exec_lo, s55
	s_wait_loadcnt 0x3
	v_fmac_f64_e32 v[28:29], v[54:55], v[66:67]
	s_wait_loadcnt 0x2
	s_delay_alu instid0(VALU_DEP_1) | instskip(SKIP_1) | instid1(VALU_DEP_1)
	v_fmac_f64_e32 v[28:29], v[58:59], v[64:65]
	s_wait_loadcnt 0x1
	v_fmac_f64_e32 v[28:29], v[56:57], v[62:63]
	s_wait_loadcnt 0x0
	s_delay_alu instid0(VALU_DEP_1)
	v_fmac_f64_e32 v[28:29], v[52:53], v[60:61]
.LBB61_17:                              ;   in Loop: Header=BB61_18 Depth=2
	s_or_b32 exec_lo, exec_lo, s9
	v_add_nc_u32_e32 v0, 64, v0
	v_add_nc_u64_e32 v[36:37], s[24:25], v[36:37]
	v_add_nc_u64_e32 v[38:39], s[46:47], v[38:39]
	;; [unrolled: 1-line block ×7, first 2 shown]
	v_cmp_le_i32_e32 vcc_lo, s52, v0
	v_add_nc_u64_e32 v[50:51], s[46:47], v[50:51]
	s_or_b32 s8, vcc_lo, s8
	s_delay_alu instid0(SALU_CYCLE_1)
	s_and_not1_b32 exec_lo, exec_lo, s8
	s_cbranch_execz .LBB61_25
.LBB61_18:                              ;   Parent Loop BB61_5 Depth=1
                                        ; =>  This Inner Loop Header: Depth=2
	s_and_saveexec_b32 s9, s2
	s_cbranch_execz .LBB61_17
; %bb.19:                               ;   in Loop: Header=BB61_18 Depth=2
	v_add_nc_u64_e32 v[52:53], s[18:19], v[36:37]
	v_add_nc_u64_e32 v[56:57], s[18:19], v[48:49]
	v_add_nc_u64_e32 v[60:61], s[18:19], v[46:47]
	v_add_nc_u64_e32 v[62:63], s[18:19], v[40:41]
	v_add_nc_u64_e32 v[82:83], v[42:43], v[6:7]
	v_add_nc_u64_e32 v[80:81], v[50:51], v[6:7]
	v_add_nc_u64_e32 v[76:77], v[44:45], v[6:7]
	v_add_nc_u64_e32 v[78:79], v[38:39], v[6:7]
	global_load_b64 v[54:55], v[52:53], off
	global_load_b64 v[58:59], v[56:57], off
	global_load_b64 v[56:57], v[60:61], off
	global_load_b64 v[52:53], v[62:63], off
	global_load_b64 v[66:67], v[82:83], off
	global_load_b64 v[64:65], v[80:81], off
	global_load_b64 v[62:63], v[76:77], off
	global_load_b64 v[60:61], v[78:79], off
	s_wait_xcnt 0x0
	s_and_saveexec_b32 s55, s4
	s_cbranch_execz .LBB61_16
; %bb.20:                               ;   in Loop: Header=BB61_18 Depth=2
	global_load_b64 v[74:75], v[82:83], off offset:256
	global_load_b64 v[72:73], v[80:81], off offset:256
	global_load_b64 v[70:71], v[76:77], off offset:256
	global_load_b64 v[68:69], v[78:79], off offset:256
	s_wait_xcnt 0x0
	s_and_saveexec_b32 s56, s5
	s_cbranch_execz .LBB61_15
; %bb.21:                               ;   in Loop: Header=BB61_18 Depth=2
	global_load_b64 v[90:91], v[82:83], off offset:512
	global_load_b64 v[88:89], v[80:81], off offset:512
	global_load_b64 v[86:87], v[76:77], off offset:512
	global_load_b64 v[84:85], v[78:79], off offset:512
	;; [unrolled: 8-line block ×3, first 2 shown]
	s_wait_loadcnt 0x3
	v_fmac_f64_e32 v[34:35], v[54:55], v[82:83]
	s_wait_loadcnt 0x2
	s_delay_alu instid0(VALU_DEP_1) | instskip(SKIP_1) | instid1(VALU_DEP_1)
	v_fmac_f64_e32 v[34:35], v[58:59], v[80:81]
	s_wait_loadcnt 0x1
	v_fmac_f64_e32 v[34:35], v[56:57], v[76:77]
	s_wait_loadcnt 0x0
	s_delay_alu instid0(VALU_DEP_1)
	v_fmac_f64_e32 v[34:35], v[52:53], v[78:79]
	s_branch .LBB61_14
.LBB61_23:                              ;   in Loop: Header=BB61_5 Depth=1
	s_or_b32 exec_lo, exec_lo, s8
	s_delay_alu instid0(SALU_CYCLE_1)
	s_and_b32 vcc_lo, exec_lo, s7
	s_cbranch_vccnz .LBB61_12
.LBB61_24:                              ;   in Loop: Header=BB61_5 Depth=1
	v_mov_b64_e32 v[24:25], v[2:3]
	s_and_saveexec_b32 s7, s54
	s_cbranch_execz .LBB61_3
	s_branch .LBB61_51
.LBB61_25:                              ;   in Loop: Header=BB61_5 Depth=1
	s_or_b32 exec_lo, exec_lo, s8
.LBB61_26:                              ;   in Loop: Header=BB61_5 Depth=1
	s_delay_alu instid0(SALU_CYCLE_1) | instskip(NEXT) | instid1(SALU_CYCLE_1)
	s_or_b32 exec_lo, exec_lo, s7
	s_and_not1_b32 vcc_lo, exec_lo, s53
	s_cbranch_vccnz .LBB61_44
; %bb.27:                               ;   in Loop: Header=BB61_5 Depth=1
	v_mov_b64_e32 v[42:43], 0
	v_mov_b64_e32 v[40:41], 0
	;; [unrolled: 1-line block ×4, first 2 shown]
	v_cmp_gt_i32_e32 vcc_lo, s29, v0
	v_or_b32_e32 v44, 1, v0
	s_and_saveexec_b32 s55, vcc_lo
	s_cbranch_execz .LBB61_35
; %bb.28:                               ;   in Loop: Header=BB61_5 Depth=1
	v_mul_u64_e32 v[36:37], s[36:37], v[0:1]
	s_mul_u64 s[8:9], s[38:39], s[10:11]
	v_mov_b64_e32 v[38:39], 0
	s_lshl_b64 s[8:9], s[8:9], 3
	v_mov_b64_e32 v[40:41], 0
	s_add_nc_u64 s[8:9], s[26:27], s[8:9]
	v_mov_b64_e32 v[42:43], 0
	s_mov_b32 s56, exec_lo
	s_delay_alu instid0(VALU_DEP_4)
	v_lshl_add_u64 v[36:37], v[36:37], 3, s[8:9]
	global_load_b64 v[36:37], v[36:37], off
	s_wait_xcnt 0x0
	v_cmpx_gt_i32_e64 s29, v44
	s_cbranch_execz .LBB61_34
; %bb.29:                               ;   in Loop: Header=BB61_5 Depth=1
	v_dual_mov_b32 v45, v1 :: v_dual_bitop2_b32 v46, 2, v0 bitop3:0x54
	v_mov_b64_e32 v[40:41], 0
	v_mov_b64_e32 v[42:43], 0
	s_mov_b32 s57, exec_lo
	s_delay_alu instid0(VALU_DEP_3) | instskip(NEXT) | instid1(VALU_DEP_1)
	v_mul_u64_e32 v[38:39], s[36:37], v[44:45]
	v_lshl_add_u64 v[38:39], v[38:39], 3, s[8:9]
	global_load_b64 v[38:39], v[38:39], off
	s_wait_xcnt 0x0
	v_cmpx_gt_i32_e64 s29, v46
	s_cbranch_execz .LBB61_33
; %bb.30:                               ;   in Loop: Header=BB61_5 Depth=1
	v_mov_b32_e32 v47, v1
	v_mov_b64_e32 v[42:43], 0
	s_mov_b32 s58, exec_lo
	s_delay_alu instid0(VALU_DEP_2) | instskip(SKIP_1) | instid1(VALU_DEP_2)
	v_mul_u64_e32 v[40:41], s[36:37], v[46:47]
	v_or_b32_e32 v46, 3, v0
	v_lshl_add_u64 v[40:41], v[40:41], 3, s[8:9]
	global_load_b64 v[40:41], v[40:41], off
	s_wait_xcnt 0x0
	v_cmpx_gt_i32_e64 s29, v46
	s_cbranch_execz .LBB61_32
; %bb.31:                               ;   in Loop: Header=BB61_5 Depth=1
	v_mov_b32_e32 v47, v1
	s_delay_alu instid0(VALU_DEP_1) | instskip(NEXT) | instid1(VALU_DEP_1)
	v_mul_u64_e32 v[42:43], s[36:37], v[46:47]
	v_lshl_add_u64 v[42:43], v[42:43], 3, s[8:9]
	global_load_b64 v[42:43], v[42:43], off
.LBB61_32:                              ;   in Loop: Header=BB61_5 Depth=1
	s_wait_xcnt 0x0
	s_or_b32 exec_lo, exec_lo, s58
.LBB61_33:                              ;   in Loop: Header=BB61_5 Depth=1
	s_delay_alu instid0(SALU_CYCLE_1)
	s_or_b32 exec_lo, exec_lo, s57
.LBB61_34:                              ;   in Loop: Header=BB61_5 Depth=1
	s_delay_alu instid0(SALU_CYCLE_1)
	s_or_b32 exec_lo, exec_lo, s56
.LBB61_35:                              ;   in Loop: Header=BB61_5 Depth=1
	s_delay_alu instid0(SALU_CYCLE_1)
	s_or_b32 exec_lo, exec_lo, s55
	s_and_saveexec_b32 s55, s2
	s_cbranch_execz .LBB61_43
; %bb.36:                               ;   in Loop: Header=BB61_5 Depth=1
	v_dual_mov_b32 v45, v1 :: v_dual_bitop2_b32 v46, 2, v0 bitop3:0x54
	v_mov_b32_e32 v47, v1
	v_mul_u64_e32 v[48:49], s[20:21], v[0:1]
	v_or_b32_e32 v0, 3, v0
	s_delay_alu instid0(VALU_DEP_4)
	v_mul_u64_e32 v[50:51], s[20:21], v[44:45]
	s_mul_u64 s[8:9], s[22:23], s[10:11]
	v_mul_u64_e32 v[52:53], s[20:21], v[46:47]
	v_cmp_gt_i32_e64 s7, s29, v44
	v_mul_u64_e32 v[54:55], s[20:21], v[0:1]
	s_lshl_b64 s[56:57], s[8:9], 3
	v_cmp_gt_i32_e64 s8, s29, v46
	v_cmp_gt_i32_e64 s9, s29, v0
	v_dual_cndmask_b32 v45, 0, v49 :: v_dual_cndmask_b32 v44, 0, v48
	v_dual_cndmask_b32 v47, 0, v51, s7 :: v_dual_cndmask_b32 v46, 0, v50, s7
	s_delay_alu instid0(VALU_DEP_4) | instskip(NEXT) | instid1(VALU_DEP_4)
	v_dual_cndmask_b32 v49, 0, v53, s8 :: v_dual_cndmask_b32 v48, 0, v52, s8
	v_dual_cndmask_b32 v51, 0, v55, s9 :: v_dual_cndmask_b32 v50, 0, v54, s9
	s_add_nc_u64 s[8:9], s[16:17], s[56:57]
	s_delay_alu instid0(SALU_CYCLE_1) | instskip(SKIP_3) | instid1(VALU_DEP_4)
	v_lshl_add_u64 v[44:45], v[44:45], 3, s[8:9]
	v_lshl_add_u64 v[46:47], v[46:47], 3, s[8:9]
	;; [unrolled: 1-line block ×4, first 2 shown]
	v_add_nc_u64_e32 v[66:67], v[44:45], v[6:7]
	s_delay_alu instid0(VALU_DEP_4) | instskip(NEXT) | instid1(VALU_DEP_4)
	v_add_nc_u64_e32 v[64:65], v[46:47], v[6:7]
	v_add_nc_u64_e32 v[62:63], v[48:49], v[6:7]
	s_delay_alu instid0(VALU_DEP_4)
	v_add_nc_u64_e32 v[60:61], v[50:51], v[6:7]
	s_clause 0x3
	global_load_b64 v[50:51], v[66:67], off
	global_load_b64 v[48:49], v[64:65], off
	;; [unrolled: 1-line block ×4, first 2 shown]
	s_wait_xcnt 0x0
	s_and_saveexec_b32 s7, s4
	s_cbranch_execz .LBB61_42
; %bb.37:                               ;   in Loop: Header=BB61_5 Depth=1
	s_clause 0x3
	global_load_b64 v[58:59], v[66:67], off offset:256
	global_load_b64 v[56:57], v[64:65], off offset:256
	global_load_b64 v[54:55], v[62:63], off offset:256
	global_load_b64 v[52:53], v[60:61], off offset:256
	s_wait_xcnt 0x0
	s_and_saveexec_b32 s8, s5
	s_cbranch_execz .LBB61_41
; %bb.38:                               ;   in Loop: Header=BB61_5 Depth=1
	s_clause 0x3
	global_load_b64 v[74:75], v[66:67], off offset:512
	global_load_b64 v[72:73], v[64:65], off offset:512
	global_load_b64 v[70:71], v[62:63], off offset:512
	global_load_b64 v[68:69], v[60:61], off offset:512
	;; [unrolled: 9-line block ×3, first 2 shown]
	s_wait_loadcnt 0x3
	v_fmac_f64_e32 v[34:35], v[36:37], v[66:67]
	s_wait_loadcnt 0x2
	s_delay_alu instid0(VALU_DEP_1) | instskip(SKIP_1) | instid1(VALU_DEP_1)
	v_fmac_f64_e32 v[34:35], v[38:39], v[64:65]
	s_wait_loadcnt 0x1
	v_fmac_f64_e32 v[34:35], v[40:41], v[62:63]
	s_wait_loadcnt 0x0
	s_delay_alu instid0(VALU_DEP_1)
	v_fmac_f64_e32 v[34:35], v[42:43], v[60:61]
.LBB61_40:                              ;   in Loop: Header=BB61_5 Depth=1
	s_wait_xcnt 0x0
	s_or_b32 exec_lo, exec_lo, s9
	s_wait_loadcnt 0x3
	v_fmac_f64_e32 v[32:33], v[36:37], v[74:75]
	s_wait_loadcnt 0x2
	s_delay_alu instid0(VALU_DEP_1) | instskip(SKIP_1) | instid1(VALU_DEP_1)
	v_fmac_f64_e32 v[32:33], v[38:39], v[72:73]
	s_wait_loadcnt 0x1
	v_fmac_f64_e32 v[32:33], v[40:41], v[70:71]
	s_wait_loadcnt 0x0
	s_delay_alu instid0(VALU_DEP_1)
	v_fmac_f64_e32 v[32:33], v[42:43], v[68:69]
.LBB61_41:                              ;   in Loop: Header=BB61_5 Depth=1
	s_or_b32 exec_lo, exec_lo, s8
	s_wait_loadcnt 0x3
	v_fmac_f64_e32 v[30:31], v[36:37], v[58:59]
	s_wait_loadcnt 0x2
	s_delay_alu instid0(VALU_DEP_1) | instskip(SKIP_1) | instid1(VALU_DEP_1)
	v_fmac_f64_e32 v[30:31], v[38:39], v[56:57]
	s_wait_loadcnt 0x1
	v_fmac_f64_e32 v[30:31], v[40:41], v[54:55]
	s_wait_loadcnt 0x0
	s_delay_alu instid0(VALU_DEP_1)
	v_fmac_f64_e32 v[30:31], v[42:43], v[52:53]
.LBB61_42:                              ;   in Loop: Header=BB61_5 Depth=1
	s_or_b32 exec_lo, exec_lo, s7
	s_wait_loadcnt 0x3
	v_fmac_f64_e32 v[28:29], v[36:37], v[50:51]
	s_wait_loadcnt 0x2
	s_delay_alu instid0(VALU_DEP_1) | instskip(SKIP_1) | instid1(VALU_DEP_1)
	v_fmac_f64_e32 v[28:29], v[38:39], v[48:49]
	s_wait_loadcnt 0x1
	v_fmac_f64_e32 v[28:29], v[40:41], v[46:47]
	s_wait_loadcnt 0x0
	s_delay_alu instid0(VALU_DEP_1)
	v_fmac_f64_e32 v[28:29], v[42:43], v[44:45]
.LBB61_43:                              ;   in Loop: Header=BB61_5 Depth=1
	s_or_b32 exec_lo, exec_lo, s55
.LBB61_44:                              ;   in Loop: Header=BB61_5 Depth=1
	ds_store_2addr_b64 v93, v[28:29], v[30:31] offset1:32
	ds_store_2addr_b64 v93, v[32:33], v[34:35] offset0:64 offset1:96
	s_wait_loadcnt_dscnt 0x0
	s_barrier_signal -1
	s_barrier_wait -1
                                        ; implicit-def: $vgpr28_vgpr29
	s_and_saveexec_b32 s7, s0
	s_cbranch_execz .LBB61_50
; %bb.45:                               ;   in Loop: Header=BB61_5 Depth=1
	ds_load_2addr_stride64_b64 v[28:31], v94 offset1:2
	s_mov_b32 s9, s54
	s_wait_dscnt 0x0
	v_add_f64_e32 v[32:33], v[28:29], v[30:31]
	ds_load_2addr_stride64_b64 v[28:31], v94 offset0:4 offset1:6
	s_wait_dscnt 0x0
	v_add_f64_e32 v[28:29], v[28:29], v[32:33]
	s_delay_alu instid0(VALU_DEP_1) | instskip(SKIP_3) | instid1(VALU_DEP_1)
	v_add_f64_e32 v[32:33], v[30:31], v[28:29]
	ds_load_2addr_stride64_b64 v[28:31], v94 offset0:8 offset1:10
	s_wait_dscnt 0x0
	v_add_f64_e32 v[28:29], v[28:29], v[32:33]
	v_add_f64_e32 v[32:33], v[30:31], v[28:29]
	ds_load_2addr_stride64_b64 v[28:31], v94 offset0:12 offset1:14
	s_wait_dscnt 0x0
	v_add_f64_e32 v[28:29], v[28:29], v[32:33]
	s_delay_alu instid0(VALU_DEP_1) | instskip(SKIP_3) | instid1(VALU_DEP_1)
	v_add_f64_e32 v[32:33], v[30:31], v[28:29]
	ds_load_2addr_stride64_b64 v[28:31], v94 offset0:16 offset1:18
	s_wait_dscnt 0x0
	v_add_f64_e32 v[28:29], v[28:29], v[32:33]
	;; [unrolled: 9-line block ×3, first 2 shown]
	v_add_f64_e32 v[32:33], v[30:31], v[28:29]
	ds_load_2addr_stride64_b64 v[28:31], v94 offset0:28 offset1:30
	s_wait_dscnt 0x0
	v_add_f64_e32 v[28:29], v[28:29], v[32:33]
	s_delay_alu instid0(VALU_DEP_1)
	v_add_f64_e32 v[30:31], v[30:31], v[28:29]
                                        ; implicit-def: $vgpr28_vgpr29
	ds_store_b64 v94, v[30:31]
	s_and_saveexec_b32 s8, s3
	s_cbranch_execz .LBB61_49
; %bb.46:                               ;   in Loop: Header=BB61_5 Depth=1
	v_cmp_eq_f64_e32 vcc_lo, 0, v[24:25]
	v_mul_f64_e32 v[28:29], v[26:27], v[30:31]
	s_cbranch_vccnz .LBB61_48
; %bb.47:                               ;   in Loop: Header=BB61_5 Depth=1
	v_lshl_add_u64 v[26:27], v[4:5], 3, s[48:49]
	global_load_b64 v[26:27], v[26:27], off
	s_wait_loadcnt 0x0
	v_fmac_f64_e32 v[28:29], v[24:25], v[26:27]
.LBB61_48:                              ;   in Loop: Header=BB61_5 Depth=1
	s_or_b32 s9, s54, exec_lo
.LBB61_49:                              ;   in Loop: Header=BB61_5 Depth=1
	s_wait_xcnt 0x0
	s_or_b32 exec_lo, exec_lo, s8
	s_delay_alu instid0(SALU_CYCLE_1) | instskip(SKIP_1) | instid1(SALU_CYCLE_1)
	s_and_not1_b32 s8, s54, exec_lo
	s_and_b32 s9, s9, exec_lo
	s_or_b32 s54, s8, s9
.LBB61_50:                              ;   in Loop: Header=BB61_5 Depth=1
	s_or_b32 exec_lo, exec_lo, s7
	v_mov_b64_e32 v[24:25], v[4:5]
	s_and_saveexec_b32 s7, s54
	s_cbranch_execz .LBB61_3
.LBB61_51:                              ;   in Loop: Header=BB61_5 Depth=1
	s_delay_alu instid0(VALU_DEP_1)
	v_lshl_add_u64 v[24:25], v[24:25], 3, s[48:49]
	global_store_b64 v[24:25], v[28:29], off
	s_branch .LBB61_3
.LBB61_52:
	s_sendmsg sendmsg(MSG_DEALLOC_VGPRS)
	s_endpgm
	.section	.rodata,"a",@progbits
	.p2align	6, 0x0
	.amdhsa_kernel _ZL20rocblas_gemvn_kernelILi32ELi16EldPKddEviiT3_lPKT2_lT1_lS5_lS6_lS2_lPT4_lS6_li
		.amdhsa_group_segment_fixed_size 16384
		.amdhsa_private_segment_fixed_size 0
		.amdhsa_kernarg_size 400
		.amdhsa_user_sgpr_count 2
		.amdhsa_user_sgpr_dispatch_ptr 0
		.amdhsa_user_sgpr_queue_ptr 0
		.amdhsa_user_sgpr_kernarg_segment_ptr 1
		.amdhsa_user_sgpr_dispatch_id 0
		.amdhsa_user_sgpr_kernarg_preload_length 0
		.amdhsa_user_sgpr_kernarg_preload_offset 0
		.amdhsa_user_sgpr_private_segment_size 0
		.amdhsa_wavefront_size32 1
		.amdhsa_uses_dynamic_stack 0
		.amdhsa_enable_private_segment 0
		.amdhsa_system_sgpr_workgroup_id_x 1
		.amdhsa_system_sgpr_workgroup_id_y 0
		.amdhsa_system_sgpr_workgroup_id_z 1
		.amdhsa_system_sgpr_workgroup_info 0
		.amdhsa_system_vgpr_workitem_id 1
		.amdhsa_next_free_vgpr 95
		.amdhsa_next_free_sgpr 59
		.amdhsa_named_barrier_count 0
		.amdhsa_reserve_vcc 1
		.amdhsa_float_round_mode_32 0
		.amdhsa_float_round_mode_16_64 0
		.amdhsa_float_denorm_mode_32 3
		.amdhsa_float_denorm_mode_16_64 3
		.amdhsa_fp16_overflow 0
		.amdhsa_memory_ordered 1
		.amdhsa_forward_progress 1
		.amdhsa_inst_pref_size 22
		.amdhsa_round_robin_scheduling 0
		.amdhsa_exception_fp_ieee_invalid_op 0
		.amdhsa_exception_fp_denorm_src 0
		.amdhsa_exception_fp_ieee_div_zero 0
		.amdhsa_exception_fp_ieee_overflow 0
		.amdhsa_exception_fp_ieee_underflow 0
		.amdhsa_exception_fp_ieee_inexact 0
		.amdhsa_exception_int_div_zero 0
	.end_amdhsa_kernel
	.section	.text._ZL20rocblas_gemvn_kernelILi32ELi16EldPKddEviiT3_lPKT2_lT1_lS5_lS6_lS2_lPT4_lS6_li,"axG",@progbits,_ZL20rocblas_gemvn_kernelILi32ELi16EldPKddEviiT3_lPKT2_lT1_lS5_lS6_lS2_lPT4_lS6_li,comdat
.Lfunc_end61:
	.size	_ZL20rocblas_gemvn_kernelILi32ELi16EldPKddEviiT3_lPKT2_lT1_lS5_lS6_lS2_lPT4_lS6_li, .Lfunc_end61-_ZL20rocblas_gemvn_kernelILi32ELi16EldPKddEviiT3_lPKT2_lT1_lS5_lS6_lS2_lPT4_lS6_li
                                        ; -- End function
	.set _ZL20rocblas_gemvn_kernelILi32ELi16EldPKddEviiT3_lPKT2_lT1_lS5_lS6_lS2_lPT4_lS6_li.num_vgpr, 95
	.set _ZL20rocblas_gemvn_kernelILi32ELi16EldPKddEviiT3_lPKT2_lT1_lS5_lS6_lS2_lPT4_lS6_li.num_agpr, 0
	.set _ZL20rocblas_gemvn_kernelILi32ELi16EldPKddEviiT3_lPKT2_lT1_lS5_lS6_lS2_lPT4_lS6_li.numbered_sgpr, 59
	.set _ZL20rocblas_gemvn_kernelILi32ELi16EldPKddEviiT3_lPKT2_lT1_lS5_lS6_lS2_lPT4_lS6_li.num_named_barrier, 0
	.set _ZL20rocblas_gemvn_kernelILi32ELi16EldPKddEviiT3_lPKT2_lT1_lS5_lS6_lS2_lPT4_lS6_li.private_seg_size, 0
	.set _ZL20rocblas_gemvn_kernelILi32ELi16EldPKddEviiT3_lPKT2_lT1_lS5_lS6_lS2_lPT4_lS6_li.uses_vcc, 1
	.set _ZL20rocblas_gemvn_kernelILi32ELi16EldPKddEviiT3_lPKT2_lT1_lS5_lS6_lS2_lPT4_lS6_li.uses_flat_scratch, 0
	.set _ZL20rocblas_gemvn_kernelILi32ELi16EldPKddEviiT3_lPKT2_lT1_lS5_lS6_lS2_lPT4_lS6_li.has_dyn_sized_stack, 0
	.set _ZL20rocblas_gemvn_kernelILi32ELi16EldPKddEviiT3_lPKT2_lT1_lS5_lS6_lS2_lPT4_lS6_li.has_recursion, 0
	.set _ZL20rocblas_gemvn_kernelILi32ELi16EldPKddEviiT3_lPKT2_lT1_lS5_lS6_lS2_lPT4_lS6_li.has_indirect_call, 0
	.section	.AMDGPU.csdata,"",@progbits
; Kernel info:
; codeLenInByte = 2812
; TotalNumSgprs: 61
; NumVgprs: 95
; ScratchSize: 0
; MemoryBound: 1
; FloatMode: 240
; IeeeMode: 1
; LDSByteSize: 16384 bytes/workgroup (compile time only)
; SGPRBlocks: 0
; VGPRBlocks: 5
; NumSGPRsForWavesPerEU: 61
; NumVGPRsForWavesPerEU: 95
; NamedBarCnt: 0
; Occupancy: 10
; WaveLimiterHint : 1
; COMPUTE_PGM_RSRC2:SCRATCH_EN: 0
; COMPUTE_PGM_RSRC2:USER_SGPR: 2
; COMPUTE_PGM_RSRC2:TRAP_HANDLER: 0
; COMPUTE_PGM_RSRC2:TGID_X_EN: 1
; COMPUTE_PGM_RSRC2:TGID_Y_EN: 0
; COMPUTE_PGM_RSRC2:TGID_Z_EN: 1
; COMPUTE_PGM_RSRC2:TIDIG_COMP_CNT: 1
	.section	.text._ZL20rocblas_gemvn_kernelILi32ELi16EidddEviiT3_lPKT2_lT1_lS3_lS4_lS0_lPT4_lS4_li,"axG",@progbits,_ZL20rocblas_gemvn_kernelILi32ELi16EidddEviiT3_lPKT2_lT1_lS3_lS4_lS0_lPT4_lS4_li,comdat
	.globl	_ZL20rocblas_gemvn_kernelILi32ELi16EidddEviiT3_lPKT2_lT1_lS3_lS4_lS0_lPT4_lS4_li ; -- Begin function _ZL20rocblas_gemvn_kernelILi32ELi16EidddEviiT3_lPKT2_lT1_lS3_lS4_lS0_lPT4_lS4_li
	.p2align	8
	.type	_ZL20rocblas_gemvn_kernelILi32ELi16EidddEviiT3_lPKT2_lT1_lS3_lS4_lS0_lPT4_lS4_li,@function
_ZL20rocblas_gemvn_kernelILi32ELi16EidddEviiT3_lPKT2_lT1_lS3_lS4_lS0_lPT4_lS4_li: ; @_ZL20rocblas_gemvn_kernelILi32ELi16EidddEviiT3_lPKT2_lT1_lS3_lS4_lS0_lPT4_lS4_li
; %bb.0:
	s_load_b64 s[2:3], s[0:1], 0x9c
	s_wait_kmcnt 0x0
	s_lshr_b32 s4, s2, 16
	s_and_b32 s2, s2, 0xffff
	s_and_b32 s3, s3, 0xffff
	s_mul_i32 s2, s4, s2
	s_delay_alu instid0(SALU_CYCLE_1) | instskip(NEXT) | instid1(SALU_CYCLE_1)
	s_mul_i32 s2, s2, s3
	s_cmp_lg_u32 s2, 0x200
	s_cbranch_scc1 .LBB62_53
; %bb.1:
	s_load_b32 s27, s[0:1], 0x88
	s_bfe_u32 s2, ttmp6, 0x40014
	s_lshr_b32 s3, ttmp7, 16
	s_add_co_i32 s2, s2, 1
	s_bfe_u32 s5, ttmp6, 0x40008
	s_mul_i32 s4, s3, s2
	s_getreg_b32 s2, hwreg(HW_REG_IB_STS2, 6, 4)
	s_add_co_i32 s5, s5, s4
	s_cmp_eq_u32 s2, 0
	s_mov_b32 s29, 0
	s_cselect_b32 s28, s3, s5
	s_wait_kmcnt 0x0
	s_cmp_ge_u32 s28, s27
	s_cbranch_scc1 .LBB62_53
; %bb.2:
	s_clause 0x8
	s_load_b128 s[8:11], s[0:1], 0x0
	s_load_b128 s[12:15], s[0:1], 0x50
	;; [unrolled: 1-line block ×3, first 2 shown]
	s_load_b96 s[24:26], s[0:1], 0x40
	s_load_b128 s[20:23], s[0:1], 0x68
	s_load_b32 s34, s[0:1], 0x78
	s_load_b32 s33, s[0:1], 0x28
	s_load_b128 s[16:19], s[0:1], 0x30
	s_load_b64 s[30:31], s[0:1], 0x80
	s_wait_xcnt 0x0
	s_bfe_u32 s1, ttmp6, 0x4000c
	s_and_b32 s0, ttmp6, 15
	s_add_co_i32 s1, s1, 1
	v_and_b32_e32 v4, 0x3ff, v0
	s_mul_i32 s1, ttmp9, s1
	v_bfe_u32 v3, v0, 10, 10
	s_add_co_i32 s39, s0, s1
	s_delay_alu instid0(VALU_DEP_2) | instskip(NEXT) | instid1(VALU_DEP_2)
	v_dual_mov_b32 v1, 0 :: v_dual_lshlrev_b32 v5, 3, v4
	v_lshl_add_u32 v6, v3, 5, v4
	s_delay_alu instid0(VALU_DEP_2)
	v_lshl_add_u32 v53, v3, 10, v5
	v_lshl_add_u32 v55, v3, 8, v5
	s_wait_kmcnt 0x0
	s_ashr_i32 s35, s34, 31
	v_cmp_neq_f64_e64 s3, s[10:11], 0
	v_cmp_neq_f64_e64 s37, s[14:15], 1.0
	s_lshl_b64 s[0:1], s[6:7], 3
	s_lshl_b64 s[6:7], s[24:25], 3
	;; [unrolled: 1-line block ×3, first 2 shown]
	s_add_nc_u64 s[22:23], s[4:5], s[0:1]
	s_mov_b32 s36, s8
	s_add_nc_u64 s[18:19], s[18:19], s[6:7]
	v_cmp_neq_f64_e64 s41, s[14:15], 0
	v_cmp_gt_u32_e64 s5, 0x80, v6
	s_add_nc_u64 s[20:21], s[20:21], s[24:25]
	s_or_b32 s38, s3, s37
	s_cmp_eq_u32 s2, 0
	s_cselect_b32 s0, ttmp9, s39
	s_ashr_i32 s1, s9, 31
	s_lshl_b32 s39, s0, 7
	s_lshr_b32 s0, s1, 26
	v_dual_add_nc_u32 v54, s39, v4 :: v_dual_bitop2_b32 v8, s39, v6 bitop3:0x54
	s_add_co_i32 s40, s9, s0
	v_dual_lshlrev_b32 v52, 2, v3 :: v_dual_add_nc_u32 v0, s39, v6
	s_delay_alu instid0(VALU_DEP_2)
	v_dual_add_nc_u32 v9, 32, v54 :: v_dual_add_nc_u32 v10, 64, v54
	v_add_nc_u32_e32 v11, 0x60, v54
	s_and_not1_b32 s40, s40, 63
	s_ashr_i32 s37, s8, 31
	s_sub_co_i32 s2, s9, s40
	v_cmp_gt_i64_e32 vcc_lo, s[36:37], v[0:1]
	v_mul_u64_e32 v[0:1], s[34:35], v[0:1]
	v_cmp_gt_i32_e64 s1, s8, v54
	s_cmp_gt_i32 s2, 0
	v_cmp_gt_i32_e64 s2, s8, v9
	v_cmp_gt_i32_e64 s3, s8, v10
	;; [unrolled: 1-line block ×4, first 2 shown]
	v_cmp_eq_f64_e64 s8, s[10:11], 0
	v_mul_lo_u32 v2, s34, v8
	v_mul_lo_u32 v6, v3, s26
	;; [unrolled: 1-line block ×4, first 2 shown]
	v_or_b32_e32 v5, 2, v52
	v_or_b32_e32 v10, 3, v52
	v_mad_u32 v60, s26, v52, s26
	v_cmp_gt_i32_e64 s0, s40, v52
	s_cselect_b32 s42, -1, 0
	s_and_b32 s43, s5, vcc_lo
	s_lshl_b32 s44, s33, 6
	v_ashrrev_i32_e32 v3, 31, v2
	v_mad_u32 v57, s33, v5, v4
	v_mul_lo_u32 v61, s26, v5
	v_lshlrev_b32_e32 v63, 2, v6
	v_mad_u32 v58, s33, v10, v4
	v_mul_lo_u32 v62, s26, v10
	v_add3_u32 v56, v7, s33, v4
	v_lshl_add_u32 v59, v9, 2, v4
	s_lshl_b32 s45, s26, 6
	s_branch .LBB62_5
.LBB62_3:                               ;   in Loop: Header=BB62_5 Depth=1
	s_wait_xcnt 0x0
	s_or_b32 exec_lo, exec_lo, s7
.LBB62_4:                               ;   in Loop: Header=BB62_5 Depth=1
	s_add_co_i32 s28, s28, 0x10000
	s_delay_alu instid0(SALU_CYCLE_1)
	s_cmp_lt_u32 s28, s27
	s_cbranch_scc0 .LBB62_53
.LBB62_5:                               ; =>This Loop Header: Depth=1
                                        ;     Child Loop BB62_21 Depth 2
	s_and_not1_b32 vcc_lo, exec_lo, s38
	s_cbranch_vccnz .LBB62_4
; %bb.6:                                ;   in Loop: Header=BB62_5 Depth=1
	s_mul_u64 s[24:25], s[30:31], s[28:29]
	s_and_not1_b32 vcc_lo, exec_lo, s8
	s_lshl_b64 s[24:25], s[24:25], 3
	s_delay_alu instid0(SALU_CYCLE_1)
	s_add_nc_u64 s[24:25], s[20:21], s[24:25]
	s_cbranch_vccnz .LBB62_10
; %bb.7:                                ;   in Loop: Header=BB62_5 Depth=1
	s_mov_b32 s7, 0
	s_mov_b32 s46, 0
                                        ; implicit-def: $vgpr4_vgpr5
	s_and_saveexec_b32 s34, s43
	s_cbranch_execz .LBB62_11
; %bb.8:                                ;   in Loop: Header=BB62_5 Depth=1
	s_and_not1_b32 vcc_lo, exec_lo, s41
	s_cbranch_vccnz .LBB62_13
; %bb.9:                                ;   in Loop: Header=BB62_5 Depth=1
	v_lshl_add_u64 v[4:5], v[0:1], 3, s[24:25]
	global_load_b64 v[4:5], v[4:5], off
	s_wait_loadcnt 0x0
	s_wait_xcnt 0x0
	v_mul_f64_e32 v[4:5], s[14:15], v[4:5]
	s_branch .LBB62_14
.LBB62_10:                              ;   in Loop: Header=BB62_5 Depth=1
	s_mov_b32 s46, 0
                                        ; implicit-def: $vgpr4_vgpr5
	s_cbranch_execz .LBB62_12
	s_branch .LBB62_15
.LBB62_11:                              ;   in Loop: Header=BB62_5 Depth=1
	s_or_b32 exec_lo, exec_lo, s34
	s_delay_alu instid0(SALU_CYCLE_1)
	s_and_b32 vcc_lo, exec_lo, s7
	s_cbranch_vccnz .LBB62_15
.LBB62_12:                              ;   in Loop: Header=BB62_5 Depth=1
	v_mov_b64_e32 v[6:7], v[0:1]
	s_and_saveexec_b32 s7, s46
	s_cbranch_execz .LBB62_3
	s_branch .LBB62_52
.LBB62_13:                              ;   in Loop: Header=BB62_5 Depth=1
	v_mov_b64_e32 v[4:5], 0
.LBB62_14:                              ;   in Loop: Header=BB62_5 Depth=1
	s_mov_b32 s46, exec_lo
	s_or_b32 exec_lo, exec_lo, s34
	s_delay_alu instid0(SALU_CYCLE_1)
	s_and_b32 vcc_lo, exec_lo, s7
	s_cbranch_vccz .LBB62_12
.LBB62_15:                              ;   in Loop: Header=BB62_5 Depth=1
	v_mov_b64_e32 v[4:5], 0
	v_mov_b64_e32 v[6:7], 0
	;; [unrolled: 1-line block ×4, first 2 shown]
	s_mul_u64 s[34:35], s[16:17], s[28:29]
	s_mul_u64 s[36:37], s[12:13], s[28:29]
	v_mov_b32_e32 v64, v52
	s_lshl_b64 s[34:35], s[34:35], 3
	s_lshl_b64 s[36:37], s[36:37], 3
	s_add_nc_u64 s[34:35], s[22:23], s[34:35]
	s_add_nc_u64 s[36:37], s[18:19], s[36:37]
	s_and_saveexec_b32 s7, s0
	s_cbranch_execz .LBB62_27
; %bb.16:                               ;   in Loop: Header=BB62_5 Depth=1
	v_mov_b64_e32 v[4:5], 0
	v_mov_b64_e32 v[6:7], 0
	;; [unrolled: 1-line block ×4, first 2 shown]
	v_dual_mov_b32 v65, v59 :: v_dual_mov_b32 v66, v58
	v_dual_mov_b32 v67, v57 :: v_dual_mov_b32 v68, v56
	v_mov_b32_e32 v64, v52
	s_mov_b32 s47, 0
	s_mov_b32 s48, 0
	s_branch .LBB62_21
.LBB62_17:                              ;   in Loop: Header=BB62_21 Depth=2
	s_wait_xcnt 0x0
	s_or_b32 exec_lo, exec_lo, s52
	s_wait_loadcnt 0x3
	v_fmac_f64_e32 v[8:9], v[18:19], v[48:49]
	s_wait_loadcnt 0x2
	s_delay_alu instid0(VALU_DEP_1) | instskip(SKIP_1) | instid1(VALU_DEP_1)
	v_fmac_f64_e32 v[8:9], v[16:17], v[46:47]
	s_wait_loadcnt 0x1
	v_fmac_f64_e32 v[8:9], v[14:15], v[44:45]
	s_wait_loadcnt 0x0
	s_delay_alu instid0(VALU_DEP_1)
	v_fmac_f64_e32 v[8:9], v[12:13], v[42:43]
.LBB62_18:                              ;   in Loop: Header=BB62_21 Depth=2
	s_or_b32 exec_lo, exec_lo, s51
	s_wait_loadcnt 0x3
	v_fmac_f64_e32 v[6:7], v[18:19], v[34:35]
	s_wait_loadcnt 0x2
	s_delay_alu instid0(VALU_DEP_1) | instskip(SKIP_1) | instid1(VALU_DEP_1)
	v_fmac_f64_e32 v[6:7], v[16:17], v[32:33]
	s_wait_loadcnt 0x1
	v_fmac_f64_e32 v[6:7], v[14:15], v[30:31]
	s_wait_loadcnt 0x0
	s_delay_alu instid0(VALU_DEP_1)
	v_fmac_f64_e32 v[6:7], v[12:13], v[28:29]
.LBB62_19:                              ;   in Loop: Header=BB62_21 Depth=2
	s_or_b32 exec_lo, exec_lo, s50
	s_wait_loadcnt 0x3
	v_fmac_f64_e32 v[4:5], v[18:19], v[26:27]
	s_wait_loadcnt 0x2
	s_delay_alu instid0(VALU_DEP_1) | instskip(SKIP_1) | instid1(VALU_DEP_1)
	v_fmac_f64_e32 v[4:5], v[16:17], v[24:25]
	s_wait_loadcnt 0x1
	v_fmac_f64_e32 v[4:5], v[14:15], v[22:23]
	s_wait_loadcnt 0x0
	s_delay_alu instid0(VALU_DEP_1)
	v_fmac_f64_e32 v[4:5], v[12:13], v[20:21]
.LBB62_20:                              ;   in Loop: Header=BB62_21 Depth=2
	s_or_b32 exec_lo, exec_lo, s49
	v_dual_add_nc_u32 v64, 64, v64 :: v_dual_add_nc_u32 v67, s44, v67
	v_dual_add_nc_u32 v68, s44, v68 :: v_dual_add_nc_u32 v66, s44, v66
	v_add_nc_u32_e32 v65, s44, v65
	s_delay_alu instid0(VALU_DEP_3) | instskip(SKIP_2) | instid1(SALU_CYCLE_1)
	v_cmp_le_i32_e32 vcc_lo, s40, v64
	s_add_co_i32 s48, s48, s45
	s_or_b32 s47, vcc_lo, s47
	s_and_not1_b32 exec_lo, exec_lo, s47
	s_cbranch_execz .LBB62_26
.LBB62_21:                              ;   Parent Loop BB62_5 Depth=1
                                        ; =>  This Inner Loop Header: Depth=2
	s_and_saveexec_b32 s49, s1
	s_cbranch_execz .LBB62_20
; %bb.22:                               ;   in Loop: Header=BB62_21 Depth=2
	v_dual_add_nc_u32 v29, s48, v63 :: v_dual_add_nc_u32 v31, s48, v60
	v_dual_add_nc_u32 v33, s48, v61 :: v_dual_add_nc_u32 v35, s48, v62
	;; [unrolled: 1-line block ×4, first 2 shown]
	s_clause 0x3
	global_load_b64 v[18:19], v29, s[36:37] scale_offset
	global_load_b64 v[16:17], v31, s[36:37] scale_offset
	;; [unrolled: 1-line block ×4, first 2 shown]
	s_clause 0x3
	global_load_b64 v[26:27], v28, s[34:35] scale_offset
	global_load_b64 v[24:25], v30, s[34:35] scale_offset
	;; [unrolled: 1-line block ×4, first 2 shown]
	s_wait_xcnt 0x0
	s_and_saveexec_b32 s50, s2
	s_cbranch_execz .LBB62_19
; %bb.23:                               ;   in Loop: Header=BB62_21 Depth=2
	v_dual_ashrrev_i32 v29, 31, v28 :: v_dual_ashrrev_i32 v31, 31, v30
	v_dual_ashrrev_i32 v35, 31, v34 :: v_dual_ashrrev_i32 v33, 31, v32
	s_delay_alu instid0(VALU_DEP_2) | instskip(NEXT) | instid1(VALU_DEP_3)
	v_lshl_add_u64 v[36:37], v[28:29], 3, s[34:35]
	v_lshl_add_u64 v[38:39], v[30:31], 3, s[34:35]
	s_delay_alu instid0(VALU_DEP_3) | instskip(NEXT) | instid1(VALU_DEP_4)
	v_lshl_add_u64 v[40:41], v[34:35], 3, s[34:35]
	v_lshl_add_u64 v[50:51], v[32:33], 3, s[34:35]
	s_clause 0x3
	global_load_b64 v[34:35], v[36:37], off offset:256
	global_load_b64 v[32:33], v[38:39], off offset:256
	;; [unrolled: 1-line block ×4, first 2 shown]
	s_wait_xcnt 0x0
	s_and_saveexec_b32 s51, s3
	s_cbranch_execz .LBB62_18
; %bb.24:                               ;   in Loop: Header=BB62_21 Depth=2
	s_clause 0x3
	global_load_b64 v[48:49], v[36:37], off offset:512
	global_load_b64 v[46:47], v[38:39], off offset:512
	;; [unrolled: 1-line block ×4, first 2 shown]
	s_wait_xcnt 0x0
	s_and_saveexec_b32 s52, s4
	s_cbranch_execz .LBB62_17
; %bb.25:                               ;   in Loop: Header=BB62_21 Depth=2
	s_clause 0x3
	global_load_b64 v[70:71], v[36:37], off offset:768
	global_load_b64 v[72:73], v[38:39], off offset:768
	global_load_b64 v[74:75], v[40:41], off offset:768
	global_load_b64 v[76:77], v[50:51], off offset:768
	s_wait_loadcnt 0x3
	v_fmac_f64_e32 v[10:11], v[18:19], v[70:71]
	s_wait_loadcnt 0x2
	s_delay_alu instid0(VALU_DEP_1) | instskip(SKIP_1) | instid1(VALU_DEP_1)
	v_fmac_f64_e32 v[10:11], v[16:17], v[72:73]
	s_wait_loadcnt 0x1
	v_fmac_f64_e32 v[10:11], v[14:15], v[74:75]
	s_wait_loadcnt 0x0
	s_delay_alu instid0(VALU_DEP_1)
	v_fmac_f64_e32 v[10:11], v[12:13], v[76:77]
	s_branch .LBB62_17
.LBB62_26:                              ;   in Loop: Header=BB62_5 Depth=1
	s_or_b32 exec_lo, exec_lo, s47
.LBB62_27:                              ;   in Loop: Header=BB62_5 Depth=1
	s_delay_alu instid0(SALU_CYCLE_1) | instskip(NEXT) | instid1(SALU_CYCLE_1)
	s_or_b32 exec_lo, exec_lo, s7
	s_and_not1_b32 vcc_lo, exec_lo, s42
	s_cbranch_vccnz .LBB62_45
; %bb.28:                               ;   in Loop: Header=BB62_5 Depth=1
	v_mov_b64_e32 v[18:19], 0
	v_mov_b64_e32 v[16:17], 0
	;; [unrolled: 1-line block ×4, first 2 shown]
	v_cmp_gt_i32_e32 vcc_lo, s9, v64
	v_or_b32_e32 v20, 1, v64
	s_and_saveexec_b32 s47, vcc_lo
	s_cbranch_execz .LBB62_36
; %bb.29:                               ;   in Loop: Header=BB62_5 Depth=1
	v_mul_lo_u32 v12, v64, s26
	v_mov_b64_e32 v[14:15], 0
	v_mov_b64_e32 v[16:17], 0
	;; [unrolled: 1-line block ×3, first 2 shown]
	s_mov_b32 s48, exec_lo
	global_load_b64 v[12:13], v12, s[36:37] scale_offset
	s_wait_xcnt 0x0
	v_cmpx_gt_i32_e64 s9, v20
	s_cbranch_execz .LBB62_35
; %bb.30:                               ;   in Loop: Header=BB62_5 Depth=1
	v_mul_lo_u32 v14, v20, s26
	v_mov_b64_e32 v[16:17], 0
	v_mov_b64_e32 v[18:19], 0
	v_or_b32_e32 v21, 2, v64
	s_mov_b32 s49, exec_lo
	global_load_b64 v[14:15], v14, s[36:37] scale_offset
	s_wait_xcnt 0x0
	v_cmpx_gt_i32_e64 s9, v21
	s_cbranch_execz .LBB62_34
; %bb.31:                               ;   in Loop: Header=BB62_5 Depth=1
	v_mul_lo_u32 v16, v21, s26
	v_mov_b64_e32 v[18:19], 0
	v_or_b32_e32 v21, 3, v64
	s_mov_b32 s50, exec_lo
	global_load_b64 v[16:17], v16, s[36:37] scale_offset
	s_wait_xcnt 0x0
	v_cmpx_gt_i32_e64 s9, v21
	s_cbranch_execz .LBB62_33
; %bb.32:                               ;   in Loop: Header=BB62_5 Depth=1
	v_mul_lo_u32 v18, v21, s26
	global_load_b64 v[18:19], v18, s[36:37] scale_offset
.LBB62_33:                              ;   in Loop: Header=BB62_5 Depth=1
	s_wait_xcnt 0x0
	s_or_b32 exec_lo, exec_lo, s50
.LBB62_34:                              ;   in Loop: Header=BB62_5 Depth=1
	s_delay_alu instid0(SALU_CYCLE_1)
	s_or_b32 exec_lo, exec_lo, s49
.LBB62_35:                              ;   in Loop: Header=BB62_5 Depth=1
	s_delay_alu instid0(SALU_CYCLE_1)
	s_or_b32 exec_lo, exec_lo, s48
.LBB62_36:                              ;   in Loop: Header=BB62_5 Depth=1
	s_delay_alu instid0(SALU_CYCLE_1)
	s_or_b32 exec_lo, exec_lo, s47
	s_and_saveexec_b32 s7, s1
	s_cbranch_execz .LBB62_44
; %bb.37:                               ;   in Loop: Header=BB62_5 Depth=1
	v_mul_lo_u32 v22, v64, s33
	v_or_b32_e32 v21, 2, v64
	v_mul_lo_u32 v24, v20, s33
	s_delay_alu instid0(VALU_DEP_3) | instskip(NEXT) | instid1(VALU_DEP_3)
	v_cndmask_b32_e32 v22, 0, v22, vcc_lo
	v_mul_lo_u32 v25, v21, s33
	v_cmp_gt_i32_e32 vcc_lo, s9, v20
	s_delay_alu instid0(VALU_DEP_4) | instskip(SKIP_1) | instid1(VALU_DEP_4)
	v_cndmask_b32_e32 v20, 0, v24, vcc_lo
	v_cmp_gt_i32_e32 vcc_lo, s9, v21
	v_dual_cndmask_b32 v21, 0, v25, vcc_lo :: v_dual_bitop2_b32 v23, 3, v64 bitop3:0x54
	s_delay_alu instid0(VALU_DEP_1) | instskip(SKIP_1) | instid1(VALU_DEP_2)
	v_mul_lo_u32 v26, v23, s33
	v_cmp_gt_i32_e32 vcc_lo, s9, v23
	v_cndmask_b32_e32 v23, 0, v26, vcc_lo
	v_dual_add_nc_u32 v30, v22, v54 :: v_dual_add_nc_u32 v32, v20, v54
	s_delay_alu instid0(VALU_DEP_2)
	v_dual_add_nc_u32 v34, v21, v54 :: v_dual_add_nc_u32 v28, v23, v54
	s_clause 0x3
	global_load_b64 v[26:27], v30, s[34:35] scale_offset
	global_load_b64 v[24:25], v32, s[34:35] scale_offset
	;; [unrolled: 1-line block ×4, first 2 shown]
	s_wait_xcnt 0x0
	s_and_saveexec_b32 s36, s2
	s_cbranch_execz .LBB62_43
; %bb.38:                               ;   in Loop: Header=BB62_5 Depth=1
	v_dual_ashrrev_i32 v31, 31, v30 :: v_dual_ashrrev_i32 v33, 31, v32
	v_dual_ashrrev_i32 v35, 31, v34 :: v_dual_ashrrev_i32 v29, 31, v28
	s_delay_alu instid0(VALU_DEP_2) | instskip(NEXT) | instid1(VALU_DEP_3)
	v_lshl_add_u64 v[38:39], v[30:31], 3, s[34:35]
	v_lshl_add_u64 v[36:37], v[32:33], 3, s[34:35]
	s_delay_alu instid0(VALU_DEP_3) | instskip(NEXT) | instid1(VALU_DEP_4)
	v_lshl_add_u64 v[42:43], v[34:35], 3, s[34:35]
	v_lshl_add_u64 v[46:47], v[28:29], 3, s[34:35]
	s_clause 0x3
	global_load_b64 v[34:35], v[38:39], off offset:256
	global_load_b64 v[32:33], v[36:37], off offset:256
	;; [unrolled: 1-line block ×4, first 2 shown]
	s_wait_xcnt 0x0
	s_and_saveexec_b32 s34, s3
	s_cbranch_execz .LBB62_42
; %bb.39:                               ;   in Loop: Header=BB62_5 Depth=1
	s_clause 0x3
	global_load_b64 v[50:51], v[38:39], off offset:512
	global_load_b64 v[48:49], v[36:37], off offset:512
	;; [unrolled: 1-line block ×4, first 2 shown]
	s_wait_xcnt 0x0
	s_and_saveexec_b32 s35, s4
	s_cbranch_execz .LBB62_41
; %bb.40:                               ;   in Loop: Header=BB62_5 Depth=1
	s_clause 0x3
	global_load_b64 v[64:65], v[38:39], off offset:768
	global_load_b64 v[66:67], v[36:37], off offset:768
	;; [unrolled: 1-line block ×4, first 2 shown]
	s_wait_loadcnt 0x3
	v_fmac_f64_e32 v[10:11], v[12:13], v[64:65]
	s_wait_loadcnt 0x2
	s_delay_alu instid0(VALU_DEP_1) | instskip(SKIP_1) | instid1(VALU_DEP_1)
	v_fmac_f64_e32 v[10:11], v[14:15], v[66:67]
	s_wait_loadcnt 0x1
	v_fmac_f64_e32 v[10:11], v[16:17], v[68:69]
	s_wait_loadcnt 0x0
	s_delay_alu instid0(VALU_DEP_1)
	v_fmac_f64_e32 v[10:11], v[18:19], v[70:71]
.LBB62_41:                              ;   in Loop: Header=BB62_5 Depth=1
	s_wait_xcnt 0x0
	s_or_b32 exec_lo, exec_lo, s35
	s_wait_loadcnt 0x3
	v_fmac_f64_e32 v[8:9], v[12:13], v[50:51]
	s_wait_loadcnt 0x2
	s_delay_alu instid0(VALU_DEP_1) | instskip(SKIP_1) | instid1(VALU_DEP_1)
	v_fmac_f64_e32 v[8:9], v[14:15], v[48:49]
	s_wait_loadcnt 0x1
	v_fmac_f64_e32 v[8:9], v[16:17], v[44:45]
	s_wait_loadcnt 0x0
	s_delay_alu instid0(VALU_DEP_1)
	v_fmac_f64_e32 v[8:9], v[18:19], v[40:41]
.LBB62_42:                              ;   in Loop: Header=BB62_5 Depth=1
	s_or_b32 exec_lo, exec_lo, s34
	s_wait_loadcnt 0x3
	v_fmac_f64_e32 v[6:7], v[12:13], v[34:35]
	s_wait_loadcnt 0x2
	s_delay_alu instid0(VALU_DEP_1) | instskip(SKIP_1) | instid1(VALU_DEP_1)
	v_fmac_f64_e32 v[6:7], v[14:15], v[32:33]
	s_wait_loadcnt 0x1
	v_fmac_f64_e32 v[6:7], v[16:17], v[30:31]
	s_wait_loadcnt 0x0
	s_delay_alu instid0(VALU_DEP_1)
	v_fmac_f64_e32 v[6:7], v[18:19], v[28:29]
.LBB62_43:                              ;   in Loop: Header=BB62_5 Depth=1
	s_or_b32 exec_lo, exec_lo, s36
	s_wait_loadcnt 0x3
	v_fmac_f64_e32 v[4:5], v[12:13], v[26:27]
	s_wait_loadcnt 0x2
	s_delay_alu instid0(VALU_DEP_1) | instskip(SKIP_1) | instid1(VALU_DEP_1)
	v_fmac_f64_e32 v[4:5], v[14:15], v[24:25]
	s_wait_loadcnt 0x1
	v_fmac_f64_e32 v[4:5], v[16:17], v[22:23]
	s_wait_loadcnt 0x0
	s_delay_alu instid0(VALU_DEP_1)
	v_fmac_f64_e32 v[4:5], v[18:19], v[20:21]
.LBB62_44:                              ;   in Loop: Header=BB62_5 Depth=1
	s_or_b32 exec_lo, exec_lo, s7
.LBB62_45:                              ;   in Loop: Header=BB62_5 Depth=1
	ds_store_2addr_b64 v53, v[4:5], v[6:7] offset1:32
	ds_store_2addr_b64 v53, v[8:9], v[10:11] offset0:64 offset1:96
	s_wait_loadcnt_dscnt 0x0
	s_barrier_signal -1
	s_barrier_wait -1
                                        ; implicit-def: $vgpr4_vgpr5
	s_and_saveexec_b32 s7, s5
	s_cbranch_execz .LBB62_51
; %bb.46:                               ;   in Loop: Header=BB62_5 Depth=1
	ds_load_2addr_stride64_b64 v[4:7], v55 offset1:2
	s_mov_b32 s35, s46
	s_wait_dscnt 0x0
	v_add_f64_e32 v[8:9], v[4:5], v[6:7]
	ds_load_2addr_stride64_b64 v[4:7], v55 offset0:4 offset1:6
	s_wait_dscnt 0x0
	v_add_f64_e32 v[4:5], v[4:5], v[8:9]
	s_delay_alu instid0(VALU_DEP_1) | instskip(SKIP_3) | instid1(VALU_DEP_1)
	v_add_f64_e32 v[8:9], v[6:7], v[4:5]
	ds_load_2addr_stride64_b64 v[4:7], v55 offset0:8 offset1:10
	s_wait_dscnt 0x0
	v_add_f64_e32 v[4:5], v[4:5], v[8:9]
	v_add_f64_e32 v[8:9], v[6:7], v[4:5]
	ds_load_2addr_stride64_b64 v[4:7], v55 offset0:12 offset1:14
	s_wait_dscnt 0x0
	v_add_f64_e32 v[4:5], v[4:5], v[8:9]
	s_delay_alu instid0(VALU_DEP_1) | instskip(SKIP_3) | instid1(VALU_DEP_1)
	v_add_f64_e32 v[8:9], v[6:7], v[4:5]
	ds_load_2addr_stride64_b64 v[4:7], v55 offset0:16 offset1:18
	s_wait_dscnt 0x0
	v_add_f64_e32 v[4:5], v[4:5], v[8:9]
	;; [unrolled: 9-line block ×3, first 2 shown]
	v_add_f64_e32 v[8:9], v[6:7], v[4:5]
	ds_load_2addr_stride64_b64 v[4:7], v55 offset0:28 offset1:30
	s_wait_dscnt 0x0
	v_add_f64_e32 v[4:5], v[4:5], v[8:9]
	s_delay_alu instid0(VALU_DEP_1)
	v_add_f64_e32 v[6:7], v[6:7], v[4:5]
                                        ; implicit-def: $vgpr4_vgpr5
	ds_store_b64 v55, v[6:7]
	s_and_saveexec_b32 s34, s6
	s_cbranch_execz .LBB62_50
; %bb.47:                               ;   in Loop: Header=BB62_5 Depth=1
	v_mul_f64_e32 v[4:5], s[10:11], v[6:7]
	s_and_not1_b32 vcc_lo, exec_lo, s41
	s_cbranch_vccnz .LBB62_49
; %bb.48:                               ;   in Loop: Header=BB62_5 Depth=1
	v_lshl_add_u64 v[6:7], v[2:3], 3, s[24:25]
	global_load_b64 v[6:7], v[6:7], off
	s_wait_loadcnt 0x0
	v_fmac_f64_e32 v[4:5], s[14:15], v[6:7]
.LBB62_49:                              ;   in Loop: Header=BB62_5 Depth=1
	s_or_b32 s35, s46, exec_lo
.LBB62_50:                              ;   in Loop: Header=BB62_5 Depth=1
	s_wait_xcnt 0x0
	s_or_b32 exec_lo, exec_lo, s34
	s_delay_alu instid0(SALU_CYCLE_1) | instskip(SKIP_1) | instid1(SALU_CYCLE_1)
	s_and_not1_b32 s34, s46, exec_lo
	s_and_b32 s35, s35, exec_lo
	s_or_b32 s46, s34, s35
.LBB62_51:                              ;   in Loop: Header=BB62_5 Depth=1
	s_or_b32 exec_lo, exec_lo, s7
	v_mov_b64_e32 v[6:7], v[2:3]
	s_and_saveexec_b32 s7, s46
	s_cbranch_execz .LBB62_3
.LBB62_52:                              ;   in Loop: Header=BB62_5 Depth=1
	s_delay_alu instid0(VALU_DEP_1)
	v_lshl_add_u64 v[6:7], v[6:7], 3, s[24:25]
	global_store_b64 v[6:7], v[4:5], off
	s_branch .LBB62_3
.LBB62_53:
	s_sendmsg sendmsg(MSG_DEALLOC_VGPRS)
	s_endpgm
	.section	.rodata,"a",@progbits
	.p2align	6, 0x0
	.amdhsa_kernel _ZL20rocblas_gemvn_kernelILi32ELi16EidddEviiT3_lPKT2_lT1_lS3_lS4_lS0_lPT4_lS4_li
		.amdhsa_group_segment_fixed_size 16384
		.amdhsa_private_segment_fixed_size 0
		.amdhsa_kernarg_size 400
		.amdhsa_user_sgpr_count 2
		.amdhsa_user_sgpr_dispatch_ptr 0
		.amdhsa_user_sgpr_queue_ptr 0
		.amdhsa_user_sgpr_kernarg_segment_ptr 1
		.amdhsa_user_sgpr_dispatch_id 0
		.amdhsa_user_sgpr_kernarg_preload_length 0
		.amdhsa_user_sgpr_kernarg_preload_offset 0
		.amdhsa_user_sgpr_private_segment_size 0
		.amdhsa_wavefront_size32 1
		.amdhsa_uses_dynamic_stack 0
		.amdhsa_enable_private_segment 0
		.amdhsa_system_sgpr_workgroup_id_x 1
		.amdhsa_system_sgpr_workgroup_id_y 0
		.amdhsa_system_sgpr_workgroup_id_z 1
		.amdhsa_system_sgpr_workgroup_info 0
		.amdhsa_system_vgpr_workitem_id 1
		.amdhsa_next_free_vgpr 78
		.amdhsa_next_free_sgpr 53
		.amdhsa_named_barrier_count 0
		.amdhsa_reserve_vcc 1
		.amdhsa_float_round_mode_32 0
		.amdhsa_float_round_mode_16_64 0
		.amdhsa_float_denorm_mode_32 3
		.amdhsa_float_denorm_mode_16_64 3
		.amdhsa_fp16_overflow 0
		.amdhsa_memory_ordered 1
		.amdhsa_forward_progress 1
		.amdhsa_inst_pref_size 22
		.amdhsa_round_robin_scheduling 0
		.amdhsa_exception_fp_ieee_invalid_op 0
		.amdhsa_exception_fp_denorm_src 0
		.amdhsa_exception_fp_ieee_div_zero 0
		.amdhsa_exception_fp_ieee_overflow 0
		.amdhsa_exception_fp_ieee_underflow 0
		.amdhsa_exception_fp_ieee_inexact 0
		.amdhsa_exception_int_div_zero 0
	.end_amdhsa_kernel
	.section	.text._ZL20rocblas_gemvn_kernelILi32ELi16EidddEviiT3_lPKT2_lT1_lS3_lS4_lS0_lPT4_lS4_li,"axG",@progbits,_ZL20rocblas_gemvn_kernelILi32ELi16EidddEviiT3_lPKT2_lT1_lS3_lS4_lS0_lPT4_lS4_li,comdat
.Lfunc_end62:
	.size	_ZL20rocblas_gemvn_kernelILi32ELi16EidddEviiT3_lPKT2_lT1_lS3_lS4_lS0_lPT4_lS4_li, .Lfunc_end62-_ZL20rocblas_gemvn_kernelILi32ELi16EidddEviiT3_lPKT2_lT1_lS3_lS4_lS0_lPT4_lS4_li
                                        ; -- End function
	.set _ZL20rocblas_gemvn_kernelILi32ELi16EidddEviiT3_lPKT2_lT1_lS3_lS4_lS0_lPT4_lS4_li.num_vgpr, 78
	.set _ZL20rocblas_gemvn_kernelILi32ELi16EidddEviiT3_lPKT2_lT1_lS3_lS4_lS0_lPT4_lS4_li.num_agpr, 0
	.set _ZL20rocblas_gemvn_kernelILi32ELi16EidddEviiT3_lPKT2_lT1_lS3_lS4_lS0_lPT4_lS4_li.numbered_sgpr, 53
	.set _ZL20rocblas_gemvn_kernelILi32ELi16EidddEviiT3_lPKT2_lT1_lS3_lS4_lS0_lPT4_lS4_li.num_named_barrier, 0
	.set _ZL20rocblas_gemvn_kernelILi32ELi16EidddEviiT3_lPKT2_lT1_lS3_lS4_lS0_lPT4_lS4_li.private_seg_size, 0
	.set _ZL20rocblas_gemvn_kernelILi32ELi16EidddEviiT3_lPKT2_lT1_lS3_lS4_lS0_lPT4_lS4_li.uses_vcc, 1
	.set _ZL20rocblas_gemvn_kernelILi32ELi16EidddEviiT3_lPKT2_lT1_lS3_lS4_lS0_lPT4_lS4_li.uses_flat_scratch, 0
	.set _ZL20rocblas_gemvn_kernelILi32ELi16EidddEviiT3_lPKT2_lT1_lS3_lS4_lS0_lPT4_lS4_li.has_dyn_sized_stack, 0
	.set _ZL20rocblas_gemvn_kernelILi32ELi16EidddEviiT3_lPKT2_lT1_lS3_lS4_lS0_lPT4_lS4_li.has_recursion, 0
	.set _ZL20rocblas_gemvn_kernelILi32ELi16EidddEviiT3_lPKT2_lT1_lS3_lS4_lS0_lPT4_lS4_li.has_indirect_call, 0
	.section	.AMDGPU.csdata,"",@progbits
; Kernel info:
; codeLenInByte = 2792
; TotalNumSgprs: 55
; NumVgprs: 78
; ScratchSize: 0
; MemoryBound: 0
; FloatMode: 240
; IeeeMode: 1
; LDSByteSize: 16384 bytes/workgroup (compile time only)
; SGPRBlocks: 0
; VGPRBlocks: 4
; NumSGPRsForWavesPerEU: 55
; NumVGPRsForWavesPerEU: 78
; NamedBarCnt: 0
; Occupancy: 12
; WaveLimiterHint : 1
; COMPUTE_PGM_RSRC2:SCRATCH_EN: 0
; COMPUTE_PGM_RSRC2:USER_SGPR: 2
; COMPUTE_PGM_RSRC2:TRAP_HANDLER: 0
; COMPUTE_PGM_RSRC2:TGID_X_EN: 1
; COMPUTE_PGM_RSRC2:TGID_Y_EN: 0
; COMPUTE_PGM_RSRC2:TGID_Z_EN: 1
; COMPUTE_PGM_RSRC2:TIDIG_COMP_CNT: 1
	.section	.text._ZL20rocblas_gemvn_kernelILi32ELi16EldddEviiT3_lPKT2_lT1_lS3_lS4_lS0_lPT4_lS4_li,"axG",@progbits,_ZL20rocblas_gemvn_kernelILi32ELi16EldddEviiT3_lPKT2_lT1_lS3_lS4_lS0_lPT4_lS4_li,comdat
	.globl	_ZL20rocblas_gemvn_kernelILi32ELi16EldddEviiT3_lPKT2_lT1_lS3_lS4_lS0_lPT4_lS4_li ; -- Begin function _ZL20rocblas_gemvn_kernelILi32ELi16EldddEviiT3_lPKT2_lT1_lS3_lS4_lS0_lPT4_lS4_li
	.p2align	8
	.type	_ZL20rocblas_gemvn_kernelILi32ELi16EldddEviiT3_lPKT2_lT1_lS3_lS4_lS0_lPT4_lS4_li,@function
_ZL20rocblas_gemvn_kernelILi32ELi16EldddEviiT3_lPKT2_lT1_lS3_lS4_lS0_lPT4_lS4_li: ; @_ZL20rocblas_gemvn_kernelILi32ELi16EldddEviiT3_lPKT2_lT1_lS3_lS4_lS0_lPT4_lS4_li
; %bb.0:
	s_load_b64 s[2:3], s[0:1], 0x9c
	s_wait_kmcnt 0x0
	s_lshr_b32 s4, s2, 16
	s_and_b32 s2, s2, 0xffff
	s_and_b32 s3, s3, 0xffff
	s_mul_i32 s2, s4, s2
	s_delay_alu instid0(SALU_CYCLE_1) | instskip(NEXT) | instid1(SALU_CYCLE_1)
	s_mul_i32 s2, s2, s3
	s_cmp_lg_u32 s2, 0x200
	s_cbranch_scc1 .LBB63_53
; %bb.1:
	s_load_b32 s33, s[0:1], 0x88
	s_bfe_u32 s2, ttmp6, 0x40014
	s_lshr_b32 s3, ttmp7, 16
	s_add_co_i32 s2, s2, 1
	s_bfe_u32 s5, ttmp6, 0x40008
	s_mul_i32 s4, s3, s2
	s_getreg_b32 s2, hwreg(HW_REG_IB_STS2, 6, 4)
	s_add_co_i32 s5, s5, s4
	s_cmp_eq_u32 s2, 0
	s_mov_b32 s35, 0
	s_cselect_b32 s34, s3, s5
	s_wait_kmcnt 0x0
	s_cmp_ge_u32 s34, s33
	s_cbranch_scc1 .LBB63_53
; %bb.2:
	s_clause 0x3
	s_load_b128 s[36:39], s[0:1], 0x0
	s_load_b64 s[40:41], s[0:1], 0x58
	s_load_b512 s[8:23], s[0:1], 0x18
	s_load_b256 s[24:31], s[0:1], 0x68
	v_and_b32_e32 v26, 0x3ff, v0
	v_bfe_u32 v2, v0, 10, 10
	v_mov_b32_e32 v1, 0
	s_wait_xcnt 0x0
	s_bfe_u32 s0, ttmp6, 0x4000c
	s_and_b32 s1, ttmp6, 15
	v_lshlrev_b32_e32 v0, 3, v26
	v_dual_mov_b32 v3, v1 :: v_dual_lshlrev_b32 v88, 2, v2
	s_add_co_i32 s0, s0, 1
	v_lshl_add_u32 v12, v2, 5, v26
	s_mul_i32 s0, ttmp9, s0
	v_lshl_add_u32 v89, v2, 10, v0
	s_add_co_i32 s1, s1, s0
	v_lshl_add_u32 v90, v2, 8, v0
	v_cmp_gt_u32_e64 s0, 0x80, v12
	s_wait_kmcnt 0x0
	v_cmp_neq_f64_e64 s3, s[38:39], 0
	v_cmp_neq_f64_e64 s42, s[40:41], 1.0
	v_mul_u64_e32 v[8:9], s[20:21], v[2:3]
	s_lshl_b64 s[4:5], s[10:11], 3
	s_lshl_b64 s[10:11], s[18:19], 3
	s_lshl_b64 s[6:7], s[26:27], 3
	v_mul_u64_e32 v[10:11], s[12:13], v[2:3]
	v_cmp_eq_f64_e64 s49, s[38:39], 0
	v_cmp_neq_f64_e64 s50, s[40:41], 0
	v_mad_nc_u64_u32 v[4:5], s20, v88, s[20:21]
	v_mad_nc_u64_u32 v[6:7], s12, v88, s[12:13]
	s_add_nc_u64 s[18:19], s[8:9], s[4:5]
	s_add_nc_u64 s[24:25], s[24:25], s[6:7]
	;; [unrolled: 1-line block ×3, first 2 shown]
	s_delay_alu instid0(VALU_DEP_2) | instskip(NEXT) | instid1(VALU_DEP_2)
	v_mad_u32 v5, s21, v88, v5
	v_mad_u32 v7, s13, v88, v7
	s_delay_alu instid0(VALU_DEP_2) | instskip(NEXT) | instid1(VALU_DEP_2)
	v_lshl_add_u64 v[4:5], v[4:5], 3, s[16:17]
	v_lshl_add_u64 v[6:7], v[6:7], 3, s[18:19]
	s_or_b32 s48, s3, s42
	s_cmp_eq_u32 s2, 0
	s_mov_b32 s2, s36
	s_cselect_b32 s1, ttmp9, s1
	s_ashr_i32 s3, s36, 31
	s_lshl_b32 s1, s1, 7
	v_lshlrev_b64_e32 v[24:25], 5, v[10:11]
	v_dual_add_nc_u32 v0, s1, v12 :: v_dual_bitop2_b32 v14, s1, v12 bitop3:0x54
	v_lshlrev_b64_e32 v[12:13], 5, v[8:9]
	v_add_nc_u32_e32 v26, s1, v26
	s_delay_alu instid0(VALU_DEP_3)
	v_cmp_gt_i64_e32 vcc_lo, s[2:3], v[0:1]
	v_mul_u64_e32 v[2:3], s[28:29], v[0:1]
	v_dual_ashrrev_i32 v15, 31, v14 :: v_dual_bitop2_b32 v0, 3, v88 bitop3:0x54
	s_ashr_i32 s2, s37, 31
	v_add_nc_u64_e32 v[10:11], s[16:17], v[12:13]
	s_lshr_b32 s2, s2, 26
	s_delay_alu instid0(VALU_DEP_2)
	v_mul_u64_e32 v[16:17], s[12:13], v[0:1]
	v_mul_u64_e32 v[18:19], s[20:21], v[0:1]
	v_or_b32_e32 v0, 2, v88
	v_mul_u64_e32 v[8:9], s[28:29], v[14:15]
	s_add_co_i32 s51, s37, s2
	v_dual_ashrrev_i32 v27, 31, v26 :: v_dual_add_nc_u32 v15, 64, v26
	s_delay_alu instid0(VALU_DEP_3)
	v_mul_u64_e32 v[20:21], s[12:13], v[0:1]
	v_mul_u64_e32 v[22:23], s[20:21], v[0:1]
	s_and_not1_b32 s51, s51, 63
	v_add_nc_u64_e32 v[12:13], s[18:19], v[24:25]
	v_add_nc_u32_e32 v0, 32, v26
	v_add_nc_u32_e32 v24, 0x60, v26
	s_sub_co_i32 s3, s37, s51
	v_cmp_gt_i32_e64 s5, s36, v15
	s_cmp_gt_i32 s3, 0
	v_cmp_gt_i32_e64 s3, s36, v14
	v_lshlrev_b64_e32 v[14:15], 3, v[26:27]
	v_cmp_gt_i32_e64 s1, s51, v88
	v_cmp_gt_i32_e64 s2, s36, v26
	;; [unrolled: 1-line block ×4, first 2 shown]
	s_cselect_b32 s52, -1, 0
	s_lshl_b64 s[28:29], s[22:23], 3
	s_and_b32 s36, s0, vcc_lo
	s_lshl_b64 s[42:43], s[14:15], 3
	s_lshl_b64 s[44:45], s[12:13], 9
	v_lshl_add_u64 v[16:17], v[16:17], 3, s[18:19]
	v_lshl_add_u64 v[18:19], v[18:19], 3, s[16:17]
	;; [unrolled: 1-line block ×4, first 2 shown]
	s_lshl_b64 s[16:17], s[20:21], 9
	s_branch .LBB63_5
.LBB63_3:                               ;   in Loop: Header=BB63_5 Depth=1
	s_wait_xcnt 0x0
	s_or_b32 exec_lo, exec_lo, s7
.LBB63_4:                               ;   in Loop: Header=BB63_5 Depth=1
	s_add_co_i32 s34, s34, 0x10000
	s_delay_alu instid0(SALU_CYCLE_1)
	s_cmp_lt_u32 s34, s33
	s_cbranch_scc0 .LBB63_53
.LBB63_5:                               ; =>This Loop Header: Depth=1
                                        ;     Child Loop BB63_21 Depth 2
	s_and_not1_b32 vcc_lo, exec_lo, s48
	s_cbranch_vccnz .LBB63_4
; %bb.6:                                ;   in Loop: Header=BB63_5 Depth=1
	s_mul_u64 s[8:9], s[30:31], s[34:35]
	s_and_not1_b32 vcc_lo, exec_lo, s49
	s_lshl_b64 s[8:9], s[8:9], 3
	s_delay_alu instid0(SALU_CYCLE_1)
	s_add_nc_u64 s[46:47], s[24:25], s[8:9]
	s_cbranch_vccnz .LBB63_10
; %bb.7:                                ;   in Loop: Header=BB63_5 Depth=1
	s_mov_b32 s7, 0
	s_mov_b32 s53, 0
                                        ; implicit-def: $vgpr24_vgpr25
	s_and_saveexec_b32 s8, s36
	s_cbranch_execz .LBB63_11
; %bb.8:                                ;   in Loop: Header=BB63_5 Depth=1
	s_and_not1_b32 vcc_lo, exec_lo, s50
	s_cbranch_vccnz .LBB63_13
; %bb.9:                                ;   in Loop: Header=BB63_5 Depth=1
	v_lshl_add_u64 v[24:25], v[2:3], 3, s[46:47]
	global_load_b64 v[24:25], v[24:25], off
	s_wait_loadcnt 0x0
	s_wait_xcnt 0x0
	v_mul_f64_e32 v[24:25], s[40:41], v[24:25]
	s_branch .LBB63_14
.LBB63_10:                              ;   in Loop: Header=BB63_5 Depth=1
	s_mov_b32 s53, 0
                                        ; implicit-def: $vgpr24_vgpr25
	s_cbranch_execz .LBB63_12
	s_branch .LBB63_15
.LBB63_11:                              ;   in Loop: Header=BB63_5 Depth=1
	s_or_b32 exec_lo, exec_lo, s8
	s_delay_alu instid0(SALU_CYCLE_1)
	s_and_b32 vcc_lo, exec_lo, s7
	s_cbranch_vccnz .LBB63_15
.LBB63_12:                              ;   in Loop: Header=BB63_5 Depth=1
	v_mov_b64_e32 v[26:27], v[2:3]
	s_and_saveexec_b32 s7, s53
	s_cbranch_execz .LBB63_3
	s_branch .LBB63_52
.LBB63_13:                              ;   in Loop: Header=BB63_5 Depth=1
	v_mov_b64_e32 v[24:25], 0
.LBB63_14:                              ;   in Loop: Header=BB63_5 Depth=1
	s_mov_b32 s53, exec_lo
	s_or_b32 exec_lo, exec_lo, s8
	s_delay_alu instid0(SALU_CYCLE_1)
	s_and_b32 vcc_lo, exec_lo, s7
	s_cbranch_vccz .LBB63_12
.LBB63_15:                              ;   in Loop: Header=BB63_5 Depth=1
	v_mov_b64_e32 v[24:25], 0
	v_mov_b64_e32 v[26:27], 0
	v_mov_b64_e32 v[28:29], 0
	v_mov_b64_e32 v[30:31], 0
	v_mov_b32_e32 v0, v88
	s_and_saveexec_b32 s7, s1
	s_cbranch_execz .LBB63_27
; %bb.16:                               ;   in Loop: Header=BB63_5 Depth=1
	s_mul_u64 s[8:9], s[28:29], s[34:35]
	s_mul_u64 s[54:55], s[42:43], s[34:35]
	v_add_nc_u64_e32 v[32:33], s[8:9], v[10:11]
	v_add_nc_u64_e32 v[34:35], s[54:55], v[16:17]
	;; [unrolled: 1-line block ×8, first 2 shown]
	v_mov_b64_e32 v[24:25], 0
	v_mov_b64_e32 v[26:27], 0
	;; [unrolled: 1-line block ×4, first 2 shown]
	v_mov_b32_e32 v0, v88
	s_mov_b32 s8, 0
	s_branch .LBB63_21
.LBB63_17:                              ;   in Loop: Header=BB63_21 Depth=2
	s_wait_xcnt 0x0
	s_or_b32 exec_lo, exec_lo, s56
	s_wait_loadcnt 0x3
	v_fmac_f64_e32 v[28:29], v[50:51], v[86:87]
	s_wait_loadcnt 0x2
	s_delay_alu instid0(VALU_DEP_1) | instskip(SKIP_1) | instid1(VALU_DEP_1)
	v_fmac_f64_e32 v[28:29], v[54:55], v[84:85]
	s_wait_loadcnt 0x1
	v_fmac_f64_e32 v[28:29], v[52:53], v[82:83]
	s_wait_loadcnt 0x0
	s_delay_alu instid0(VALU_DEP_1)
	v_fmac_f64_e32 v[28:29], v[48:49], v[80:81]
.LBB63_18:                              ;   in Loop: Header=BB63_21 Depth=2
	s_or_b32 exec_lo, exec_lo, s55
	s_wait_loadcnt 0x3
	v_fmac_f64_e32 v[26:27], v[50:51], v[70:71]
	s_wait_loadcnt 0x2
	s_delay_alu instid0(VALU_DEP_1) | instskip(SKIP_1) | instid1(VALU_DEP_1)
	v_fmac_f64_e32 v[26:27], v[54:55], v[68:69]
	s_wait_loadcnt 0x1
	v_fmac_f64_e32 v[26:27], v[52:53], v[66:67]
	s_wait_loadcnt 0x0
	s_delay_alu instid0(VALU_DEP_1)
	v_fmac_f64_e32 v[26:27], v[48:49], v[64:65]
.LBB63_19:                              ;   in Loop: Header=BB63_21 Depth=2
	s_or_b32 exec_lo, exec_lo, s54
	s_wait_loadcnt 0x3
	v_fmac_f64_e32 v[24:25], v[50:51], v[62:63]
	s_wait_loadcnt 0x2
	s_delay_alu instid0(VALU_DEP_1) | instskip(SKIP_1) | instid1(VALU_DEP_1)
	v_fmac_f64_e32 v[24:25], v[54:55], v[60:61]
	s_wait_loadcnt 0x1
	v_fmac_f64_e32 v[24:25], v[52:53], v[58:59]
	s_wait_loadcnt 0x0
	s_delay_alu instid0(VALU_DEP_1)
	v_fmac_f64_e32 v[24:25], v[48:49], v[56:57]
.LBB63_20:                              ;   in Loop: Header=BB63_21 Depth=2
	s_or_b32 exec_lo, exec_lo, s9
	v_add_nc_u32_e32 v0, 64, v0
	v_add_nc_u64_e32 v[32:33], s[16:17], v[32:33]
	v_add_nc_u64_e32 v[34:35], s[44:45], v[34:35]
	;; [unrolled: 1-line block ×7, first 2 shown]
	v_cmp_le_i32_e32 vcc_lo, s51, v0
	v_add_nc_u64_e32 v[46:47], s[44:45], v[46:47]
	s_or_b32 s8, vcc_lo, s8
	s_delay_alu instid0(SALU_CYCLE_1)
	s_and_not1_b32 exec_lo, exec_lo, s8
	s_cbranch_execz .LBB63_26
.LBB63_21:                              ;   Parent Loop BB63_5 Depth=1
                                        ; =>  This Inner Loop Header: Depth=2
	s_and_saveexec_b32 s9, s2
	s_cbranch_execz .LBB63_20
; %bb.22:                               ;   in Loop: Header=BB63_21 Depth=2
	v_add_nc_u64_e32 v[48:49], s[10:11], v[32:33]
	v_add_nc_u64_e32 v[52:53], s[10:11], v[44:45]
	;; [unrolled: 1-line block ×8, first 2 shown]
	global_load_b64 v[50:51], v[48:49], off
	global_load_b64 v[54:55], v[52:53], off
	;; [unrolled: 1-line block ×8, first 2 shown]
	s_wait_xcnt 0x0
	s_and_saveexec_b32 s54, s4
	s_cbranch_execz .LBB63_19
; %bb.23:                               ;   in Loop: Header=BB63_21 Depth=2
	global_load_b64 v[70:71], v[78:79], off offset:256
	global_load_b64 v[68:69], v[76:77], off offset:256
	global_load_b64 v[66:67], v[72:73], off offset:256
	global_load_b64 v[64:65], v[74:75], off offset:256
	s_wait_xcnt 0x0
	s_and_saveexec_b32 s55, s5
	s_cbranch_execz .LBB63_18
; %bb.24:                               ;   in Loop: Header=BB63_21 Depth=2
	global_load_b64 v[86:87], v[78:79], off offset:512
	global_load_b64 v[84:85], v[76:77], off offset:512
	global_load_b64 v[82:83], v[72:73], off offset:512
	global_load_b64 v[80:81], v[74:75], off offset:512
	;; [unrolled: 8-line block ×3, first 2 shown]
	s_wait_loadcnt 0x3
	v_fmac_f64_e32 v[30:31], v[50:51], v[78:79]
	s_wait_loadcnt 0x2
	s_delay_alu instid0(VALU_DEP_1) | instskip(SKIP_1) | instid1(VALU_DEP_1)
	v_fmac_f64_e32 v[30:31], v[54:55], v[76:77]
	s_wait_loadcnt 0x1
	v_fmac_f64_e32 v[30:31], v[52:53], v[72:73]
	s_wait_loadcnt 0x0
	s_delay_alu instid0(VALU_DEP_1)
	v_fmac_f64_e32 v[30:31], v[48:49], v[74:75]
	s_branch .LBB63_17
.LBB63_26:                              ;   in Loop: Header=BB63_5 Depth=1
	s_or_b32 exec_lo, exec_lo, s8
.LBB63_27:                              ;   in Loop: Header=BB63_5 Depth=1
	s_delay_alu instid0(SALU_CYCLE_1) | instskip(NEXT) | instid1(SALU_CYCLE_1)
	s_or_b32 exec_lo, exec_lo, s7
	s_and_not1_b32 vcc_lo, exec_lo, s52
	s_cbranch_vccnz .LBB63_45
; %bb.28:                               ;   in Loop: Header=BB63_5 Depth=1
	v_mov_b64_e32 v[38:39], 0
	v_mov_b64_e32 v[36:37], 0
	;; [unrolled: 1-line block ×4, first 2 shown]
	v_cmp_gt_i32_e32 vcc_lo, s37, v0
	v_or_b32_e32 v40, 1, v0
	s_and_saveexec_b32 s54, vcc_lo
	s_cbranch_execz .LBB63_36
; %bb.29:                               ;   in Loop: Header=BB63_5 Depth=1
	v_mul_u64_e32 v[32:33], s[20:21], v[0:1]
	s_mul_u64 s[8:9], s[22:23], s[34:35]
	v_mov_b64_e32 v[34:35], 0
	s_lshl_b64 s[8:9], s[8:9], 3
	v_mov_b64_e32 v[36:37], 0
	s_add_nc_u64 s[8:9], s[26:27], s[8:9]
	v_mov_b64_e32 v[38:39], 0
	s_mov_b32 s55, exec_lo
	s_delay_alu instid0(VALU_DEP_4)
	v_lshl_add_u64 v[32:33], v[32:33], 3, s[8:9]
	global_load_b64 v[32:33], v[32:33], off
	s_wait_xcnt 0x0
	v_cmpx_gt_i32_e64 s37, v40
	s_cbranch_execz .LBB63_35
; %bb.30:                               ;   in Loop: Header=BB63_5 Depth=1
	v_dual_mov_b32 v41, v1 :: v_dual_bitop2_b32 v42, 2, v0 bitop3:0x54
	v_mov_b64_e32 v[36:37], 0
	v_mov_b64_e32 v[38:39], 0
	s_mov_b32 s56, exec_lo
	s_delay_alu instid0(VALU_DEP_3) | instskip(NEXT) | instid1(VALU_DEP_1)
	v_mul_u64_e32 v[34:35], s[20:21], v[40:41]
	v_lshl_add_u64 v[34:35], v[34:35], 3, s[8:9]
	global_load_b64 v[34:35], v[34:35], off
	s_wait_xcnt 0x0
	v_cmpx_gt_i32_e64 s37, v42
	s_cbranch_execz .LBB63_34
; %bb.31:                               ;   in Loop: Header=BB63_5 Depth=1
	v_mov_b32_e32 v43, v1
	v_mov_b64_e32 v[38:39], 0
	s_mov_b32 s57, exec_lo
	s_delay_alu instid0(VALU_DEP_2) | instskip(SKIP_1) | instid1(VALU_DEP_2)
	v_mul_u64_e32 v[36:37], s[20:21], v[42:43]
	v_or_b32_e32 v42, 3, v0
	v_lshl_add_u64 v[36:37], v[36:37], 3, s[8:9]
	global_load_b64 v[36:37], v[36:37], off
	s_wait_xcnt 0x0
	v_cmpx_gt_i32_e64 s37, v42
	s_cbranch_execz .LBB63_33
; %bb.32:                               ;   in Loop: Header=BB63_5 Depth=1
	v_mov_b32_e32 v43, v1
	s_delay_alu instid0(VALU_DEP_1) | instskip(NEXT) | instid1(VALU_DEP_1)
	v_mul_u64_e32 v[38:39], s[20:21], v[42:43]
	v_lshl_add_u64 v[38:39], v[38:39], 3, s[8:9]
	global_load_b64 v[38:39], v[38:39], off
.LBB63_33:                              ;   in Loop: Header=BB63_5 Depth=1
	s_wait_xcnt 0x0
	s_or_b32 exec_lo, exec_lo, s57
.LBB63_34:                              ;   in Loop: Header=BB63_5 Depth=1
	s_delay_alu instid0(SALU_CYCLE_1)
	s_or_b32 exec_lo, exec_lo, s56
.LBB63_35:                              ;   in Loop: Header=BB63_5 Depth=1
	s_delay_alu instid0(SALU_CYCLE_1)
	s_or_b32 exec_lo, exec_lo, s55
.LBB63_36:                              ;   in Loop: Header=BB63_5 Depth=1
	s_delay_alu instid0(SALU_CYCLE_1)
	s_or_b32 exec_lo, exec_lo, s54
	s_and_saveexec_b32 s54, s2
	s_cbranch_execz .LBB63_44
; %bb.37:                               ;   in Loop: Header=BB63_5 Depth=1
	v_dual_mov_b32 v41, v1 :: v_dual_bitop2_b32 v42, 2, v0 bitop3:0x54
	v_mov_b32_e32 v43, v1
	v_mul_u64_e32 v[44:45], s[12:13], v[0:1]
	v_or_b32_e32 v0, 3, v0
	s_delay_alu instid0(VALU_DEP_4)
	v_mul_u64_e32 v[46:47], s[12:13], v[40:41]
	s_mul_u64 s[8:9], s[14:15], s[34:35]
	v_mul_u64_e32 v[48:49], s[12:13], v[42:43]
	v_cmp_gt_i32_e64 s7, s37, v40
	v_mul_u64_e32 v[50:51], s[12:13], v[0:1]
	s_lshl_b64 s[56:57], s[8:9], 3
	v_cmp_gt_i32_e64 s8, s37, v42
	v_cmp_gt_i32_e64 s9, s37, v0
	v_dual_cndmask_b32 v41, 0, v45 :: v_dual_cndmask_b32 v40, 0, v44
	v_dual_cndmask_b32 v43, 0, v47, s7 :: v_dual_cndmask_b32 v42, 0, v46, s7
	s_delay_alu instid0(VALU_DEP_4) | instskip(NEXT) | instid1(VALU_DEP_4)
	v_dual_cndmask_b32 v45, 0, v49, s8 :: v_dual_cndmask_b32 v44, 0, v48, s8
	v_dual_cndmask_b32 v47, 0, v51, s9 :: v_dual_cndmask_b32 v46, 0, v50, s9
	s_add_nc_u64 s[8:9], s[18:19], s[56:57]
	s_delay_alu instid0(SALU_CYCLE_1) | instskip(SKIP_3) | instid1(VALU_DEP_4)
	v_lshl_add_u64 v[40:41], v[40:41], 3, s[8:9]
	v_lshl_add_u64 v[42:43], v[42:43], 3, s[8:9]
	;; [unrolled: 1-line block ×4, first 2 shown]
	v_add_nc_u64_e32 v[62:63], v[40:41], v[14:15]
	s_delay_alu instid0(VALU_DEP_4) | instskip(NEXT) | instid1(VALU_DEP_4)
	v_add_nc_u64_e32 v[60:61], v[42:43], v[14:15]
	v_add_nc_u64_e32 v[58:59], v[44:45], v[14:15]
	s_delay_alu instid0(VALU_DEP_4)
	v_add_nc_u64_e32 v[56:57], v[46:47], v[14:15]
	s_clause 0x3
	global_load_b64 v[46:47], v[62:63], off
	global_load_b64 v[44:45], v[60:61], off
	global_load_b64 v[42:43], v[58:59], off
	global_load_b64 v[40:41], v[56:57], off
	s_wait_xcnt 0x0
	s_and_saveexec_b32 s7, s4
	s_cbranch_execz .LBB63_43
; %bb.38:                               ;   in Loop: Header=BB63_5 Depth=1
	s_clause 0x3
	global_load_b64 v[54:55], v[62:63], off offset:256
	global_load_b64 v[52:53], v[60:61], off offset:256
	global_load_b64 v[50:51], v[58:59], off offset:256
	global_load_b64 v[48:49], v[56:57], off offset:256
	s_wait_xcnt 0x0
	s_and_saveexec_b32 s8, s5
	s_cbranch_execz .LBB63_42
; %bb.39:                               ;   in Loop: Header=BB63_5 Depth=1
	s_clause 0x3
	global_load_b64 v[70:71], v[62:63], off offset:512
	global_load_b64 v[68:69], v[60:61], off offset:512
	global_load_b64 v[66:67], v[58:59], off offset:512
	global_load_b64 v[64:65], v[56:57], off offset:512
	;; [unrolled: 9-line block ×3, first 2 shown]
	s_wait_loadcnt 0x3
	v_fmac_f64_e32 v[30:31], v[32:33], v[62:63]
	s_wait_loadcnt 0x2
	s_delay_alu instid0(VALU_DEP_1) | instskip(SKIP_1) | instid1(VALU_DEP_1)
	v_fmac_f64_e32 v[30:31], v[34:35], v[60:61]
	s_wait_loadcnt 0x1
	v_fmac_f64_e32 v[30:31], v[36:37], v[58:59]
	s_wait_loadcnt 0x0
	s_delay_alu instid0(VALU_DEP_1)
	v_fmac_f64_e32 v[30:31], v[38:39], v[56:57]
.LBB63_41:                              ;   in Loop: Header=BB63_5 Depth=1
	s_wait_xcnt 0x0
	s_or_b32 exec_lo, exec_lo, s9
	s_wait_loadcnt 0x3
	v_fmac_f64_e32 v[28:29], v[32:33], v[70:71]
	s_wait_loadcnt 0x2
	s_delay_alu instid0(VALU_DEP_1) | instskip(SKIP_1) | instid1(VALU_DEP_1)
	v_fmac_f64_e32 v[28:29], v[34:35], v[68:69]
	s_wait_loadcnt 0x1
	v_fmac_f64_e32 v[28:29], v[36:37], v[66:67]
	s_wait_loadcnt 0x0
	s_delay_alu instid0(VALU_DEP_1)
	v_fmac_f64_e32 v[28:29], v[38:39], v[64:65]
.LBB63_42:                              ;   in Loop: Header=BB63_5 Depth=1
	s_or_b32 exec_lo, exec_lo, s8
	s_wait_loadcnt 0x3
	v_fmac_f64_e32 v[26:27], v[32:33], v[54:55]
	s_wait_loadcnt 0x2
	s_delay_alu instid0(VALU_DEP_1) | instskip(SKIP_1) | instid1(VALU_DEP_1)
	v_fmac_f64_e32 v[26:27], v[34:35], v[52:53]
	s_wait_loadcnt 0x1
	v_fmac_f64_e32 v[26:27], v[36:37], v[50:51]
	s_wait_loadcnt 0x0
	s_delay_alu instid0(VALU_DEP_1)
	v_fmac_f64_e32 v[26:27], v[38:39], v[48:49]
.LBB63_43:                              ;   in Loop: Header=BB63_5 Depth=1
	s_or_b32 exec_lo, exec_lo, s7
	s_wait_loadcnt 0x3
	v_fmac_f64_e32 v[24:25], v[32:33], v[46:47]
	s_wait_loadcnt 0x2
	s_delay_alu instid0(VALU_DEP_1) | instskip(SKIP_1) | instid1(VALU_DEP_1)
	v_fmac_f64_e32 v[24:25], v[34:35], v[44:45]
	s_wait_loadcnt 0x1
	v_fmac_f64_e32 v[24:25], v[36:37], v[42:43]
	s_wait_loadcnt 0x0
	s_delay_alu instid0(VALU_DEP_1)
	v_fmac_f64_e32 v[24:25], v[38:39], v[40:41]
.LBB63_44:                              ;   in Loop: Header=BB63_5 Depth=1
	s_or_b32 exec_lo, exec_lo, s54
.LBB63_45:                              ;   in Loop: Header=BB63_5 Depth=1
	ds_store_2addr_b64 v89, v[24:25], v[26:27] offset1:32
	ds_store_2addr_b64 v89, v[28:29], v[30:31] offset0:64 offset1:96
	s_wait_loadcnt_dscnt 0x0
	s_barrier_signal -1
	s_barrier_wait -1
                                        ; implicit-def: $vgpr24_vgpr25
	s_and_saveexec_b32 s7, s0
	s_cbranch_execz .LBB63_51
; %bb.46:                               ;   in Loop: Header=BB63_5 Depth=1
	ds_load_2addr_stride64_b64 v[24:27], v90 offset1:2
	s_mov_b32 s9, s53
	s_wait_dscnt 0x0
	v_add_f64_e32 v[28:29], v[24:25], v[26:27]
	ds_load_2addr_stride64_b64 v[24:27], v90 offset0:4 offset1:6
	s_wait_dscnt 0x0
	v_add_f64_e32 v[24:25], v[24:25], v[28:29]
	s_delay_alu instid0(VALU_DEP_1) | instskip(SKIP_3) | instid1(VALU_DEP_1)
	v_add_f64_e32 v[28:29], v[26:27], v[24:25]
	ds_load_2addr_stride64_b64 v[24:27], v90 offset0:8 offset1:10
	s_wait_dscnt 0x0
	v_add_f64_e32 v[24:25], v[24:25], v[28:29]
	v_add_f64_e32 v[28:29], v[26:27], v[24:25]
	ds_load_2addr_stride64_b64 v[24:27], v90 offset0:12 offset1:14
	s_wait_dscnt 0x0
	v_add_f64_e32 v[24:25], v[24:25], v[28:29]
	s_delay_alu instid0(VALU_DEP_1) | instskip(SKIP_3) | instid1(VALU_DEP_1)
	v_add_f64_e32 v[28:29], v[26:27], v[24:25]
	ds_load_2addr_stride64_b64 v[24:27], v90 offset0:16 offset1:18
	s_wait_dscnt 0x0
	v_add_f64_e32 v[24:25], v[24:25], v[28:29]
	;; [unrolled: 9-line block ×3, first 2 shown]
	v_add_f64_e32 v[28:29], v[26:27], v[24:25]
	ds_load_2addr_stride64_b64 v[24:27], v90 offset0:28 offset1:30
	s_wait_dscnt 0x0
	v_add_f64_e32 v[24:25], v[24:25], v[28:29]
	s_delay_alu instid0(VALU_DEP_1)
	v_add_f64_e32 v[26:27], v[26:27], v[24:25]
                                        ; implicit-def: $vgpr24_vgpr25
	ds_store_b64 v90, v[26:27]
	s_and_saveexec_b32 s8, s3
	s_cbranch_execz .LBB63_50
; %bb.47:                               ;   in Loop: Header=BB63_5 Depth=1
	v_mul_f64_e32 v[24:25], s[38:39], v[26:27]
	s_and_not1_b32 vcc_lo, exec_lo, s50
	s_cbranch_vccnz .LBB63_49
; %bb.48:                               ;   in Loop: Header=BB63_5 Depth=1
	v_lshl_add_u64 v[26:27], v[8:9], 3, s[46:47]
	global_load_b64 v[26:27], v[26:27], off
	s_wait_loadcnt 0x0
	v_fmac_f64_e32 v[24:25], s[40:41], v[26:27]
.LBB63_49:                              ;   in Loop: Header=BB63_5 Depth=1
	s_or_b32 s9, s53, exec_lo
.LBB63_50:                              ;   in Loop: Header=BB63_5 Depth=1
	s_wait_xcnt 0x0
	s_or_b32 exec_lo, exec_lo, s8
	s_delay_alu instid0(SALU_CYCLE_1) | instskip(SKIP_1) | instid1(SALU_CYCLE_1)
	s_and_not1_b32 s8, s53, exec_lo
	s_and_b32 s9, s9, exec_lo
	s_or_b32 s53, s8, s9
.LBB63_51:                              ;   in Loop: Header=BB63_5 Depth=1
	s_or_b32 exec_lo, exec_lo, s7
	v_mov_b64_e32 v[26:27], v[8:9]
	s_and_saveexec_b32 s7, s53
	s_cbranch_execz .LBB63_3
.LBB63_52:                              ;   in Loop: Header=BB63_5 Depth=1
	s_delay_alu instid0(VALU_DEP_1)
	v_lshl_add_u64 v[26:27], v[26:27], 3, s[46:47]
	global_store_b64 v[26:27], v[24:25], off
	s_branch .LBB63_3
.LBB63_53:
	s_sendmsg sendmsg(MSG_DEALLOC_VGPRS)
	s_endpgm
	.section	.rodata,"a",@progbits
	.p2align	6, 0x0
	.amdhsa_kernel _ZL20rocblas_gemvn_kernelILi32ELi16EldddEviiT3_lPKT2_lT1_lS3_lS4_lS0_lPT4_lS4_li
		.amdhsa_group_segment_fixed_size 16384
		.amdhsa_private_segment_fixed_size 0
		.amdhsa_kernarg_size 400
		.amdhsa_user_sgpr_count 2
		.amdhsa_user_sgpr_dispatch_ptr 0
		.amdhsa_user_sgpr_queue_ptr 0
		.amdhsa_user_sgpr_kernarg_segment_ptr 1
		.amdhsa_user_sgpr_dispatch_id 0
		.amdhsa_user_sgpr_kernarg_preload_length 0
		.amdhsa_user_sgpr_kernarg_preload_offset 0
		.amdhsa_user_sgpr_private_segment_size 0
		.amdhsa_wavefront_size32 1
		.amdhsa_uses_dynamic_stack 0
		.amdhsa_enable_private_segment 0
		.amdhsa_system_sgpr_workgroup_id_x 1
		.amdhsa_system_sgpr_workgroup_id_y 0
		.amdhsa_system_sgpr_workgroup_id_z 1
		.amdhsa_system_sgpr_workgroup_info 0
		.amdhsa_system_vgpr_workitem_id 1
		.amdhsa_next_free_vgpr 91
		.amdhsa_next_free_sgpr 58
		.amdhsa_named_barrier_count 0
		.amdhsa_reserve_vcc 1
		.amdhsa_float_round_mode_32 0
		.amdhsa_float_round_mode_16_64 0
		.amdhsa_float_denorm_mode_32 3
		.amdhsa_float_denorm_mode_16_64 3
		.amdhsa_fp16_overflow 0
		.amdhsa_memory_ordered 1
		.amdhsa_forward_progress 1
		.amdhsa_inst_pref_size 22
		.amdhsa_round_robin_scheduling 0
		.amdhsa_exception_fp_ieee_invalid_op 0
		.amdhsa_exception_fp_denorm_src 0
		.amdhsa_exception_fp_ieee_div_zero 0
		.amdhsa_exception_fp_ieee_overflow 0
		.amdhsa_exception_fp_ieee_underflow 0
		.amdhsa_exception_fp_ieee_inexact 0
		.amdhsa_exception_int_div_zero 0
	.end_amdhsa_kernel
	.section	.text._ZL20rocblas_gemvn_kernelILi32ELi16EldddEviiT3_lPKT2_lT1_lS3_lS4_lS0_lPT4_lS4_li,"axG",@progbits,_ZL20rocblas_gemvn_kernelILi32ELi16EldddEviiT3_lPKT2_lT1_lS3_lS4_lS0_lPT4_lS4_li,comdat
.Lfunc_end63:
	.size	_ZL20rocblas_gemvn_kernelILi32ELi16EldddEviiT3_lPKT2_lT1_lS3_lS4_lS0_lPT4_lS4_li, .Lfunc_end63-_ZL20rocblas_gemvn_kernelILi32ELi16EldddEviiT3_lPKT2_lT1_lS3_lS4_lS0_lPT4_lS4_li
                                        ; -- End function
	.set _ZL20rocblas_gemvn_kernelILi32ELi16EldddEviiT3_lPKT2_lT1_lS3_lS4_lS0_lPT4_lS4_li.num_vgpr, 91
	.set _ZL20rocblas_gemvn_kernelILi32ELi16EldddEviiT3_lPKT2_lT1_lS3_lS4_lS0_lPT4_lS4_li.num_agpr, 0
	.set _ZL20rocblas_gemvn_kernelILi32ELi16EldddEviiT3_lPKT2_lT1_lS3_lS4_lS0_lPT4_lS4_li.numbered_sgpr, 58
	.set _ZL20rocblas_gemvn_kernelILi32ELi16EldddEviiT3_lPKT2_lT1_lS3_lS4_lS0_lPT4_lS4_li.num_named_barrier, 0
	.set _ZL20rocblas_gemvn_kernelILi32ELi16EldddEviiT3_lPKT2_lT1_lS3_lS4_lS0_lPT4_lS4_li.private_seg_size, 0
	.set _ZL20rocblas_gemvn_kernelILi32ELi16EldddEviiT3_lPKT2_lT1_lS3_lS4_lS0_lPT4_lS4_li.uses_vcc, 1
	.set _ZL20rocblas_gemvn_kernelILi32ELi16EldddEviiT3_lPKT2_lT1_lS3_lS4_lS0_lPT4_lS4_li.uses_flat_scratch, 0
	.set _ZL20rocblas_gemvn_kernelILi32ELi16EldddEviiT3_lPKT2_lT1_lS3_lS4_lS0_lPT4_lS4_li.has_dyn_sized_stack, 0
	.set _ZL20rocblas_gemvn_kernelILi32ELi16EldddEviiT3_lPKT2_lT1_lS3_lS4_lS0_lPT4_lS4_li.has_recursion, 0
	.set _ZL20rocblas_gemvn_kernelILi32ELi16EldddEviiT3_lPKT2_lT1_lS3_lS4_lS0_lPT4_lS4_li.has_indirect_call, 0
	.section	.AMDGPU.csdata,"",@progbits
; Kernel info:
; codeLenInByte = 2772
; TotalNumSgprs: 60
; NumVgprs: 91
; ScratchSize: 0
; MemoryBound: 1
; FloatMode: 240
; IeeeMode: 1
; LDSByteSize: 16384 bytes/workgroup (compile time only)
; SGPRBlocks: 0
; VGPRBlocks: 5
; NumSGPRsForWavesPerEU: 60
; NumVGPRsForWavesPerEU: 91
; NamedBarCnt: 0
; Occupancy: 10
; WaveLimiterHint : 1
; COMPUTE_PGM_RSRC2:SCRATCH_EN: 0
; COMPUTE_PGM_RSRC2:USER_SGPR: 2
; COMPUTE_PGM_RSRC2:TRAP_HANDLER: 0
; COMPUTE_PGM_RSRC2:TGID_X_EN: 1
; COMPUTE_PGM_RSRC2:TGID_Y_EN: 0
; COMPUTE_PGM_RSRC2:TGID_Z_EN: 1
; COMPUTE_PGM_RSRC2:TIDIG_COMP_CNT: 1
	.section	.text._ZL20rocblas_gemvn_kernelILi64ELi16EidPKddEviiT3_lPKT2_lT1_lS5_lS6_lS2_lPT4_lS6_li,"axG",@progbits,_ZL20rocblas_gemvn_kernelILi64ELi16EidPKddEviiT3_lPKT2_lT1_lS5_lS6_lS2_lPT4_lS6_li,comdat
	.globl	_ZL20rocblas_gemvn_kernelILi64ELi16EidPKddEviiT3_lPKT2_lT1_lS5_lS6_lS2_lPT4_lS6_li ; -- Begin function _ZL20rocblas_gemvn_kernelILi64ELi16EidPKddEviiT3_lPKT2_lT1_lS5_lS6_lS2_lPT4_lS6_li
	.p2align	8
	.type	_ZL20rocblas_gemvn_kernelILi64ELi16EidPKddEviiT3_lPKT2_lT1_lS5_lS6_lS2_lPT4_lS6_li,@function
_ZL20rocblas_gemvn_kernelILi64ELi16EidPKddEviiT3_lPKT2_lT1_lS5_lS6_lS2_lPT4_lS6_li: ; @_ZL20rocblas_gemvn_kernelILi64ELi16EidPKddEviiT3_lPKT2_lT1_lS5_lS6_lS2_lPT4_lS6_li
; %bb.0:
	s_load_b64 s[2:3], s[0:1], 0x9c
	s_wait_kmcnt 0x0
	s_lshr_b32 s4, s2, 16
	s_and_b32 s2, s2, 0xffff
	s_and_b32 s3, s3, 0xffff
	s_mul_i32 s2, s4, s2
	s_delay_alu instid0(SALU_CYCLE_1) | instskip(NEXT) | instid1(SALU_CYCLE_1)
	s_mul_i32 s2, s2, s3
	s_cmp_lg_u32 s2, 0x400
	s_cbranch_scc1 .LBB64_52
; %bb.1:
	s_load_b32 s31, s[0:1], 0x88
	s_bfe_u32 s2, ttmp6, 0x40014
	s_lshr_b32 s3, ttmp7, 16
	s_add_co_i32 s2, s2, 1
	s_bfe_u32 s5, ttmp6, 0x40008
	s_mul_i32 s4, s3, s2
	s_getreg_b32 s2, hwreg(HW_REG_IB_STS2, 6, 4)
	s_add_co_i32 s5, s5, s4
	s_cmp_eq_u32 s2, 0
	s_mov_b32 s35, 0
	s_cselect_b32 s34, s3, s5
	s_wait_kmcnt 0x0
	s_cmp_ge_u32 s34, s31
	s_cbranch_scc1 .LBB64_52
; %bb.2:
	s_clause 0x7
	s_load_b256 s[8:15], s[0:1], 0x8
	s_load_b96 s[28:30], s[0:1], 0x40
	s_load_b96 s[4:6], s[0:1], 0x70
	s_load_b64 s[36:37], s[0:1], 0x0
	s_load_b32 s33, s[0:1], 0x28
	s_load_b128 s[24:27], s[0:1], 0x30
	s_load_b256 s[16:23], s[0:1], 0x50
	s_load_b64 s[38:39], s[0:1], 0x80
	s_wait_xcnt 0x0
	s_bfe_u32 s0, ttmp6, 0x4000c
	v_and_b32_e32 v6, 0x3ff, v0
	s_add_co_i32 s0, s0, 1
	v_bfe_u32 v5, v0, 10, 10
	s_and_b32 s1, ttmp6, 15
	s_mul_i32 s0, ttmp9, s0
	s_delay_alu instid0(SALU_CYCLE_1) | instskip(NEXT) | instid1(VALU_DEP_1)
	s_add_co_i32 s7, s1, s0
	v_lshl_add_u32 v4, v5, 6, v6
	s_wait_kmcnt 0x0
	s_lshl_b64 s[0:1], s[14:15], 3
	s_lshl_b64 s[14:15], s[28:29], 3
	;; [unrolled: 1-line block ×3, first 2 shown]
	s_ashr_i32 s3, s6, 31
	s_cmp_eq_u32 s2, 0
	s_mov_b32 s2, s6
	s_cselect_b32 s7, ttmp9, s7
	s_mov_b32 s28, s36
	s_lshl_b32 s42, s7, 8
	s_delay_alu instid0(SALU_CYCLE_1)
	v_dual_mov_b32 v1, 0 :: v_dual_add_nc_u32 v0, s42, v4
	v_add_nc_u32_e32 v58, s42, v6
	s_ashr_i32 s29, s36, 31
	s_add_nc_u64 s[12:13], s[12:13], s[0:1]
	s_ashr_i32 s0, s37, 31
	v_mul_u64_e32 v[2:3], s[2:3], v[0:1]
	v_cmp_gt_i64_e32 vcc_lo, s[28:29], v[0:1]
	v_dual_lshlrev_b32 v0, 2, v5 :: v_dual_add_nc_u32 v7, 64, v58
	v_or_b32_e32 v9, s42, v4
	s_lshr_b32 s0, s0, 26
	v_mul_lo_u32 v13, v5, s30
	s_add_co_i32 s43, s37, s0
	v_add_nc_u32_e32 v8, 0x80, v58
	v_cmp_gt_i32_e64 s2, s36, v7
	v_add_nc_u32_e32 v7, 0xc0, v58
	s_and_not1_b32 s43, s43, 63
	s_add_nc_u64 s[22:23], s[22:23], s[4:5]
	s_sub_co_i32 s4, s37, s43
	v_cmp_gt_i32_e64 s3, s36, v8
	v_lshlrev_b32_e32 v8, 3, v6
	s_cmp_gt_i32 s4, 0
	v_cmp_gt_i32_e64 s4, s36, v7
	v_cmp_gt_u32_e64 s5, 0x100, v4
	v_mul_lo_u32 v4, s6, v9
	v_or_b32_e32 v7, 2, v0
	v_dual_lshlrev_b32 v68, 2, v13 :: v_dual_bitop2_b32 v10, 3, v0 bitop3:0x54
	v_mul_lo_u32 v11, s33, v0
	v_mul_lo_u32 v12, v5, s33
	s_delay_alu instid0(VALU_DEP_4) | instskip(NEXT) | instid1(VALU_DEP_4)
	v_mad_u32 v60, s33, v7, v6
	v_mad_u32 v61, s33, v10, v6
	;; [unrolled: 1-line block ×3, first 2 shown]
	v_mul_lo_u32 v63, s30, v7
	v_mul_lo_u32 v64, s30, v10
	v_cmp_gt_i32_e64 s0, s43, v0
	v_cmp_gt_i32_e64 s1, s36, v58
	v_lshl_add_u32 v59, v5, 11, v8
	v_lshl_add_u32 v65, v5, 9, v8
	v_cmp_gt_i32_e64 s6, s36, v9
	v_ashrrev_i32_e32 v5, 31, v4
	v_add3_u32 v66, v11, s33, v6
	v_lshl_add_u32 v67, v12, 2, v6
	s_add_nc_u64 s[14:15], s[26:27], s[14:15]
	s_cselect_b32 s44, -1, 0
	s_and_b32 s36, s5, vcc_lo
	s_lshl_b32 s45, s33, 6
	s_lshl_b32 s46, s30, 6
	s_branch .LBB64_5
.LBB64_3:                               ;   in Loop: Header=BB64_5 Depth=1
	s_wait_xcnt 0x0
	s_or_b32 exec_lo, exec_lo, s7
.LBB64_4:                               ;   in Loop: Header=BB64_5 Depth=1
	s_add_co_i32 s34, s34, 0x10000
	s_delay_alu instid0(SALU_CYCLE_1)
	s_cmp_lt_u32 s34, s31
	s_cbranch_scc0 .LBB64_52
.LBB64_5:                               ; =>This Loop Header: Depth=1
                                        ;     Child Loop BB64_18 Depth 2
	s_wait_xcnt 0x1
	s_mul_u64 s[26:27], s[10:11], s[34:35]
	s_wait_xcnt 0x0
	s_mul_u64 s[28:29], s[20:21], s[34:35]
	s_lshl_b64 s[26:27], s[26:27], 3
	s_lshl_b64 s[28:29], s[28:29], 3
	s_add_nc_u64 s[26:27], s[8:9], s[26:27]
	s_add_nc_u64 s[28:29], s[18:19], s[28:29]
	s_clause 0x1
	global_load_b64 v[8:9], v1, s[26:27]
	global_load_b64 v[6:7], v1, s[28:29]
	s_wait_loadcnt 0x1
	v_cmp_eq_f64_e32 vcc_lo, 0, v[8:9]
	s_wait_loadcnt 0x0
	v_cmp_eq_f64_e64 s7, 1.0, v[6:7]
	s_and_b32 s7, vcc_lo, s7
	s_delay_alu instid0(SALU_CYCLE_1)
	s_and_b32 vcc_lo, exec_lo, s7
	s_cbranch_vccnz .LBB64_4
; %bb.6:                                ;   in Loop: Header=BB64_5 Depth=1
	v_cmp_neq_f64_e32 vcc_lo, 0, v[8:9]
	s_wait_xcnt 0x1
	s_mul_u64 s[26:27], s[38:39], s[34:35]
	s_delay_alu instid0(SALU_CYCLE_1) | instskip(NEXT) | instid1(SALU_CYCLE_1)
	s_lshl_b64 s[26:27], s[26:27], 3
	s_add_nc_u64 s[26:27], s[22:23], s[26:27]
	s_cbranch_vccnz .LBB64_11
; %bb.7:                                ;   in Loop: Header=BB64_5 Depth=1
	s_mov_b32 s7, 0
	s_mov_b32 s47, 0
                                        ; implicit-def: $vgpr10_vgpr11
	s_wait_xcnt 0x0
	s_and_saveexec_b32 s28, s36
	s_cbranch_execz .LBB64_23
; %bb.8:                                ;   in Loop: Header=BB64_5 Depth=1
	v_cmp_eq_f64_e32 vcc_lo, 0, v[6:7]
	v_mov_b64_e32 v[10:11], 0
	s_cbranch_vccnz .LBB64_10
; %bb.9:                                ;   in Loop: Header=BB64_5 Depth=1
	v_lshl_add_u64 v[10:11], v[2:3], 3, s[26:27]
	global_load_b64 v[10:11], v[10:11], off
	s_wait_loadcnt 0x0
	s_wait_xcnt 0x0
	v_mul_f64_e32 v[10:11], v[6:7], v[10:11]
.LBB64_10:                              ;   in Loop: Header=BB64_5 Depth=1
	s_mov_b32 s47, exec_lo
	s_or_b32 exec_lo, exec_lo, s28
	s_delay_alu instid0(SALU_CYCLE_1)
	s_and_b32 vcc_lo, exec_lo, s7
	s_cbranch_vccnz .LBB64_12
	s_branch .LBB64_24
.LBB64_11:                              ;   in Loop: Header=BB64_5 Depth=1
	s_mov_b32 s47, 0
                                        ; implicit-def: $vgpr10_vgpr11
	s_cbranch_execz .LBB64_24
.LBB64_12:                              ;   in Loop: Header=BB64_5 Depth=1
	v_mov_b64_e32 v[10:11], 0
	v_mov_b64_e32 v[12:13], 0
	;; [unrolled: 1-line block ×4, first 2 shown]
	s_wait_xcnt 0x0
	s_mul_u64 s[28:29], s[24:25], s[34:35]
	s_mul_u64 s[40:41], s[16:17], s[34:35]
	v_mov_b32_e32 v69, v0
	s_lshl_b64 s[28:29], s[28:29], 3
	s_lshl_b64 s[40:41], s[40:41], 3
	s_add_nc_u64 s[28:29], s[12:13], s[28:29]
	s_add_nc_u64 s[40:41], s[14:15], s[40:41]
	s_and_saveexec_b32 s7, s0
	s_cbranch_execz .LBB64_26
; %bb.13:                               ;   in Loop: Header=BB64_5 Depth=1
	v_mov_b64_e32 v[10:11], 0
	v_mov_b64_e32 v[12:13], 0
	;; [unrolled: 1-line block ×4, first 2 shown]
	v_dual_mov_b32 v70, v67 :: v_dual_mov_b32 v71, v61
	v_dual_mov_b32 v72, v60 :: v_dual_mov_b32 v73, v66
	v_mov_b32_e32 v69, v0
	s_mov_b32 s48, 0
	s_mov_b32 s49, 0
	s_branch .LBB64_18
.LBB64_14:                              ;   in Loop: Header=BB64_18 Depth=2
	s_wait_xcnt 0x0
	s_or_b32 exec_lo, exec_lo, s53
	s_wait_loadcnt 0x3
	v_fmac_f64_e32 v[14:15], v[24:25], v[54:55]
	s_wait_loadcnt 0x2
	s_delay_alu instid0(VALU_DEP_1) | instskip(SKIP_1) | instid1(VALU_DEP_1)
	v_fmac_f64_e32 v[14:15], v[22:23], v[50:51]
	s_wait_loadcnt 0x1
	v_fmac_f64_e32 v[14:15], v[20:21], v[48:49]
	s_wait_loadcnt 0x0
	s_delay_alu instid0(VALU_DEP_1)
	v_fmac_f64_e32 v[14:15], v[18:19], v[42:43]
.LBB64_15:                              ;   in Loop: Header=BB64_18 Depth=2
	s_or_b32 exec_lo, exec_lo, s52
	s_wait_loadcnt 0x3
	v_fmac_f64_e32 v[12:13], v[24:25], v[40:41]
	s_wait_loadcnt 0x2
	s_delay_alu instid0(VALU_DEP_1) | instskip(SKIP_1) | instid1(VALU_DEP_1)
	v_fmac_f64_e32 v[12:13], v[22:23], v[38:39]
	s_wait_loadcnt 0x1
	v_fmac_f64_e32 v[12:13], v[20:21], v[36:37]
	s_wait_loadcnt 0x0
	s_delay_alu instid0(VALU_DEP_1)
	v_fmac_f64_e32 v[12:13], v[18:19], v[34:35]
.LBB64_16:                              ;   in Loop: Header=BB64_18 Depth=2
	s_or_b32 exec_lo, exec_lo, s51
	s_wait_loadcnt 0x3
	v_fmac_f64_e32 v[10:11], v[24:25], v[32:33]
	s_wait_loadcnt 0x2
	s_delay_alu instid0(VALU_DEP_1) | instskip(SKIP_1) | instid1(VALU_DEP_1)
	v_fmac_f64_e32 v[10:11], v[22:23], v[30:31]
	s_wait_loadcnt 0x1
	v_fmac_f64_e32 v[10:11], v[20:21], v[28:29]
	s_wait_loadcnt 0x0
	s_delay_alu instid0(VALU_DEP_1)
	v_fmac_f64_e32 v[10:11], v[18:19], v[26:27]
.LBB64_17:                              ;   in Loop: Header=BB64_18 Depth=2
	s_or_b32 exec_lo, exec_lo, s50
	v_dual_add_nc_u32 v69, 64, v69 :: v_dual_add_nc_u32 v72, s45, v72
	v_dual_add_nc_u32 v73, s45, v73 :: v_dual_add_nc_u32 v71, s45, v71
	v_add_nc_u32_e32 v70, s45, v70
	s_delay_alu instid0(VALU_DEP_3) | instskip(SKIP_2) | instid1(SALU_CYCLE_1)
	v_cmp_le_i32_e32 vcc_lo, s43, v69
	s_add_co_i32 s49, s49, s46
	s_or_b32 s48, vcc_lo, s48
	s_and_not1_b32 exec_lo, exec_lo, s48
	s_cbranch_execz .LBB64_25
.LBB64_18:                              ;   Parent Loop BB64_5 Depth=1
                                        ; =>  This Inner Loop Header: Depth=2
	s_and_saveexec_b32 s50, s1
	s_cbranch_execz .LBB64_17
; %bb.19:                               ;   in Loop: Header=BB64_18 Depth=2
	v_dual_add_nc_u32 v35, s49, v68 :: v_dual_add_nc_u32 v37, s49, v62
	v_dual_add_nc_u32 v39, s49, v63 :: v_dual_add_nc_u32 v41, s49, v64
	;; [unrolled: 1-line block ×4, first 2 shown]
	s_clause 0x3
	global_load_b64 v[24:25], v35, s[40:41] scale_offset
	global_load_b64 v[22:23], v37, s[40:41] scale_offset
	;; [unrolled: 1-line block ×4, first 2 shown]
	s_clause 0x3
	global_load_b64 v[32:33], v34, s[28:29] scale_offset
	global_load_b64 v[30:31], v36, s[28:29] scale_offset
	;; [unrolled: 1-line block ×4, first 2 shown]
	s_wait_xcnt 0x0
	s_and_saveexec_b32 s51, s2
	s_cbranch_execz .LBB64_16
; %bb.20:                               ;   in Loop: Header=BB64_18 Depth=2
	v_dual_ashrrev_i32 v35, 31, v34 :: v_dual_ashrrev_i32 v37, 31, v36
	v_dual_ashrrev_i32 v41, 31, v40 :: v_dual_ashrrev_i32 v39, 31, v38
	s_delay_alu instid0(VALU_DEP_2) | instskip(NEXT) | instid1(VALU_DEP_3)
	v_lshl_add_u64 v[56:57], v[34:35], 3, s[28:29]
	v_lshl_add_u64 v[52:53], v[36:37], 3, s[28:29]
	s_delay_alu instid0(VALU_DEP_3) | instskip(NEXT) | instid1(VALU_DEP_4)
	v_lshl_add_u64 v[44:45], v[40:41], 3, s[28:29]
	v_lshl_add_u64 v[46:47], v[38:39], 3, s[28:29]
	s_clause 0x3
	global_load_b64 v[40:41], v[56:57], off offset:512
	global_load_b64 v[38:39], v[52:53], off offset:512
	global_load_b64 v[36:37], v[44:45], off offset:512
	global_load_b64 v[34:35], v[46:47], off offset:512
	s_wait_xcnt 0x0
	s_and_saveexec_b32 s52, s3
	s_cbranch_execz .LBB64_15
; %bb.21:                               ;   in Loop: Header=BB64_18 Depth=2
	s_clause 0x3
	global_load_b64 v[54:55], v[56:57], off offset:1024
	global_load_b64 v[50:51], v[52:53], off offset:1024
	;; [unrolled: 1-line block ×4, first 2 shown]
	s_wait_xcnt 0x0
	s_and_saveexec_b32 s53, s4
	s_cbranch_execz .LBB64_14
; %bb.22:                               ;   in Loop: Header=BB64_18 Depth=2
	s_clause 0x3
	global_load_b64 v[56:57], v[56:57], off offset:1536
	global_load_b64 v[52:53], v[52:53], off offset:1536
	;; [unrolled: 1-line block ×4, first 2 shown]
	s_wait_loadcnt 0x3
	v_fmac_f64_e32 v[16:17], v[24:25], v[56:57]
	s_wait_loadcnt 0x2
	s_delay_alu instid0(VALU_DEP_1) | instskip(SKIP_1) | instid1(VALU_DEP_1)
	v_fmac_f64_e32 v[16:17], v[22:23], v[52:53]
	s_wait_loadcnt 0x1
	v_fmac_f64_e32 v[16:17], v[20:21], v[44:45]
	s_wait_loadcnt 0x0
	s_delay_alu instid0(VALU_DEP_1)
	v_fmac_f64_e32 v[16:17], v[18:19], v[46:47]
	s_branch .LBB64_14
.LBB64_23:                              ;   in Loop: Header=BB64_5 Depth=1
	s_or_b32 exec_lo, exec_lo, s28
	s_delay_alu instid0(SALU_CYCLE_1)
	s_and_b32 vcc_lo, exec_lo, s7
	s_cbranch_vccnz .LBB64_12
.LBB64_24:                              ;   in Loop: Header=BB64_5 Depth=1
	v_mov_b64_e32 v[6:7], v[2:3]
	s_wait_xcnt 0x0
	s_and_saveexec_b32 s7, s47
	s_cbranch_execz .LBB64_3
	s_branch .LBB64_51
.LBB64_25:                              ;   in Loop: Header=BB64_5 Depth=1
	s_or_b32 exec_lo, exec_lo, s48
.LBB64_26:                              ;   in Loop: Header=BB64_5 Depth=1
	s_delay_alu instid0(SALU_CYCLE_1) | instskip(NEXT) | instid1(SALU_CYCLE_1)
	s_or_b32 exec_lo, exec_lo, s7
	s_and_not1_b32 vcc_lo, exec_lo, s44
	s_cbranch_vccnz .LBB64_44
; %bb.27:                               ;   in Loop: Header=BB64_5 Depth=1
	v_mov_b64_e32 v[24:25], 0
	v_mov_b64_e32 v[22:23], 0
	;; [unrolled: 1-line block ×4, first 2 shown]
	v_cmp_gt_i32_e32 vcc_lo, s37, v69
	v_or_b32_e32 v26, 1, v69
	s_and_saveexec_b32 s48, vcc_lo
	s_cbranch_execz .LBB64_35
; %bb.28:                               ;   in Loop: Header=BB64_5 Depth=1
	v_mul_lo_u32 v18, v69, s30
	v_mov_b64_e32 v[20:21], 0
	v_mov_b64_e32 v[22:23], 0
	;; [unrolled: 1-line block ×3, first 2 shown]
	s_mov_b32 s49, exec_lo
	global_load_b64 v[18:19], v18, s[40:41] scale_offset
	s_wait_xcnt 0x0
	v_cmpx_gt_i32_e64 s37, v26
	s_cbranch_execz .LBB64_34
; %bb.29:                               ;   in Loop: Header=BB64_5 Depth=1
	v_mul_lo_u32 v20, v26, s30
	v_mov_b64_e32 v[22:23], 0
	v_mov_b64_e32 v[24:25], 0
	v_or_b32_e32 v27, 2, v69
	s_mov_b32 s50, exec_lo
	global_load_b64 v[20:21], v20, s[40:41] scale_offset
	s_wait_xcnt 0x0
	v_cmpx_gt_i32_e64 s37, v27
	s_cbranch_execz .LBB64_33
; %bb.30:                               ;   in Loop: Header=BB64_5 Depth=1
	v_mul_lo_u32 v22, v27, s30
	v_mov_b64_e32 v[24:25], 0
	v_or_b32_e32 v27, 3, v69
	s_mov_b32 s51, exec_lo
	global_load_b64 v[22:23], v22, s[40:41] scale_offset
	s_wait_xcnt 0x0
	v_cmpx_gt_i32_e64 s37, v27
	s_cbranch_execz .LBB64_32
; %bb.31:                               ;   in Loop: Header=BB64_5 Depth=1
	v_mul_lo_u32 v24, v27, s30
	global_load_b64 v[24:25], v24, s[40:41] scale_offset
.LBB64_32:                              ;   in Loop: Header=BB64_5 Depth=1
	s_wait_xcnt 0x0
	s_or_b32 exec_lo, exec_lo, s51
.LBB64_33:                              ;   in Loop: Header=BB64_5 Depth=1
	s_delay_alu instid0(SALU_CYCLE_1)
	s_or_b32 exec_lo, exec_lo, s50
.LBB64_34:                              ;   in Loop: Header=BB64_5 Depth=1
	s_delay_alu instid0(SALU_CYCLE_1)
	s_or_b32 exec_lo, exec_lo, s49
.LBB64_35:                              ;   in Loop: Header=BB64_5 Depth=1
	s_delay_alu instid0(SALU_CYCLE_1)
	s_or_b32 exec_lo, exec_lo, s48
	s_and_saveexec_b32 s7, s1
	s_cbranch_execz .LBB64_43
; %bb.36:                               ;   in Loop: Header=BB64_5 Depth=1
	v_mul_lo_u32 v28, v69, s33
	v_mul_lo_u32 v30, v26, s33
	s_delay_alu instid0(VALU_DEP_2) | instskip(NEXT) | instid1(VALU_DEP_1)
	v_dual_cndmask_b32 v28, 0, v28, vcc_lo :: v_dual_bitop2_b32 v27, 2, v69 bitop3:0x54
	v_mul_lo_u32 v31, v27, s33
	v_cmp_gt_i32_e32 vcc_lo, s37, v26
	s_delay_alu instid0(VALU_DEP_4) | instskip(NEXT) | instid1(VALU_DEP_1)
	v_dual_cndmask_b32 v26, 0, v30, vcc_lo :: v_dual_bitop2_b32 v29, 3, v69 bitop3:0x54
	v_mul_lo_u32 v32, v29, s33
	v_cmp_gt_i32_e32 vcc_lo, s37, v27
	s_delay_alu instid0(VALU_DEP_3) | instskip(SKIP_2) | instid1(VALU_DEP_2)
	v_dual_add_nc_u32 v36, v28, v58 :: v_dual_add_nc_u32 v38, v26, v58
	v_cndmask_b32_e32 v27, 0, v31, vcc_lo
	v_cmp_gt_i32_e32 vcc_lo, s37, v29
	v_dual_cndmask_b32 v29, 0, v32 :: v_dual_add_nc_u32 v40, v27, v58
	s_delay_alu instid0(VALU_DEP_1)
	v_add_nc_u32_e32 v34, v29, v58
	s_clause 0x3
	global_load_b64 v[32:33], v36, s[28:29] scale_offset
	global_load_b64 v[30:31], v38, s[28:29] scale_offset
	;; [unrolled: 1-line block ×4, first 2 shown]
	s_wait_xcnt 0x0
	s_and_saveexec_b32 s40, s2
	s_cbranch_execz .LBB64_42
; %bb.37:                               ;   in Loop: Header=BB64_5 Depth=1
	v_dual_ashrrev_i32 v37, 31, v36 :: v_dual_ashrrev_i32 v39, 31, v38
	v_dual_ashrrev_i32 v41, 31, v40 :: v_dual_ashrrev_i32 v35, 31, v34
	s_delay_alu instid0(VALU_DEP_2) | instskip(NEXT) | instid1(VALU_DEP_3)
	v_lshl_add_u64 v[56:57], v[36:37], 3, s[28:29]
	v_lshl_add_u64 v[52:53], v[38:39], 3, s[28:29]
	s_delay_alu instid0(VALU_DEP_3) | instskip(NEXT) | instid1(VALU_DEP_4)
	v_lshl_add_u64 v[44:45], v[40:41], 3, s[28:29]
	v_lshl_add_u64 v[46:47], v[34:35], 3, s[28:29]
	s_clause 0x3
	global_load_b64 v[40:41], v[56:57], off offset:512
	global_load_b64 v[38:39], v[52:53], off offset:512
	;; [unrolled: 1-line block ×4, first 2 shown]
	s_wait_xcnt 0x0
	s_and_saveexec_b32 s28, s3
	s_cbranch_execz .LBB64_41
; %bb.38:                               ;   in Loop: Header=BB64_5 Depth=1
	s_clause 0x3
	global_load_b64 v[54:55], v[56:57], off offset:1024
	global_load_b64 v[50:51], v[52:53], off offset:1024
	global_load_b64 v[48:49], v[44:45], off offset:1024
	global_load_b64 v[42:43], v[46:47], off offset:1024
	s_wait_xcnt 0x0
	s_and_saveexec_b32 s29, s4
	s_cbranch_execz .LBB64_40
; %bb.39:                               ;   in Loop: Header=BB64_5 Depth=1
	s_clause 0x3
	global_load_b64 v[56:57], v[56:57], off offset:1536
	global_load_b64 v[52:53], v[52:53], off offset:1536
	;; [unrolled: 1-line block ×4, first 2 shown]
	s_wait_loadcnt 0x3
	v_fmac_f64_e32 v[16:17], v[18:19], v[56:57]
	s_wait_loadcnt 0x2
	s_delay_alu instid0(VALU_DEP_1) | instskip(SKIP_1) | instid1(VALU_DEP_1)
	v_fmac_f64_e32 v[16:17], v[20:21], v[52:53]
	s_wait_loadcnt 0x1
	v_fmac_f64_e32 v[16:17], v[22:23], v[44:45]
	s_wait_loadcnt 0x0
	s_delay_alu instid0(VALU_DEP_1)
	v_fmac_f64_e32 v[16:17], v[24:25], v[46:47]
.LBB64_40:                              ;   in Loop: Header=BB64_5 Depth=1
	s_wait_xcnt 0x0
	s_or_b32 exec_lo, exec_lo, s29
	s_wait_loadcnt 0x3
	v_fmac_f64_e32 v[14:15], v[18:19], v[54:55]
	s_wait_loadcnt 0x2
	s_delay_alu instid0(VALU_DEP_1) | instskip(SKIP_1) | instid1(VALU_DEP_1)
	v_fmac_f64_e32 v[14:15], v[20:21], v[50:51]
	s_wait_loadcnt 0x1
	v_fmac_f64_e32 v[14:15], v[22:23], v[48:49]
	s_wait_loadcnt 0x0
	s_delay_alu instid0(VALU_DEP_1)
	v_fmac_f64_e32 v[14:15], v[24:25], v[42:43]
.LBB64_41:                              ;   in Loop: Header=BB64_5 Depth=1
	s_or_b32 exec_lo, exec_lo, s28
	s_wait_loadcnt 0x3
	v_fmac_f64_e32 v[12:13], v[18:19], v[40:41]
	s_wait_loadcnt 0x2
	s_delay_alu instid0(VALU_DEP_1) | instskip(SKIP_1) | instid1(VALU_DEP_1)
	v_fmac_f64_e32 v[12:13], v[20:21], v[38:39]
	s_wait_loadcnt 0x1
	v_fmac_f64_e32 v[12:13], v[22:23], v[36:37]
	s_wait_loadcnt 0x0
	s_delay_alu instid0(VALU_DEP_1)
	v_fmac_f64_e32 v[12:13], v[24:25], v[34:35]
.LBB64_42:                              ;   in Loop: Header=BB64_5 Depth=1
	s_or_b32 exec_lo, exec_lo, s40
	s_wait_loadcnt 0x3
	v_fmac_f64_e32 v[10:11], v[18:19], v[32:33]
	s_wait_loadcnt 0x2
	s_delay_alu instid0(VALU_DEP_1) | instskip(SKIP_1) | instid1(VALU_DEP_1)
	v_fmac_f64_e32 v[10:11], v[20:21], v[30:31]
	s_wait_loadcnt 0x1
	v_fmac_f64_e32 v[10:11], v[22:23], v[28:29]
	s_wait_loadcnt 0x0
	s_delay_alu instid0(VALU_DEP_1)
	v_fmac_f64_e32 v[10:11], v[24:25], v[26:27]
.LBB64_43:                              ;   in Loop: Header=BB64_5 Depth=1
	s_or_b32 exec_lo, exec_lo, s7
.LBB64_44:                              ;   in Loop: Header=BB64_5 Depth=1
	ds_store_2addr_stride64_b64 v59, v[10:11], v[12:13] offset1:1
	ds_store_2addr_stride64_b64 v59, v[14:15], v[16:17] offset0:2 offset1:3
	s_wait_loadcnt_dscnt 0x0
	s_barrier_signal -1
	s_barrier_wait -1
                                        ; implicit-def: $vgpr10_vgpr11
	s_and_saveexec_b32 s7, s5
	s_cbranch_execz .LBB64_50
; %bb.45:                               ;   in Loop: Header=BB64_5 Depth=1
	ds_load_2addr_stride64_b64 v[10:13], v65 offset1:4
	s_mov_b32 s29, s47
	s_wait_dscnt 0x0
	v_add_f64_e32 v[14:15], v[10:11], v[12:13]
	ds_load_2addr_stride64_b64 v[10:13], v65 offset0:8 offset1:12
	s_wait_dscnt 0x0
	v_add_f64_e32 v[10:11], v[10:11], v[14:15]
	s_delay_alu instid0(VALU_DEP_1) | instskip(SKIP_3) | instid1(VALU_DEP_1)
	v_add_f64_e32 v[14:15], v[12:13], v[10:11]
	ds_load_2addr_stride64_b64 v[10:13], v65 offset0:16 offset1:20
	s_wait_dscnt 0x0
	v_add_f64_e32 v[10:11], v[10:11], v[14:15]
	v_add_f64_e32 v[14:15], v[12:13], v[10:11]
	ds_load_2addr_stride64_b64 v[10:13], v65 offset0:24 offset1:28
	s_wait_dscnt 0x0
	v_add_f64_e32 v[10:11], v[10:11], v[14:15]
	s_delay_alu instid0(VALU_DEP_1) | instskip(SKIP_3) | instid1(VALU_DEP_1)
	v_add_f64_e32 v[14:15], v[12:13], v[10:11]
	ds_load_2addr_stride64_b64 v[10:13], v65 offset0:32 offset1:36
	s_wait_dscnt 0x0
	v_add_f64_e32 v[10:11], v[10:11], v[14:15]
	;; [unrolled: 9-line block ×3, first 2 shown]
	v_add_f64_e32 v[14:15], v[12:13], v[10:11]
	ds_load_2addr_stride64_b64 v[10:13], v65 offset0:56 offset1:60
	s_wait_dscnt 0x0
	v_add_f64_e32 v[10:11], v[10:11], v[14:15]
	s_delay_alu instid0(VALU_DEP_1)
	v_add_f64_e32 v[12:13], v[12:13], v[10:11]
                                        ; implicit-def: $vgpr10_vgpr11
	ds_store_b64 v65, v[12:13]
	s_and_saveexec_b32 s28, s6
	s_cbranch_execz .LBB64_49
; %bb.46:                               ;   in Loop: Header=BB64_5 Depth=1
	v_cmp_eq_f64_e32 vcc_lo, 0, v[6:7]
	v_mul_f64_e32 v[10:11], v[8:9], v[12:13]
	s_cbranch_vccnz .LBB64_48
; %bb.47:                               ;   in Loop: Header=BB64_5 Depth=1
	v_lshl_add_u64 v[8:9], v[4:5], 3, s[26:27]
	global_load_b64 v[8:9], v[8:9], off
	s_wait_loadcnt 0x0
	v_fmac_f64_e32 v[10:11], v[6:7], v[8:9]
.LBB64_48:                              ;   in Loop: Header=BB64_5 Depth=1
	s_or_b32 s29, s47, exec_lo
.LBB64_49:                              ;   in Loop: Header=BB64_5 Depth=1
	s_wait_xcnt 0x0
	s_or_b32 exec_lo, exec_lo, s28
	s_delay_alu instid0(SALU_CYCLE_1) | instskip(SKIP_1) | instid1(SALU_CYCLE_1)
	s_and_not1_b32 s28, s47, exec_lo
	s_and_b32 s29, s29, exec_lo
	s_or_b32 s47, s28, s29
.LBB64_50:                              ;   in Loop: Header=BB64_5 Depth=1
	s_or_b32 exec_lo, exec_lo, s7
	v_mov_b64_e32 v[6:7], v[4:5]
	s_and_saveexec_b32 s7, s47
	s_cbranch_execz .LBB64_3
.LBB64_51:                              ;   in Loop: Header=BB64_5 Depth=1
	s_delay_alu instid0(VALU_DEP_1)
	v_lshl_add_u64 v[6:7], v[6:7], 3, s[26:27]
	global_store_b64 v[6:7], v[10:11], off
	s_branch .LBB64_3
.LBB64_52:
	s_sendmsg sendmsg(MSG_DEALLOC_VGPRS)
	s_endpgm
	.section	.rodata,"a",@progbits
	.p2align	6, 0x0
	.amdhsa_kernel _ZL20rocblas_gemvn_kernelILi64ELi16EidPKddEviiT3_lPKT2_lT1_lS5_lS6_lS2_lPT4_lS6_li
		.amdhsa_group_segment_fixed_size 32768
		.amdhsa_private_segment_fixed_size 0
		.amdhsa_kernarg_size 400
		.amdhsa_user_sgpr_count 2
		.amdhsa_user_sgpr_dispatch_ptr 0
		.amdhsa_user_sgpr_queue_ptr 0
		.amdhsa_user_sgpr_kernarg_segment_ptr 1
		.amdhsa_user_sgpr_dispatch_id 0
		.amdhsa_user_sgpr_kernarg_preload_length 0
		.amdhsa_user_sgpr_kernarg_preload_offset 0
		.amdhsa_user_sgpr_private_segment_size 0
		.amdhsa_wavefront_size32 1
		.amdhsa_uses_dynamic_stack 0
		.amdhsa_enable_private_segment 0
		.amdhsa_system_sgpr_workgroup_id_x 1
		.amdhsa_system_sgpr_workgroup_id_y 0
		.amdhsa_system_sgpr_workgroup_id_z 1
		.amdhsa_system_sgpr_workgroup_info 0
		.amdhsa_system_vgpr_workitem_id 1
		.amdhsa_next_free_vgpr 74
		.amdhsa_next_free_sgpr 54
		.amdhsa_named_barrier_count 0
		.amdhsa_reserve_vcc 1
		.amdhsa_float_round_mode_32 0
		.amdhsa_float_round_mode_16_64 0
		.amdhsa_float_denorm_mode_32 3
		.amdhsa_float_denorm_mode_16_64 3
		.amdhsa_fp16_overflow 0
		.amdhsa_memory_ordered 1
		.amdhsa_forward_progress 1
		.amdhsa_inst_pref_size 23
		.amdhsa_round_robin_scheduling 0
		.amdhsa_exception_fp_ieee_invalid_op 0
		.amdhsa_exception_fp_denorm_src 0
		.amdhsa_exception_fp_ieee_div_zero 0
		.amdhsa_exception_fp_ieee_overflow 0
		.amdhsa_exception_fp_ieee_underflow 0
		.amdhsa_exception_fp_ieee_inexact 0
		.amdhsa_exception_int_div_zero 0
	.end_amdhsa_kernel
	.section	.text._ZL20rocblas_gemvn_kernelILi64ELi16EidPKddEviiT3_lPKT2_lT1_lS5_lS6_lS2_lPT4_lS6_li,"axG",@progbits,_ZL20rocblas_gemvn_kernelILi64ELi16EidPKddEviiT3_lPKT2_lT1_lS5_lS6_lS2_lPT4_lS6_li,comdat
.Lfunc_end64:
	.size	_ZL20rocblas_gemvn_kernelILi64ELi16EidPKddEviiT3_lPKT2_lT1_lS5_lS6_lS2_lPT4_lS6_li, .Lfunc_end64-_ZL20rocblas_gemvn_kernelILi64ELi16EidPKddEviiT3_lPKT2_lT1_lS5_lS6_lS2_lPT4_lS6_li
                                        ; -- End function
	.set _ZL20rocblas_gemvn_kernelILi64ELi16EidPKddEviiT3_lPKT2_lT1_lS5_lS6_lS2_lPT4_lS6_li.num_vgpr, 74
	.set _ZL20rocblas_gemvn_kernelILi64ELi16EidPKddEviiT3_lPKT2_lT1_lS5_lS6_lS2_lPT4_lS6_li.num_agpr, 0
	.set _ZL20rocblas_gemvn_kernelILi64ELi16EidPKddEviiT3_lPKT2_lT1_lS5_lS6_lS2_lPT4_lS6_li.numbered_sgpr, 54
	.set _ZL20rocblas_gemvn_kernelILi64ELi16EidPKddEviiT3_lPKT2_lT1_lS5_lS6_lS2_lPT4_lS6_li.num_named_barrier, 0
	.set _ZL20rocblas_gemvn_kernelILi64ELi16EidPKddEviiT3_lPKT2_lT1_lS5_lS6_lS2_lPT4_lS6_li.private_seg_size, 0
	.set _ZL20rocblas_gemvn_kernelILi64ELi16EidPKddEviiT3_lPKT2_lT1_lS5_lS6_lS2_lPT4_lS6_li.uses_vcc, 1
	.set _ZL20rocblas_gemvn_kernelILi64ELi16EidPKddEviiT3_lPKT2_lT1_lS5_lS6_lS2_lPT4_lS6_li.uses_flat_scratch, 0
	.set _ZL20rocblas_gemvn_kernelILi64ELi16EidPKddEviiT3_lPKT2_lT1_lS5_lS6_lS2_lPT4_lS6_li.has_dyn_sized_stack, 0
	.set _ZL20rocblas_gemvn_kernelILi64ELi16EidPKddEviiT3_lPKT2_lT1_lS5_lS6_lS2_lPT4_lS6_li.has_recursion, 0
	.set _ZL20rocblas_gemvn_kernelILi64ELi16EidPKddEviiT3_lPKT2_lT1_lS5_lS6_lS2_lPT4_lS6_li.has_indirect_call, 0
	.section	.AMDGPU.csdata,"",@progbits
; Kernel info:
; codeLenInByte = 2848
; TotalNumSgprs: 56
; NumVgprs: 74
; ScratchSize: 0
; MemoryBound: 0
; FloatMode: 240
; IeeeMode: 1
; LDSByteSize: 32768 bytes/workgroup (compile time only)
; SGPRBlocks: 0
; VGPRBlocks: 4
; NumSGPRsForWavesPerEU: 56
; NumVGPRsForWavesPerEU: 74
; NamedBarCnt: 0
; Occupancy: 12
; WaveLimiterHint : 1
; COMPUTE_PGM_RSRC2:SCRATCH_EN: 0
; COMPUTE_PGM_RSRC2:USER_SGPR: 2
; COMPUTE_PGM_RSRC2:TRAP_HANDLER: 0
; COMPUTE_PGM_RSRC2:TGID_X_EN: 1
; COMPUTE_PGM_RSRC2:TGID_Y_EN: 0
; COMPUTE_PGM_RSRC2:TGID_Z_EN: 1
; COMPUTE_PGM_RSRC2:TIDIG_COMP_CNT: 1
	.section	.text._ZL20rocblas_gemvn_kernelILi64ELi16EldPKddEviiT3_lPKT2_lT1_lS5_lS6_lS2_lPT4_lS6_li,"axG",@progbits,_ZL20rocblas_gemvn_kernelILi64ELi16EldPKddEviiT3_lPKT2_lT1_lS5_lS6_lS2_lPT4_lS6_li,comdat
	.globl	_ZL20rocblas_gemvn_kernelILi64ELi16EldPKddEviiT3_lPKT2_lT1_lS5_lS6_lS2_lPT4_lS6_li ; -- Begin function _ZL20rocblas_gemvn_kernelILi64ELi16EldPKddEviiT3_lPKT2_lT1_lS5_lS6_lS2_lPT4_lS6_li
	.p2align	8
	.type	_ZL20rocblas_gemvn_kernelILi64ELi16EldPKddEviiT3_lPKT2_lT1_lS5_lS6_lS2_lPT4_lS6_li,@function
_ZL20rocblas_gemvn_kernelILi64ELi16EldPKddEviiT3_lPKT2_lT1_lS5_lS6_lS2_lPT4_lS6_li: ; @_ZL20rocblas_gemvn_kernelILi64ELi16EldPKddEviiT3_lPKT2_lT1_lS5_lS6_lS2_lPT4_lS6_li
; %bb.0:
	s_load_b64 s[2:3], s[0:1], 0x9c
	s_wait_kmcnt 0x0
	s_lshr_b32 s4, s2, 16
	s_and_b32 s2, s2, 0xffff
	s_and_b32 s3, s3, 0xffff
	s_mul_i32 s2, s4, s2
	s_delay_alu instid0(SALU_CYCLE_1) | instskip(NEXT) | instid1(SALU_CYCLE_1)
	s_mul_i32 s2, s2, s3
	s_cmp_lg_u32 s2, 0x400
	s_cbranch_scc1 .LBB65_52
; %bb.1:
	s_load_b32 s33, s[0:1], 0x88
	s_bfe_u32 s2, ttmp6, 0x40014
	s_lshr_b32 s3, ttmp7, 16
	s_add_co_i32 s2, s2, 1
	s_bfe_u32 s5, ttmp6, 0x40008
	s_mul_i32 s4, s3, s2
	s_getreg_b32 s2, hwreg(HW_REG_IB_STS2, 6, 4)
	s_add_co_i32 s5, s5, s4
	s_cmp_eq_u32 s2, 0
	s_mov_b32 s11, 0
	s_cselect_b32 s10, s3, s5
	s_wait_kmcnt 0x0
	s_cmp_ge_u32 s10, s33
	s_cbranch_scc1 .LBB65_52
; %bb.2:
	s_clause 0x2
	s_load_b512 s[12:27], s[0:1], 0x8
	s_load_b512 s[36:51], s[0:1], 0x48
	s_load_b64 s[28:29], s[0:1], 0x0
	s_wait_xcnt 0x0
	s_bfe_u32 s0, ttmp6, 0x4000c
	v_and_b32_e32 v24, 0x3ff, v0
	s_add_co_i32 s0, s0, 1
	v_bfe_u32 v4, v0, 10, 10
	s_and_b32 s1, ttmp6, 15
	s_mul_i32 s0, ttmp9, s0
	v_mov_b32_e32 v1, 0
	s_add_co_i32 s1, s1, s0
	v_lshl_add_u32 v10, v4, 6, v24
	v_lshlrev_b32_e32 v92, 2, v4
	s_delay_alu instid0(VALU_DEP_3) | instskip(NEXT) | instid1(VALU_DEP_1)
	v_dual_mov_b32 v5, v1 :: v_dual_lshlrev_b32 v2, 3, v24
	v_lshl_add_u32 v93, v4, 11, v2
	v_lshl_add_u32 v94, v4, 9, v2
	s_wait_kmcnt 0x0
	s_lshl_b64 s[4:5], s[18:19], 3
	s_lshl_b64 s[18:19], s[26:27], 3
	s_lshl_b64 s[6:7], s[46:47], 3
	s_cmp_eq_u32 s2, 0
	s_mov_b32 s2, s28
	s_cselect_b32 s0, ttmp9, s1
	s_ashr_i32 s3, s28, 31
	s_lshl_b32 s1, s0, 8
	v_cmp_gt_u32_e64 s0, 0x100, v10
	v_dual_add_nc_u32 v0, s1, v10 :: v_dual_bitop2_b32 v10, s1, v10 bitop3:0x54
	v_mul_u64_e32 v[6:7], s[36:37], v[4:5]
	v_mul_u64_e32 v[8:9], s[20:21], v[4:5]
	v_mad_nc_u64_u32 v[20:21], s36, v92, s[36:37]
	s_delay_alu instid0(VALU_DEP_4)
	v_cmp_gt_i64_e32 vcc_lo, s[2:3], v[0:1]
	v_mul_u64_e32 v[2:3], s[48:49], v[0:1]
	v_dual_ashrrev_i32 v11, 31, v10 :: v_dual_bitop2_b32 v0, 3, v92 bitop3:0x54
	v_mad_nc_u64_u32 v[22:23], s20, v92, s[20:21]
	s_ashr_i32 s2, s29, 31
	v_add_nc_u32_e32 v24, s1, v24
	s_delay_alu instid0(VALU_DEP_3)
	v_mul_u64_e32 v[12:13], s[20:21], v[0:1]
	v_mul_u64_e32 v[14:15], s[36:37], v[0:1]
	v_or_b32_e32 v0, 2, v92
	v_mul_u64_e32 v[4:5], s[48:49], v[10:11]
	s_lshr_b32 s2, s2, 26
	v_mad_u32 v21, s37, v92, v21
	s_add_co_i32 s52, s29, s2
	v_mul_u64_e32 v[16:17], s[20:21], v[0:1]
	v_mul_u64_e32 v[18:19], s[36:37], v[0:1]
	s_and_not1_b32 s52, s52, 63
	v_mad_u32 v23, s21, v92, v23
	s_sub_co_i32 s3, s29, s52
	v_dual_ashrrev_i32 v25, 31, v24 :: v_dual_add_nc_u32 v0, 64, v24
	s_cmp_gt_i32 s3, 0
	v_cmp_gt_i32_e64 s3, s28, v10
	v_add_nc_u32_e32 v28, 0x80, v24
	v_add_nc_u32_e32 v29, 0xc0, v24
	s_add_nc_u64 s[16:17], s[16:17], s[4:5]
	s_add_nc_u64 s[30:31], s[44:45], s[6:7]
	v_cmp_gt_i32_e64 s1, s52, v92
	v_cmp_gt_i32_e64 s2, s28, v24
	v_lshlrev_b64_e32 v[10:11], 5, v[6:7]
	v_lshlrev_b64_e32 v[26:27], 5, v[8:9]
	;; [unrolled: 1-line block ×3, first 2 shown]
	v_cmp_gt_i32_e64 s4, s28, v0
	v_cmp_gt_i32_e64 s5, s28, v28
	;; [unrolled: 1-line block ×3, first 2 shown]
	v_lshl_add_u64 v[20:21], v[20:21], 3, s[24:25]
	v_add_nc_u64_e32 v[8:9], s[24:25], v[10:11]
	v_add_nc_u64_e32 v[10:11], s[16:17], v[26:27]
	v_lshl_add_u64 v[22:23], v[22:23], 3, s[16:17]
	v_lshl_add_u64 v[12:13], v[12:13], 3, s[16:17]
	;; [unrolled: 1-line block ×3, first 2 shown]
	s_add_nc_u64 s[26:27], s[24:25], s[18:19]
	s_cselect_b32 s53, -1, 0
	s_lshl_b64 s[34:35], s[38:39], 3
	s_and_b32 s28, s0, vcc_lo
	s_lshl_b64 s[44:45], s[22:23], 3
	v_lshl_add_u64 v[16:17], v[16:17], 3, s[16:17]
	v_lshl_add_u64 v[18:19], v[18:19], 3, s[24:25]
	s_lshl_b64 s[24:25], s[36:37], 9
	s_lshl_b64 s[46:47], s[20:21], 9
	s_branch .LBB65_5
.LBB65_3:                               ;   in Loop: Header=BB65_5 Depth=1
	s_wait_xcnt 0x0
	s_or_b32 exec_lo, exec_lo, s7
.LBB65_4:                               ;   in Loop: Header=BB65_5 Depth=1
	s_add_co_i32 s10, s10, 0x10000
	s_delay_alu instid0(SALU_CYCLE_1)
	s_cmp_lt_u32 s10, s33
	s_cbranch_scc0 .LBB65_52
.LBB65_5:                               ; =>This Loop Header: Depth=1
                                        ;     Child Loop BB65_18 Depth 2
	s_wait_xcnt 0x1
	s_mul_u64 s[8:9], s[14:15], s[10:11]
	s_wait_xcnt 0x0
	s_mul_u64 s[48:49], s[42:43], s[10:11]
	s_lshl_b64 s[8:9], s[8:9], 3
	s_lshl_b64 s[48:49], s[48:49], 3
	s_add_nc_u64 s[8:9], s[12:13], s[8:9]
	s_add_nc_u64 s[48:49], s[40:41], s[48:49]
	s_clause 0x1
	global_load_b64 v[26:27], v1, s[8:9]
	global_load_b64 v[24:25], v1, s[48:49]
	s_wait_loadcnt 0x1
	v_cmp_eq_f64_e32 vcc_lo, 0, v[26:27]
	s_wait_loadcnt 0x0
	v_cmp_eq_f64_e64 s7, 1.0, v[24:25]
	s_and_b32 s7, vcc_lo, s7
	s_delay_alu instid0(SALU_CYCLE_1)
	s_and_b32 vcc_lo, exec_lo, s7
	s_cbranch_vccnz .LBB65_4
; %bb.6:                                ;   in Loop: Header=BB65_5 Depth=1
	v_cmp_neq_f64_e32 vcc_lo, 0, v[26:27]
	s_wait_xcnt 0x1
	s_mul_u64 s[8:9], s[50:51], s[10:11]
	s_delay_alu instid0(SALU_CYCLE_1)
	s_lshl_b64 s[8:9], s[8:9], 3
	s_wait_xcnt 0x0
	s_add_nc_u64 s[48:49], s[30:31], s[8:9]
	s_cbranch_vccnz .LBB65_11
; %bb.7:                                ;   in Loop: Header=BB65_5 Depth=1
	s_mov_b32 s7, 0
	s_mov_b32 s54, 0
                                        ; implicit-def: $vgpr28_vgpr29
	s_and_saveexec_b32 s8, s28
	s_cbranch_execz .LBB65_23
; %bb.8:                                ;   in Loop: Header=BB65_5 Depth=1
	v_cmp_eq_f64_e32 vcc_lo, 0, v[24:25]
	v_mov_b64_e32 v[28:29], 0
	s_cbranch_vccnz .LBB65_10
; %bb.9:                                ;   in Loop: Header=BB65_5 Depth=1
	v_lshl_add_u64 v[28:29], v[2:3], 3, s[48:49]
	global_load_b64 v[28:29], v[28:29], off
	s_wait_loadcnt 0x0
	s_wait_xcnt 0x0
	v_mul_f64_e32 v[28:29], v[24:25], v[28:29]
.LBB65_10:                              ;   in Loop: Header=BB65_5 Depth=1
	s_mov_b32 s54, exec_lo
	s_or_b32 exec_lo, exec_lo, s8
	s_delay_alu instid0(SALU_CYCLE_1)
	s_and_b32 vcc_lo, exec_lo, s7
	s_cbranch_vccnz .LBB65_12
	s_branch .LBB65_24
.LBB65_11:                              ;   in Loop: Header=BB65_5 Depth=1
	s_mov_b32 s54, 0
                                        ; implicit-def: $vgpr28_vgpr29
	s_cbranch_execz .LBB65_24
.LBB65_12:                              ;   in Loop: Header=BB65_5 Depth=1
	v_mov_b64_e32 v[28:29], 0
	v_mov_b64_e32 v[30:31], 0
	;; [unrolled: 1-line block ×4, first 2 shown]
	v_mov_b32_e32 v0, v92
	s_and_saveexec_b32 s7, s1
	s_cbranch_execz .LBB65_26
; %bb.13:                               ;   in Loop: Header=BB65_5 Depth=1
	s_mul_u64 s[8:9], s[34:35], s[10:11]
	s_mul_u64 s[56:57], s[44:45], s[10:11]
	v_add_nc_u64_e32 v[36:37], s[8:9], v[8:9]
	v_add_nc_u64_e32 v[38:39], s[56:57], v[12:13]
	;; [unrolled: 1-line block ×8, first 2 shown]
	v_mov_b64_e32 v[28:29], 0
	v_mov_b64_e32 v[30:31], 0
	;; [unrolled: 1-line block ×4, first 2 shown]
	v_mov_b32_e32 v0, v92
	s_mov_b32 s8, 0
	s_branch .LBB65_18
.LBB65_14:                              ;   in Loop: Header=BB65_18 Depth=2
	s_wait_xcnt 0x0
	s_or_b32 exec_lo, exec_lo, s57
	s_wait_loadcnt 0x3
	v_fmac_f64_e32 v[32:33], v[54:55], v[90:91]
	s_wait_loadcnt 0x2
	s_delay_alu instid0(VALU_DEP_1) | instskip(SKIP_1) | instid1(VALU_DEP_1)
	v_fmac_f64_e32 v[32:33], v[58:59], v[88:89]
	s_wait_loadcnt 0x1
	v_fmac_f64_e32 v[32:33], v[56:57], v[86:87]
	s_wait_loadcnt 0x0
	s_delay_alu instid0(VALU_DEP_1)
	v_fmac_f64_e32 v[32:33], v[52:53], v[84:85]
.LBB65_15:                              ;   in Loop: Header=BB65_18 Depth=2
	s_or_b32 exec_lo, exec_lo, s56
	s_wait_loadcnt 0x3
	v_fmac_f64_e32 v[30:31], v[54:55], v[74:75]
	s_wait_loadcnt 0x2
	s_delay_alu instid0(VALU_DEP_1) | instskip(SKIP_1) | instid1(VALU_DEP_1)
	v_fmac_f64_e32 v[30:31], v[58:59], v[72:73]
	s_wait_loadcnt 0x1
	v_fmac_f64_e32 v[30:31], v[56:57], v[70:71]
	s_wait_loadcnt 0x0
	s_delay_alu instid0(VALU_DEP_1)
	v_fmac_f64_e32 v[30:31], v[52:53], v[68:69]
.LBB65_16:                              ;   in Loop: Header=BB65_18 Depth=2
	s_or_b32 exec_lo, exec_lo, s55
	s_wait_loadcnt 0x3
	v_fmac_f64_e32 v[28:29], v[54:55], v[66:67]
	s_wait_loadcnt 0x2
	s_delay_alu instid0(VALU_DEP_1) | instskip(SKIP_1) | instid1(VALU_DEP_1)
	v_fmac_f64_e32 v[28:29], v[58:59], v[64:65]
	s_wait_loadcnt 0x1
	v_fmac_f64_e32 v[28:29], v[56:57], v[62:63]
	s_wait_loadcnt 0x0
	s_delay_alu instid0(VALU_DEP_1)
	v_fmac_f64_e32 v[28:29], v[52:53], v[60:61]
.LBB65_17:                              ;   in Loop: Header=BB65_18 Depth=2
	s_or_b32 exec_lo, exec_lo, s9
	v_add_nc_u32_e32 v0, 64, v0
	v_add_nc_u64_e32 v[36:37], s[24:25], v[36:37]
	v_add_nc_u64_e32 v[38:39], s[46:47], v[38:39]
	;; [unrolled: 1-line block ×7, first 2 shown]
	v_cmp_le_i32_e32 vcc_lo, s52, v0
	v_add_nc_u64_e32 v[50:51], s[46:47], v[50:51]
	s_or_b32 s8, vcc_lo, s8
	s_delay_alu instid0(SALU_CYCLE_1)
	s_and_not1_b32 exec_lo, exec_lo, s8
	s_cbranch_execz .LBB65_25
.LBB65_18:                              ;   Parent Loop BB65_5 Depth=1
                                        ; =>  This Inner Loop Header: Depth=2
	s_and_saveexec_b32 s9, s2
	s_cbranch_execz .LBB65_17
; %bb.19:                               ;   in Loop: Header=BB65_18 Depth=2
	v_add_nc_u64_e32 v[52:53], s[18:19], v[36:37]
	v_add_nc_u64_e32 v[56:57], s[18:19], v[48:49]
	;; [unrolled: 1-line block ×8, first 2 shown]
	global_load_b64 v[54:55], v[52:53], off
	global_load_b64 v[58:59], v[56:57], off
	;; [unrolled: 1-line block ×8, first 2 shown]
	s_wait_xcnt 0x0
	s_and_saveexec_b32 s55, s4
	s_cbranch_execz .LBB65_16
; %bb.20:                               ;   in Loop: Header=BB65_18 Depth=2
	global_load_b64 v[74:75], v[82:83], off offset:512
	global_load_b64 v[72:73], v[80:81], off offset:512
	global_load_b64 v[70:71], v[76:77], off offset:512
	global_load_b64 v[68:69], v[78:79], off offset:512
	s_wait_xcnt 0x0
	s_and_saveexec_b32 s56, s5
	s_cbranch_execz .LBB65_15
; %bb.21:                               ;   in Loop: Header=BB65_18 Depth=2
	global_load_b64 v[90:91], v[82:83], off offset:1024
	global_load_b64 v[88:89], v[80:81], off offset:1024
	global_load_b64 v[86:87], v[76:77], off offset:1024
	global_load_b64 v[84:85], v[78:79], off offset:1024
	;; [unrolled: 8-line block ×3, first 2 shown]
	s_wait_loadcnt 0x3
	v_fmac_f64_e32 v[34:35], v[54:55], v[82:83]
	s_wait_loadcnt 0x2
	s_delay_alu instid0(VALU_DEP_1) | instskip(SKIP_1) | instid1(VALU_DEP_1)
	v_fmac_f64_e32 v[34:35], v[58:59], v[80:81]
	s_wait_loadcnt 0x1
	v_fmac_f64_e32 v[34:35], v[56:57], v[76:77]
	s_wait_loadcnt 0x0
	s_delay_alu instid0(VALU_DEP_1)
	v_fmac_f64_e32 v[34:35], v[52:53], v[78:79]
	s_branch .LBB65_14
.LBB65_23:                              ;   in Loop: Header=BB65_5 Depth=1
	s_or_b32 exec_lo, exec_lo, s8
	s_delay_alu instid0(SALU_CYCLE_1)
	s_and_b32 vcc_lo, exec_lo, s7
	s_cbranch_vccnz .LBB65_12
.LBB65_24:                              ;   in Loop: Header=BB65_5 Depth=1
	v_mov_b64_e32 v[24:25], v[2:3]
	s_and_saveexec_b32 s7, s54
	s_cbranch_execz .LBB65_3
	s_branch .LBB65_51
.LBB65_25:                              ;   in Loop: Header=BB65_5 Depth=1
	s_or_b32 exec_lo, exec_lo, s8
.LBB65_26:                              ;   in Loop: Header=BB65_5 Depth=1
	s_delay_alu instid0(SALU_CYCLE_1) | instskip(NEXT) | instid1(SALU_CYCLE_1)
	s_or_b32 exec_lo, exec_lo, s7
	s_and_not1_b32 vcc_lo, exec_lo, s53
	s_cbranch_vccnz .LBB65_44
; %bb.27:                               ;   in Loop: Header=BB65_5 Depth=1
	v_mov_b64_e32 v[42:43], 0
	v_mov_b64_e32 v[40:41], 0
	;; [unrolled: 1-line block ×4, first 2 shown]
	v_cmp_gt_i32_e32 vcc_lo, s29, v0
	v_or_b32_e32 v44, 1, v0
	s_and_saveexec_b32 s55, vcc_lo
	s_cbranch_execz .LBB65_35
; %bb.28:                               ;   in Loop: Header=BB65_5 Depth=1
	v_mul_u64_e32 v[36:37], s[36:37], v[0:1]
	s_mul_u64 s[8:9], s[38:39], s[10:11]
	v_mov_b64_e32 v[38:39], 0
	s_lshl_b64 s[8:9], s[8:9], 3
	v_mov_b64_e32 v[40:41], 0
	s_add_nc_u64 s[8:9], s[26:27], s[8:9]
	v_mov_b64_e32 v[42:43], 0
	s_mov_b32 s56, exec_lo
	s_delay_alu instid0(VALU_DEP_4)
	v_lshl_add_u64 v[36:37], v[36:37], 3, s[8:9]
	global_load_b64 v[36:37], v[36:37], off
	s_wait_xcnt 0x0
	v_cmpx_gt_i32_e64 s29, v44
	s_cbranch_execz .LBB65_34
; %bb.29:                               ;   in Loop: Header=BB65_5 Depth=1
	v_dual_mov_b32 v45, v1 :: v_dual_bitop2_b32 v46, 2, v0 bitop3:0x54
	v_mov_b64_e32 v[40:41], 0
	v_mov_b64_e32 v[42:43], 0
	s_mov_b32 s57, exec_lo
	s_delay_alu instid0(VALU_DEP_3) | instskip(NEXT) | instid1(VALU_DEP_1)
	v_mul_u64_e32 v[38:39], s[36:37], v[44:45]
	v_lshl_add_u64 v[38:39], v[38:39], 3, s[8:9]
	global_load_b64 v[38:39], v[38:39], off
	s_wait_xcnt 0x0
	v_cmpx_gt_i32_e64 s29, v46
	s_cbranch_execz .LBB65_33
; %bb.30:                               ;   in Loop: Header=BB65_5 Depth=1
	v_mov_b32_e32 v47, v1
	v_mov_b64_e32 v[42:43], 0
	s_mov_b32 s58, exec_lo
	s_delay_alu instid0(VALU_DEP_2) | instskip(SKIP_1) | instid1(VALU_DEP_2)
	v_mul_u64_e32 v[40:41], s[36:37], v[46:47]
	v_or_b32_e32 v46, 3, v0
	v_lshl_add_u64 v[40:41], v[40:41], 3, s[8:9]
	global_load_b64 v[40:41], v[40:41], off
	s_wait_xcnt 0x0
	v_cmpx_gt_i32_e64 s29, v46
	s_cbranch_execz .LBB65_32
; %bb.31:                               ;   in Loop: Header=BB65_5 Depth=1
	v_mov_b32_e32 v47, v1
	s_delay_alu instid0(VALU_DEP_1) | instskip(NEXT) | instid1(VALU_DEP_1)
	v_mul_u64_e32 v[42:43], s[36:37], v[46:47]
	v_lshl_add_u64 v[42:43], v[42:43], 3, s[8:9]
	global_load_b64 v[42:43], v[42:43], off
.LBB65_32:                              ;   in Loop: Header=BB65_5 Depth=1
	s_wait_xcnt 0x0
	s_or_b32 exec_lo, exec_lo, s58
.LBB65_33:                              ;   in Loop: Header=BB65_5 Depth=1
	s_delay_alu instid0(SALU_CYCLE_1)
	s_or_b32 exec_lo, exec_lo, s57
.LBB65_34:                              ;   in Loop: Header=BB65_5 Depth=1
	s_delay_alu instid0(SALU_CYCLE_1)
	s_or_b32 exec_lo, exec_lo, s56
.LBB65_35:                              ;   in Loop: Header=BB65_5 Depth=1
	s_delay_alu instid0(SALU_CYCLE_1)
	s_or_b32 exec_lo, exec_lo, s55
	s_and_saveexec_b32 s55, s2
	s_cbranch_execz .LBB65_43
; %bb.36:                               ;   in Loop: Header=BB65_5 Depth=1
	v_dual_mov_b32 v45, v1 :: v_dual_bitop2_b32 v46, 2, v0 bitop3:0x54
	v_mov_b32_e32 v47, v1
	v_mul_u64_e32 v[48:49], s[20:21], v[0:1]
	v_or_b32_e32 v0, 3, v0
	s_delay_alu instid0(VALU_DEP_4)
	v_mul_u64_e32 v[50:51], s[20:21], v[44:45]
	s_mul_u64 s[8:9], s[22:23], s[10:11]
	v_mul_u64_e32 v[52:53], s[20:21], v[46:47]
	v_cmp_gt_i32_e64 s7, s29, v44
	v_mul_u64_e32 v[54:55], s[20:21], v[0:1]
	s_lshl_b64 s[56:57], s[8:9], 3
	v_cmp_gt_i32_e64 s8, s29, v46
	v_cmp_gt_i32_e64 s9, s29, v0
	v_dual_cndmask_b32 v45, 0, v49 :: v_dual_cndmask_b32 v44, 0, v48
	v_dual_cndmask_b32 v47, 0, v51, s7 :: v_dual_cndmask_b32 v46, 0, v50, s7
	s_delay_alu instid0(VALU_DEP_4) | instskip(NEXT) | instid1(VALU_DEP_4)
	v_dual_cndmask_b32 v49, 0, v53, s8 :: v_dual_cndmask_b32 v48, 0, v52, s8
	v_dual_cndmask_b32 v51, 0, v55, s9 :: v_dual_cndmask_b32 v50, 0, v54, s9
	s_add_nc_u64 s[8:9], s[16:17], s[56:57]
	s_delay_alu instid0(SALU_CYCLE_1) | instskip(SKIP_3) | instid1(VALU_DEP_4)
	v_lshl_add_u64 v[44:45], v[44:45], 3, s[8:9]
	v_lshl_add_u64 v[46:47], v[46:47], 3, s[8:9]
	;; [unrolled: 1-line block ×4, first 2 shown]
	v_add_nc_u64_e32 v[66:67], v[44:45], v[6:7]
	s_delay_alu instid0(VALU_DEP_4) | instskip(NEXT) | instid1(VALU_DEP_4)
	v_add_nc_u64_e32 v[64:65], v[46:47], v[6:7]
	v_add_nc_u64_e32 v[62:63], v[48:49], v[6:7]
	s_delay_alu instid0(VALU_DEP_4)
	v_add_nc_u64_e32 v[60:61], v[50:51], v[6:7]
	s_clause 0x3
	global_load_b64 v[50:51], v[66:67], off
	global_load_b64 v[48:49], v[64:65], off
	global_load_b64 v[46:47], v[62:63], off
	global_load_b64 v[44:45], v[60:61], off
	s_wait_xcnt 0x0
	s_and_saveexec_b32 s7, s4
	s_cbranch_execz .LBB65_42
; %bb.37:                               ;   in Loop: Header=BB65_5 Depth=1
	s_clause 0x3
	global_load_b64 v[58:59], v[66:67], off offset:512
	global_load_b64 v[56:57], v[64:65], off offset:512
	global_load_b64 v[54:55], v[62:63], off offset:512
	global_load_b64 v[52:53], v[60:61], off offset:512
	s_wait_xcnt 0x0
	s_and_saveexec_b32 s8, s5
	s_cbranch_execz .LBB65_41
; %bb.38:                               ;   in Loop: Header=BB65_5 Depth=1
	s_clause 0x3
	global_load_b64 v[74:75], v[66:67], off offset:1024
	global_load_b64 v[72:73], v[64:65], off offset:1024
	global_load_b64 v[70:71], v[62:63], off offset:1024
	global_load_b64 v[68:69], v[60:61], off offset:1024
	;; [unrolled: 9-line block ×3, first 2 shown]
	s_wait_loadcnt 0x3
	v_fmac_f64_e32 v[34:35], v[36:37], v[66:67]
	s_wait_loadcnt 0x2
	s_delay_alu instid0(VALU_DEP_1) | instskip(SKIP_1) | instid1(VALU_DEP_1)
	v_fmac_f64_e32 v[34:35], v[38:39], v[64:65]
	s_wait_loadcnt 0x1
	v_fmac_f64_e32 v[34:35], v[40:41], v[62:63]
	s_wait_loadcnt 0x0
	s_delay_alu instid0(VALU_DEP_1)
	v_fmac_f64_e32 v[34:35], v[42:43], v[60:61]
.LBB65_40:                              ;   in Loop: Header=BB65_5 Depth=1
	s_wait_xcnt 0x0
	s_or_b32 exec_lo, exec_lo, s9
	s_wait_loadcnt 0x3
	v_fmac_f64_e32 v[32:33], v[36:37], v[74:75]
	s_wait_loadcnt 0x2
	s_delay_alu instid0(VALU_DEP_1) | instskip(SKIP_1) | instid1(VALU_DEP_1)
	v_fmac_f64_e32 v[32:33], v[38:39], v[72:73]
	s_wait_loadcnt 0x1
	v_fmac_f64_e32 v[32:33], v[40:41], v[70:71]
	s_wait_loadcnt 0x0
	s_delay_alu instid0(VALU_DEP_1)
	v_fmac_f64_e32 v[32:33], v[42:43], v[68:69]
.LBB65_41:                              ;   in Loop: Header=BB65_5 Depth=1
	s_or_b32 exec_lo, exec_lo, s8
	s_wait_loadcnt 0x3
	v_fmac_f64_e32 v[30:31], v[36:37], v[58:59]
	s_wait_loadcnt 0x2
	s_delay_alu instid0(VALU_DEP_1) | instskip(SKIP_1) | instid1(VALU_DEP_1)
	v_fmac_f64_e32 v[30:31], v[38:39], v[56:57]
	s_wait_loadcnt 0x1
	v_fmac_f64_e32 v[30:31], v[40:41], v[54:55]
	s_wait_loadcnt 0x0
	s_delay_alu instid0(VALU_DEP_1)
	v_fmac_f64_e32 v[30:31], v[42:43], v[52:53]
.LBB65_42:                              ;   in Loop: Header=BB65_5 Depth=1
	s_or_b32 exec_lo, exec_lo, s7
	s_wait_loadcnt 0x3
	v_fmac_f64_e32 v[28:29], v[36:37], v[50:51]
	s_wait_loadcnt 0x2
	s_delay_alu instid0(VALU_DEP_1) | instskip(SKIP_1) | instid1(VALU_DEP_1)
	v_fmac_f64_e32 v[28:29], v[38:39], v[48:49]
	s_wait_loadcnt 0x1
	v_fmac_f64_e32 v[28:29], v[40:41], v[46:47]
	s_wait_loadcnt 0x0
	s_delay_alu instid0(VALU_DEP_1)
	v_fmac_f64_e32 v[28:29], v[42:43], v[44:45]
.LBB65_43:                              ;   in Loop: Header=BB65_5 Depth=1
	s_or_b32 exec_lo, exec_lo, s55
.LBB65_44:                              ;   in Loop: Header=BB65_5 Depth=1
	ds_store_2addr_stride64_b64 v93, v[28:29], v[30:31] offset1:1
	ds_store_2addr_stride64_b64 v93, v[32:33], v[34:35] offset0:2 offset1:3
	s_wait_loadcnt_dscnt 0x0
	s_barrier_signal -1
	s_barrier_wait -1
                                        ; implicit-def: $vgpr28_vgpr29
	s_and_saveexec_b32 s7, s0
	s_cbranch_execz .LBB65_50
; %bb.45:                               ;   in Loop: Header=BB65_5 Depth=1
	ds_load_2addr_stride64_b64 v[28:31], v94 offset1:4
	s_mov_b32 s9, s54
	s_wait_dscnt 0x0
	v_add_f64_e32 v[32:33], v[28:29], v[30:31]
	ds_load_2addr_stride64_b64 v[28:31], v94 offset0:8 offset1:12
	s_wait_dscnt 0x0
	v_add_f64_e32 v[28:29], v[28:29], v[32:33]
	s_delay_alu instid0(VALU_DEP_1) | instskip(SKIP_3) | instid1(VALU_DEP_1)
	v_add_f64_e32 v[32:33], v[30:31], v[28:29]
	ds_load_2addr_stride64_b64 v[28:31], v94 offset0:16 offset1:20
	s_wait_dscnt 0x0
	v_add_f64_e32 v[28:29], v[28:29], v[32:33]
	v_add_f64_e32 v[32:33], v[30:31], v[28:29]
	ds_load_2addr_stride64_b64 v[28:31], v94 offset0:24 offset1:28
	s_wait_dscnt 0x0
	v_add_f64_e32 v[28:29], v[28:29], v[32:33]
	s_delay_alu instid0(VALU_DEP_1) | instskip(SKIP_3) | instid1(VALU_DEP_1)
	v_add_f64_e32 v[32:33], v[30:31], v[28:29]
	ds_load_2addr_stride64_b64 v[28:31], v94 offset0:32 offset1:36
	s_wait_dscnt 0x0
	v_add_f64_e32 v[28:29], v[28:29], v[32:33]
	v_add_f64_e32 v[32:33], v[30:31], v[28:29]
	ds_load_2addr_stride64_b64 v[28:31], v94 offset0:40 offset1:44
	s_wait_dscnt 0x0
	v_add_f64_e32 v[28:29], v[28:29], v[32:33]
	s_delay_alu instid0(VALU_DEP_1) | instskip(SKIP_3) | instid1(VALU_DEP_1)
	v_add_f64_e32 v[32:33], v[30:31], v[28:29]
	ds_load_2addr_stride64_b64 v[28:31], v94 offset0:48 offset1:52
	s_wait_dscnt 0x0
	v_add_f64_e32 v[28:29], v[28:29], v[32:33]
	v_add_f64_e32 v[32:33], v[30:31], v[28:29]
	ds_load_2addr_stride64_b64 v[28:31], v94 offset0:56 offset1:60
	s_wait_dscnt 0x0
	v_add_f64_e32 v[28:29], v[28:29], v[32:33]
	s_delay_alu instid0(VALU_DEP_1)
	v_add_f64_e32 v[30:31], v[30:31], v[28:29]
                                        ; implicit-def: $vgpr28_vgpr29
	ds_store_b64 v94, v[30:31]
	s_and_saveexec_b32 s8, s3
	s_cbranch_execz .LBB65_49
; %bb.46:                               ;   in Loop: Header=BB65_5 Depth=1
	v_cmp_eq_f64_e32 vcc_lo, 0, v[24:25]
	v_mul_f64_e32 v[28:29], v[26:27], v[30:31]
	s_cbranch_vccnz .LBB65_48
; %bb.47:                               ;   in Loop: Header=BB65_5 Depth=1
	v_lshl_add_u64 v[26:27], v[4:5], 3, s[48:49]
	global_load_b64 v[26:27], v[26:27], off
	s_wait_loadcnt 0x0
	v_fmac_f64_e32 v[28:29], v[24:25], v[26:27]
.LBB65_48:                              ;   in Loop: Header=BB65_5 Depth=1
	s_or_b32 s9, s54, exec_lo
.LBB65_49:                              ;   in Loop: Header=BB65_5 Depth=1
	s_wait_xcnt 0x0
	s_or_b32 exec_lo, exec_lo, s8
	s_delay_alu instid0(SALU_CYCLE_1) | instskip(SKIP_1) | instid1(SALU_CYCLE_1)
	s_and_not1_b32 s8, s54, exec_lo
	s_and_b32 s9, s9, exec_lo
	s_or_b32 s54, s8, s9
.LBB65_50:                              ;   in Loop: Header=BB65_5 Depth=1
	s_or_b32 exec_lo, exec_lo, s7
	v_mov_b64_e32 v[24:25], v[4:5]
	s_and_saveexec_b32 s7, s54
	s_cbranch_execz .LBB65_3
.LBB65_51:                              ;   in Loop: Header=BB65_5 Depth=1
	s_delay_alu instid0(VALU_DEP_1)
	v_lshl_add_u64 v[24:25], v[24:25], 3, s[48:49]
	global_store_b64 v[24:25], v[28:29], off
	s_branch .LBB65_3
.LBB65_52:
	s_sendmsg sendmsg(MSG_DEALLOC_VGPRS)
	s_endpgm
	.section	.rodata,"a",@progbits
	.p2align	6, 0x0
	.amdhsa_kernel _ZL20rocblas_gemvn_kernelILi64ELi16EldPKddEviiT3_lPKT2_lT1_lS5_lS6_lS2_lPT4_lS6_li
		.amdhsa_group_segment_fixed_size 32768
		.amdhsa_private_segment_fixed_size 0
		.amdhsa_kernarg_size 400
		.amdhsa_user_sgpr_count 2
		.amdhsa_user_sgpr_dispatch_ptr 0
		.amdhsa_user_sgpr_queue_ptr 0
		.amdhsa_user_sgpr_kernarg_segment_ptr 1
		.amdhsa_user_sgpr_dispatch_id 0
		.amdhsa_user_sgpr_kernarg_preload_length 0
		.amdhsa_user_sgpr_kernarg_preload_offset 0
		.amdhsa_user_sgpr_private_segment_size 0
		.amdhsa_wavefront_size32 1
		.amdhsa_uses_dynamic_stack 0
		.amdhsa_enable_private_segment 0
		.amdhsa_system_sgpr_workgroup_id_x 1
		.amdhsa_system_sgpr_workgroup_id_y 0
		.amdhsa_system_sgpr_workgroup_id_z 1
		.amdhsa_system_sgpr_workgroup_info 0
		.amdhsa_system_vgpr_workitem_id 1
		.amdhsa_next_free_vgpr 95
		.amdhsa_next_free_sgpr 59
		.amdhsa_named_barrier_count 0
		.amdhsa_reserve_vcc 1
		.amdhsa_float_round_mode_32 0
		.amdhsa_float_round_mode_16_64 0
		.amdhsa_float_denorm_mode_32 3
		.amdhsa_float_denorm_mode_16_64 3
		.amdhsa_fp16_overflow 0
		.amdhsa_memory_ordered 1
		.amdhsa_forward_progress 1
		.amdhsa_inst_pref_size 22
		.amdhsa_round_robin_scheduling 0
		.amdhsa_exception_fp_ieee_invalid_op 0
		.amdhsa_exception_fp_denorm_src 0
		.amdhsa_exception_fp_ieee_div_zero 0
		.amdhsa_exception_fp_ieee_overflow 0
		.amdhsa_exception_fp_ieee_underflow 0
		.amdhsa_exception_fp_ieee_inexact 0
		.amdhsa_exception_int_div_zero 0
	.end_amdhsa_kernel
	.section	.text._ZL20rocblas_gemvn_kernelILi64ELi16EldPKddEviiT3_lPKT2_lT1_lS5_lS6_lS2_lPT4_lS6_li,"axG",@progbits,_ZL20rocblas_gemvn_kernelILi64ELi16EldPKddEviiT3_lPKT2_lT1_lS5_lS6_lS2_lPT4_lS6_li,comdat
.Lfunc_end65:
	.size	_ZL20rocblas_gemvn_kernelILi64ELi16EldPKddEviiT3_lPKT2_lT1_lS5_lS6_lS2_lPT4_lS6_li, .Lfunc_end65-_ZL20rocblas_gemvn_kernelILi64ELi16EldPKddEviiT3_lPKT2_lT1_lS5_lS6_lS2_lPT4_lS6_li
                                        ; -- End function
	.set _ZL20rocblas_gemvn_kernelILi64ELi16EldPKddEviiT3_lPKT2_lT1_lS5_lS6_lS2_lPT4_lS6_li.num_vgpr, 95
	.set _ZL20rocblas_gemvn_kernelILi64ELi16EldPKddEviiT3_lPKT2_lT1_lS5_lS6_lS2_lPT4_lS6_li.num_agpr, 0
	.set _ZL20rocblas_gemvn_kernelILi64ELi16EldPKddEviiT3_lPKT2_lT1_lS5_lS6_lS2_lPT4_lS6_li.numbered_sgpr, 59
	.set _ZL20rocblas_gemvn_kernelILi64ELi16EldPKddEviiT3_lPKT2_lT1_lS5_lS6_lS2_lPT4_lS6_li.num_named_barrier, 0
	.set _ZL20rocblas_gemvn_kernelILi64ELi16EldPKddEviiT3_lPKT2_lT1_lS5_lS6_lS2_lPT4_lS6_li.private_seg_size, 0
	.set _ZL20rocblas_gemvn_kernelILi64ELi16EldPKddEviiT3_lPKT2_lT1_lS5_lS6_lS2_lPT4_lS6_li.uses_vcc, 1
	.set _ZL20rocblas_gemvn_kernelILi64ELi16EldPKddEviiT3_lPKT2_lT1_lS5_lS6_lS2_lPT4_lS6_li.uses_flat_scratch, 0
	.set _ZL20rocblas_gemvn_kernelILi64ELi16EldPKddEviiT3_lPKT2_lT1_lS5_lS6_lS2_lPT4_lS6_li.has_dyn_sized_stack, 0
	.set _ZL20rocblas_gemvn_kernelILi64ELi16EldPKddEviiT3_lPKT2_lT1_lS5_lS6_lS2_lPT4_lS6_li.has_recursion, 0
	.set _ZL20rocblas_gemvn_kernelILi64ELi16EldPKddEviiT3_lPKT2_lT1_lS5_lS6_lS2_lPT4_lS6_li.has_indirect_call, 0
	.section	.AMDGPU.csdata,"",@progbits
; Kernel info:
; codeLenInByte = 2816
; TotalNumSgprs: 61
; NumVgprs: 95
; ScratchSize: 0
; MemoryBound: 1
; FloatMode: 240
; IeeeMode: 1
; LDSByteSize: 32768 bytes/workgroup (compile time only)
; SGPRBlocks: 0
; VGPRBlocks: 5
; NumSGPRsForWavesPerEU: 61
; NumVGPRsForWavesPerEU: 95
; NamedBarCnt: 0
; Occupancy: 10
; WaveLimiterHint : 1
; COMPUTE_PGM_RSRC2:SCRATCH_EN: 0
; COMPUTE_PGM_RSRC2:USER_SGPR: 2
; COMPUTE_PGM_RSRC2:TRAP_HANDLER: 0
; COMPUTE_PGM_RSRC2:TGID_X_EN: 1
; COMPUTE_PGM_RSRC2:TGID_Y_EN: 0
; COMPUTE_PGM_RSRC2:TGID_Z_EN: 1
; COMPUTE_PGM_RSRC2:TIDIG_COMP_CNT: 1
	.section	.text._ZL20rocblas_gemvn_kernelILi64ELi16EidddEviiT3_lPKT2_lT1_lS3_lS4_lS0_lPT4_lS4_li,"axG",@progbits,_ZL20rocblas_gemvn_kernelILi64ELi16EidddEviiT3_lPKT2_lT1_lS3_lS4_lS0_lPT4_lS4_li,comdat
	.globl	_ZL20rocblas_gemvn_kernelILi64ELi16EidddEviiT3_lPKT2_lT1_lS3_lS4_lS0_lPT4_lS4_li ; -- Begin function _ZL20rocblas_gemvn_kernelILi64ELi16EidddEviiT3_lPKT2_lT1_lS3_lS4_lS0_lPT4_lS4_li
	.p2align	8
	.type	_ZL20rocblas_gemvn_kernelILi64ELi16EidddEviiT3_lPKT2_lT1_lS3_lS4_lS0_lPT4_lS4_li,@function
_ZL20rocblas_gemvn_kernelILi64ELi16EidddEviiT3_lPKT2_lT1_lS3_lS4_lS0_lPT4_lS4_li: ; @_ZL20rocblas_gemvn_kernelILi64ELi16EidddEviiT3_lPKT2_lT1_lS3_lS4_lS0_lPT4_lS4_li
; %bb.0:
	s_load_b64 s[2:3], s[0:1], 0x9c
	s_wait_kmcnt 0x0
	s_lshr_b32 s4, s2, 16
	s_and_b32 s2, s2, 0xffff
	s_and_b32 s3, s3, 0xffff
	s_mul_i32 s2, s4, s2
	s_delay_alu instid0(SALU_CYCLE_1) | instskip(NEXT) | instid1(SALU_CYCLE_1)
	s_mul_i32 s2, s2, s3
	s_cmp_lg_u32 s2, 0x400
	s_cbranch_scc1 .LBB66_53
; %bb.1:
	s_load_b32 s27, s[0:1], 0x88
	s_bfe_u32 s2, ttmp6, 0x40014
	s_lshr_b32 s3, ttmp7, 16
	s_add_co_i32 s2, s2, 1
	s_bfe_u32 s5, ttmp6, 0x40008
	s_mul_i32 s4, s3, s2
	s_getreg_b32 s2, hwreg(HW_REG_IB_STS2, 6, 4)
	s_add_co_i32 s5, s5, s4
	s_cmp_eq_u32 s2, 0
	s_mov_b32 s29, 0
	s_cselect_b32 s28, s3, s5
	s_wait_kmcnt 0x0
	s_cmp_ge_u32 s28, s27
	s_cbranch_scc1 .LBB66_53
; %bb.2:
	s_clause 0x8
	s_load_b128 s[8:11], s[0:1], 0x0
	s_load_b128 s[12:15], s[0:1], 0x50
	;; [unrolled: 1-line block ×3, first 2 shown]
	s_load_b96 s[24:26], s[0:1], 0x40
	s_load_b128 s[20:23], s[0:1], 0x68
	s_load_b32 s34, s[0:1], 0x78
	s_load_b32 s33, s[0:1], 0x28
	s_load_b128 s[16:19], s[0:1], 0x30
	s_load_b64 s[30:31], s[0:1], 0x80
	s_wait_xcnt 0x0
	s_bfe_u32 s1, ttmp6, 0x4000c
	s_and_b32 s0, ttmp6, 15
	s_add_co_i32 s1, s1, 1
	v_and_b32_e32 v4, 0x3ff, v0
	s_mul_i32 s1, ttmp9, s1
	v_bfe_u32 v3, v0, 10, 10
	s_add_co_i32 s39, s0, s1
	s_delay_alu instid0(VALU_DEP_2) | instskip(NEXT) | instid1(VALU_DEP_2)
	v_dual_mov_b32 v1, 0 :: v_dual_lshlrev_b32 v5, 3, v4
	v_lshl_add_u32 v6, v3, 6, v4
	s_delay_alu instid0(VALU_DEP_2)
	v_lshl_add_u32 v53, v3, 11, v5
	v_lshl_add_u32 v55, v3, 9, v5
	s_wait_kmcnt 0x0
	s_ashr_i32 s35, s34, 31
	v_cmp_neq_f64_e64 s3, s[10:11], 0
	v_cmp_neq_f64_e64 s37, s[14:15], 1.0
	s_lshl_b64 s[0:1], s[6:7], 3
	s_lshl_b64 s[6:7], s[24:25], 3
	;; [unrolled: 1-line block ×3, first 2 shown]
	s_add_nc_u64 s[22:23], s[4:5], s[0:1]
	s_mov_b32 s36, s8
	s_add_nc_u64 s[18:19], s[18:19], s[6:7]
	v_cmp_neq_f64_e64 s41, s[14:15], 0
	v_cmp_gt_u32_e64 s5, 0x100, v6
	s_add_nc_u64 s[20:21], s[20:21], s[24:25]
	s_or_b32 s38, s3, s37
	s_cmp_eq_u32 s2, 0
	s_cselect_b32 s0, ttmp9, s39
	s_ashr_i32 s1, s9, 31
	s_lshl_b32 s39, s0, 8
	s_lshr_b32 s0, s1, 26
	v_dual_add_nc_u32 v54, s39, v4 :: v_dual_bitop2_b32 v8, s39, v6 bitop3:0x54
	s_add_co_i32 s40, s9, s0
	v_dual_lshlrev_b32 v52, 2, v3 :: v_dual_add_nc_u32 v0, s39, v6
	s_delay_alu instid0(VALU_DEP_2)
	v_add_nc_u32_e32 v9, 64, v54
	v_add_nc_u32_e32 v10, 0x80, v54
	v_add_nc_u32_e32 v11, 0xc0, v54
	s_and_not1_b32 s40, s40, 63
	s_ashr_i32 s37, s8, 31
	s_sub_co_i32 s2, s9, s40
	v_cmp_gt_i64_e32 vcc_lo, s[36:37], v[0:1]
	v_mul_u64_e32 v[0:1], s[34:35], v[0:1]
	v_cmp_gt_i32_e64 s1, s8, v54
	s_cmp_gt_i32 s2, 0
	v_cmp_gt_i32_e64 s3, s8, v10
	v_cmp_gt_i32_e64 s4, s8, v11
	v_or_b32_e32 v5, 2, v52
	v_cmp_gt_i32_e64 s2, s8, v9
	v_cmp_gt_i32_e64 s6, s8, v8
	v_cmp_eq_f64_e64 s8, s[10:11], 0
	v_mul_lo_u32 v2, s34, v8
	v_mul_lo_u32 v7, s33, v52
	;; [unrolled: 1-line block ×4, first 2 shown]
	v_or_b32_e32 v10, 3, v52
	v_mad_u32 v57, s33, v5, v4
	v_mad_u32 v60, s26, v52, s26
	v_mul_lo_u32 v61, s26, v5
	v_cmp_gt_i32_e64 s0, s40, v52
	s_cselect_b32 s42, -1, 0
	s_and_b32 s43, s5, vcc_lo
	v_ashrrev_i32_e32 v3, 31, v2
	v_mad_u32 v58, s33, v10, v4
	v_mul_lo_u32 v62, s26, v10
	v_add3_u32 v56, v7, s33, v4
	v_lshl_add_u32 v59, v9, 2, v4
	v_lshlrev_b32_e32 v63, 2, v6
	s_lshl_b32 s44, s33, 6
	s_lshl_b32 s45, s26, 6
	s_branch .LBB66_5
.LBB66_3:                               ;   in Loop: Header=BB66_5 Depth=1
	s_wait_xcnt 0x0
	s_or_b32 exec_lo, exec_lo, s7
.LBB66_4:                               ;   in Loop: Header=BB66_5 Depth=1
	s_add_co_i32 s28, s28, 0x10000
	s_delay_alu instid0(SALU_CYCLE_1)
	s_cmp_lt_u32 s28, s27
	s_cbranch_scc0 .LBB66_53
.LBB66_5:                               ; =>This Loop Header: Depth=1
                                        ;     Child Loop BB66_21 Depth 2
	s_and_not1_b32 vcc_lo, exec_lo, s38
	s_cbranch_vccnz .LBB66_4
; %bb.6:                                ;   in Loop: Header=BB66_5 Depth=1
	s_mul_u64 s[24:25], s[30:31], s[28:29]
	s_and_not1_b32 vcc_lo, exec_lo, s8
	s_lshl_b64 s[24:25], s[24:25], 3
	s_delay_alu instid0(SALU_CYCLE_1)
	s_add_nc_u64 s[24:25], s[20:21], s[24:25]
	s_cbranch_vccnz .LBB66_10
; %bb.7:                                ;   in Loop: Header=BB66_5 Depth=1
	s_mov_b32 s7, 0
	s_mov_b32 s46, 0
                                        ; implicit-def: $vgpr4_vgpr5
	s_and_saveexec_b32 s34, s43
	s_cbranch_execz .LBB66_11
; %bb.8:                                ;   in Loop: Header=BB66_5 Depth=1
	s_and_not1_b32 vcc_lo, exec_lo, s41
	s_cbranch_vccnz .LBB66_13
; %bb.9:                                ;   in Loop: Header=BB66_5 Depth=1
	v_lshl_add_u64 v[4:5], v[0:1], 3, s[24:25]
	global_load_b64 v[4:5], v[4:5], off
	s_wait_loadcnt 0x0
	s_wait_xcnt 0x0
	v_mul_f64_e32 v[4:5], s[14:15], v[4:5]
	s_branch .LBB66_14
.LBB66_10:                              ;   in Loop: Header=BB66_5 Depth=1
	s_mov_b32 s46, 0
                                        ; implicit-def: $vgpr4_vgpr5
	s_cbranch_execz .LBB66_12
	s_branch .LBB66_15
.LBB66_11:                              ;   in Loop: Header=BB66_5 Depth=1
	s_or_b32 exec_lo, exec_lo, s34
	s_delay_alu instid0(SALU_CYCLE_1)
	s_and_b32 vcc_lo, exec_lo, s7
	s_cbranch_vccnz .LBB66_15
.LBB66_12:                              ;   in Loop: Header=BB66_5 Depth=1
	v_mov_b64_e32 v[6:7], v[0:1]
	s_and_saveexec_b32 s7, s46
	s_cbranch_execz .LBB66_3
	s_branch .LBB66_52
.LBB66_13:                              ;   in Loop: Header=BB66_5 Depth=1
	v_mov_b64_e32 v[4:5], 0
.LBB66_14:                              ;   in Loop: Header=BB66_5 Depth=1
	s_mov_b32 s46, exec_lo
	s_or_b32 exec_lo, exec_lo, s34
	s_delay_alu instid0(SALU_CYCLE_1)
	s_and_b32 vcc_lo, exec_lo, s7
	s_cbranch_vccz .LBB66_12
.LBB66_15:                              ;   in Loop: Header=BB66_5 Depth=1
	v_mov_b64_e32 v[4:5], 0
	v_mov_b64_e32 v[6:7], 0
	;; [unrolled: 1-line block ×4, first 2 shown]
	s_mul_u64 s[34:35], s[16:17], s[28:29]
	s_mul_u64 s[36:37], s[12:13], s[28:29]
	v_mov_b32_e32 v64, v52
	s_lshl_b64 s[34:35], s[34:35], 3
	s_lshl_b64 s[36:37], s[36:37], 3
	s_add_nc_u64 s[34:35], s[22:23], s[34:35]
	s_add_nc_u64 s[36:37], s[18:19], s[36:37]
	s_and_saveexec_b32 s7, s0
	s_cbranch_execz .LBB66_27
; %bb.16:                               ;   in Loop: Header=BB66_5 Depth=1
	v_mov_b64_e32 v[4:5], 0
	v_mov_b64_e32 v[6:7], 0
	;; [unrolled: 1-line block ×4, first 2 shown]
	v_dual_mov_b32 v65, v59 :: v_dual_mov_b32 v66, v58
	v_dual_mov_b32 v67, v57 :: v_dual_mov_b32 v68, v56
	v_mov_b32_e32 v64, v52
	s_mov_b32 s47, 0
	s_mov_b32 s48, 0
	s_branch .LBB66_21
.LBB66_17:                              ;   in Loop: Header=BB66_21 Depth=2
	s_wait_xcnt 0x0
	s_or_b32 exec_lo, exec_lo, s52
	s_wait_loadcnt 0x3
	v_fmac_f64_e32 v[8:9], v[18:19], v[48:49]
	s_wait_loadcnt 0x2
	s_delay_alu instid0(VALU_DEP_1) | instskip(SKIP_1) | instid1(VALU_DEP_1)
	v_fmac_f64_e32 v[8:9], v[16:17], v[44:45]
	s_wait_loadcnt 0x1
	v_fmac_f64_e32 v[8:9], v[14:15], v[42:43]
	s_wait_loadcnt 0x0
	s_delay_alu instid0(VALU_DEP_1)
	v_fmac_f64_e32 v[8:9], v[12:13], v[36:37]
.LBB66_18:                              ;   in Loop: Header=BB66_21 Depth=2
	s_or_b32 exec_lo, exec_lo, s51
	s_wait_loadcnt 0x3
	v_fmac_f64_e32 v[6:7], v[18:19], v[34:35]
	s_wait_loadcnt 0x2
	s_delay_alu instid0(VALU_DEP_1) | instskip(SKIP_1) | instid1(VALU_DEP_1)
	v_fmac_f64_e32 v[6:7], v[16:17], v[32:33]
	s_wait_loadcnt 0x1
	v_fmac_f64_e32 v[6:7], v[14:15], v[30:31]
	s_wait_loadcnt 0x0
	s_delay_alu instid0(VALU_DEP_1)
	v_fmac_f64_e32 v[6:7], v[12:13], v[28:29]
.LBB66_19:                              ;   in Loop: Header=BB66_21 Depth=2
	s_or_b32 exec_lo, exec_lo, s50
	s_wait_loadcnt 0x3
	v_fmac_f64_e32 v[4:5], v[18:19], v[26:27]
	s_wait_loadcnt 0x2
	s_delay_alu instid0(VALU_DEP_1) | instskip(SKIP_1) | instid1(VALU_DEP_1)
	v_fmac_f64_e32 v[4:5], v[16:17], v[24:25]
	s_wait_loadcnt 0x1
	v_fmac_f64_e32 v[4:5], v[14:15], v[22:23]
	s_wait_loadcnt 0x0
	s_delay_alu instid0(VALU_DEP_1)
	v_fmac_f64_e32 v[4:5], v[12:13], v[20:21]
.LBB66_20:                              ;   in Loop: Header=BB66_21 Depth=2
	s_or_b32 exec_lo, exec_lo, s49
	v_dual_add_nc_u32 v64, 64, v64 :: v_dual_add_nc_u32 v67, s44, v67
	v_dual_add_nc_u32 v68, s44, v68 :: v_dual_add_nc_u32 v66, s44, v66
	v_add_nc_u32_e32 v65, s44, v65
	s_delay_alu instid0(VALU_DEP_3) | instskip(SKIP_2) | instid1(SALU_CYCLE_1)
	v_cmp_le_i32_e32 vcc_lo, s40, v64
	s_add_co_i32 s48, s48, s45
	s_or_b32 s47, vcc_lo, s47
	s_and_not1_b32 exec_lo, exec_lo, s47
	s_cbranch_execz .LBB66_26
.LBB66_21:                              ;   Parent Loop BB66_5 Depth=1
                                        ; =>  This Inner Loop Header: Depth=2
	s_and_saveexec_b32 s49, s1
	s_cbranch_execz .LBB66_20
; %bb.22:                               ;   in Loop: Header=BB66_21 Depth=2
	v_dual_add_nc_u32 v29, s48, v63 :: v_dual_add_nc_u32 v31, s48, v60
	v_dual_add_nc_u32 v33, s48, v61 :: v_dual_add_nc_u32 v35, s48, v62
	;; [unrolled: 1-line block ×4, first 2 shown]
	s_clause 0x3
	global_load_b64 v[18:19], v29, s[36:37] scale_offset
	global_load_b64 v[16:17], v31, s[36:37] scale_offset
	;; [unrolled: 1-line block ×4, first 2 shown]
	s_clause 0x3
	global_load_b64 v[26:27], v28, s[34:35] scale_offset
	global_load_b64 v[24:25], v30, s[34:35] scale_offset
	;; [unrolled: 1-line block ×4, first 2 shown]
	s_wait_xcnt 0x0
	s_and_saveexec_b32 s50, s2
	s_cbranch_execz .LBB66_19
; %bb.23:                               ;   in Loop: Header=BB66_21 Depth=2
	v_dual_ashrrev_i32 v29, 31, v28 :: v_dual_ashrrev_i32 v31, 31, v30
	v_dual_ashrrev_i32 v35, 31, v34 :: v_dual_ashrrev_i32 v33, 31, v32
	s_delay_alu instid0(VALU_DEP_2) | instskip(NEXT) | instid1(VALU_DEP_3)
	v_lshl_add_u64 v[50:51], v[28:29], 3, s[34:35]
	v_lshl_add_u64 v[46:47], v[30:31], 3, s[34:35]
	s_delay_alu instid0(VALU_DEP_3) | instskip(NEXT) | instid1(VALU_DEP_4)
	v_lshl_add_u64 v[38:39], v[34:35], 3, s[34:35]
	v_lshl_add_u64 v[40:41], v[32:33], 3, s[34:35]
	s_clause 0x3
	global_load_b64 v[34:35], v[50:51], off offset:512
	global_load_b64 v[32:33], v[46:47], off offset:512
	;; [unrolled: 1-line block ×4, first 2 shown]
	s_wait_xcnt 0x0
	s_and_saveexec_b32 s51, s3
	s_cbranch_execz .LBB66_18
; %bb.24:                               ;   in Loop: Header=BB66_21 Depth=2
	s_clause 0x3
	global_load_b64 v[48:49], v[50:51], off offset:1024
	global_load_b64 v[44:45], v[46:47], off offset:1024
	;; [unrolled: 1-line block ×4, first 2 shown]
	s_wait_xcnt 0x0
	s_and_saveexec_b32 s52, s4
	s_cbranch_execz .LBB66_17
; %bb.25:                               ;   in Loop: Header=BB66_21 Depth=2
	s_clause 0x3
	global_load_b64 v[50:51], v[50:51], off offset:1536
	global_load_b64 v[46:47], v[46:47], off offset:1536
	;; [unrolled: 1-line block ×4, first 2 shown]
	s_wait_loadcnt 0x3
	v_fmac_f64_e32 v[10:11], v[18:19], v[50:51]
	s_wait_loadcnt 0x2
	s_delay_alu instid0(VALU_DEP_1) | instskip(SKIP_1) | instid1(VALU_DEP_1)
	v_fmac_f64_e32 v[10:11], v[16:17], v[46:47]
	s_wait_loadcnt 0x1
	v_fmac_f64_e32 v[10:11], v[14:15], v[38:39]
	s_wait_loadcnt 0x0
	s_delay_alu instid0(VALU_DEP_1)
	v_fmac_f64_e32 v[10:11], v[12:13], v[40:41]
	s_branch .LBB66_17
.LBB66_26:                              ;   in Loop: Header=BB66_5 Depth=1
	s_or_b32 exec_lo, exec_lo, s47
.LBB66_27:                              ;   in Loop: Header=BB66_5 Depth=1
	s_delay_alu instid0(SALU_CYCLE_1) | instskip(NEXT) | instid1(SALU_CYCLE_1)
	s_or_b32 exec_lo, exec_lo, s7
	s_and_not1_b32 vcc_lo, exec_lo, s42
	s_cbranch_vccnz .LBB66_45
; %bb.28:                               ;   in Loop: Header=BB66_5 Depth=1
	v_mov_b64_e32 v[18:19], 0
	v_mov_b64_e32 v[16:17], 0
	;; [unrolled: 1-line block ×4, first 2 shown]
	v_cmp_gt_i32_e32 vcc_lo, s9, v64
	v_or_b32_e32 v20, 1, v64
	s_and_saveexec_b32 s47, vcc_lo
	s_cbranch_execz .LBB66_36
; %bb.29:                               ;   in Loop: Header=BB66_5 Depth=1
	v_mul_lo_u32 v12, v64, s26
	v_mov_b64_e32 v[14:15], 0
	v_mov_b64_e32 v[16:17], 0
	;; [unrolled: 1-line block ×3, first 2 shown]
	s_mov_b32 s48, exec_lo
	global_load_b64 v[12:13], v12, s[36:37] scale_offset
	s_wait_xcnt 0x0
	v_cmpx_gt_i32_e64 s9, v20
	s_cbranch_execz .LBB66_35
; %bb.30:                               ;   in Loop: Header=BB66_5 Depth=1
	v_mul_lo_u32 v14, v20, s26
	v_mov_b64_e32 v[16:17], 0
	v_mov_b64_e32 v[18:19], 0
	v_or_b32_e32 v21, 2, v64
	s_mov_b32 s49, exec_lo
	global_load_b64 v[14:15], v14, s[36:37] scale_offset
	s_wait_xcnt 0x0
	v_cmpx_gt_i32_e64 s9, v21
	s_cbranch_execz .LBB66_34
; %bb.31:                               ;   in Loop: Header=BB66_5 Depth=1
	v_mul_lo_u32 v16, v21, s26
	v_mov_b64_e32 v[18:19], 0
	v_or_b32_e32 v21, 3, v64
	s_mov_b32 s50, exec_lo
	global_load_b64 v[16:17], v16, s[36:37] scale_offset
	s_wait_xcnt 0x0
	v_cmpx_gt_i32_e64 s9, v21
	s_cbranch_execz .LBB66_33
; %bb.32:                               ;   in Loop: Header=BB66_5 Depth=1
	v_mul_lo_u32 v18, v21, s26
	global_load_b64 v[18:19], v18, s[36:37] scale_offset
.LBB66_33:                              ;   in Loop: Header=BB66_5 Depth=1
	s_wait_xcnt 0x0
	s_or_b32 exec_lo, exec_lo, s50
.LBB66_34:                              ;   in Loop: Header=BB66_5 Depth=1
	s_delay_alu instid0(SALU_CYCLE_1)
	s_or_b32 exec_lo, exec_lo, s49
.LBB66_35:                              ;   in Loop: Header=BB66_5 Depth=1
	s_delay_alu instid0(SALU_CYCLE_1)
	s_or_b32 exec_lo, exec_lo, s48
.LBB66_36:                              ;   in Loop: Header=BB66_5 Depth=1
	s_delay_alu instid0(SALU_CYCLE_1)
	s_or_b32 exec_lo, exec_lo, s47
	s_and_saveexec_b32 s7, s1
	s_cbranch_execz .LBB66_44
; %bb.37:                               ;   in Loop: Header=BB66_5 Depth=1
	v_mul_lo_u32 v22, v64, s33
	v_or_b32_e32 v21, 2, v64
	v_mul_lo_u32 v24, v20, s33
	s_delay_alu instid0(VALU_DEP_3) | instskip(NEXT) | instid1(VALU_DEP_3)
	v_cndmask_b32_e32 v22, 0, v22, vcc_lo
	v_mul_lo_u32 v25, v21, s33
	v_cmp_gt_i32_e32 vcc_lo, s9, v20
	s_delay_alu instid0(VALU_DEP_4) | instskip(SKIP_1) | instid1(VALU_DEP_4)
	v_cndmask_b32_e32 v20, 0, v24, vcc_lo
	v_cmp_gt_i32_e32 vcc_lo, s9, v21
	v_dual_cndmask_b32 v21, 0, v25, vcc_lo :: v_dual_bitop2_b32 v23, 3, v64 bitop3:0x54
	s_delay_alu instid0(VALU_DEP_1) | instskip(SKIP_1) | instid1(VALU_DEP_2)
	v_mul_lo_u32 v26, v23, s33
	v_cmp_gt_i32_e32 vcc_lo, s9, v23
	v_cndmask_b32_e32 v23, 0, v26, vcc_lo
	v_dual_add_nc_u32 v30, v22, v54 :: v_dual_add_nc_u32 v32, v20, v54
	s_delay_alu instid0(VALU_DEP_2)
	v_dual_add_nc_u32 v34, v21, v54 :: v_dual_add_nc_u32 v28, v23, v54
	s_clause 0x3
	global_load_b64 v[26:27], v30, s[34:35] scale_offset
	global_load_b64 v[24:25], v32, s[34:35] scale_offset
	;; [unrolled: 1-line block ×4, first 2 shown]
	s_wait_xcnt 0x0
	s_and_saveexec_b32 s36, s2
	s_cbranch_execz .LBB66_43
; %bb.38:                               ;   in Loop: Header=BB66_5 Depth=1
	v_dual_ashrrev_i32 v31, 31, v30 :: v_dual_ashrrev_i32 v33, 31, v32
	v_dual_ashrrev_i32 v35, 31, v34 :: v_dual_ashrrev_i32 v29, 31, v28
	s_delay_alu instid0(VALU_DEP_2) | instskip(NEXT) | instid1(VALU_DEP_3)
	v_lshl_add_u64 v[50:51], v[30:31], 3, s[34:35]
	v_lshl_add_u64 v[46:47], v[32:33], 3, s[34:35]
	s_delay_alu instid0(VALU_DEP_3) | instskip(NEXT) | instid1(VALU_DEP_4)
	v_lshl_add_u64 v[38:39], v[34:35], 3, s[34:35]
	v_lshl_add_u64 v[40:41], v[28:29], 3, s[34:35]
	s_clause 0x3
	global_load_b64 v[34:35], v[50:51], off offset:512
	global_load_b64 v[32:33], v[46:47], off offset:512
	;; [unrolled: 1-line block ×4, first 2 shown]
	s_wait_xcnt 0x0
	s_and_saveexec_b32 s34, s3
	s_cbranch_execz .LBB66_42
; %bb.39:                               ;   in Loop: Header=BB66_5 Depth=1
	s_clause 0x3
	global_load_b64 v[48:49], v[50:51], off offset:1024
	global_load_b64 v[44:45], v[46:47], off offset:1024
	;; [unrolled: 1-line block ×4, first 2 shown]
	s_wait_xcnt 0x0
	s_and_saveexec_b32 s35, s4
	s_cbranch_execz .LBB66_41
; %bb.40:                               ;   in Loop: Header=BB66_5 Depth=1
	s_clause 0x3
	global_load_b64 v[50:51], v[50:51], off offset:1536
	global_load_b64 v[46:47], v[46:47], off offset:1536
	;; [unrolled: 1-line block ×4, first 2 shown]
	s_wait_loadcnt 0x3
	v_fmac_f64_e32 v[10:11], v[12:13], v[50:51]
	s_wait_loadcnt 0x2
	s_delay_alu instid0(VALU_DEP_1) | instskip(SKIP_1) | instid1(VALU_DEP_1)
	v_fmac_f64_e32 v[10:11], v[14:15], v[46:47]
	s_wait_loadcnt 0x1
	v_fmac_f64_e32 v[10:11], v[16:17], v[38:39]
	s_wait_loadcnt 0x0
	s_delay_alu instid0(VALU_DEP_1)
	v_fmac_f64_e32 v[10:11], v[18:19], v[40:41]
.LBB66_41:                              ;   in Loop: Header=BB66_5 Depth=1
	s_wait_xcnt 0x0
	s_or_b32 exec_lo, exec_lo, s35
	s_wait_loadcnt 0x3
	v_fmac_f64_e32 v[8:9], v[12:13], v[48:49]
	s_wait_loadcnt 0x2
	s_delay_alu instid0(VALU_DEP_1) | instskip(SKIP_1) | instid1(VALU_DEP_1)
	v_fmac_f64_e32 v[8:9], v[14:15], v[44:45]
	s_wait_loadcnt 0x1
	v_fmac_f64_e32 v[8:9], v[16:17], v[42:43]
	s_wait_loadcnt 0x0
	s_delay_alu instid0(VALU_DEP_1)
	v_fmac_f64_e32 v[8:9], v[18:19], v[36:37]
.LBB66_42:                              ;   in Loop: Header=BB66_5 Depth=1
	s_or_b32 exec_lo, exec_lo, s34
	s_wait_loadcnt 0x3
	v_fmac_f64_e32 v[6:7], v[12:13], v[34:35]
	s_wait_loadcnt 0x2
	s_delay_alu instid0(VALU_DEP_1) | instskip(SKIP_1) | instid1(VALU_DEP_1)
	v_fmac_f64_e32 v[6:7], v[14:15], v[32:33]
	s_wait_loadcnt 0x1
	v_fmac_f64_e32 v[6:7], v[16:17], v[30:31]
	s_wait_loadcnt 0x0
	s_delay_alu instid0(VALU_DEP_1)
	v_fmac_f64_e32 v[6:7], v[18:19], v[28:29]
.LBB66_43:                              ;   in Loop: Header=BB66_5 Depth=1
	s_or_b32 exec_lo, exec_lo, s36
	s_wait_loadcnt 0x3
	v_fmac_f64_e32 v[4:5], v[12:13], v[26:27]
	s_wait_loadcnt 0x2
	s_delay_alu instid0(VALU_DEP_1) | instskip(SKIP_1) | instid1(VALU_DEP_1)
	v_fmac_f64_e32 v[4:5], v[14:15], v[24:25]
	s_wait_loadcnt 0x1
	v_fmac_f64_e32 v[4:5], v[16:17], v[22:23]
	s_wait_loadcnt 0x0
	s_delay_alu instid0(VALU_DEP_1)
	v_fmac_f64_e32 v[4:5], v[18:19], v[20:21]
.LBB66_44:                              ;   in Loop: Header=BB66_5 Depth=1
	s_or_b32 exec_lo, exec_lo, s7
.LBB66_45:                              ;   in Loop: Header=BB66_5 Depth=1
	ds_store_2addr_stride64_b64 v53, v[4:5], v[6:7] offset1:1
	ds_store_2addr_stride64_b64 v53, v[8:9], v[10:11] offset0:2 offset1:3
	s_wait_loadcnt_dscnt 0x0
	s_barrier_signal -1
	s_barrier_wait -1
                                        ; implicit-def: $vgpr4_vgpr5
	s_and_saveexec_b32 s7, s5
	s_cbranch_execz .LBB66_51
; %bb.46:                               ;   in Loop: Header=BB66_5 Depth=1
	ds_load_2addr_stride64_b64 v[4:7], v55 offset1:4
	s_mov_b32 s35, s46
	s_wait_dscnt 0x0
	v_add_f64_e32 v[8:9], v[4:5], v[6:7]
	ds_load_2addr_stride64_b64 v[4:7], v55 offset0:8 offset1:12
	s_wait_dscnt 0x0
	v_add_f64_e32 v[4:5], v[4:5], v[8:9]
	s_delay_alu instid0(VALU_DEP_1) | instskip(SKIP_3) | instid1(VALU_DEP_1)
	v_add_f64_e32 v[8:9], v[6:7], v[4:5]
	ds_load_2addr_stride64_b64 v[4:7], v55 offset0:16 offset1:20
	s_wait_dscnt 0x0
	v_add_f64_e32 v[4:5], v[4:5], v[8:9]
	v_add_f64_e32 v[8:9], v[6:7], v[4:5]
	ds_load_2addr_stride64_b64 v[4:7], v55 offset0:24 offset1:28
	s_wait_dscnt 0x0
	v_add_f64_e32 v[4:5], v[4:5], v[8:9]
	s_delay_alu instid0(VALU_DEP_1) | instskip(SKIP_3) | instid1(VALU_DEP_1)
	v_add_f64_e32 v[8:9], v[6:7], v[4:5]
	ds_load_2addr_stride64_b64 v[4:7], v55 offset0:32 offset1:36
	s_wait_dscnt 0x0
	v_add_f64_e32 v[4:5], v[4:5], v[8:9]
	;; [unrolled: 9-line block ×3, first 2 shown]
	v_add_f64_e32 v[8:9], v[6:7], v[4:5]
	ds_load_2addr_stride64_b64 v[4:7], v55 offset0:56 offset1:60
	s_wait_dscnt 0x0
	v_add_f64_e32 v[4:5], v[4:5], v[8:9]
	s_delay_alu instid0(VALU_DEP_1)
	v_add_f64_e32 v[6:7], v[6:7], v[4:5]
                                        ; implicit-def: $vgpr4_vgpr5
	ds_store_b64 v55, v[6:7]
	s_and_saveexec_b32 s34, s6
	s_cbranch_execz .LBB66_50
; %bb.47:                               ;   in Loop: Header=BB66_5 Depth=1
	v_mul_f64_e32 v[4:5], s[10:11], v[6:7]
	s_and_not1_b32 vcc_lo, exec_lo, s41
	s_cbranch_vccnz .LBB66_49
; %bb.48:                               ;   in Loop: Header=BB66_5 Depth=1
	v_lshl_add_u64 v[6:7], v[2:3], 3, s[24:25]
	global_load_b64 v[6:7], v[6:7], off
	s_wait_loadcnt 0x0
	v_fmac_f64_e32 v[4:5], s[14:15], v[6:7]
.LBB66_49:                              ;   in Loop: Header=BB66_5 Depth=1
	s_or_b32 s35, s46, exec_lo
.LBB66_50:                              ;   in Loop: Header=BB66_5 Depth=1
	s_wait_xcnt 0x0
	s_or_b32 exec_lo, exec_lo, s34
	s_delay_alu instid0(SALU_CYCLE_1) | instskip(SKIP_1) | instid1(SALU_CYCLE_1)
	s_and_not1_b32 s34, s46, exec_lo
	s_and_b32 s35, s35, exec_lo
	s_or_b32 s46, s34, s35
.LBB66_51:                              ;   in Loop: Header=BB66_5 Depth=1
	s_or_b32 exec_lo, exec_lo, s7
	v_mov_b64_e32 v[6:7], v[2:3]
	s_and_saveexec_b32 s7, s46
	s_cbranch_execz .LBB66_3
.LBB66_52:                              ;   in Loop: Header=BB66_5 Depth=1
	s_delay_alu instid0(VALU_DEP_1)
	v_lshl_add_u64 v[6:7], v[6:7], 3, s[24:25]
	global_store_b64 v[6:7], v[4:5], off
	s_branch .LBB66_3
.LBB66_53:
	s_sendmsg sendmsg(MSG_DEALLOC_VGPRS)
	s_endpgm
	.section	.rodata,"a",@progbits
	.p2align	6, 0x0
	.amdhsa_kernel _ZL20rocblas_gemvn_kernelILi64ELi16EidddEviiT3_lPKT2_lT1_lS3_lS4_lS0_lPT4_lS4_li
		.amdhsa_group_segment_fixed_size 32768
		.amdhsa_private_segment_fixed_size 0
		.amdhsa_kernarg_size 400
		.amdhsa_user_sgpr_count 2
		.amdhsa_user_sgpr_dispatch_ptr 0
		.amdhsa_user_sgpr_queue_ptr 0
		.amdhsa_user_sgpr_kernarg_segment_ptr 1
		.amdhsa_user_sgpr_dispatch_id 0
		.amdhsa_user_sgpr_kernarg_preload_length 0
		.amdhsa_user_sgpr_kernarg_preload_offset 0
		.amdhsa_user_sgpr_private_segment_size 0
		.amdhsa_wavefront_size32 1
		.amdhsa_uses_dynamic_stack 0
		.amdhsa_enable_private_segment 0
		.amdhsa_system_sgpr_workgroup_id_x 1
		.amdhsa_system_sgpr_workgroup_id_y 0
		.amdhsa_system_sgpr_workgroup_id_z 1
		.amdhsa_system_sgpr_workgroup_info 0
		.amdhsa_system_vgpr_workitem_id 1
		.amdhsa_next_free_vgpr 69
		.amdhsa_next_free_sgpr 53
		.amdhsa_named_barrier_count 0
		.amdhsa_reserve_vcc 1
		.amdhsa_float_round_mode_32 0
		.amdhsa_float_round_mode_16_64 0
		.amdhsa_float_denorm_mode_32 3
		.amdhsa_float_denorm_mode_16_64 3
		.amdhsa_fp16_overflow 0
		.amdhsa_memory_ordered 1
		.amdhsa_forward_progress 1
		.amdhsa_inst_pref_size 22
		.amdhsa_round_robin_scheduling 0
		.amdhsa_exception_fp_ieee_invalid_op 0
		.amdhsa_exception_fp_denorm_src 0
		.amdhsa_exception_fp_ieee_div_zero 0
		.amdhsa_exception_fp_ieee_overflow 0
		.amdhsa_exception_fp_ieee_underflow 0
		.amdhsa_exception_fp_ieee_inexact 0
		.amdhsa_exception_int_div_zero 0
	.end_amdhsa_kernel
	.section	.text._ZL20rocblas_gemvn_kernelILi64ELi16EidddEviiT3_lPKT2_lT1_lS3_lS4_lS0_lPT4_lS4_li,"axG",@progbits,_ZL20rocblas_gemvn_kernelILi64ELi16EidddEviiT3_lPKT2_lT1_lS3_lS4_lS0_lPT4_lS4_li,comdat
.Lfunc_end66:
	.size	_ZL20rocblas_gemvn_kernelILi64ELi16EidddEviiT3_lPKT2_lT1_lS3_lS4_lS0_lPT4_lS4_li, .Lfunc_end66-_ZL20rocblas_gemvn_kernelILi64ELi16EidddEviiT3_lPKT2_lT1_lS3_lS4_lS0_lPT4_lS4_li
                                        ; -- End function
	.set _ZL20rocblas_gemvn_kernelILi64ELi16EidddEviiT3_lPKT2_lT1_lS3_lS4_lS0_lPT4_lS4_li.num_vgpr, 69
	.set _ZL20rocblas_gemvn_kernelILi64ELi16EidddEviiT3_lPKT2_lT1_lS3_lS4_lS0_lPT4_lS4_li.num_agpr, 0
	.set _ZL20rocblas_gemvn_kernelILi64ELi16EidddEviiT3_lPKT2_lT1_lS3_lS4_lS0_lPT4_lS4_li.numbered_sgpr, 53
	.set _ZL20rocblas_gemvn_kernelILi64ELi16EidddEviiT3_lPKT2_lT1_lS3_lS4_lS0_lPT4_lS4_li.num_named_barrier, 0
	.set _ZL20rocblas_gemvn_kernelILi64ELi16EidddEviiT3_lPKT2_lT1_lS3_lS4_lS0_lPT4_lS4_li.private_seg_size, 0
	.set _ZL20rocblas_gemvn_kernelILi64ELi16EidddEviiT3_lPKT2_lT1_lS3_lS4_lS0_lPT4_lS4_li.uses_vcc, 1
	.set _ZL20rocblas_gemvn_kernelILi64ELi16EidddEviiT3_lPKT2_lT1_lS3_lS4_lS0_lPT4_lS4_li.uses_flat_scratch, 0
	.set _ZL20rocblas_gemvn_kernelILi64ELi16EidddEviiT3_lPKT2_lT1_lS3_lS4_lS0_lPT4_lS4_li.has_dyn_sized_stack, 0
	.set _ZL20rocblas_gemvn_kernelILi64ELi16EidddEviiT3_lPKT2_lT1_lS3_lS4_lS0_lPT4_lS4_li.has_recursion, 0
	.set _ZL20rocblas_gemvn_kernelILi64ELi16EidddEviiT3_lPKT2_lT1_lS3_lS4_lS0_lPT4_lS4_li.has_indirect_call, 0
	.section	.AMDGPU.csdata,"",@progbits
; Kernel info:
; codeLenInByte = 2792
; TotalNumSgprs: 55
; NumVgprs: 69
; ScratchSize: 0
; MemoryBound: 0
; FloatMode: 240
; IeeeMode: 1
; LDSByteSize: 32768 bytes/workgroup (compile time only)
; SGPRBlocks: 0
; VGPRBlocks: 4
; NumSGPRsForWavesPerEU: 55
; NumVGPRsForWavesPerEU: 69
; NamedBarCnt: 0
; Occupancy: 12
; WaveLimiterHint : 1
; COMPUTE_PGM_RSRC2:SCRATCH_EN: 0
; COMPUTE_PGM_RSRC2:USER_SGPR: 2
; COMPUTE_PGM_RSRC2:TRAP_HANDLER: 0
; COMPUTE_PGM_RSRC2:TGID_X_EN: 1
; COMPUTE_PGM_RSRC2:TGID_Y_EN: 0
; COMPUTE_PGM_RSRC2:TGID_Z_EN: 1
; COMPUTE_PGM_RSRC2:TIDIG_COMP_CNT: 1
	.section	.text._ZL20rocblas_gemvn_kernelILi64ELi16EldddEviiT3_lPKT2_lT1_lS3_lS4_lS0_lPT4_lS4_li,"axG",@progbits,_ZL20rocblas_gemvn_kernelILi64ELi16EldddEviiT3_lPKT2_lT1_lS3_lS4_lS0_lPT4_lS4_li,comdat
	.globl	_ZL20rocblas_gemvn_kernelILi64ELi16EldddEviiT3_lPKT2_lT1_lS3_lS4_lS0_lPT4_lS4_li ; -- Begin function _ZL20rocblas_gemvn_kernelILi64ELi16EldddEviiT3_lPKT2_lT1_lS3_lS4_lS0_lPT4_lS4_li
	.p2align	8
	.type	_ZL20rocblas_gemvn_kernelILi64ELi16EldddEviiT3_lPKT2_lT1_lS3_lS4_lS0_lPT4_lS4_li,@function
_ZL20rocblas_gemvn_kernelILi64ELi16EldddEviiT3_lPKT2_lT1_lS3_lS4_lS0_lPT4_lS4_li: ; @_ZL20rocblas_gemvn_kernelILi64ELi16EldddEviiT3_lPKT2_lT1_lS3_lS4_lS0_lPT4_lS4_li
; %bb.0:
	s_load_b64 s[2:3], s[0:1], 0x9c
	s_wait_kmcnt 0x0
	s_lshr_b32 s4, s2, 16
	s_and_b32 s2, s2, 0xffff
	s_and_b32 s3, s3, 0xffff
	s_mul_i32 s2, s4, s2
	s_delay_alu instid0(SALU_CYCLE_1) | instskip(NEXT) | instid1(SALU_CYCLE_1)
	s_mul_i32 s2, s2, s3
	s_cmp_lg_u32 s2, 0x400
	s_cbranch_scc1 .LBB67_53
; %bb.1:
	s_load_b32 s33, s[0:1], 0x88
	s_bfe_u32 s2, ttmp6, 0x40014
	s_lshr_b32 s3, ttmp7, 16
	s_add_co_i32 s2, s2, 1
	s_bfe_u32 s5, ttmp6, 0x40008
	s_mul_i32 s4, s3, s2
	s_getreg_b32 s2, hwreg(HW_REG_IB_STS2, 6, 4)
	s_add_co_i32 s5, s5, s4
	s_cmp_eq_u32 s2, 0
	s_mov_b32 s35, 0
	s_cselect_b32 s34, s3, s5
	s_wait_kmcnt 0x0
	s_cmp_ge_u32 s34, s33
	s_cbranch_scc1 .LBB67_53
; %bb.2:
	s_clause 0x3
	s_load_b128 s[36:39], s[0:1], 0x0
	s_load_b64 s[40:41], s[0:1], 0x58
	s_load_b512 s[8:23], s[0:1], 0x18
	s_load_b256 s[24:31], s[0:1], 0x68
	v_and_b32_e32 v26, 0x3ff, v0
	v_bfe_u32 v2, v0, 10, 10
	v_mov_b32_e32 v1, 0
	s_wait_xcnt 0x0
	s_bfe_u32 s0, ttmp6, 0x4000c
	s_and_b32 s1, ttmp6, 15
	s_add_co_i32 s0, s0, 1
	v_lshlrev_b32_e32 v88, 2, v2
	v_dual_mov_b32 v3, v1 :: v_dual_lshlrev_b32 v0, 3, v26
	s_mul_i32 s0, ttmp9, s0
	v_lshl_add_u32 v12, v2, 6, v26
	s_add_co_i32 s1, s1, s0
	s_delay_alu instid0(VALU_DEP_2) | instskip(SKIP_1) | instid1(VALU_DEP_3)
	v_lshl_add_u32 v89, v2, 11, v0
	v_lshl_add_u32 v90, v2, 9, v0
	v_cmp_gt_u32_e64 s0, 0x100, v12
	s_wait_kmcnt 0x0
	v_cmp_neq_f64_e64 s3, s[38:39], 0
	v_cmp_neq_f64_e64 s42, s[40:41], 1.0
	v_mul_u64_e32 v[8:9], s[20:21], v[2:3]
	s_lshl_b64 s[4:5], s[10:11], 3
	s_lshl_b64 s[10:11], s[18:19], 3
	;; [unrolled: 1-line block ×3, first 2 shown]
	v_mul_u64_e32 v[10:11], s[12:13], v[2:3]
	v_cmp_eq_f64_e64 s49, s[38:39], 0
	v_cmp_neq_f64_e64 s52, s[40:41], 0
	v_mad_nc_u64_u32 v[4:5], s20, v88, s[20:21]
	v_mad_nc_u64_u32 v[6:7], s12, v88, s[12:13]
	s_add_nc_u64 s[18:19], s[8:9], s[4:5]
	s_add_nc_u64 s[24:25], s[24:25], s[6:7]
	;; [unrolled: 1-line block ×3, first 2 shown]
	s_delay_alu instid0(VALU_DEP_2) | instskip(NEXT) | instid1(VALU_DEP_2)
	v_mad_u32 v5, s21, v88, v5
	v_mad_u32 v7, s13, v88, v7
	s_delay_alu instid0(VALU_DEP_2) | instskip(NEXT) | instid1(VALU_DEP_2)
	v_lshl_add_u64 v[4:5], v[4:5], 3, s[16:17]
	v_lshl_add_u64 v[6:7], v[6:7], 3, s[18:19]
	s_or_b32 s48, s3, s42
	s_cmp_eq_u32 s2, 0
	s_mov_b32 s2, s36
	s_cselect_b32 s1, ttmp9, s1
	s_ashr_i32 s3, s36, 31
	s_lshl_b32 s1, s1, 8
	v_lshlrev_b64_e32 v[24:25], 5, v[10:11]
	v_dual_add_nc_u32 v0, s1, v12 :: v_dual_bitop2_b32 v14, s1, v12 bitop3:0x54
	v_lshlrev_b64_e32 v[12:13], 5, v[8:9]
	v_add_nc_u32_e32 v26, s1, v26
	s_delay_alu instid0(VALU_DEP_3)
	v_cmp_gt_i64_e32 vcc_lo, s[2:3], v[0:1]
	v_mul_u64_e32 v[2:3], s[28:29], v[0:1]
	v_dual_ashrrev_i32 v15, 31, v14 :: v_dual_bitop2_b32 v0, 3, v88 bitop3:0x54
	s_ashr_i32 s2, s37, 31
	v_add_nc_u64_e32 v[10:11], s[16:17], v[12:13]
	s_lshr_b32 s2, s2, 26
	s_delay_alu instid0(VALU_DEP_2)
	v_mul_u64_e32 v[16:17], s[12:13], v[0:1]
	v_mul_u64_e32 v[18:19], s[20:21], v[0:1]
	v_or_b32_e32 v0, 2, v88
	v_mul_u64_e32 v[8:9], s[28:29], v[14:15]
	s_add_co_i32 s50, s37, s2
	v_ashrrev_i32_e32 v27, 31, v26
	v_add_nc_u32_e32 v15, 0x80, v26
	v_mul_u64_e32 v[20:21], s[12:13], v[0:1]
	v_mul_u64_e32 v[22:23], s[20:21], v[0:1]
	s_and_not1_b32 s50, s50, 63
	v_add_nc_u64_e32 v[12:13], s[18:19], v[24:25]
	v_add_nc_u32_e32 v0, 64, v26
	v_add_nc_u32_e32 v24, 0xc0, v26
	s_sub_co_i32 s3, s37, s50
	v_cmp_gt_i32_e64 s5, s36, v15
	s_cmp_gt_i32 s3, 0
	v_cmp_gt_i32_e64 s3, s36, v14
	v_lshlrev_b64_e32 v[14:15], 3, v[26:27]
	v_cmp_gt_i32_e64 s1, s50, v88
	v_cmp_gt_i32_e64 s2, s36, v26
	;; [unrolled: 1-line block ×4, first 2 shown]
	s_cselect_b32 s51, -1, 0
	s_lshl_b64 s[28:29], s[22:23], 3
	s_and_b32 s36, s0, vcc_lo
	s_lshl_b64 s[42:43], s[14:15], 3
	s_lshl_b64 s[44:45], s[12:13], 9
	v_lshl_add_u64 v[16:17], v[16:17], 3, s[18:19]
	v_lshl_add_u64 v[18:19], v[18:19], 3, s[16:17]
	;; [unrolled: 1-line block ×4, first 2 shown]
	s_lshl_b64 s[16:17], s[20:21], 9
	s_branch .LBB67_5
.LBB67_3:                               ;   in Loop: Header=BB67_5 Depth=1
	s_wait_xcnt 0x0
	s_or_b32 exec_lo, exec_lo, s7
.LBB67_4:                               ;   in Loop: Header=BB67_5 Depth=1
	s_add_co_i32 s34, s34, 0x10000
	s_delay_alu instid0(SALU_CYCLE_1)
	s_cmp_lt_u32 s34, s33
	s_cbranch_scc0 .LBB67_53
.LBB67_5:                               ; =>This Loop Header: Depth=1
                                        ;     Child Loop BB67_21 Depth 2
	s_and_not1_b32 vcc_lo, exec_lo, s48
	s_cbranch_vccnz .LBB67_4
; %bb.6:                                ;   in Loop: Header=BB67_5 Depth=1
	s_mul_u64 s[8:9], s[30:31], s[34:35]
	s_and_not1_b32 vcc_lo, exec_lo, s49
	s_lshl_b64 s[8:9], s[8:9], 3
	s_delay_alu instid0(SALU_CYCLE_1)
	s_add_nc_u64 s[46:47], s[24:25], s[8:9]
	s_cbranch_vccnz .LBB67_10
; %bb.7:                                ;   in Loop: Header=BB67_5 Depth=1
	s_mov_b32 s7, 0
	s_mov_b32 s53, 0
                                        ; implicit-def: $vgpr24_vgpr25
	s_and_saveexec_b32 s8, s36
	s_cbranch_execz .LBB67_11
; %bb.8:                                ;   in Loop: Header=BB67_5 Depth=1
	s_and_not1_b32 vcc_lo, exec_lo, s52
	s_cbranch_vccnz .LBB67_13
; %bb.9:                                ;   in Loop: Header=BB67_5 Depth=1
	v_lshl_add_u64 v[24:25], v[2:3], 3, s[46:47]
	global_load_b64 v[24:25], v[24:25], off
	s_wait_loadcnt 0x0
	s_wait_xcnt 0x0
	v_mul_f64_e32 v[24:25], s[40:41], v[24:25]
	s_branch .LBB67_14
.LBB67_10:                              ;   in Loop: Header=BB67_5 Depth=1
	s_mov_b32 s53, 0
                                        ; implicit-def: $vgpr24_vgpr25
	s_cbranch_execz .LBB67_12
	s_branch .LBB67_15
.LBB67_11:                              ;   in Loop: Header=BB67_5 Depth=1
	s_or_b32 exec_lo, exec_lo, s8
	s_delay_alu instid0(SALU_CYCLE_1)
	s_and_b32 vcc_lo, exec_lo, s7
	s_cbranch_vccnz .LBB67_15
.LBB67_12:                              ;   in Loop: Header=BB67_5 Depth=1
	v_mov_b64_e32 v[26:27], v[2:3]
	s_and_saveexec_b32 s7, s53
	s_cbranch_execz .LBB67_3
	s_branch .LBB67_52
.LBB67_13:                              ;   in Loop: Header=BB67_5 Depth=1
	v_mov_b64_e32 v[24:25], 0
.LBB67_14:                              ;   in Loop: Header=BB67_5 Depth=1
	s_mov_b32 s53, exec_lo
	s_or_b32 exec_lo, exec_lo, s8
	s_delay_alu instid0(SALU_CYCLE_1)
	s_and_b32 vcc_lo, exec_lo, s7
	s_cbranch_vccz .LBB67_12
.LBB67_15:                              ;   in Loop: Header=BB67_5 Depth=1
	v_mov_b64_e32 v[24:25], 0
	v_mov_b64_e32 v[26:27], 0
	;; [unrolled: 1-line block ×4, first 2 shown]
	v_mov_b32_e32 v0, v88
	s_and_saveexec_b32 s7, s1
	s_cbranch_execz .LBB67_27
; %bb.16:                               ;   in Loop: Header=BB67_5 Depth=1
	s_mul_u64 s[8:9], s[28:29], s[34:35]
	s_mul_u64 s[54:55], s[42:43], s[34:35]
	v_add_nc_u64_e32 v[32:33], s[8:9], v[10:11]
	v_add_nc_u64_e32 v[34:35], s[54:55], v[16:17]
	;; [unrolled: 1-line block ×8, first 2 shown]
	v_mov_b64_e32 v[24:25], 0
	v_mov_b64_e32 v[26:27], 0
	;; [unrolled: 1-line block ×4, first 2 shown]
	v_mov_b32_e32 v0, v88
	s_mov_b32 s8, 0
	s_branch .LBB67_21
.LBB67_17:                              ;   in Loop: Header=BB67_21 Depth=2
	s_wait_xcnt 0x0
	s_or_b32 exec_lo, exec_lo, s56
	s_wait_loadcnt 0x3
	v_fmac_f64_e32 v[28:29], v[50:51], v[86:87]
	s_wait_loadcnt 0x2
	s_delay_alu instid0(VALU_DEP_1) | instskip(SKIP_1) | instid1(VALU_DEP_1)
	v_fmac_f64_e32 v[28:29], v[54:55], v[84:85]
	s_wait_loadcnt 0x1
	v_fmac_f64_e32 v[28:29], v[52:53], v[82:83]
	s_wait_loadcnt 0x0
	s_delay_alu instid0(VALU_DEP_1)
	v_fmac_f64_e32 v[28:29], v[48:49], v[80:81]
.LBB67_18:                              ;   in Loop: Header=BB67_21 Depth=2
	s_or_b32 exec_lo, exec_lo, s55
	s_wait_loadcnt 0x3
	v_fmac_f64_e32 v[26:27], v[50:51], v[70:71]
	s_wait_loadcnt 0x2
	s_delay_alu instid0(VALU_DEP_1) | instskip(SKIP_1) | instid1(VALU_DEP_1)
	v_fmac_f64_e32 v[26:27], v[54:55], v[68:69]
	s_wait_loadcnt 0x1
	v_fmac_f64_e32 v[26:27], v[52:53], v[66:67]
	s_wait_loadcnt 0x0
	s_delay_alu instid0(VALU_DEP_1)
	v_fmac_f64_e32 v[26:27], v[48:49], v[64:65]
.LBB67_19:                              ;   in Loop: Header=BB67_21 Depth=2
	s_or_b32 exec_lo, exec_lo, s54
	s_wait_loadcnt 0x3
	v_fmac_f64_e32 v[24:25], v[50:51], v[62:63]
	s_wait_loadcnt 0x2
	s_delay_alu instid0(VALU_DEP_1) | instskip(SKIP_1) | instid1(VALU_DEP_1)
	v_fmac_f64_e32 v[24:25], v[54:55], v[60:61]
	s_wait_loadcnt 0x1
	v_fmac_f64_e32 v[24:25], v[52:53], v[58:59]
	s_wait_loadcnt 0x0
	s_delay_alu instid0(VALU_DEP_1)
	v_fmac_f64_e32 v[24:25], v[48:49], v[56:57]
.LBB67_20:                              ;   in Loop: Header=BB67_21 Depth=2
	s_or_b32 exec_lo, exec_lo, s9
	v_add_nc_u32_e32 v0, 64, v0
	v_add_nc_u64_e32 v[32:33], s[16:17], v[32:33]
	v_add_nc_u64_e32 v[34:35], s[44:45], v[34:35]
	;; [unrolled: 1-line block ×7, first 2 shown]
	v_cmp_le_i32_e32 vcc_lo, s50, v0
	v_add_nc_u64_e32 v[46:47], s[44:45], v[46:47]
	s_or_b32 s8, vcc_lo, s8
	s_delay_alu instid0(SALU_CYCLE_1)
	s_and_not1_b32 exec_lo, exec_lo, s8
	s_cbranch_execz .LBB67_26
.LBB67_21:                              ;   Parent Loop BB67_5 Depth=1
                                        ; =>  This Inner Loop Header: Depth=2
	s_and_saveexec_b32 s9, s2
	s_cbranch_execz .LBB67_20
; %bb.22:                               ;   in Loop: Header=BB67_21 Depth=2
	v_add_nc_u64_e32 v[48:49], s[10:11], v[32:33]
	v_add_nc_u64_e32 v[52:53], s[10:11], v[44:45]
	;; [unrolled: 1-line block ×8, first 2 shown]
	global_load_b64 v[50:51], v[48:49], off
	global_load_b64 v[54:55], v[52:53], off
	;; [unrolled: 1-line block ×8, first 2 shown]
	s_wait_xcnt 0x0
	s_and_saveexec_b32 s54, s4
	s_cbranch_execz .LBB67_19
; %bb.23:                               ;   in Loop: Header=BB67_21 Depth=2
	global_load_b64 v[70:71], v[78:79], off offset:512
	global_load_b64 v[68:69], v[76:77], off offset:512
	global_load_b64 v[66:67], v[72:73], off offset:512
	global_load_b64 v[64:65], v[74:75], off offset:512
	s_wait_xcnt 0x0
	s_and_saveexec_b32 s55, s5
	s_cbranch_execz .LBB67_18
; %bb.24:                               ;   in Loop: Header=BB67_21 Depth=2
	global_load_b64 v[86:87], v[78:79], off offset:1024
	global_load_b64 v[84:85], v[76:77], off offset:1024
	global_load_b64 v[82:83], v[72:73], off offset:1024
	global_load_b64 v[80:81], v[74:75], off offset:1024
	;; [unrolled: 8-line block ×3, first 2 shown]
	s_wait_loadcnt 0x3
	v_fmac_f64_e32 v[30:31], v[50:51], v[78:79]
	s_wait_loadcnt 0x2
	s_delay_alu instid0(VALU_DEP_1) | instskip(SKIP_1) | instid1(VALU_DEP_1)
	v_fmac_f64_e32 v[30:31], v[54:55], v[76:77]
	s_wait_loadcnt 0x1
	v_fmac_f64_e32 v[30:31], v[52:53], v[72:73]
	s_wait_loadcnt 0x0
	s_delay_alu instid0(VALU_DEP_1)
	v_fmac_f64_e32 v[30:31], v[48:49], v[74:75]
	s_branch .LBB67_17
.LBB67_26:                              ;   in Loop: Header=BB67_5 Depth=1
	s_or_b32 exec_lo, exec_lo, s8
.LBB67_27:                              ;   in Loop: Header=BB67_5 Depth=1
	s_delay_alu instid0(SALU_CYCLE_1) | instskip(NEXT) | instid1(SALU_CYCLE_1)
	s_or_b32 exec_lo, exec_lo, s7
	s_and_not1_b32 vcc_lo, exec_lo, s51
	s_cbranch_vccnz .LBB67_45
; %bb.28:                               ;   in Loop: Header=BB67_5 Depth=1
	v_mov_b64_e32 v[38:39], 0
	v_mov_b64_e32 v[36:37], 0
	;; [unrolled: 1-line block ×4, first 2 shown]
	v_cmp_gt_i32_e32 vcc_lo, s37, v0
	v_or_b32_e32 v40, 1, v0
	s_and_saveexec_b32 s54, vcc_lo
	s_cbranch_execz .LBB67_36
; %bb.29:                               ;   in Loop: Header=BB67_5 Depth=1
	v_mul_u64_e32 v[32:33], s[20:21], v[0:1]
	s_mul_u64 s[8:9], s[22:23], s[34:35]
	v_mov_b64_e32 v[34:35], 0
	s_lshl_b64 s[8:9], s[8:9], 3
	v_mov_b64_e32 v[36:37], 0
	s_add_nc_u64 s[8:9], s[26:27], s[8:9]
	v_mov_b64_e32 v[38:39], 0
	s_mov_b32 s55, exec_lo
	s_delay_alu instid0(VALU_DEP_4)
	v_lshl_add_u64 v[32:33], v[32:33], 3, s[8:9]
	global_load_b64 v[32:33], v[32:33], off
	s_wait_xcnt 0x0
	v_cmpx_gt_i32_e64 s37, v40
	s_cbranch_execz .LBB67_35
; %bb.30:                               ;   in Loop: Header=BB67_5 Depth=1
	v_dual_mov_b32 v41, v1 :: v_dual_bitop2_b32 v42, 2, v0 bitop3:0x54
	v_mov_b64_e32 v[36:37], 0
	v_mov_b64_e32 v[38:39], 0
	s_mov_b32 s56, exec_lo
	s_delay_alu instid0(VALU_DEP_3) | instskip(NEXT) | instid1(VALU_DEP_1)
	v_mul_u64_e32 v[34:35], s[20:21], v[40:41]
	v_lshl_add_u64 v[34:35], v[34:35], 3, s[8:9]
	global_load_b64 v[34:35], v[34:35], off
	s_wait_xcnt 0x0
	v_cmpx_gt_i32_e64 s37, v42
	s_cbranch_execz .LBB67_34
; %bb.31:                               ;   in Loop: Header=BB67_5 Depth=1
	v_mov_b32_e32 v43, v1
	v_mov_b64_e32 v[38:39], 0
	s_mov_b32 s57, exec_lo
	s_delay_alu instid0(VALU_DEP_2) | instskip(SKIP_1) | instid1(VALU_DEP_2)
	v_mul_u64_e32 v[36:37], s[20:21], v[42:43]
	v_or_b32_e32 v42, 3, v0
	v_lshl_add_u64 v[36:37], v[36:37], 3, s[8:9]
	global_load_b64 v[36:37], v[36:37], off
	s_wait_xcnt 0x0
	v_cmpx_gt_i32_e64 s37, v42
	s_cbranch_execz .LBB67_33
; %bb.32:                               ;   in Loop: Header=BB67_5 Depth=1
	v_mov_b32_e32 v43, v1
	s_delay_alu instid0(VALU_DEP_1) | instskip(NEXT) | instid1(VALU_DEP_1)
	v_mul_u64_e32 v[38:39], s[20:21], v[42:43]
	v_lshl_add_u64 v[38:39], v[38:39], 3, s[8:9]
	global_load_b64 v[38:39], v[38:39], off
.LBB67_33:                              ;   in Loop: Header=BB67_5 Depth=1
	s_wait_xcnt 0x0
	s_or_b32 exec_lo, exec_lo, s57
.LBB67_34:                              ;   in Loop: Header=BB67_5 Depth=1
	s_delay_alu instid0(SALU_CYCLE_1)
	s_or_b32 exec_lo, exec_lo, s56
.LBB67_35:                              ;   in Loop: Header=BB67_5 Depth=1
	s_delay_alu instid0(SALU_CYCLE_1)
	s_or_b32 exec_lo, exec_lo, s55
.LBB67_36:                              ;   in Loop: Header=BB67_5 Depth=1
	s_delay_alu instid0(SALU_CYCLE_1)
	s_or_b32 exec_lo, exec_lo, s54
	s_and_saveexec_b32 s54, s2
	s_cbranch_execz .LBB67_44
; %bb.37:                               ;   in Loop: Header=BB67_5 Depth=1
	v_dual_mov_b32 v41, v1 :: v_dual_bitop2_b32 v42, 2, v0 bitop3:0x54
	v_mov_b32_e32 v43, v1
	v_mul_u64_e32 v[44:45], s[12:13], v[0:1]
	v_or_b32_e32 v0, 3, v0
	s_delay_alu instid0(VALU_DEP_4)
	v_mul_u64_e32 v[46:47], s[12:13], v[40:41]
	s_mul_u64 s[8:9], s[14:15], s[34:35]
	v_mul_u64_e32 v[48:49], s[12:13], v[42:43]
	v_cmp_gt_i32_e64 s7, s37, v40
	v_mul_u64_e32 v[50:51], s[12:13], v[0:1]
	s_lshl_b64 s[56:57], s[8:9], 3
	v_cmp_gt_i32_e64 s8, s37, v42
	v_cmp_gt_i32_e64 s9, s37, v0
	v_dual_cndmask_b32 v41, 0, v45 :: v_dual_cndmask_b32 v40, 0, v44
	v_dual_cndmask_b32 v43, 0, v47, s7 :: v_dual_cndmask_b32 v42, 0, v46, s7
	s_delay_alu instid0(VALU_DEP_4) | instskip(NEXT) | instid1(VALU_DEP_4)
	v_dual_cndmask_b32 v45, 0, v49, s8 :: v_dual_cndmask_b32 v44, 0, v48, s8
	v_dual_cndmask_b32 v47, 0, v51, s9 :: v_dual_cndmask_b32 v46, 0, v50, s9
	s_add_nc_u64 s[8:9], s[18:19], s[56:57]
	s_delay_alu instid0(SALU_CYCLE_1) | instskip(SKIP_3) | instid1(VALU_DEP_4)
	v_lshl_add_u64 v[40:41], v[40:41], 3, s[8:9]
	v_lshl_add_u64 v[42:43], v[42:43], 3, s[8:9]
	v_lshl_add_u64 v[44:45], v[44:45], 3, s[8:9]
	v_lshl_add_u64 v[46:47], v[46:47], 3, s[8:9]
	v_add_nc_u64_e32 v[62:63], v[40:41], v[14:15]
	s_delay_alu instid0(VALU_DEP_4) | instskip(NEXT) | instid1(VALU_DEP_4)
	v_add_nc_u64_e32 v[60:61], v[42:43], v[14:15]
	v_add_nc_u64_e32 v[58:59], v[44:45], v[14:15]
	s_delay_alu instid0(VALU_DEP_4)
	v_add_nc_u64_e32 v[56:57], v[46:47], v[14:15]
	s_clause 0x3
	global_load_b64 v[46:47], v[62:63], off
	global_load_b64 v[44:45], v[60:61], off
	global_load_b64 v[42:43], v[58:59], off
	global_load_b64 v[40:41], v[56:57], off
	s_wait_xcnt 0x0
	s_and_saveexec_b32 s7, s4
	s_cbranch_execz .LBB67_43
; %bb.38:                               ;   in Loop: Header=BB67_5 Depth=1
	s_clause 0x3
	global_load_b64 v[54:55], v[62:63], off offset:512
	global_load_b64 v[52:53], v[60:61], off offset:512
	global_load_b64 v[50:51], v[58:59], off offset:512
	global_load_b64 v[48:49], v[56:57], off offset:512
	s_wait_xcnt 0x0
	s_and_saveexec_b32 s8, s5
	s_cbranch_execz .LBB67_42
; %bb.39:                               ;   in Loop: Header=BB67_5 Depth=1
	s_clause 0x3
	global_load_b64 v[70:71], v[62:63], off offset:1024
	global_load_b64 v[68:69], v[60:61], off offset:1024
	global_load_b64 v[66:67], v[58:59], off offset:1024
	global_load_b64 v[64:65], v[56:57], off offset:1024
	;; [unrolled: 9-line block ×3, first 2 shown]
	s_wait_loadcnt 0x3
	v_fmac_f64_e32 v[30:31], v[32:33], v[62:63]
	s_wait_loadcnt 0x2
	s_delay_alu instid0(VALU_DEP_1) | instskip(SKIP_1) | instid1(VALU_DEP_1)
	v_fmac_f64_e32 v[30:31], v[34:35], v[60:61]
	s_wait_loadcnt 0x1
	v_fmac_f64_e32 v[30:31], v[36:37], v[58:59]
	s_wait_loadcnt 0x0
	s_delay_alu instid0(VALU_DEP_1)
	v_fmac_f64_e32 v[30:31], v[38:39], v[56:57]
.LBB67_41:                              ;   in Loop: Header=BB67_5 Depth=1
	s_wait_xcnt 0x0
	s_or_b32 exec_lo, exec_lo, s9
	s_wait_loadcnt 0x3
	v_fmac_f64_e32 v[28:29], v[32:33], v[70:71]
	s_wait_loadcnt 0x2
	s_delay_alu instid0(VALU_DEP_1) | instskip(SKIP_1) | instid1(VALU_DEP_1)
	v_fmac_f64_e32 v[28:29], v[34:35], v[68:69]
	s_wait_loadcnt 0x1
	v_fmac_f64_e32 v[28:29], v[36:37], v[66:67]
	s_wait_loadcnt 0x0
	s_delay_alu instid0(VALU_DEP_1)
	v_fmac_f64_e32 v[28:29], v[38:39], v[64:65]
.LBB67_42:                              ;   in Loop: Header=BB67_5 Depth=1
	s_or_b32 exec_lo, exec_lo, s8
	s_wait_loadcnt 0x3
	v_fmac_f64_e32 v[26:27], v[32:33], v[54:55]
	s_wait_loadcnt 0x2
	s_delay_alu instid0(VALU_DEP_1) | instskip(SKIP_1) | instid1(VALU_DEP_1)
	v_fmac_f64_e32 v[26:27], v[34:35], v[52:53]
	s_wait_loadcnt 0x1
	v_fmac_f64_e32 v[26:27], v[36:37], v[50:51]
	s_wait_loadcnt 0x0
	s_delay_alu instid0(VALU_DEP_1)
	v_fmac_f64_e32 v[26:27], v[38:39], v[48:49]
.LBB67_43:                              ;   in Loop: Header=BB67_5 Depth=1
	s_or_b32 exec_lo, exec_lo, s7
	s_wait_loadcnt 0x3
	v_fmac_f64_e32 v[24:25], v[32:33], v[46:47]
	s_wait_loadcnt 0x2
	s_delay_alu instid0(VALU_DEP_1) | instskip(SKIP_1) | instid1(VALU_DEP_1)
	v_fmac_f64_e32 v[24:25], v[34:35], v[44:45]
	s_wait_loadcnt 0x1
	v_fmac_f64_e32 v[24:25], v[36:37], v[42:43]
	s_wait_loadcnt 0x0
	s_delay_alu instid0(VALU_DEP_1)
	v_fmac_f64_e32 v[24:25], v[38:39], v[40:41]
.LBB67_44:                              ;   in Loop: Header=BB67_5 Depth=1
	s_or_b32 exec_lo, exec_lo, s54
.LBB67_45:                              ;   in Loop: Header=BB67_5 Depth=1
	ds_store_2addr_stride64_b64 v89, v[24:25], v[26:27] offset1:1
	ds_store_2addr_stride64_b64 v89, v[28:29], v[30:31] offset0:2 offset1:3
	s_wait_loadcnt_dscnt 0x0
	s_barrier_signal -1
	s_barrier_wait -1
                                        ; implicit-def: $vgpr24_vgpr25
	s_and_saveexec_b32 s7, s0
	s_cbranch_execz .LBB67_51
; %bb.46:                               ;   in Loop: Header=BB67_5 Depth=1
	ds_load_2addr_stride64_b64 v[24:27], v90 offset1:4
	s_mov_b32 s9, s53
	s_wait_dscnt 0x0
	v_add_f64_e32 v[28:29], v[24:25], v[26:27]
	ds_load_2addr_stride64_b64 v[24:27], v90 offset0:8 offset1:12
	s_wait_dscnt 0x0
	v_add_f64_e32 v[24:25], v[24:25], v[28:29]
	s_delay_alu instid0(VALU_DEP_1) | instskip(SKIP_3) | instid1(VALU_DEP_1)
	v_add_f64_e32 v[28:29], v[26:27], v[24:25]
	ds_load_2addr_stride64_b64 v[24:27], v90 offset0:16 offset1:20
	s_wait_dscnt 0x0
	v_add_f64_e32 v[24:25], v[24:25], v[28:29]
	v_add_f64_e32 v[28:29], v[26:27], v[24:25]
	ds_load_2addr_stride64_b64 v[24:27], v90 offset0:24 offset1:28
	s_wait_dscnt 0x0
	v_add_f64_e32 v[24:25], v[24:25], v[28:29]
	s_delay_alu instid0(VALU_DEP_1) | instskip(SKIP_3) | instid1(VALU_DEP_1)
	v_add_f64_e32 v[28:29], v[26:27], v[24:25]
	ds_load_2addr_stride64_b64 v[24:27], v90 offset0:32 offset1:36
	s_wait_dscnt 0x0
	v_add_f64_e32 v[24:25], v[24:25], v[28:29]
	;; [unrolled: 9-line block ×3, first 2 shown]
	v_add_f64_e32 v[28:29], v[26:27], v[24:25]
	ds_load_2addr_stride64_b64 v[24:27], v90 offset0:56 offset1:60
	s_wait_dscnt 0x0
	v_add_f64_e32 v[24:25], v[24:25], v[28:29]
	s_delay_alu instid0(VALU_DEP_1)
	v_add_f64_e32 v[26:27], v[26:27], v[24:25]
                                        ; implicit-def: $vgpr24_vgpr25
	ds_store_b64 v90, v[26:27]
	s_and_saveexec_b32 s8, s3
	s_cbranch_execz .LBB67_50
; %bb.47:                               ;   in Loop: Header=BB67_5 Depth=1
	v_mul_f64_e32 v[24:25], s[38:39], v[26:27]
	s_and_not1_b32 vcc_lo, exec_lo, s52
	s_cbranch_vccnz .LBB67_49
; %bb.48:                               ;   in Loop: Header=BB67_5 Depth=1
	v_lshl_add_u64 v[26:27], v[8:9], 3, s[46:47]
	global_load_b64 v[26:27], v[26:27], off
	s_wait_loadcnt 0x0
	v_fmac_f64_e32 v[24:25], s[40:41], v[26:27]
.LBB67_49:                              ;   in Loop: Header=BB67_5 Depth=1
	s_or_b32 s9, s53, exec_lo
.LBB67_50:                              ;   in Loop: Header=BB67_5 Depth=1
	s_wait_xcnt 0x0
	s_or_b32 exec_lo, exec_lo, s8
	s_delay_alu instid0(SALU_CYCLE_1) | instskip(SKIP_1) | instid1(SALU_CYCLE_1)
	s_and_not1_b32 s8, s53, exec_lo
	s_and_b32 s9, s9, exec_lo
	s_or_b32 s53, s8, s9
.LBB67_51:                              ;   in Loop: Header=BB67_5 Depth=1
	s_or_b32 exec_lo, exec_lo, s7
	v_mov_b64_e32 v[26:27], v[8:9]
	s_and_saveexec_b32 s7, s53
	s_cbranch_execz .LBB67_3
.LBB67_52:                              ;   in Loop: Header=BB67_5 Depth=1
	s_delay_alu instid0(VALU_DEP_1)
	v_lshl_add_u64 v[26:27], v[26:27], 3, s[46:47]
	global_store_b64 v[26:27], v[24:25], off
	s_branch .LBB67_3
.LBB67_53:
	s_sendmsg sendmsg(MSG_DEALLOC_VGPRS)
	s_endpgm
	.section	.rodata,"a",@progbits
	.p2align	6, 0x0
	.amdhsa_kernel _ZL20rocblas_gemvn_kernelILi64ELi16EldddEviiT3_lPKT2_lT1_lS3_lS4_lS0_lPT4_lS4_li
		.amdhsa_group_segment_fixed_size 32768
		.amdhsa_private_segment_fixed_size 0
		.amdhsa_kernarg_size 400
		.amdhsa_user_sgpr_count 2
		.amdhsa_user_sgpr_dispatch_ptr 0
		.amdhsa_user_sgpr_queue_ptr 0
		.amdhsa_user_sgpr_kernarg_segment_ptr 1
		.amdhsa_user_sgpr_dispatch_id 0
		.amdhsa_user_sgpr_kernarg_preload_length 0
		.amdhsa_user_sgpr_kernarg_preload_offset 0
		.amdhsa_user_sgpr_private_segment_size 0
		.amdhsa_wavefront_size32 1
		.amdhsa_uses_dynamic_stack 0
		.amdhsa_enable_private_segment 0
		.amdhsa_system_sgpr_workgroup_id_x 1
		.amdhsa_system_sgpr_workgroup_id_y 0
		.amdhsa_system_sgpr_workgroup_id_z 1
		.amdhsa_system_sgpr_workgroup_info 0
		.amdhsa_system_vgpr_workitem_id 1
		.amdhsa_next_free_vgpr 91
		.amdhsa_next_free_sgpr 58
		.amdhsa_named_barrier_count 0
		.amdhsa_reserve_vcc 1
		.amdhsa_float_round_mode_32 0
		.amdhsa_float_round_mode_16_64 0
		.amdhsa_float_denorm_mode_32 3
		.amdhsa_float_denorm_mode_16_64 3
		.amdhsa_fp16_overflow 0
		.amdhsa_memory_ordered 1
		.amdhsa_forward_progress 1
		.amdhsa_inst_pref_size 22
		.amdhsa_round_robin_scheduling 0
		.amdhsa_exception_fp_ieee_invalid_op 0
		.amdhsa_exception_fp_denorm_src 0
		.amdhsa_exception_fp_ieee_div_zero 0
		.amdhsa_exception_fp_ieee_overflow 0
		.amdhsa_exception_fp_ieee_underflow 0
		.amdhsa_exception_fp_ieee_inexact 0
		.amdhsa_exception_int_div_zero 0
	.end_amdhsa_kernel
	.section	.text._ZL20rocblas_gemvn_kernelILi64ELi16EldddEviiT3_lPKT2_lT1_lS3_lS4_lS0_lPT4_lS4_li,"axG",@progbits,_ZL20rocblas_gemvn_kernelILi64ELi16EldddEviiT3_lPKT2_lT1_lS3_lS4_lS0_lPT4_lS4_li,comdat
.Lfunc_end67:
	.size	_ZL20rocblas_gemvn_kernelILi64ELi16EldddEviiT3_lPKT2_lT1_lS3_lS4_lS0_lPT4_lS4_li, .Lfunc_end67-_ZL20rocblas_gemvn_kernelILi64ELi16EldddEviiT3_lPKT2_lT1_lS3_lS4_lS0_lPT4_lS4_li
                                        ; -- End function
	.set _ZL20rocblas_gemvn_kernelILi64ELi16EldddEviiT3_lPKT2_lT1_lS3_lS4_lS0_lPT4_lS4_li.num_vgpr, 91
	.set _ZL20rocblas_gemvn_kernelILi64ELi16EldddEviiT3_lPKT2_lT1_lS3_lS4_lS0_lPT4_lS4_li.num_agpr, 0
	.set _ZL20rocblas_gemvn_kernelILi64ELi16EldddEviiT3_lPKT2_lT1_lS3_lS4_lS0_lPT4_lS4_li.numbered_sgpr, 58
	.set _ZL20rocblas_gemvn_kernelILi64ELi16EldddEviiT3_lPKT2_lT1_lS3_lS4_lS0_lPT4_lS4_li.num_named_barrier, 0
	.set _ZL20rocblas_gemvn_kernelILi64ELi16EldddEviiT3_lPKT2_lT1_lS3_lS4_lS0_lPT4_lS4_li.private_seg_size, 0
	.set _ZL20rocblas_gemvn_kernelILi64ELi16EldddEviiT3_lPKT2_lT1_lS3_lS4_lS0_lPT4_lS4_li.uses_vcc, 1
	.set _ZL20rocblas_gemvn_kernelILi64ELi16EldddEviiT3_lPKT2_lT1_lS3_lS4_lS0_lPT4_lS4_li.uses_flat_scratch, 0
	.set _ZL20rocblas_gemvn_kernelILi64ELi16EldddEviiT3_lPKT2_lT1_lS3_lS4_lS0_lPT4_lS4_li.has_dyn_sized_stack, 0
	.set _ZL20rocblas_gemvn_kernelILi64ELi16EldddEviiT3_lPKT2_lT1_lS3_lS4_lS0_lPT4_lS4_li.has_recursion, 0
	.set _ZL20rocblas_gemvn_kernelILi64ELi16EldddEviiT3_lPKT2_lT1_lS3_lS4_lS0_lPT4_lS4_li.has_indirect_call, 0
	.section	.AMDGPU.csdata,"",@progbits
; Kernel info:
; codeLenInByte = 2772
; TotalNumSgprs: 60
; NumVgprs: 91
; ScratchSize: 0
; MemoryBound: 1
; FloatMode: 240
; IeeeMode: 1
; LDSByteSize: 32768 bytes/workgroup (compile time only)
; SGPRBlocks: 0
; VGPRBlocks: 5
; NumSGPRsForWavesPerEU: 60
; NumVGPRsForWavesPerEU: 91
; NamedBarCnt: 0
; Occupancy: 10
; WaveLimiterHint : 1
; COMPUTE_PGM_RSRC2:SCRATCH_EN: 0
; COMPUTE_PGM_RSRC2:USER_SGPR: 2
; COMPUTE_PGM_RSRC2:TRAP_HANDLER: 0
; COMPUTE_PGM_RSRC2:TGID_X_EN: 1
; COMPUTE_PGM_RSRC2:TGID_Y_EN: 0
; COMPUTE_PGM_RSRC2:TGID_Z_EN: 1
; COMPUTE_PGM_RSRC2:TIDIG_COMP_CNT: 1
	.section	.text._ZL22rocblas_gemvtsm_kernelILb0ELi256EdPKddEviiT2_lPKT1_lilS5_lilS2_lPT3_lil,"axG",@progbits,_ZL22rocblas_gemvtsm_kernelILb0ELi256EdPKddEviiT2_lPKT1_lilS5_lilS2_lPT3_lil,comdat
	.globl	_ZL22rocblas_gemvtsm_kernelILb0ELi256EdPKddEviiT2_lPKT1_lilS5_lilS2_lPT3_lil ; -- Begin function _ZL22rocblas_gemvtsm_kernelILb0ELi256EdPKddEviiT2_lPKT1_lilS5_lilS2_lPT3_lil
	.p2align	8
	.type	_ZL22rocblas_gemvtsm_kernelILb0ELi256EdPKddEviiT2_lPKT1_lilS5_lilS2_lPT3_lil,@function
_ZL22rocblas_gemvtsm_kernelILb0ELi256EdPKddEviiT2_lPKT1_lilS5_lilS2_lPT3_lil: ; @_ZL22rocblas_gemvtsm_kernelILb0ELi256EdPKddEviiT2_lPKT1_lilS5_lilS2_lPT3_lil
; %bb.0:
	s_clause 0x1
	s_load_b256 s[4:11], s[0:1], 0x8
	s_load_b256 s[12:19], s[0:1], 0x50
	s_bfe_u32 s2, ttmp6, 0x4000c
	s_and_b32 s3, ttmp6, 15
	s_add_co_i32 s2, s2, 1
	s_getreg_b32 s20, hwreg(HW_REG_IB_STS2, 6, 4)
	s_mul_i32 s2, ttmp9, s2
	s_mov_b32 s25, 0
	s_add_co_i32 s3, s3, s2
	s_cmp_eq_u32 s20, 0
	s_cselect_b32 s24, ttmp9, s3
	s_wait_kmcnt 0x0
	s_mul_u64 s[2:3], s[6:7], s[24:25]
	s_mul_u64 s[6:7], s[16:17], s[24:25]
	s_lshl_b64 s[2:3], s[2:3], 3
	s_lshl_b64 s[6:7], s[6:7], 3
	s_add_nc_u64 s[2:3], s[4:5], s[2:3]
	s_add_nc_u64 s[4:5], s[14:15], s[6:7]
	s_load_b64 s[28:29], s[2:3], 0x0
	s_load_b64 s[14:15], s[4:5], 0x0
	s_wait_kmcnt 0x0
	v_cmp_eq_f64_e64 s2, s[28:29], 0
	v_cmp_eq_f64_e64 s3, s[14:15], 1.0
	s_and_b32 s2, s2, s3
	s_delay_alu instid0(SALU_CYCLE_1)
	s_and_b32 vcc_lo, exec_lo, s2
	s_cbranch_vccnz .LBB68_34
; %bb.1:
	v_cmp_neq_f64_e64 s4, s[28:29], 0
	s_clause 0x2
	s_load_b64 s[2:3], s[0:1], 0x80
	s_load_b96 s[20:22], s[0:1], 0x70
	s_load_b64 s[16:17], s[0:1], 0x0
	s_wait_kmcnt 0x0
	s_mul_u64 s[26:27], s[2:3], s[24:25]
	s_and_b32 vcc_lo, exec_lo, s4
	s_cbranch_vccnz .LBB68_9
; %bb.2:
	v_cmp_neq_f64_e64 s2, s[14:15], 0
	s_cmp_gt_i32 s17, 0
	s_cselect_b32 s4, -1, 0
	s_delay_alu instid0(SALU_CYCLE_1) | instskip(SKIP_1) | instid1(VALU_DEP_1)
	v_cndmask_b32_e64 v1, 0, 1, s4
	s_and_b32 vcc_lo, exec_lo, s2
	v_cmp_ne_u32_e64 s2, 1, v1
	s_cbranch_vccnz .LBB68_10
; %bb.3:
	s_and_b32 vcc_lo, exec_lo, s2
	s_cbranch_vccnz .LBB68_8
; %bb.4:
	v_mov_b32_e32 v1, 0
	s_ashr_i32 s3, s22, 31
	s_mov_b32 s2, s22
	s_lshl_b64 s[6:7], s[20:21], 3
	s_lshl_b64 s[30:31], s[26:27], 3
	v_mul_u64_e32 v[4:5], s[2:3], v[0:1]
	s_add_nc_u64 s[6:7], s[18:19], s[6:7]
	v_mov_b64_e32 v[2:3], 0
	s_add_nc_u64 s[6:7], s[6:7], s[30:31]
	s_lshl_b64 s[2:3], s[2:3], 11
	s_mov_b32 s5, 0
	s_delay_alu instid0(VALU_DEP_2)
	v_lshl_add_u64 v[4:5], v[4:5], 3, s[6:7]
	s_branch .LBB68_6
.LBB68_5:                               ;   in Loop: Header=BB68_6 Depth=1
	s_wait_xcnt 0x0
	s_or_b32 exec_lo, exec_lo, s6
	v_add_nc_u64_e32 v[4:5], s[2:3], v[4:5]
	s_addk_co_i32 s5, 0x100
	s_delay_alu instid0(SALU_CYCLE_1)
	s_cmp_ge_i32 s5, s17
	s_cbranch_scc1 .LBB68_8
.LBB68_6:                               ; =>This Inner Loop Header: Depth=1
	v_add_nc_u32_e32 v1, s5, v0
	s_mov_b32 s6, exec_lo
	s_delay_alu instid0(VALU_DEP_1)
	v_cmpx_gt_i32_e64 s17, v1
	s_cbranch_execz .LBB68_5
; %bb.7:                                ;   in Loop: Header=BB68_6 Depth=1
	global_store_b64 v[4:5], v[2:3], off
	s_branch .LBB68_5
.LBB68_8:
	s_cbranch_execz .LBB68_11
	s_branch .LBB68_16
.LBB68_9:
	s_branch .LBB68_17
.LBB68_10:
.LBB68_11:
	s_and_not1_b32 vcc_lo, exec_lo, s4
	s_cbranch_vccnz .LBB68_16
; %bb.12:
	v_mov_b32_e32 v1, 0
	s_ashr_i32 s3, s22, 31
	s_mov_b32 s2, s22
	s_lshl_b64 s[4:5], s[20:21], 3
	s_lshl_b64 s[6:7], s[26:27], 3
	v_mul_u64_e32 v[2:3], s[2:3], v[0:1]
	s_add_nc_u64 s[4:5], s[18:19], s[4:5]
	s_lshl_b64 s[2:3], s[2:3], 11
	s_add_nc_u64 s[4:5], s[4:5], s[6:7]
	s_delay_alu instid0(VALU_DEP_1) | instid1(SALU_CYCLE_1)
	v_lshl_add_u64 v[2:3], v[2:3], 3, s[4:5]
	s_mov_b32 s4, 0
	s_branch .LBB68_14
.LBB68_13:                              ;   in Loop: Header=BB68_14 Depth=1
	s_wait_xcnt 0x0
	s_or_b32 exec_lo, exec_lo, s5
	v_add_nc_u64_e32 v[2:3], s[2:3], v[2:3]
	s_addk_co_i32 s4, 0x100
	s_delay_alu instid0(SALU_CYCLE_1)
	s_cmp_ge_i32 s4, s17
	s_cbranch_scc1 .LBB68_16
.LBB68_14:                              ; =>This Inner Loop Header: Depth=1
	v_add_nc_u32_e32 v1, s4, v0
	s_mov_b32 s5, exec_lo
	s_delay_alu instid0(VALU_DEP_1)
	v_cmpx_gt_i32_e64 s17, v1
	s_cbranch_execz .LBB68_13
; %bb.15:                               ;   in Loop: Header=BB68_14 Depth=1
	global_load_b64 v[4:5], v[2:3], off
	s_wait_loadcnt 0x0
	v_mul_f64_e32 v[4:5], s[14:15], v[4:5]
	global_store_b64 v[2:3], v[4:5], off
	s_branch .LBB68_13
.LBB68_16:
	s_cbranch_execnz .LBB68_34
.LBB68_17:
	s_clause 0x1
	s_load_b128 s[4:7], s[0:1], 0x30
	s_load_b64 s[2:3], s[0:1], 0x40
	s_mov_b32 s23, exec_lo
	v_cmpx_gt_i32_e64 s16, v0
	s_cbranch_execz .LBB68_19
; %bb.18:
	s_load_b32 s30, s[0:1], 0x48
	v_mov_b32_e32 v1, 0
	s_mul_u64 s[12:13], s[12:13], s[24:25]
	s_wait_kmcnt 0x0
	s_lshl_b64 s[2:3], s[2:3], 3
	s_lshl_b64 s[12:13], s[12:13], 3
	s_delay_alu instid0(SALU_CYCLE_1) | instskip(NEXT) | instid1(SALU_CYCLE_1)
	s_add_nc_u64 s[6:7], s[6:7], s[12:13]
	s_add_nc_u64 s[2:3], s[6:7], s[2:3]
	s_ashr_i32 s31, s30, 31
	s_delay_alu instid0(SALU_CYCLE_1) | instskip(SKIP_1) | instid1(VALU_DEP_2)
	v_mul_u64_e32 v[2:3], s[30:31], v[0:1]
	v_lshlrev_b32_e32 v1, 3, v0
	v_lshl_add_u64 v[2:3], v[2:3], 3, s[2:3]
	global_load_b64 v[2:3], v[2:3], off
	s_wait_loadcnt 0x0
	v_mul_f64_e32 v[2:3], s[28:29], v[2:3]
	ds_store_b64 v1, v[2:3]
.LBB68_19:
	s_or_b32 exec_lo, exec_lo, s23
	s_cmp_lt_i32 s17, 1
	s_wait_storecnt_dscnt 0x0
	s_barrier_signal -1
	s_barrier_wait -1
	s_cbranch_scc1 .LBB68_34
; %bb.20:
	s_wait_kmcnt 0x0
	s_load_b32 s6, s[0:1], 0x28
	v_mov_b32_e32 v3, 0
	s_lshl_b64 s[2:3], s[26:27], 3
	s_lshl_b64 s[26:27], s[20:21], 3
	s_wait_xcnt 0x0
	s_ashr_i32 s1, s22, 31
	s_mul_u64 s[4:5], s[4:5], s[24:25]
	v_mov_b32_e32 v1, v3
	s_add_nc_u64 s[2:3], s[18:19], s[2:3]
	s_mov_b32 s0, s22
	s_add_nc_u64 s[2:3], s[2:3], s[26:27]
	s_wait_kmcnt 0x0
	s_ashr_i32 s7, s6, 31
	s_cmp_gt_i32 s16, 0
	v_mul_u64_e32 v[4:5], s[6:7], v[0:1]
	s_cselect_b32 s12, -1, 0
	s_and_b32 s13, s16, 7
	s_cmp_gt_u32 s16, 7
	s_cselect_b32 s20, -1, 0
	s_and_b32 s16, s16, 0x7ffffff8
	s_cmp_lg_u32 s13, 0
	s_cselect_b32 s21, -1, 0
	s_lshl_b64 s[10:11], s[10:11], 3
	s_lshl_b64 s[4:5], s[4:5], 3
	s_add_nc_u64 s[8:9], s[8:9], s[10:11]
	s_lshl_b64 s[6:7], s[6:7], 11
	s_add_nc_u64 s[4:5], s[8:9], s[4:5]
	v_cmp_neq_f64_e64 s8, s[14:15], 0
	s_mov_b32 s9, 0
	v_lshl_add_u64 v[4:5], v[4:5], 3, s[4:5]
	s_mov_b32 s5, 0
	s_delay_alu instid0(VALU_DEP_1)
	v_add_nc_u64_e32 v[6:7], 56, v[4:5]
	s_branch .LBB68_23
.LBB68_21:                              ;   in Loop: Header=BB68_23 Depth=1
	global_store_b64 v[8:9], v[10:11], off
.LBB68_22:                              ;   in Loop: Header=BB68_23 Depth=1
	s_wait_xcnt 0x0
	s_or_b32 exec_lo, exec_lo, s10
	v_add_nc_u64_e32 v[6:7], s[6:7], v[6:7]
	v_add_nc_u64_e32 v[4:5], s[6:7], v[4:5]
	s_addk_co_i32 s9, 0x100
	s_delay_alu instid0(SALU_CYCLE_1)
	s_cmp_ge_i32 s9, s17
	s_cbranch_scc1 .LBB68_34
.LBB68_23:                              ; =>This Loop Header: Depth=1
                                        ;     Child Loop BB68_29 Depth 2
                                        ;     Child Loop BB68_33 Depth 2
	v_add_nc_u32_e32 v2, s9, v0
	s_mov_b32 s10, exec_lo
	s_delay_alu instid0(VALU_DEP_1)
	v_cmpx_gt_i32_e64 s17, v2
	s_cbranch_execz .LBB68_22
; %bb.24:                               ;   in Loop: Header=BB68_23 Depth=1
	v_mul_u64_e32 v[8:9], s[0:1], v[2:3]
	s_and_not1_b32 vcc_lo, exec_lo, s8
	s_delay_alu instid0(VALU_DEP_1)
	v_lshl_add_u64 v[8:9], v[8:9], 3, s[2:3]
	s_cbranch_vccnz .LBB68_26
; %bb.25:                               ;   in Loop: Header=BB68_23 Depth=1
	global_load_b64 v[10:11], v[8:9], off
	s_wait_loadcnt 0x0
	v_mul_f64_e32 v[10:11], s[14:15], v[10:11]
	s_and_not1_b32 vcc_lo, exec_lo, s12
	s_cbranch_vccz .LBB68_27
	s_branch .LBB68_21
.LBB68_26:                              ;   in Loop: Header=BB68_23 Depth=1
	v_mov_b64_e32 v[10:11], 0
	s_and_not1_b32 vcc_lo, exec_lo, s12
	s_cbranch_vccnz .LBB68_21
.LBB68_27:                              ;   in Loop: Header=BB68_23 Depth=1
	s_and_not1_b32 vcc_lo, exec_lo, s20
	s_mov_b32 s4, 0
	s_cbranch_vccnz .LBB68_31
; %bb.28:                               ;   in Loop: Header=BB68_23 Depth=1
	v_mov_b64_e32 v[12:13], v[6:7]
	s_mov_b32 s11, 0
.LBB68_29:                              ;   Parent Loop BB68_23 Depth=1
                                        ; =>  This Inner Loop Header: Depth=2
	s_clause 0x3
	global_load_b128 v[14:17], v[12:13], off offset:-56
	global_load_b128 v[18:21], v[12:13], off offset:-40
	;; [unrolled: 1-line block ×4, first 2 shown]
	v_mov_b32_e32 v1, s4
	s_wait_xcnt 0x0
	v_add_nc_u64_e32 v[12:13], 64, v[12:13]
	s_add_co_i32 s11, s11, 8
	s_add_co_i32 s4, s4, 64
	ds_load_b128 v[30:33], v1
	ds_load_b128 v[34:37], v1 offset:16
	s_cmp_eq_u32 s16, s11
	s_wait_loadcnt_dscnt 0x301
	v_fmac_f64_e32 v[10:11], v[30:31], v[14:15]
	s_delay_alu instid0(VALU_DEP_1) | instskip(SKIP_1) | instid1(VALU_DEP_1)
	v_fmac_f64_e32 v[10:11], v[32:33], v[16:17]
	s_wait_loadcnt_dscnt 0x200
	v_fmac_f64_e32 v[10:11], v[34:35], v[18:19]
	s_delay_alu instid0(VALU_DEP_1) | instskip(SKIP_4) | instid1(VALU_DEP_1)
	v_fmac_f64_e32 v[10:11], v[36:37], v[20:21]
	ds_load_b128 v[14:17], v1 offset:32
	ds_load_b128 v[18:21], v1 offset:48
	s_wait_loadcnt_dscnt 0x101
	v_fmac_f64_e32 v[10:11], v[14:15], v[22:23]
	v_fmac_f64_e32 v[10:11], v[16:17], v[24:25]
	s_wait_loadcnt_dscnt 0x0
	s_delay_alu instid0(VALU_DEP_1) | instskip(NEXT) | instid1(VALU_DEP_1)
	v_fmac_f64_e32 v[10:11], v[18:19], v[26:27]
	v_fmac_f64_e32 v[10:11], v[20:21], v[28:29]
	s_cbranch_scc0 .LBB68_29
; %bb.30:                               ;   in Loop: Header=BB68_23 Depth=1
	s_mov_b32 s4, s16
.LBB68_31:                              ;   in Loop: Header=BB68_23 Depth=1
	s_and_not1_b32 vcc_lo, exec_lo, s21
	s_cbranch_vccnz .LBB68_21
; %bb.32:                               ;   in Loop: Header=BB68_23 Depth=1
	v_lshl_add_u64 v[12:13], s[4:5], 3, v[4:5]
	s_lshl_b32 s4, s4, 3
	s_mov_b32 s11, s13
.LBB68_33:                              ;   Parent Loop BB68_23 Depth=1
                                        ; =>  This Inner Loop Header: Depth=2
	global_load_b64 v[14:15], v[12:13], off
	v_mov_b32_e32 v1, s4
	s_wait_xcnt 0x0
	v_add_nc_u64_e32 v[12:13], 8, v[12:13]
	s_add_co_i32 s11, s11, -1
	s_add_co_i32 s4, s4, 8
	s_cmp_lg_u32 s11, 0
	ds_load_b64 v[16:17], v1
	s_wait_loadcnt_dscnt 0x0
	v_fmac_f64_e32 v[10:11], v[16:17], v[14:15]
	s_cbranch_scc1 .LBB68_33
	s_branch .LBB68_21
.LBB68_34:
	s_endpgm
	.section	.rodata,"a",@progbits
	.p2align	6, 0x0
	.amdhsa_kernel _ZL22rocblas_gemvtsm_kernelILb0ELi256EdPKddEviiT2_lPKT1_lilS5_lilS2_lPT3_lil
		.amdhsa_group_segment_fixed_size 512
		.amdhsa_private_segment_fixed_size 0
		.amdhsa_kernarg_size 136
		.amdhsa_user_sgpr_count 2
		.amdhsa_user_sgpr_dispatch_ptr 0
		.amdhsa_user_sgpr_queue_ptr 0
		.amdhsa_user_sgpr_kernarg_segment_ptr 1
		.amdhsa_user_sgpr_dispatch_id 0
		.amdhsa_user_sgpr_kernarg_preload_length 0
		.amdhsa_user_sgpr_kernarg_preload_offset 0
		.amdhsa_user_sgpr_private_segment_size 0
		.amdhsa_wavefront_size32 1
		.amdhsa_uses_dynamic_stack 0
		.amdhsa_enable_private_segment 0
		.amdhsa_system_sgpr_workgroup_id_x 1
		.amdhsa_system_sgpr_workgroup_id_y 0
		.amdhsa_system_sgpr_workgroup_id_z 0
		.amdhsa_system_sgpr_workgroup_info 0
		.amdhsa_system_vgpr_workitem_id 0
		.amdhsa_next_free_vgpr 38
		.amdhsa_next_free_sgpr 32
		.amdhsa_named_barrier_count 0
		.amdhsa_reserve_vcc 1
		.amdhsa_float_round_mode_32 0
		.amdhsa_float_round_mode_16_64 0
		.amdhsa_float_denorm_mode_32 3
		.amdhsa_float_denorm_mode_16_64 3
		.amdhsa_fp16_overflow 0
		.amdhsa_memory_ordered 1
		.amdhsa_forward_progress 1
		.amdhsa_inst_pref_size 10
		.amdhsa_round_robin_scheduling 0
		.amdhsa_exception_fp_ieee_invalid_op 0
		.amdhsa_exception_fp_denorm_src 0
		.amdhsa_exception_fp_ieee_div_zero 0
		.amdhsa_exception_fp_ieee_overflow 0
		.amdhsa_exception_fp_ieee_underflow 0
		.amdhsa_exception_fp_ieee_inexact 0
		.amdhsa_exception_int_div_zero 0
	.end_amdhsa_kernel
	.section	.text._ZL22rocblas_gemvtsm_kernelILb0ELi256EdPKddEviiT2_lPKT1_lilS5_lilS2_lPT3_lil,"axG",@progbits,_ZL22rocblas_gemvtsm_kernelILb0ELi256EdPKddEviiT2_lPKT1_lilS5_lilS2_lPT3_lil,comdat
.Lfunc_end68:
	.size	_ZL22rocblas_gemvtsm_kernelILb0ELi256EdPKddEviiT2_lPKT1_lilS5_lilS2_lPT3_lil, .Lfunc_end68-_ZL22rocblas_gemvtsm_kernelILb0ELi256EdPKddEviiT2_lPKT1_lilS5_lilS2_lPT3_lil
                                        ; -- End function
	.set _ZL22rocblas_gemvtsm_kernelILb0ELi256EdPKddEviiT2_lPKT1_lilS5_lilS2_lPT3_lil.num_vgpr, 38
	.set _ZL22rocblas_gemvtsm_kernelILb0ELi256EdPKddEviiT2_lPKT1_lilS5_lilS2_lPT3_lil.num_agpr, 0
	.set _ZL22rocblas_gemvtsm_kernelILb0ELi256EdPKddEviiT2_lPKT1_lilS5_lilS2_lPT3_lil.numbered_sgpr, 32
	.set _ZL22rocblas_gemvtsm_kernelILb0ELi256EdPKddEviiT2_lPKT1_lilS5_lilS2_lPT3_lil.num_named_barrier, 0
	.set _ZL22rocblas_gemvtsm_kernelILb0ELi256EdPKddEviiT2_lPKT1_lilS5_lilS2_lPT3_lil.private_seg_size, 0
	.set _ZL22rocblas_gemvtsm_kernelILb0ELi256EdPKddEviiT2_lPKT1_lilS5_lilS2_lPT3_lil.uses_vcc, 1
	.set _ZL22rocblas_gemvtsm_kernelILb0ELi256EdPKddEviiT2_lPKT1_lilS5_lilS2_lPT3_lil.uses_flat_scratch, 0
	.set _ZL22rocblas_gemvtsm_kernelILb0ELi256EdPKddEviiT2_lPKT1_lilS5_lilS2_lPT3_lil.has_dyn_sized_stack, 0
	.set _ZL22rocblas_gemvtsm_kernelILb0ELi256EdPKddEviiT2_lPKT1_lilS5_lilS2_lPT3_lil.has_recursion, 0
	.set _ZL22rocblas_gemvtsm_kernelILb0ELi256EdPKddEviiT2_lPKT1_lilS5_lilS2_lPT3_lil.has_indirect_call, 0
	.section	.AMDGPU.csdata,"",@progbits
; Kernel info:
; codeLenInByte = 1268
; TotalNumSgprs: 34
; NumVgprs: 38
; ScratchSize: 0
; MemoryBound: 0
; FloatMode: 240
; IeeeMode: 1
; LDSByteSize: 512 bytes/workgroup (compile time only)
; SGPRBlocks: 0
; VGPRBlocks: 2
; NumSGPRsForWavesPerEU: 34
; NumVGPRsForWavesPerEU: 38
; NamedBarCnt: 0
; Occupancy: 16
; WaveLimiterHint : 1
; COMPUTE_PGM_RSRC2:SCRATCH_EN: 0
; COMPUTE_PGM_RSRC2:USER_SGPR: 2
; COMPUTE_PGM_RSRC2:TRAP_HANDLER: 0
; COMPUTE_PGM_RSRC2:TGID_X_EN: 1
; COMPUTE_PGM_RSRC2:TGID_Y_EN: 0
; COMPUTE_PGM_RSRC2:TGID_Z_EN: 0
; COMPUTE_PGM_RSRC2:TIDIG_COMP_CNT: 0
	.section	.text._ZL22rocblas_gemvtsm_kernelILb0ELi256EdddEviiT2_lPKT1_lilS3_lilS0_lPT3_lil,"axG",@progbits,_ZL22rocblas_gemvtsm_kernelILb0ELi256EdddEviiT2_lPKT1_lilS3_lilS0_lPT3_lil,comdat
	.globl	_ZL22rocblas_gemvtsm_kernelILb0ELi256EdddEviiT2_lPKT1_lilS3_lilS0_lPT3_lil ; -- Begin function _ZL22rocblas_gemvtsm_kernelILb0ELi256EdddEviiT2_lPKT1_lilS3_lilS0_lPT3_lil
	.p2align	8
	.type	_ZL22rocblas_gemvtsm_kernelILb0ELi256EdddEviiT2_lPKT1_lilS3_lilS0_lPT3_lil,@function
_ZL22rocblas_gemvtsm_kernelILb0ELi256EdddEviiT2_lPKT1_lilS3_lilS0_lPT3_lil: ; @_ZL22rocblas_gemvtsm_kernelILb0ELi256EdddEviiT2_lPKT1_lilS3_lilS0_lPT3_lil
; %bb.0:
	s_clause 0x1
	s_load_b64 s[24:25], s[0:1], 0x8
	s_load_b128 s[4:7], s[0:1], 0x50
	s_wait_kmcnt 0x0
	v_cmp_eq_f64_e64 s2, s[24:25], 0
	v_cmp_eq_f64_e64 s3, s[6:7], 1.0
	s_and_b32 s2, s2, s3
	s_delay_alu instid0(SALU_CYCLE_1)
	s_and_b32 vcc_lo, exec_lo, s2
	s_cbranch_vccnz .LBB69_34
; %bb.1:
	v_cmp_neq_f64_e64 s12, s[24:25], 0
	s_clause 0x3
	s_load_b64 s[2:3], s[0:1], 0x80
	s_load_b32 s16, s[0:1], 0x78
	s_load_b64 s[18:19], s[0:1], 0x0
	s_load_b128 s[8:11], s[0:1], 0x68
	s_bfe_u32 s13, ttmp6, 0x4000c
	s_and_b32 s14, ttmp6, 15
	s_add_co_i32 s13, s13, 1
	s_getreg_b32 s15, hwreg(HW_REG_IB_STS2, 6, 4)
	s_mul_i32 s13, ttmp9, s13
	s_mov_b32 s21, 0
	s_add_co_i32 s14, s14, s13
	s_cmp_eq_u32 s15, 0
	s_cselect_b32 s20, ttmp9, s14
	s_wait_kmcnt 0x0
	s_mul_u64 s[22:23], s[2:3], s[20:21]
	s_and_b32 vcc_lo, exec_lo, s12
	s_cbranch_vccnz .LBB69_9
; %bb.2:
	v_cmp_neq_f64_e64 s2, s[6:7], 0
	s_cmp_gt_i32 s19, 0
	s_cselect_b32 s12, -1, 0
	s_delay_alu instid0(SALU_CYCLE_1) | instskip(SKIP_1) | instid1(VALU_DEP_1)
	v_cndmask_b32_e64 v1, 0, 1, s12
	s_and_b32 vcc_lo, exec_lo, s2
	v_cmp_ne_u32_e64 s2, 1, v1
	s_cbranch_vccnz .LBB69_10
; %bb.3:
	s_and_b32 vcc_lo, exec_lo, s2
	s_cbranch_vccnz .LBB69_8
; %bb.4:
	v_mov_b32_e32 v1, 0
	s_ashr_i32 s17, s16, 31
	s_lshl_b64 s[2:3], s[10:11], 3
	s_lshl_b64 s[14:15], s[22:23], 3
	s_add_nc_u64 s[2:3], s[8:9], s[2:3]
	v_mul_u64_e32 v[4:5], s[16:17], v[0:1]
	s_add_nc_u64 s[2:3], s[2:3], s[14:15]
	v_mov_b64_e32 v[2:3], 0
	s_mov_b32 s13, 0
	s_delay_alu instid0(VALU_DEP_2)
	v_lshl_add_u64 v[4:5], v[4:5], 3, s[2:3]
	s_lshl_b64 s[2:3], s[16:17], 11
	s_branch .LBB69_6
.LBB69_5:                               ;   in Loop: Header=BB69_6 Depth=1
	s_wait_xcnt 0x0
	s_or_b32 exec_lo, exec_lo, s14
	v_add_nc_u64_e32 v[4:5], s[2:3], v[4:5]
	s_addk_co_i32 s13, 0x100
	s_delay_alu instid0(SALU_CYCLE_1)
	s_cmp_ge_i32 s13, s19
	s_cbranch_scc1 .LBB69_8
.LBB69_6:                               ; =>This Inner Loop Header: Depth=1
	v_add_nc_u32_e32 v1, s13, v0
	s_mov_b32 s14, exec_lo
	s_delay_alu instid0(VALU_DEP_1)
	v_cmpx_gt_i32_e64 s19, v1
	s_cbranch_execz .LBB69_5
; %bb.7:                                ;   in Loop: Header=BB69_6 Depth=1
	global_store_b64 v[4:5], v[2:3], off
	s_branch .LBB69_5
.LBB69_8:
	s_cbranch_execz .LBB69_11
	s_branch .LBB69_16
.LBB69_9:
	s_branch .LBB69_17
.LBB69_10:
.LBB69_11:
	s_and_not1_b32 vcc_lo, exec_lo, s12
	s_cbranch_vccnz .LBB69_16
; %bb.12:
	v_mov_b32_e32 v1, 0
	s_ashr_i32 s17, s16, 31
	s_lshl_b64 s[2:3], s[10:11], 3
	s_lshl_b64 s[12:13], s[22:23], 3
	s_add_nc_u64 s[2:3], s[8:9], s[2:3]
	v_mul_u64_e32 v[2:3], s[16:17], v[0:1]
	s_add_nc_u64 s[2:3], s[2:3], s[12:13]
	s_mov_b32 s12, 0
	s_delay_alu instid0(VALU_DEP_1)
	v_lshl_add_u64 v[2:3], v[2:3], 3, s[2:3]
	s_lshl_b64 s[2:3], s[16:17], 11
	s_branch .LBB69_14
.LBB69_13:                              ;   in Loop: Header=BB69_14 Depth=1
	s_wait_xcnt 0x0
	s_or_b32 exec_lo, exec_lo, s13
	v_add_nc_u64_e32 v[2:3], s[2:3], v[2:3]
	s_addk_co_i32 s12, 0x100
	s_delay_alu instid0(SALU_CYCLE_1)
	s_cmp_ge_i32 s12, s19
	s_cbranch_scc1 .LBB69_16
.LBB69_14:                              ; =>This Inner Loop Header: Depth=1
	v_add_nc_u32_e32 v1, s12, v0
	s_mov_b32 s13, exec_lo
	s_delay_alu instid0(VALU_DEP_1)
	v_cmpx_gt_i32_e64 s19, v1
	s_cbranch_execz .LBB69_13
; %bb.15:                               ;   in Loop: Header=BB69_14 Depth=1
	global_load_b64 v[4:5], v[2:3], off
	s_wait_loadcnt 0x0
	v_mul_f64_e32 v[4:5], s[6:7], v[4:5]
	global_store_b64 v[2:3], v[4:5], off
	s_branch .LBB69_13
.LBB69_16:
	s_cbranch_execnz .LBB69_34
.LBB69_17:
	s_clause 0x1
	s_load_b128 s[12:15], s[0:1], 0x30
	s_load_b64 s[2:3], s[0:1], 0x40
	s_mov_b32 s17, exec_lo
	v_cmpx_gt_i32_e64 s18, v0
	s_cbranch_execz .LBB69_19
; %bb.18:
	s_load_b32 s26, s[0:1], 0x48
	v_mov_b32_e32 v1, 0
	s_mul_u64 s[4:5], s[4:5], s[20:21]
	s_wait_kmcnt 0x0
	s_lshl_b64 s[2:3], s[2:3], 3
	s_lshl_b64 s[4:5], s[4:5], 3
	s_delay_alu instid0(SALU_CYCLE_1) | instskip(NEXT) | instid1(SALU_CYCLE_1)
	s_add_nc_u64 s[4:5], s[14:15], s[4:5]
	s_add_nc_u64 s[2:3], s[4:5], s[2:3]
	s_ashr_i32 s27, s26, 31
	s_delay_alu instid0(SALU_CYCLE_1) | instskip(SKIP_1) | instid1(VALU_DEP_2)
	v_mul_u64_e32 v[2:3], s[26:27], v[0:1]
	v_lshlrev_b32_e32 v1, 3, v0
	v_lshl_add_u64 v[2:3], v[2:3], 3, s[2:3]
	global_load_b64 v[2:3], v[2:3], off
	s_wait_loadcnt 0x0
	v_mul_f64_e32 v[2:3], s[24:25], v[2:3]
	ds_store_b64 v1, v[2:3]
.LBB69_19:
	s_or_b32 exec_lo, exec_lo, s17
	s_cmp_lt_i32 s19, 1
	s_wait_storecnt_dscnt 0x0
	s_barrier_signal -1
	s_barrier_wait -1
	s_cbranch_scc1 .LBB69_34
; %bb.20:
	s_clause 0x1
	s_load_b32 s4, s[0:1], 0x28
	s_load_b128 s[24:27], s[0:1], 0x18
	v_mov_b32_e32 v3, 0
	s_wait_xcnt 0x0
	s_lshl_b64 s[0:1], s[22:23], 3
	s_wait_kmcnt 0x0
	s_lshl_b64 s[2:3], s[10:11], 3
	s_add_nc_u64 s[0:1], s[8:9], s[0:1]
	v_cmp_neq_f64_e64 s8, s[6:7], 0
	v_mov_b32_e32 v1, v3
	s_ashr_i32 s17, s16, 31
	s_mul_u64 s[20:21], s[12:13], s[20:21]
	s_add_nc_u64 s[0:1], s[0:1], s[2:3]
	s_mov_b32 s3, 0
	s_mov_b32 s9, 0
	s_ashr_i32 s5, s4, 31
	s_cmp_gt_i32 s18, 0
	v_mul_u64_e32 v[4:5], s[4:5], v[0:1]
	s_cselect_b32 s10, -1, 0
	s_and_b32 s11, s18, 7
	s_cmp_gt_u32 s18, 7
	s_cselect_b32 s14, -1, 0
	s_and_b32 s15, s18, 0x7ffffff8
	s_cmp_lg_u32 s11, 0
	s_cselect_b32 s12, -1, 0
	s_lshl_b64 s[22:23], s[26:27], 3
	s_lshl_b64 s[20:21], s[20:21], 3
	s_add_nc_u64 s[22:23], s[24:25], s[22:23]
	s_lshl_b64 s[4:5], s[4:5], 11
	s_add_nc_u64 s[20:21], s[22:23], s[20:21]
	s_delay_alu instid0(VALU_DEP_1) | instid1(SALU_CYCLE_1)
	v_lshl_add_u64 v[4:5], v[4:5], 3, s[20:21]
	s_delay_alu instid0(VALU_DEP_1)
	v_add_nc_u64_e32 v[6:7], 56, v[4:5]
	s_branch .LBB69_23
.LBB69_21:                              ;   in Loop: Header=BB69_23 Depth=1
	global_store_b64 v[8:9], v[10:11], off
.LBB69_22:                              ;   in Loop: Header=BB69_23 Depth=1
	s_wait_xcnt 0x0
	s_or_b32 exec_lo, exec_lo, s13
	v_add_nc_u64_e32 v[6:7], s[4:5], v[6:7]
	v_add_nc_u64_e32 v[4:5], s[4:5], v[4:5]
	s_addk_co_i32 s9, 0x100
	s_delay_alu instid0(SALU_CYCLE_1)
	s_cmp_ge_i32 s9, s19
	s_cbranch_scc1 .LBB69_34
.LBB69_23:                              ; =>This Loop Header: Depth=1
                                        ;     Child Loop BB69_29 Depth 2
                                        ;     Child Loop BB69_33 Depth 2
	v_add_nc_u32_e32 v2, s9, v0
	s_mov_b32 s13, exec_lo
	s_delay_alu instid0(VALU_DEP_1)
	v_cmpx_gt_i32_e64 s19, v2
	s_cbranch_execz .LBB69_22
; %bb.24:                               ;   in Loop: Header=BB69_23 Depth=1
	v_mul_u64_e32 v[8:9], s[16:17], v[2:3]
	s_and_not1_b32 vcc_lo, exec_lo, s8
	s_delay_alu instid0(VALU_DEP_1)
	v_lshl_add_u64 v[8:9], v[8:9], 3, s[0:1]
	s_cbranch_vccnz .LBB69_26
; %bb.25:                               ;   in Loop: Header=BB69_23 Depth=1
	global_load_b64 v[10:11], v[8:9], off
	s_wait_loadcnt 0x0
	v_mul_f64_e32 v[10:11], s[6:7], v[10:11]
	s_and_not1_b32 vcc_lo, exec_lo, s10
	s_cbranch_vccz .LBB69_27
	s_branch .LBB69_21
.LBB69_26:                              ;   in Loop: Header=BB69_23 Depth=1
	v_mov_b64_e32 v[10:11], 0
	s_and_not1_b32 vcc_lo, exec_lo, s10
	s_cbranch_vccnz .LBB69_21
.LBB69_27:                              ;   in Loop: Header=BB69_23 Depth=1
	s_and_not1_b32 vcc_lo, exec_lo, s14
	s_mov_b32 s2, 0
	s_cbranch_vccnz .LBB69_31
; %bb.28:                               ;   in Loop: Header=BB69_23 Depth=1
	v_mov_b64_e32 v[12:13], v[6:7]
	s_mov_b32 s18, 0
.LBB69_29:                              ;   Parent Loop BB69_23 Depth=1
                                        ; =>  This Inner Loop Header: Depth=2
	s_clause 0x3
	global_load_b128 v[14:17], v[12:13], off offset:-56
	global_load_b128 v[18:21], v[12:13], off offset:-40
	;; [unrolled: 1-line block ×4, first 2 shown]
	v_mov_b32_e32 v1, s2
	s_wait_xcnt 0x0
	v_add_nc_u64_e32 v[12:13], 64, v[12:13]
	s_add_co_i32 s18, s18, 8
	s_add_co_i32 s2, s2, 64
	ds_load_b128 v[30:33], v1
	ds_load_b128 v[34:37], v1 offset:16
	s_cmp_eq_u32 s15, s18
	s_wait_loadcnt_dscnt 0x301
	v_fmac_f64_e32 v[10:11], v[30:31], v[14:15]
	s_delay_alu instid0(VALU_DEP_1) | instskip(SKIP_1) | instid1(VALU_DEP_1)
	v_fmac_f64_e32 v[10:11], v[32:33], v[16:17]
	s_wait_loadcnt_dscnt 0x200
	v_fmac_f64_e32 v[10:11], v[34:35], v[18:19]
	s_delay_alu instid0(VALU_DEP_1) | instskip(SKIP_4) | instid1(VALU_DEP_1)
	v_fmac_f64_e32 v[10:11], v[36:37], v[20:21]
	ds_load_b128 v[14:17], v1 offset:32
	ds_load_b128 v[18:21], v1 offset:48
	s_wait_loadcnt_dscnt 0x101
	v_fmac_f64_e32 v[10:11], v[14:15], v[22:23]
	v_fmac_f64_e32 v[10:11], v[16:17], v[24:25]
	s_wait_loadcnt_dscnt 0x0
	s_delay_alu instid0(VALU_DEP_1) | instskip(NEXT) | instid1(VALU_DEP_1)
	v_fmac_f64_e32 v[10:11], v[18:19], v[26:27]
	v_fmac_f64_e32 v[10:11], v[20:21], v[28:29]
	s_cbranch_scc0 .LBB69_29
; %bb.30:                               ;   in Loop: Header=BB69_23 Depth=1
	s_mov_b32 s2, s15
.LBB69_31:                              ;   in Loop: Header=BB69_23 Depth=1
	s_and_not1_b32 vcc_lo, exec_lo, s12
	s_cbranch_vccnz .LBB69_21
; %bb.32:                               ;   in Loop: Header=BB69_23 Depth=1
	v_lshl_add_u64 v[12:13], s[2:3], 3, v[4:5]
	s_lshl_b32 s2, s2, 3
	s_mov_b32 s18, s11
.LBB69_33:                              ;   Parent Loop BB69_23 Depth=1
                                        ; =>  This Inner Loop Header: Depth=2
	global_load_b64 v[14:15], v[12:13], off
	v_mov_b32_e32 v1, s2
	s_wait_xcnt 0x0
	v_add_nc_u64_e32 v[12:13], 8, v[12:13]
	s_add_co_i32 s18, s18, -1
	s_add_co_i32 s2, s2, 8
	s_cmp_lg_u32 s18, 0
	ds_load_b64 v[16:17], v1
	s_wait_loadcnt_dscnt 0x0
	v_fmac_f64_e32 v[10:11], v[16:17], v[14:15]
	s_cbranch_scc1 .LBB69_33
	s_branch .LBB69_21
.LBB69_34:
	s_endpgm
	.section	.rodata,"a",@progbits
	.p2align	6, 0x0
	.amdhsa_kernel _ZL22rocblas_gemvtsm_kernelILb0ELi256EdddEviiT2_lPKT1_lilS3_lilS0_lPT3_lil
		.amdhsa_group_segment_fixed_size 512
		.amdhsa_private_segment_fixed_size 0
		.amdhsa_kernarg_size 136
		.amdhsa_user_sgpr_count 2
		.amdhsa_user_sgpr_dispatch_ptr 0
		.amdhsa_user_sgpr_queue_ptr 0
		.amdhsa_user_sgpr_kernarg_segment_ptr 1
		.amdhsa_user_sgpr_dispatch_id 0
		.amdhsa_user_sgpr_kernarg_preload_length 0
		.amdhsa_user_sgpr_kernarg_preload_offset 0
		.amdhsa_user_sgpr_private_segment_size 0
		.amdhsa_wavefront_size32 1
		.amdhsa_uses_dynamic_stack 0
		.amdhsa_enable_private_segment 0
		.amdhsa_system_sgpr_workgroup_id_x 1
		.amdhsa_system_sgpr_workgroup_id_y 0
		.amdhsa_system_sgpr_workgroup_id_z 0
		.amdhsa_system_sgpr_workgroup_info 0
		.amdhsa_system_vgpr_workitem_id 0
		.amdhsa_next_free_vgpr 38
		.amdhsa_next_free_sgpr 28
		.amdhsa_named_barrier_count 0
		.amdhsa_reserve_vcc 1
		.amdhsa_float_round_mode_32 0
		.amdhsa_float_round_mode_16_64 0
		.amdhsa_float_denorm_mode_32 3
		.amdhsa_float_denorm_mode_16_64 3
		.amdhsa_fp16_overflow 0
		.amdhsa_memory_ordered 1
		.amdhsa_forward_progress 1
		.amdhsa_inst_pref_size 10
		.amdhsa_round_robin_scheduling 0
		.amdhsa_exception_fp_ieee_invalid_op 0
		.amdhsa_exception_fp_denorm_src 0
		.amdhsa_exception_fp_ieee_div_zero 0
		.amdhsa_exception_fp_ieee_overflow 0
		.amdhsa_exception_fp_ieee_underflow 0
		.amdhsa_exception_fp_ieee_inexact 0
		.amdhsa_exception_int_div_zero 0
	.end_amdhsa_kernel
	.section	.text._ZL22rocblas_gemvtsm_kernelILb0ELi256EdddEviiT2_lPKT1_lilS3_lilS0_lPT3_lil,"axG",@progbits,_ZL22rocblas_gemvtsm_kernelILb0ELi256EdddEviiT2_lPKT1_lilS3_lilS0_lPT3_lil,comdat
.Lfunc_end69:
	.size	_ZL22rocblas_gemvtsm_kernelILb0ELi256EdddEviiT2_lPKT1_lilS3_lilS0_lPT3_lil, .Lfunc_end69-_ZL22rocblas_gemvtsm_kernelILb0ELi256EdddEviiT2_lPKT1_lilS3_lilS0_lPT3_lil
                                        ; -- End function
	.set _ZL22rocblas_gemvtsm_kernelILb0ELi256EdddEviiT2_lPKT1_lilS3_lilS0_lPT3_lil.num_vgpr, 38
	.set _ZL22rocblas_gemvtsm_kernelILb0ELi256EdddEviiT2_lPKT1_lilS3_lilS0_lPT3_lil.num_agpr, 0
	.set _ZL22rocblas_gemvtsm_kernelILb0ELi256EdddEviiT2_lPKT1_lilS3_lilS0_lPT3_lil.numbered_sgpr, 28
	.set _ZL22rocblas_gemvtsm_kernelILb0ELi256EdddEviiT2_lPKT1_lilS3_lilS0_lPT3_lil.num_named_barrier, 0
	.set _ZL22rocblas_gemvtsm_kernelILb0ELi256EdddEviiT2_lPKT1_lilS3_lilS0_lPT3_lil.private_seg_size, 0
	.set _ZL22rocblas_gemvtsm_kernelILb0ELi256EdddEviiT2_lPKT1_lilS3_lilS0_lPT3_lil.uses_vcc, 1
	.set _ZL22rocblas_gemvtsm_kernelILb0ELi256EdddEviiT2_lPKT1_lilS3_lilS0_lPT3_lil.uses_flat_scratch, 0
	.set _ZL22rocblas_gemvtsm_kernelILb0ELi256EdddEviiT2_lPKT1_lilS3_lilS0_lPT3_lil.has_dyn_sized_stack, 0
	.set _ZL22rocblas_gemvtsm_kernelILb0ELi256EdddEviiT2_lPKT1_lilS3_lilS0_lPT3_lil.has_recursion, 0
	.set _ZL22rocblas_gemvtsm_kernelILb0ELi256EdddEviiT2_lPKT1_lilS3_lilS0_lPT3_lil.has_indirect_call, 0
	.section	.AMDGPU.csdata,"",@progbits
; Kernel info:
; codeLenInByte = 1232
; TotalNumSgprs: 30
; NumVgprs: 38
; ScratchSize: 0
; MemoryBound: 0
; FloatMode: 240
; IeeeMode: 1
; LDSByteSize: 512 bytes/workgroup (compile time only)
; SGPRBlocks: 0
; VGPRBlocks: 2
; NumSGPRsForWavesPerEU: 30
; NumVGPRsForWavesPerEU: 38
; NamedBarCnt: 0
; Occupancy: 16
; WaveLimiterHint : 1
; COMPUTE_PGM_RSRC2:SCRATCH_EN: 0
; COMPUTE_PGM_RSRC2:USER_SGPR: 2
; COMPUTE_PGM_RSRC2:TRAP_HANDLER: 0
; COMPUTE_PGM_RSRC2:TGID_X_EN: 1
; COMPUTE_PGM_RSRC2:TGID_Y_EN: 0
; COMPUTE_PGM_RSRC2:TGID_Z_EN: 0
; COMPUTE_PGM_RSRC2:TIDIG_COMP_CNT: 0
	.section	.text._ZL23rocblas_gemvt_sn_kernelILb0ELi256ELi4EidPKddEviiT4_lPKT3_lilS5_lilPT5_i,"axG",@progbits,_ZL23rocblas_gemvt_sn_kernelILb0ELi256ELi4EidPKddEviiT4_lPKT3_lilS5_lilPT5_i,comdat
	.globl	_ZL23rocblas_gemvt_sn_kernelILb0ELi256ELi4EidPKddEviiT4_lPKT3_lilS5_lilPT5_i ; -- Begin function _ZL23rocblas_gemvt_sn_kernelILb0ELi256ELi4EidPKddEviiT4_lPKT3_lilS5_lilPT5_i
	.p2align	8
	.type	_ZL23rocblas_gemvt_sn_kernelILb0ELi256ELi4EidPKddEviiT4_lPKT3_lilS5_lilPT5_i,@function
_ZL23rocblas_gemvt_sn_kernelILb0ELi256ELi4EidPKddEviiT4_lPKT3_lilS5_lilPT5_i: ; @_ZL23rocblas_gemvt_sn_kernelILb0ELi256ELi4EidPKddEviiT4_lPKT3_lilS5_lilPT5_i
; %bb.0:
	s_load_b32 s11, s[0:1], 0x60
	s_bfe_u32 s2, ttmp6, 0x40014
	s_lshr_b32 s3, ttmp7, 16
	s_add_co_i32 s2, s2, 1
	s_bfe_u32 s5, ttmp6, 0x40008
	s_mul_i32 s2, s3, s2
	s_getreg_b32 s4, hwreg(HW_REG_IB_STS2, 6, 4)
	s_add_co_i32 s5, s5, s2
	s_cmp_eq_u32 s4, 0
	s_mov_b32 s31, 0
	s_cselect_b32 s28, s3, s5
	s_wait_kmcnt 0x0
	s_cmp_ge_u32 s28, s11
	s_cbranch_scc1 .LBB70_61
; %bb.1:
	s_clause 0x6
	s_load_b96 s[8:10], s[0:1], 0x40
	s_load_b256 s[12:19], s[0:1], 0x8
	s_load_b64 s[34:35], s[0:1], 0x0
	s_load_b32 s36, s[0:1], 0x28
	s_load_b128 s[20:23], s[0:1], 0x30
	s_load_b128 s[24:27], s[0:1], 0x50
	s_load_b32 s38, s[0:1], 0x68
	s_wait_xcnt 0x0
	v_cmp_eq_u32_e64 s0, 0, v0
	v_dual_lshrrev_b32 v2, 2, v0 :: v_dual_bitop2_b32 v1, 31, v0 bitop3:0x40
	v_cmp_gt_u32_e64 s1, 32, v0
	v_cmp_gt_u32_e64 s2, 8, v0
	v_mbcnt_lo_u32_b32 v52, -1, 0
	s_delay_alu instid0(VALU_DEP_4)
	v_cmp_eq_u32_e64 s3, 0, v1
	v_dual_lshlrev_b32 v50, 3, v1 :: v_dual_bitop2_b32 v51, 56, v2 bitop3:0x40
	v_mov_b64_e32 v[34:35], 0
	s_mov_b32 s39, s31
	s_mov_b32 s41, s31
	v_lshl_or_b32 v53, v52, 2, 64
	s_wait_kmcnt 0x0
	s_lshl_b64 s[6:7], s[8:9], 3
	s_lshl_b64 s[8:9], s[18:19], 3
	s_ashr_i32 s43, s35, 31
	s_cmp_gt_i32 s35, 0
	s_mov_b32 s42, s35
	s_cselect_b32 s5, -1, 0
	s_bfe_u32 s18, ttmp6, 0x4000c
	s_and_b32 s19, ttmp6, 15
	s_add_co_i32 s18, s18, 1
	s_and_b32 s33, s0, s5
	s_mul_i32 s18, ttmp9, s18
	s_mov_b32 s37, s31
	s_add_co_i32 s5, s19, s18
	s_cmp_eq_u32 s4, 0
	s_add_nc_u64 s[18:19], s[22:23], s[6:7]
	s_cselect_b32 s40, ttmp9, s5
	s_ashr_i32 s7, s34, 31
	s_lshl_b32 s6, s40, 10
	s_add_nc_u64 s[4:5], s[16:17], s[8:9]
	v_lshl_or_b32 v0, v0, 2, s6
	s_lshr_b32 s6, s7, 30
	s_lshr_b32 s7, s43, 30
	s_add_co_i32 s6, s34, s6
	s_add_co_i32 s7, s35, s7
	v_mul_lo_u32 v24, s10, v0
	s_and_b32 s6, s6, -4
	s_and_b32 s70, s7, -4
	s_sub_co_i32 s71, s34, s6
	v_dual_ashrrev_i32 v1, 31, v0 :: v_dual_add_nc_u32 v2, 4, v0
	s_cmp_gt_i32 s70, 0
	s_mul_u64 s[16:17], s[42:43], s[38:39]
	s_cselect_b32 s72, -1, 0
	s_cmp_gt_i32 s71, 0
	v_lshl_add_u64 v[30:31], v[0:1], 3, s[4:5]
	s_delay_alu instid0(VALU_DEP_3) | instskip(SKIP_3) | instid1(VALU_DEP_2)
	v_dual_add_nc_u32 v26, s10, v24 :: v_dual_ashrrev_i32 v25, 31, v24
	v_add_nc_u32_e32 v3, s71, v0
	s_cselect_b32 s73, -1, 0
	s_lshl_b32 s30, s36, 1
	v_add_nc_u32_e32 v28, s10, v26
	v_cmp_ge_i32_e64 s4, s34, v2
	v_cmp_ge_i32_e64 s5, s34, v3
	s_lshl_b64 s[22:23], s[40:41], 3
	v_dual_ashrrev_i32 v27, 31, v26 :: v_dual_add_nc_u32 v32, s10, v28
	v_dual_mov_b32 v0, 0 :: v_dual_ashrrev_i32 v29, 31, v28
	s_mov_b64 s[50:51], s[30:31]
	s_mul_i32 s30, s36, 3
	s_delay_alu instid0(VALU_DEP_2)
	v_ashrrev_i32_e32 v33, 31, v32
	s_lshl_b64 s[42:43], s[16:17], 3
	s_lshl_b64 s[44:45], s[38:39], 3
	s_add_nc_u64 s[46:47], s[26:27], s[22:23]
	s_lshl_b32 s48, s36, 2
	s_mov_b32 s49, s31
	s_mov_b64 s[52:53], s[30:31]
	s_lshl_b64 s[54:55], s[20:21], 3
	s_branch .LBB70_3
.LBB70_2:                               ;   in Loop: Header=BB70_3 Depth=1
	s_add_co_i32 s28, s28, 0x10000
	s_delay_alu instid0(SALU_CYCLE_1)
	s_cmp_lt_u32 s28, s11
	s_cbranch_scc0 .LBB70_61
.LBB70_3:                               ; =>This Loop Header: Depth=1
                                        ;     Child Loop BB70_6 Depth 2
                                        ;     Child Loop BB70_12 Depth 2
                                        ;       Child Loop BB70_18 Depth 3
                                        ;       Child Loop BB70_21 Depth 3
	;; [unrolled: 1-line block ×3, first 2 shown]
                                        ;     Child Loop BB70_40 Depth 2
                                        ;       Child Loop BB70_53 Depth 3
                                        ;       Child Loop BB70_56 Depth 3
	s_mov_b32 s29, s31
	s_delay_alu instid0(SALU_CYCLE_1) | instskip(NEXT) | instid1(SALU_CYCLE_1)
	s_mul_u64 s[6:7], s[14:15], s[28:29]
	s_lshl_b64 s[6:7], s[6:7], 3
	s_delay_alu instid0(SALU_CYCLE_1)
	s_add_nc_u64 s[6:7], s[12:13], s[6:7]
	global_load_b64 v[36:37], v0, s[6:7]
	s_wait_xcnt 0x0
	s_mov_b32 s6, -1
	s_wait_loadcnt 0x0
	v_cmp_neq_f64_e32 vcc_lo, 0, v[36:37]
	s_cbranch_vccnz .LBB70_8
; %bb.4:                                ;   in Loop: Header=BB70_3 Depth=1
	s_and_saveexec_b32 s8, s33
	s_cbranch_execz .LBB70_7
; %bb.5:                                ;   in Loop: Header=BB70_3 Depth=1
	s_mul_u64 s[6:7], s[42:43], s[28:29]
	s_mov_b32 s9, s35
	s_add_nc_u64 s[6:7], s[46:47], s[6:7]
.LBB70_6:                               ;   Parent Loop BB70_3 Depth=1
                                        ; =>  This Inner Loop Header: Depth=2
	s_add_co_i32 s9, s9, -1
	global_store_b64 v0, v[34:35], s[6:7]
	s_cmp_eq_u32 s9, 0
	s_wait_xcnt 0x0
	s_add_nc_u64 s[6:7], s[6:7], s[44:45]
	s_cbranch_scc0 .LBB70_6
.LBB70_7:                               ;   in Loop: Header=BB70_3 Depth=1
	s_or_b32 exec_lo, exec_lo, s8
	s_mov_b32 s6, 0
.LBB70_8:                               ;   in Loop: Header=BB70_3 Depth=1
	s_delay_alu instid0(SALU_CYCLE_1)
	s_and_not1_b32 vcc_lo, exec_lo, s6
	s_cbranch_vccnz .LBB70_2
; %bb.9:                                ;   in Loop: Header=BB70_3 Depth=1
	s_mul_u64 s[6:7], s[24:25], s[28:29]
	s_mul_u64 s[8:9], s[54:55], s[28:29]
	s_lshl_b64 s[6:7], s[6:7], 3
	s_mul_u64 s[58:59], s[20:21], s[28:29]
	s_add_nc_u64 s[56:57], s[18:19], s[6:7]
	v_add_nc_u64_e32 v[48:49], s[8:9], v[30:31]
	s_mul_u64 s[60:61], s[16:17], s[28:29]
	v_lshl_add_u64 v[38:39], s[58:59], 3, v[30:31]
	v_lshl_add_u64 v[40:41], v[24:25], 3, s[56:57]
	;; [unrolled: 1-line block ×5, first 2 shown]
	v_cmp_gt_u32_e64 s9, 24, v52
	v_cmp_gt_u32_e64 s8, 28, v52
	;; [unrolled: 1-line block ×3, first 2 shown]
	v_cmp_ne_u32_e64 s6, 31, v52
	s_lshl_b64 s[58:59], s[60:61], 3
	s_and_not1_b32 vcc_lo, exec_lo, s72
	s_add_nc_u64 s[58:59], s[26:27], s[58:59]
	s_cbranch_vccnz .LBB70_36
; %bb.10:                               ;   in Loop: Header=BB70_3 Depth=1
	v_cndmask_b32_e64 v1, 0, 8, s9
	v_cndmask_b32_e64 v8, 0, 4, s8
	;; [unrolled: 1-line block ×3, first 2 shown]
	v_add_co_ci_u32_e64 v10, null, 0, v52, s6
	v_dual_mov_b32 v5, v0 :: v_dual_mov_b32 v6, v0
	s_delay_alu instid0(VALU_DEP_2)
	v_dual_mov_b32 v7, v0 :: v_dual_lshlrev_b32 v57, 2, v10
	v_add_lshl_u32 v54, v1, v52, 2
	s_wait_dscnt 0x0
	v_dual_mov_b32 v1, v0 :: v_dual_mov_b32 v2, v0
	v_dual_mov_b32 v3, v0 :: v_dual_mov_b32 v4, v0
	v_add_lshl_u32 v55, v8, v52, 2
	v_add_lshl_u32 v56, v9, v52, 2
	v_mov_b64_e32 v[14:15], v[6:7]
	s_delay_alu instid0(VALU_DEP_4)
	v_mov_b64_e32 v[10:11], v[2:3]
	v_mov_b64_e32 v[12:13], v[4:5]
	;; [unrolled: 1-line block ×3, first 2 shown]
	s_mov_b32 s60, 0
	s_mov_b64 s[62:63], s[52:53]
	s_mov_b64 s[64:65], s[50:51]
	;; [unrolled: 1-line block ×3, first 2 shown]
	s_mov_b32 s30, s60
	s_branch .LBB70_12
.LBB70_11:                              ;   in Loop: Header=BB70_12 Depth=2
	s_wait_xcnt 0x0
	s_or_b32 exec_lo, exec_lo, s6
	s_add_co_i32 s30, s30, 4
	s_add_co_i32 s60, s60, s48
	s_add_nc_u64 s[66:67], s[66:67], s[48:49]
	s_add_nc_u64 s[64:65], s[64:65], s[48:49]
	s_cmp_ge_i32 s30, s70
	s_add_nc_u64 s[62:63], s[62:63], s[48:49]
	s_cbranch_scc1 .LBB70_37
.LBB70_12:                              ;   Parent Loop BB70_3 Depth=1
                                        ; =>  This Loop Header: Depth=2
                                        ;       Child Loop BB70_18 Depth 3
                                        ;       Child Loop BB70_21 Depth 3
                                        ;       Child Loop BB70_26 Depth 3
                                        ; implicit-def: $vgpr16_vgpr17_vgpr18_vgpr19_vgpr20_vgpr21_vgpr22_vgpr23
	s_and_saveexec_b32 s6, s4
	s_delay_alu instid0(SALU_CYCLE_1)
	s_xor_b32 s6, exec_lo, s6
	s_cbranch_execz .LBB70_14
; %bb.13:                               ;   in Loop: Header=BB70_12 Depth=2
	s_mul_i32 s8, s30, s36
	s_delay_alu instid0(SALU_CYCLE_1)
	s_ashr_i32 s9, s8, 31
	s_add_co_i32 s68, s8, s36
	v_lshl_add_u64 v[6:7], s[8:9], 3, v[38:39]
	s_ashr_i32 s69, s68, 31
	s_add_co_i32 s8, s68, s36
	v_lshl_add_u64 v[14:15], s[68:69], 3, v[38:39]
	s_add_co_i32 s68, s8, s36
	s_ashr_i32 s9, s8, 31
	s_ashr_i32 s69, s68, 31
	v_lshl_add_u64 v[16:17], s[8:9], 3, v[38:39]
	v_lshl_add_u64 v[18:19], s[68:69], 3, v[38:39]
	global_load_b64 v[8:9], v[40:41], off
	s_clause 0x3
	global_load_b128 v[2:5], v[6:7], off
	global_load_b128 v[58:61], v[14:15], off
	global_load_b128 v[62:65], v[16:17], off
	global_load_b128 v[66:69], v[18:19], off
	global_load_b64 v[10:11], v[42:43], off
	global_load_b128 v[70:73], v[6:7], off offset:16
	global_load_b64 v[12:13], v[44:45], off
	s_clause 0x2
	global_load_b128 v[74:77], v[14:15], off offset:16
	global_load_b128 v[78:81], v[16:17], off offset:16
	;; [unrolled: 1-line block ×3, first 2 shown]
	global_load_b64 v[14:15], v[46:47], off
	s_wait_loadcnt 0xa
	s_wait_xcnt 0x2
	v_fma_f64 v[16:17], v[8:9], v[2:3], 0
	s_wait_loadcnt 0x9
	s_wait_xcnt 0x1
	v_fma_f64 v[18:19], v[8:9], v[58:59], 0
	s_wait_loadcnt 0x8
	v_fma_f64 v[20:21], v[8:9], v[62:63], 0
	s_wait_loadcnt 0x7
	;; [unrolled: 2-line block ×3, first 2 shown]
	s_delay_alu instid0(VALU_DEP_4) | instskip(NEXT) | instid1(VALU_DEP_4)
	v_fmac_f64_e32 v[16:17], v[10:11], v[4:5]
	v_fmac_f64_e32 v[18:19], v[10:11], v[60:61]
	s_delay_alu instid0(VALU_DEP_4) | instskip(NEXT) | instid1(VALU_DEP_4)
	v_fmac_f64_e32 v[20:21], v[10:11], v[64:65]
	v_fmac_f64_e32 v[22:23], v[10:11], v[68:69]
	s_wait_loadcnt 0x4
	s_delay_alu instid0(VALU_DEP_4) | instskip(SKIP_1) | instid1(VALU_DEP_4)
	v_fmac_f64_e32 v[16:17], v[12:13], v[70:71]
	s_wait_loadcnt 0x3
	v_fmac_f64_e32 v[18:19], v[12:13], v[74:75]
	s_wait_loadcnt 0x2
	s_delay_alu instid0(VALU_DEP_4) | instskip(SKIP_1) | instid1(VALU_DEP_4)
	v_fmac_f64_e32 v[20:21], v[12:13], v[78:79]
	s_wait_loadcnt 0x1
	v_fmac_f64_e32 v[22:23], v[12:13], v[82:83]
	s_wait_loadcnt 0x0
	s_delay_alu instid0(VALU_DEP_4) | instskip(NEXT) | instid1(VALU_DEP_4)
	v_fmac_f64_e32 v[16:17], v[14:15], v[72:73]
	v_fmac_f64_e32 v[18:19], v[14:15], v[76:77]
	s_delay_alu instid0(VALU_DEP_4) | instskip(NEXT) | instid1(VALU_DEP_4)
	v_fmac_f64_e32 v[20:21], v[14:15], v[80:81]
	v_fmac_f64_e32 v[22:23], v[14:15], v[84:85]
.LBB70_14:                              ;   in Loop: Header=BB70_12 Depth=2
	s_wait_xcnt 0x0
	s_and_not1_saveexec_b32 s29, s6
	s_cbranch_execz .LBB70_24
; %bb.15:                               ;   in Loop: Header=BB70_12 Depth=2
	v_dual_mov_b32 v5, v0 :: v_dual_mov_b32 v6, v0
	v_dual_mov_b32 v7, v0 :: v_dual_mov_b32 v1, v0
	;; [unrolled: 1-line block ×3, first 2 shown]
	v_mov_b32_e32 v4, v0
	s_delay_alu instid0(VALU_DEP_3) | instskip(NEXT) | instid1(VALU_DEP_4)
	v_mov_b64_e32 v[22:23], v[6:7]
	v_mov_b64_e32 v[16:17], v[0:1]
	s_delay_alu instid0(VALU_DEP_4) | instskip(NEXT) | instid1(VALU_DEP_4)
	v_mov_b64_e32 v[18:19], v[2:3]
	v_mov_b64_e32 v[20:21], v[4:5]
	s_and_saveexec_b32 s34, s5
	s_cbranch_execz .LBB70_23
; %bb.16:                               ;   in Loop: Header=BB70_12 Depth=2
	s_and_not1_b32 vcc_lo, exec_lo, s73
	s_cbranch_vccnz .LBB70_19
; %bb.17:                               ;   in Loop: Header=BB70_12 Depth=2
	v_mov_b32_e32 v1, v24
	s_mov_b64 s[68:69], 0
.LBB70_18:                              ;   Parent Loop BB70_3 Depth=1
                                        ;     Parent Loop BB70_12 Depth=2
                                        ; =>    This Inner Loop Header: Depth=3
	global_load_b64 v[2:3], v1, s[56:57] scale_offset
	s_cmp_eq_u32 s68, 3
	s_cselect_b32 vcc_lo, -1, 0
	s_cmp_eq_u32 s68, 2
	s_wait_xcnt 0x0
	v_add_nc_u32_e32 v1, s10, v1
	s_cselect_b32 s6, -1, 0
	s_cmp_eq_u32 s68, 1
	s_cselect_b32 s7, -1, 0
	s_cmp_eq_u32 s68, 0
	s_add_nc_u64 s[68:69], s[68:69], 1
	s_cselect_b32 s8, -1, 0
	s_cmp_eq_u32 s71, s68
	s_wait_loadcnt 0x0
	v_dual_cndmask_b32 v15, v15, v3 :: v_dual_cndmask_b32 v14, v14, v2
	v_dual_cndmask_b32 v13, v13, v3, s6 :: v_dual_cndmask_b32 v12, v12, v2, s6
	v_dual_cndmask_b32 v11, v11, v3, s7 :: v_dual_cndmask_b32 v10, v10, v2, s7
	;; [unrolled: 1-line block ×3, first 2 shown]
	s_cbranch_scc0 .LBB70_18
.LBB70_19:                              ;   in Loop: Header=BB70_12 Depth=2
	s_and_not1_b32 vcc_lo, exec_lo, s73
	s_cbranch_vccnz .LBB70_22
; %bb.20:                               ;   in Loop: Header=BB70_12 Depth=2
	s_ashr_i32 s61, s60, 31
	v_mov_b64_e32 v[16:17], 0
	v_mov_b64_e32 v[18:19], 0
	v_mov_b64_e32 v[20:21], 0
	v_mov_b64_e32 v[22:23], 0
	v_lshl_add_u64 v[2:3], s[60:61], 3, v[48:49]
	s_mov_b64 s[8:9], 0
.LBB70_21:                              ;   Parent Loop BB70_3 Depth=1
                                        ;     Parent Loop BB70_12 Depth=2
                                        ; =>    This Inner Loop Header: Depth=3
	s_delay_alu instid0(SALU_CYCLE_1)
	s_cmp_eq_u32 s8, 1
	s_cselect_b32 vcc_lo, -1, 0
	s_cmp_eq_u32 s8, 2
	v_dual_cndmask_b32 v1, v9, v11 :: v_dual_cndmask_b32 v62, v8, v10
	s_cselect_b32 s6, -1, 0
	s_cmp_eq_u32 s8, 3
	s_cselect_b32 s7, -1, 0
	s_add_co_i32 s68, s66, s8
	s_add_co_i32 s74, s64, s8
	;; [unrolled: 1-line block ×3, first 2 shown]
	s_ashr_i32 s69, s68, 31
	s_ashr_i32 s75, s74, 31
	s_ashr_i32 s77, s76, 31
	s_wait_xcnt 0x2
	v_lshl_add_u64 v[4:5], s[68:69], 3, v[38:39]
	s_wait_xcnt 0x1
	v_lshl_add_u64 v[6:7], s[74:75], 3, v[38:39]
	;; [unrolled: 2-line block ×3, first 2 shown]
	global_load_b64 v[60:61], v[2:3], off
	s_clause 0x2
	global_load_b64 v[4:5], v[4:5], off
	global_load_b64 v[6:7], v[6:7], off
	;; [unrolled: 1-line block ×3, first 2 shown]
	v_dual_cndmask_b32 v1, v1, v13, s6 :: v_dual_cndmask_b32 v62, v62, v12, s6
	s_wait_xcnt 0x3
	v_add_nc_u64_e32 v[2:3], 8, v[2:3]
	s_add_nc_u64 s[8:9], s[8:9], 1
	s_delay_alu instid0(VALU_DEP_2) | instskip(SKIP_2) | instid1(VALU_DEP_1)
	v_dual_cndmask_b32 v63, v1, v15, s7 :: v_dual_cndmask_b32 v62, v62, v14, s7
	s_cmp_lg_u32 s71, s8
	s_wait_loadcnt 0x3
	v_fmac_f64_e32 v[16:17], v[62:63], v[60:61]
	s_wait_loadcnt 0x2
	v_fmac_f64_e32 v[18:19], v[62:63], v[4:5]
	;; [unrolled: 2-line block ×4, first 2 shown]
	s_cbranch_scc1 .LBB70_21
	s_branch .LBB70_23
.LBB70_22:                              ;   in Loop: Header=BB70_12 Depth=2
	v_dual_mov_b32 v5, v0 :: v_dual_mov_b32 v6, v0
	v_dual_mov_b32 v7, v0 :: v_dual_mov_b32 v1, v0
	;; [unrolled: 1-line block ×3, first 2 shown]
	v_mov_b32_e32 v4, v0
	s_delay_alu instid0(VALU_DEP_3) | instskip(NEXT) | instid1(VALU_DEP_4)
	v_mov_b64_e32 v[22:23], v[6:7]
	v_mov_b64_e32 v[16:17], v[0:1]
	s_delay_alu instid0(VALU_DEP_4) | instskip(NEXT) | instid1(VALU_DEP_4)
	v_mov_b64_e32 v[18:19], v[2:3]
	v_mov_b64_e32 v[20:21], v[4:5]
.LBB70_23:                              ;   in Loop: Header=BB70_12 Depth=2
	s_wait_xcnt 0x0
	s_or_b32 exec_lo, exec_lo, s34
.LBB70_24:                              ;   in Loop: Header=BB70_12 Depth=2
	s_delay_alu instid0(SALU_CYCLE_1)
	s_or_b32 exec_lo, exec_lo, s29
	s_mov_b64 s[6:7], 0
	s_branch .LBB70_26
.LBB70_25:                              ;   in Loop: Header=BB70_26 Depth=3
	s_or_b32 exec_lo, exec_lo, s8
	s_cmp_eq_u32 s6, 3
	s_cselect_b32 vcc_lo, -1, 0
	s_cmp_eq_u32 s6, 2
	s_wait_dscnt 0x0
	s_delay_alu instid0(VALU_DEP_1)
	v_dual_cndmask_b32 v23, v23, v3 :: v_dual_cndmask_b32 v22, v22, v2
	s_cselect_b32 vcc_lo, -1, 0
	s_cmp_eq_u32 s6, 1
	v_dual_cndmask_b32 v21, v21, v3 :: v_dual_cndmask_b32 v20, v20, v2
	s_cselect_b32 vcc_lo, -1, 0
	s_cmp_eq_u32 s6, 0
	v_dual_cndmask_b32 v19, v19, v3 :: v_dual_cndmask_b32 v18, v18, v2
	s_cselect_b32 vcc_lo, -1, 0
	s_add_nc_u64 s[6:7], s[6:7], 1
	v_dual_cndmask_b32 v17, v17, v3 :: v_dual_cndmask_b32 v16, v16, v2
	s_cmp_eq_u32 s6, 4
	s_cbranch_scc1 .LBB70_34
.LBB70_26:                              ;   Parent Loop BB70_3 Depth=1
                                        ;     Parent Loop BB70_12 Depth=2
                                        ; =>    This Inner Loop Header: Depth=3
	s_and_saveexec_b32 s8, s1
; %bb.27:                               ;   in Loop: Header=BB70_26 Depth=3
	ds_store_b64 v50, v[34:35]
; %bb.28:                               ;   in Loop: Header=BB70_26 Depth=3
	s_or_b32 exec_lo, exec_lo, s8
	s_cmp_eq_u32 s6, 1
	s_wait_storecnt_dscnt 0x0
	s_cselect_b32 vcc_lo, -1, 0
	s_cmp_eq_u32 s6, 2
	v_dual_cndmask_b32 v1, v17, v19 :: v_dual_cndmask_b32 v2, v16, v18
	s_cselect_b32 vcc_lo, -1, 0
	s_cmp_eq_u32 s6, 3
	s_barrier_signal -1
	s_delay_alu instid0(VALU_DEP_1) | instskip(SKIP_2) | instid1(VALU_DEP_1)
	v_dual_cndmask_b32 v1, v1, v21 :: v_dual_cndmask_b32 v2, v2, v20
	s_cselect_b32 vcc_lo, -1, 0
	s_barrier_wait -1
	v_dual_cndmask_b32 v3, v1, v23 :: v_dual_cndmask_b32 v2, v2, v22
	ds_bpermute_b32 v5, v53, v3
	ds_bpermute_b32 v4, v53, v2
	s_wait_dscnt 0x0
	v_add_f64_e32 v[2:3], v[2:3], v[4:5]
	ds_bpermute_b32 v4, v54, v2
	ds_bpermute_b32 v5, v54, v3
	s_wait_dscnt 0x0
	v_add_f64_e32 v[2:3], v[2:3], v[4:5]
	;; [unrolled: 4-line block ×4, first 2 shown]
	ds_bpermute_b32 v4, v57, v2
	ds_bpermute_b32 v5, v57, v3
	s_and_saveexec_b32 s8, s3
	s_cbranch_execz .LBB70_30
; %bb.29:                               ;   in Loop: Header=BB70_26 Depth=3
	s_wait_dscnt 0x0
	v_add_f64_e32 v[2:3], v[2:3], v[4:5]
	ds_store_b64 v51, v[2:3]
.LBB70_30:                              ;   in Loop: Header=BB70_26 Depth=3
	s_or_b32 exec_lo, exec_lo, s8
	v_mov_b64_e32 v[2:3], 0
	s_wait_dscnt 0x0
	s_barrier_signal -1
	s_barrier_wait -1
	s_and_saveexec_b32 s8, s2
; %bb.31:                               ;   in Loop: Header=BB70_26 Depth=3
	ds_load_b64 v[2:3], v50
; %bb.32:                               ;   in Loop: Header=BB70_26 Depth=3
	s_or_b32 exec_lo, exec_lo, s8
	s_and_saveexec_b32 s8, s1
	s_cbranch_execz .LBB70_25
; %bb.33:                               ;   in Loop: Header=BB70_26 Depth=3
	s_wait_dscnt 0x0
	ds_bpermute_b32 v4, v55, v2
	ds_bpermute_b32 v5, v55, v3
	s_wait_dscnt 0x0
	v_add_f64_e32 v[2:3], v[2:3], v[4:5]
	ds_bpermute_b32 v4, v56, v2
	ds_bpermute_b32 v5, v56, v3
	s_wait_dscnt 0x0
	v_add_f64_e32 v[2:3], v[2:3], v[4:5]
	;; [unrolled: 4-line block ×3, first 2 shown]
	s_branch .LBB70_25
.LBB70_34:                              ;   in Loop: Header=BB70_12 Depth=2
	s_and_saveexec_b32 s6, s0
	s_cbranch_execz .LBB70_11
; %bb.35:                               ;   in Loop: Header=BB70_12 Depth=2
	s_mul_i32 s7, s30, s38
	s_delay_alu instid0(SALU_CYCLE_1) | instskip(NEXT) | instid1(SALU_CYCLE_1)
	s_add_co_i32 s7, s7, s40
	v_dual_mul_f64 v[2:3], v[36:37], v[16:17] :: v_dual_mov_b32 v1, s7
	s_add_co_i32 s8, s7, s38
	s_delay_alu instid0(SALU_CYCLE_1) | instskip(SKIP_1) | instid1(SALU_CYCLE_1)
	v_dual_mul_f64 v[4:5], v[36:37], v[18:19] :: v_dual_mov_b32 v18, s8
	s_add_co_i32 s7, s8, s38
	v_dual_mul_f64 v[6:7], v[36:37], v[20:21] :: v_dual_mov_b32 v19, s7
	s_add_co_i32 s8, s7, s38
	s_delay_alu instid0(SALU_CYCLE_1)
	v_dual_mul_f64 v[16:17], v[36:37], v[22:23] :: v_dual_mov_b32 v20, s8
	s_clause 0x3
	global_store_b64 v1, v[2:3], s[58:59] scale_offset
	global_store_b64 v18, v[4:5], s[58:59] scale_offset
	;; [unrolled: 1-line block ×4, first 2 shown]
	s_branch .LBB70_11
.LBB70_36:                              ;   in Loop: Header=BB70_3 Depth=1
	v_dual_mov_b32 v5, v0 :: v_dual_mov_b32 v6, v0
	v_dual_mov_b32 v7, v0 :: v_dual_mov_b32 v1, v0
	s_wait_dscnt 0x0
	v_dual_mov_b32 v2, v0 :: v_dual_mov_b32 v3, v0
	v_mov_b32_e32 v4, v0
	s_delay_alu instid0(VALU_DEP_3)
	v_mov_b64_e32 v[14:15], v[6:7]
	v_mov_b64_e32 v[8:9], v[0:1]
	s_mov_b32 s30, 0
	v_mov_b64_e32 v[10:11], v[2:3]
	v_mov_b64_e32 v[12:13], v[4:5]
.LBB70_37:                              ;   in Loop: Header=BB70_3 Depth=1
	s_cmp_ge_i32 s30, s35
	s_cbranch_scc1 .LBB70_2
; %bb.38:                               ;   in Loop: Header=BB70_3 Depth=1
	v_cmp_gt_u32_e32 vcc_lo, 24, v52
	s_add_nc_u64 s[58:59], s[58:59], s[22:23]
	s_mul_i32 s60, s36, s30
	v_cndmask_b32_e64 v1, 0, 8, vcc_lo
	v_cmp_gt_u32_e32 vcc_lo, 28, v52
	s_delay_alu instid0(VALU_DEP_2) | instskip(SKIP_2) | instid1(VALU_DEP_2)
	v_add_lshl_u32 v1, v1, v52, 2
	v_cndmask_b32_e64 v2, 0, 4, vcc_lo
	v_cmp_gt_u32_e32 vcc_lo, 30, v52
	v_add_lshl_u32 v6, v2, v52, 2
	v_cndmask_b32_e64 v3, 0, 2, vcc_lo
	v_cmp_ne_u32_e32 vcc_lo, 31, v52
	s_delay_alu instid0(VALU_DEP_2) | instskip(SKIP_1) | instid1(VALU_DEP_1)
	v_add_lshl_u32 v7, v3, v52, 2
	v_add_co_ci_u32_e64 v4, null, 0, v52, vcc_lo
	v_lshlrev_b32_e32 v16, 2, v4
	s_branch .LBB70_40
.LBB70_39:                              ;   in Loop: Header=BB70_40 Depth=2
	s_wait_xcnt 0x0
	s_or_b32 exec_lo, exec_lo, s6
	s_add_co_i32 s30, s30, 1
	s_add_co_i32 s60, s60, s36
	s_cmp_ge_i32 s30, s35
	s_cbranch_scc1 .LBB70_2
.LBB70_40:                              ;   Parent Loop BB70_3 Depth=1
                                        ; =>  This Loop Header: Depth=2
                                        ;       Child Loop BB70_53 Depth 3
                                        ;       Child Loop BB70_56 Depth 3
	s_wait_dscnt 0x0
	v_dual_mov_b32 v2, s31 :: v_dual_mov_b32 v3, s31
	s_and_saveexec_b32 s6, s4
	s_delay_alu instid0(SALU_CYCLE_1)
	s_xor_b32 s6, exec_lo, s6
	s_cbranch_execnz .LBB70_49
; %bb.41:                               ;   in Loop: Header=BB70_40 Depth=2
	s_and_not1_saveexec_b32 s9, s6
	s_cbranch_execnz .LBB70_50
.LBB70_42:                              ;   in Loop: Header=BB70_40 Depth=2
	s_or_b32 exec_lo, exec_lo, s9
	s_and_saveexec_b32 s6, s1
.LBB70_43:                              ;   in Loop: Header=BB70_40 Depth=2
	ds_store_b64 v50, v[34:35]
.LBB70_44:                              ;   in Loop: Header=BB70_40 Depth=2
	s_or_b32 exec_lo, exec_lo, s6
	ds_bpermute_b32 v4, v53, v2
	ds_bpermute_b32 v5, v53, v3
	s_wait_storecnt_dscnt 0x0
	s_barrier_signal -1
	s_barrier_wait -1
	v_add_f64_e32 v[2:3], v[2:3], v[4:5]
	ds_bpermute_b32 v4, v1, v2
	ds_bpermute_b32 v5, v1, v3
	s_wait_dscnt 0x0
	v_add_f64_e32 v[2:3], v[2:3], v[4:5]
	ds_bpermute_b32 v4, v6, v2
	ds_bpermute_b32 v5, v6, v3
	s_wait_dscnt 0x0
	v_add_f64_e32 v[2:3], v[2:3], v[4:5]
	ds_bpermute_b32 v4, v7, v2
	ds_bpermute_b32 v5, v7, v3
	s_wait_dscnt 0x0
	v_add_f64_e32 v[2:3], v[2:3], v[4:5]
	ds_bpermute_b32 v4, v16, v2
	ds_bpermute_b32 v5, v16, v3
	s_and_saveexec_b32 s6, s3
	s_cbranch_execz .LBB70_46
; %bb.45:                               ;   in Loop: Header=BB70_40 Depth=2
	s_wait_dscnt 0x0
	v_add_f64_e32 v[2:3], v[2:3], v[4:5]
	ds_store_b64 v51, v[2:3]
.LBB70_46:                              ;   in Loop: Header=BB70_40 Depth=2
	s_or_b32 exec_lo, exec_lo, s6
	v_mov_b64_e32 v[2:3], 0
	s_wait_dscnt 0x0
	s_barrier_signal -1
	s_barrier_wait -1
	s_and_saveexec_b32 s6, s2
	s_cbranch_execnz .LBB70_58
; %bb.47:                               ;   in Loop: Header=BB70_40 Depth=2
	s_or_b32 exec_lo, exec_lo, s6
	s_and_saveexec_b32 s6, s1
	s_cbranch_execnz .LBB70_59
.LBB70_48:                              ;   in Loop: Header=BB70_40 Depth=2
	s_or_b32 exec_lo, exec_lo, s6
	s_and_saveexec_b32 s6, s0
	s_cbranch_execz .LBB70_39
	s_branch .LBB70_60
.LBB70_49:                              ;   in Loop: Header=BB70_40 Depth=2
	s_mul_i32 s8, s30, s36
	s_delay_alu instid0(SALU_CYCLE_1) | instskip(NEXT) | instid1(SALU_CYCLE_1)
	s_ashr_i32 s9, s8, 31
	v_lshl_add_u64 v[12:13], s[8:9], 3, v[38:39]
	global_load_b128 v[2:5], v[12:13], off
	s_clause 0x1
	global_load_b64 v[8:9], v[40:41], off
	global_load_b64 v[10:11], v[42:43], off
	global_load_b128 v[18:21], v[12:13], off offset:16
	s_clause 0x1
	global_load_b64 v[12:13], v[44:45], off
	global_load_b64 v[14:15], v[46:47], off
	s_wait_loadcnt 0x4
	v_fma_f64 v[2:3], v[8:9], v[2:3], 0
	s_wait_loadcnt 0x3
	s_delay_alu instid0(VALU_DEP_1) | instskip(SKIP_1) | instid1(VALU_DEP_1)
	v_fmac_f64_e32 v[2:3], v[10:11], v[4:5]
	s_wait_loadcnt 0x1
	v_fmac_f64_e32 v[2:3], v[12:13], v[18:19]
	s_wait_loadcnt 0x0
	s_delay_alu instid0(VALU_DEP_1)
	v_fmac_f64_e32 v[2:3], v[14:15], v[20:21]
	s_wait_xcnt 0x0
	s_and_not1_saveexec_b32 s9, s6
	s_cbranch_execz .LBB70_42
.LBB70_50:                              ;   in Loop: Header=BB70_40 Depth=2
	s_and_saveexec_b32 s29, s5
	s_cbranch_execz .LBB70_57
; %bb.51:                               ;   in Loop: Header=BB70_40 Depth=2
	s_and_not1_b32 vcc_lo, exec_lo, s73
	s_cbranch_vccnz .LBB70_54
; %bb.52:                               ;   in Loop: Header=BB70_40 Depth=2
	v_mov_b32_e32 v4, v24
	s_mov_b64 s[62:63], 0
.LBB70_53:                              ;   Parent Loop BB70_3 Depth=1
                                        ;     Parent Loop BB70_40 Depth=2
                                        ; =>    This Inner Loop Header: Depth=3
	global_load_b64 v[18:19], v4, s[56:57] scale_offset
	s_cmp_eq_u32 s62, 3
	s_cselect_b32 vcc_lo, -1, 0
	s_cmp_eq_u32 s62, 2
	s_wait_xcnt 0x0
	v_add_nc_u32_e32 v4, s10, v4
	s_cselect_b32 s6, -1, 0
	s_cmp_eq_u32 s62, 1
	s_cselect_b32 s7, -1, 0
	s_cmp_eq_u32 s62, 0
	s_add_nc_u64 s[62:63], s[62:63], 1
	s_cselect_b32 s8, -1, 0
	s_cmp_eq_u32 s71, s62
	s_wait_loadcnt 0x0
	v_dual_cndmask_b32 v15, v15, v19 :: v_dual_cndmask_b32 v14, v14, v18
	v_dual_cndmask_b32 v13, v13, v19, s6 :: v_dual_cndmask_b32 v12, v12, v18, s6
	v_dual_cndmask_b32 v11, v11, v19, s7 :: v_dual_cndmask_b32 v10, v10, v18, s7
	;; [unrolled: 1-line block ×3, first 2 shown]
	s_cbranch_scc0 .LBB70_53
.LBB70_54:                              ;   in Loop: Header=BB70_40 Depth=2
	s_and_not1_b32 vcc_lo, exec_lo, s73
	s_cbranch_vccnz .LBB70_57
; %bb.55:                               ;   in Loop: Header=BB70_40 Depth=2
	s_ashr_i32 s61, s60, 31
	s_mov_b64 s[6:7], 0
	v_lshl_add_u64 v[4:5], s[60:61], 3, v[48:49]
.LBB70_56:                              ;   Parent Loop BB70_3 Depth=1
                                        ;     Parent Loop BB70_40 Depth=2
                                        ; =>    This Inner Loop Header: Depth=3
	global_load_b64 v[18:19], v[4:5], off
	s_cmp_eq_u32 s6, 1
	s_wait_xcnt 0x0
	v_add_nc_u64_e32 v[4:5], 8, v[4:5]
	s_cselect_b32 vcc_lo, -1, 0
	s_cmp_eq_u32 s6, 2
	v_dual_cndmask_b32 v17, v9, v11 :: v_dual_cndmask_b32 v20, v8, v10
	s_cselect_b32 vcc_lo, -1, 0
	s_cmp_eq_u32 s6, 3
	s_add_nc_u64 s[6:7], s[6:7], 1
	s_delay_alu instid0(VALU_DEP_1) | instskip(SKIP_2) | instid1(VALU_DEP_1)
	v_dual_cndmask_b32 v17, v17, v13 :: v_dual_cndmask_b32 v20, v20, v12
	s_cselect_b32 vcc_lo, -1, 0
	s_cmp_lg_u32 s71, s6
	v_dual_cndmask_b32 v21, v17, v15 :: v_dual_cndmask_b32 v20, v20, v14
	s_wait_loadcnt 0x0
	s_delay_alu instid0(VALU_DEP_1)
	v_fmac_f64_e32 v[2:3], v[20:21], v[18:19]
	s_cbranch_scc1 .LBB70_56
.LBB70_57:                              ;   in Loop: Header=BB70_40 Depth=2
	s_or_b32 exec_lo, exec_lo, s29
	s_delay_alu instid0(SALU_CYCLE_1)
	s_or_b32 exec_lo, exec_lo, s9
	s_and_saveexec_b32 s6, s1
	s_cbranch_execnz .LBB70_43
	s_branch .LBB70_44
.LBB70_58:                              ;   in Loop: Header=BB70_40 Depth=2
	ds_load_b64 v[2:3], v50
	s_or_b32 exec_lo, exec_lo, s6
	s_and_saveexec_b32 s6, s1
	s_cbranch_execz .LBB70_48
.LBB70_59:                              ;   in Loop: Header=BB70_40 Depth=2
	s_wait_dscnt 0x0
	ds_bpermute_b32 v4, v6, v2
	ds_bpermute_b32 v5, v6, v3
	s_wait_dscnt 0x0
	v_add_f64_e32 v[2:3], v[2:3], v[4:5]
	ds_bpermute_b32 v4, v7, v2
	ds_bpermute_b32 v5, v7, v3
	s_wait_dscnt 0x0
	v_add_f64_e32 v[2:3], v[2:3], v[4:5]
	;; [unrolled: 4-line block ×3, first 2 shown]
	s_or_b32 exec_lo, exec_lo, s6
	s_and_saveexec_b32 s6, s0
	s_cbranch_execz .LBB70_39
.LBB70_60:                              ;   in Loop: Header=BB70_40 Depth=2
	s_wait_dscnt 0x0
	s_delay_alu instid0(VALU_DEP_1) | instskip(SKIP_1) | instid1(SALU_CYCLE_1)
	v_mul_f64_e32 v[2:3], v[36:37], v[2:3]
	s_mul_u64 s[8:9], s[30:31], s[38:39]
	s_lshl_b64 s[8:9], s[8:9], 3
	s_delay_alu instid0(SALU_CYCLE_1)
	s_add_nc_u64 s[8:9], s[58:59], s[8:9]
	global_store_b64 v0, v[2:3], s[8:9]
	s_branch .LBB70_39
.LBB70_61:
	s_sendmsg sendmsg(MSG_DEALLOC_VGPRS)
	s_endpgm
	.section	.rodata,"a",@progbits
	.p2align	6, 0x0
	.amdhsa_kernel _ZL23rocblas_gemvt_sn_kernelILb0ELi256ELi4EidPKddEviiT4_lPKT3_lilS5_lilPT5_i
		.amdhsa_group_segment_fixed_size 256
		.amdhsa_private_segment_fixed_size 0
		.amdhsa_kernarg_size 360
		.amdhsa_user_sgpr_count 2
		.amdhsa_user_sgpr_dispatch_ptr 0
		.amdhsa_user_sgpr_queue_ptr 0
		.amdhsa_user_sgpr_kernarg_segment_ptr 1
		.amdhsa_user_sgpr_dispatch_id 0
		.amdhsa_user_sgpr_kernarg_preload_length 0
		.amdhsa_user_sgpr_kernarg_preload_offset 0
		.amdhsa_user_sgpr_private_segment_size 0
		.amdhsa_wavefront_size32 1
		.amdhsa_uses_dynamic_stack 0
		.amdhsa_enable_private_segment 0
		.amdhsa_system_sgpr_workgroup_id_x 1
		.amdhsa_system_sgpr_workgroup_id_y 0
		.amdhsa_system_sgpr_workgroup_id_z 1
		.amdhsa_system_sgpr_workgroup_info 0
		.amdhsa_system_vgpr_workitem_id 0
		.amdhsa_next_free_vgpr 86
		.amdhsa_next_free_sgpr 78
		.amdhsa_named_barrier_count 0
		.amdhsa_reserve_vcc 1
		.amdhsa_float_round_mode_32 0
		.amdhsa_float_round_mode_16_64 0
		.amdhsa_float_denorm_mode_32 3
		.amdhsa_float_denorm_mode_16_64 3
		.amdhsa_fp16_overflow 0
		.amdhsa_memory_ordered 1
		.amdhsa_forward_progress 1
		.amdhsa_inst_pref_size 28
		.amdhsa_round_robin_scheduling 0
		.amdhsa_exception_fp_ieee_invalid_op 0
		.amdhsa_exception_fp_denorm_src 0
		.amdhsa_exception_fp_ieee_div_zero 0
		.amdhsa_exception_fp_ieee_overflow 0
		.amdhsa_exception_fp_ieee_underflow 0
		.amdhsa_exception_fp_ieee_inexact 0
		.amdhsa_exception_int_div_zero 0
	.end_amdhsa_kernel
	.section	.text._ZL23rocblas_gemvt_sn_kernelILb0ELi256ELi4EidPKddEviiT4_lPKT3_lilS5_lilPT5_i,"axG",@progbits,_ZL23rocblas_gemvt_sn_kernelILb0ELi256ELi4EidPKddEviiT4_lPKT3_lilS5_lilPT5_i,comdat
.Lfunc_end70:
	.size	_ZL23rocblas_gemvt_sn_kernelILb0ELi256ELi4EidPKddEviiT4_lPKT3_lilS5_lilPT5_i, .Lfunc_end70-_ZL23rocblas_gemvt_sn_kernelILb0ELi256ELi4EidPKddEviiT4_lPKT3_lilS5_lilPT5_i
                                        ; -- End function
	.set _ZL23rocblas_gemvt_sn_kernelILb0ELi256ELi4EidPKddEviiT4_lPKT3_lilS5_lilPT5_i.num_vgpr, 86
	.set _ZL23rocblas_gemvt_sn_kernelILb0ELi256ELi4EidPKddEviiT4_lPKT3_lilS5_lilPT5_i.num_agpr, 0
	.set _ZL23rocblas_gemvt_sn_kernelILb0ELi256ELi4EidPKddEviiT4_lPKT3_lilS5_lilPT5_i.numbered_sgpr, 78
	.set _ZL23rocblas_gemvt_sn_kernelILb0ELi256ELi4EidPKddEviiT4_lPKT3_lilS5_lilPT5_i.num_named_barrier, 0
	.set _ZL23rocblas_gemvt_sn_kernelILb0ELi256ELi4EidPKddEviiT4_lPKT3_lilS5_lilPT5_i.private_seg_size, 0
	.set _ZL23rocblas_gemvt_sn_kernelILb0ELi256ELi4EidPKddEviiT4_lPKT3_lilS5_lilPT5_i.uses_vcc, 1
	.set _ZL23rocblas_gemvt_sn_kernelILb0ELi256ELi4EidPKddEviiT4_lPKT3_lilS5_lilPT5_i.uses_flat_scratch, 0
	.set _ZL23rocblas_gemvt_sn_kernelILb0ELi256ELi4EidPKddEviiT4_lPKT3_lilS5_lilPT5_i.has_dyn_sized_stack, 0
	.set _ZL23rocblas_gemvt_sn_kernelILb0ELi256ELi4EidPKddEviiT4_lPKT3_lilS5_lilPT5_i.has_recursion, 0
	.set _ZL23rocblas_gemvt_sn_kernelILb0ELi256ELi4EidPKddEviiT4_lPKT3_lilS5_lilPT5_i.has_indirect_call, 0
	.section	.AMDGPU.csdata,"",@progbits
; Kernel info:
; codeLenInByte = 3504
; TotalNumSgprs: 80
; NumVgprs: 86
; ScratchSize: 0
; MemoryBound: 1
; FloatMode: 240
; IeeeMode: 1
; LDSByteSize: 256 bytes/workgroup (compile time only)
; SGPRBlocks: 0
; VGPRBlocks: 5
; NumSGPRsForWavesPerEU: 80
; NumVGPRsForWavesPerEU: 86
; NamedBarCnt: 0
; Occupancy: 10
; WaveLimiterHint : 0
; COMPUTE_PGM_RSRC2:SCRATCH_EN: 0
; COMPUTE_PGM_RSRC2:USER_SGPR: 2
; COMPUTE_PGM_RSRC2:TRAP_HANDLER: 0
; COMPUTE_PGM_RSRC2:TGID_X_EN: 1
; COMPUTE_PGM_RSRC2:TGID_Y_EN: 0
; COMPUTE_PGM_RSRC2:TGID_Z_EN: 1
; COMPUTE_PGM_RSRC2:TIDIG_COMP_CNT: 0
	.section	.text._ZL23rocblas_gemvt_sn_kernelILb0ELi256ELi4EldPKddEviiT4_lPKT3_lilS5_lilPT5_i,"axG",@progbits,_ZL23rocblas_gemvt_sn_kernelILb0ELi256ELi4EldPKddEviiT4_lPKT3_lilS5_lilPT5_i,comdat
	.globl	_ZL23rocblas_gemvt_sn_kernelILb0ELi256ELi4EldPKddEviiT4_lPKT3_lilS5_lilPT5_i ; -- Begin function _ZL23rocblas_gemvt_sn_kernelILb0ELi256ELi4EldPKddEviiT4_lPKT3_lilS5_lilPT5_i
	.p2align	8
	.type	_ZL23rocblas_gemvt_sn_kernelILb0ELi256ELi4EldPKddEviiT4_lPKT3_lilS5_lilPT5_i,@function
_ZL23rocblas_gemvt_sn_kernelILb0ELi256ELi4EldPKddEviiT4_lPKT3_lilS5_lilPT5_i: ; @_ZL23rocblas_gemvt_sn_kernelILb0ELi256ELi4EldPKddEviiT4_lPKT3_lilS5_lilPT5_i
; %bb.0:
	s_load_b32 s33, s[0:1], 0x60
	s_bfe_u32 s2, ttmp6, 0x40014
	s_lshr_b32 s4, ttmp7, 16
	s_add_co_i32 s2, s2, 1
	s_bfe_u32 s5, ttmp6, 0x40008
	s_mul_i32 s2, s4, s2
	s_getreg_b32 s3, hwreg(HW_REG_IB_STS2, 6, 4)
	s_add_co_i32 s5, s5, s2
	s_cmp_eq_u32 s3, 0
	s_mov_b32 s29, 0
	s_cselect_b32 s10, s4, s5
	s_wait_kmcnt 0x0
	s_cmp_ge_u32 s10, s33
	s_cbranch_scc1 .LBB71_61
; %bb.1:
	s_clause 0x6
	s_load_b32 s30, s[0:1], 0x28
	s_load_b96 s[4:6], s[0:1], 0x40
	s_load_b256 s[12:19], s[0:1], 0x8
	s_load_b64 s[34:35], s[0:1], 0x0
	s_load_b128 s[20:23], s[0:1], 0x30
	s_load_b128 s[24:27], s[0:1], 0x50
	s_load_b32 s36, s[0:1], 0x68
	s_wait_xcnt 0x0
	v_cmp_eq_u32_e64 s0, 0, v0
	v_dual_lshrrev_b32 v3, 2, v0 :: v_dual_bitop2_b32 v1, 31, v0 bitop3:0x40
	v_cmp_gt_u32_e64 s1, 32, v0
	v_cmp_gt_u32_e64 s2, 8, v0
	s_delay_alu instid0(VALU_DEP_3) | instskip(SKIP_3) | instid1(VALU_DEP_2)
	v_dual_mov_b32 v2, 0 :: v_dual_lshlrev_b32 v55, 3, v1
	v_mbcnt_lo_u32_b32 v54, -1, 0
	v_mov_b64_e32 v[26:27], 0
	s_mov_b32 s37, s29
	v_lshl_or_b32 v57, v54, 2, 64
	s_wait_kmcnt 0x0
	s_ashr_i32 s31, s30, 31
	s_ashr_i32 s7, s6, 31
	s_lshl_b64 s[4:5], s[4:5], 3
	s_lshl_b64 s[8:9], s[18:19], 3
	s_ashr_i32 s39, s35, 31
	s_cmp_gt_i32 s35, 0
	s_mov_b32 s38, s35
	s_cselect_b32 s11, -1, 0
	s_bfe_u32 s18, ttmp6, 0x4000c
	s_and_b32 s19, ttmp6, 15
	s_add_co_i32 s18, s18, 1
	s_and_b32 s64, s0, s11
	s_mul_i32 s18, ttmp9, s18
	s_mul_u64 s[56:57], s[30:31], 24
	s_add_co_i32 s19, s19, s18
	s_cmp_eq_u32 s3, 0
	v_cmp_eq_u32_e64 s3, 0, v1
	s_cselect_b32 s28, ttmp9, s19
	s_add_nc_u64 s[18:19], s[22:23], s[4:5]
	s_lshl_b32 s11, s28, 10
	s_add_nc_u64 s[4:5], s[16:17], s[8:9]
	v_lshl_or_b32 v4, v0, 2, s11
	v_and_b32_e32 v56, 56, v3
	s_ashr_i32 s8, s34, 31
	s_lshr_b32 s9, s39, 30
	s_lshr_b32 s8, s8, 30
	v_dual_add_nc_u32 v3, 4, v4 :: v_dual_bitop2_b32 v10, 3, v4 bitop3:0x54
	v_dual_ashrrev_i32 v5, 31, v4 :: v_dual_bitop2_b32 v6, 1, v4 bitop3:0x54
	s_add_co_i32 s8, s34, s8
	s_delay_alu instid0(VALU_DEP_2) | instskip(NEXT) | instid1(VALU_DEP_2)
	v_dual_ashrrev_i32 v11, 31, v10 :: v_dual_bitop2_b32 v8, 2, v4 bitop3:0x54
	v_mul_u64_e32 v[0:1], s[6:7], v[4:5]
	s_delay_alu instid0(VALU_DEP_3) | instskip(SKIP_1) | instid1(VALU_DEP_3)
	v_ashrrev_i32_e32 v7, 31, v6
	s_and_b32 s8, s8, -4
	v_mul_u64_e32 v[32:33], s[6:7], v[10:11]
	v_ashrrev_i32_e32 v9, 31, v8
	s_add_co_i32 s9, s35, s9
	v_mul_u64_e32 v[28:29], s[6:7], v[6:7]
	s_sub_co_i32 s66, s34, s8
	s_and_b32 s65, s9, -4
	v_mul_u64_e32 v[30:31], s[6:7], v[8:9]
	v_add_nc_u32_e32 v6, s66, v4
	s_cmp_gt_i32 s65, 0
	v_lshl_add_u64 v[34:35], v[4:5], 3, s[4:5]
	s_cselect_b32 s67, -1, 0
	s_cmp_gt_i32 s66, 0
	v_cmp_ge_i32_e64 s4, s34, v3
	v_cmp_ge_i32_e64 s5, s34, v6
	s_mul_u64 s[16:17], s[38:39], s[36:37]
	s_cselect_b32 s68, -1, 0
	s_lshl_b64 s[22:23], s[28:29], 3
	s_lshl_b64 s[38:39], s[16:17], 3
	;; [unrolled: 1-line block ×7, first 2 shown]
	s_add_nc_u64 s[50:51], s[26:27], s[22:23]
	s_lshl_b64 s[52:53], s[30:31], 3
	s_lshl_b64 s[54:55], s[30:31], 4
	v_lshl_add_u64 v[36:37], v[0:1], 3, s[18:19]
	s_branch .LBB71_3
.LBB71_2:                               ;   in Loop: Header=BB71_3 Depth=1
	s_add_co_i32 s10, s10, 0x10000
	s_delay_alu instid0(SALU_CYCLE_1)
	s_cmp_lt_u32 s10, s33
	s_cbranch_scc0 .LBB71_61
.LBB71_3:                               ; =>This Loop Header: Depth=1
                                        ;     Child Loop BB71_6 Depth 2
                                        ;     Child Loop BB71_12 Depth 2
                                        ;       Child Loop BB71_18 Depth 3
                                        ;       Child Loop BB71_21 Depth 3
	;; [unrolled: 1-line block ×3, first 2 shown]
                                        ;     Child Loop BB71_40 Depth 2
                                        ;       Child Loop BB71_53 Depth 3
                                        ;       Child Loop BB71_56 Depth 3
	s_mov_b32 s11, s29
	s_delay_alu instid0(SALU_CYCLE_1) | instskip(NEXT) | instid1(SALU_CYCLE_1)
	s_mul_u64 s[6:7], s[14:15], s[10:11]
	s_lshl_b64 s[6:7], s[6:7], 3
	s_delay_alu instid0(SALU_CYCLE_1)
	s_add_nc_u64 s[6:7], s[12:13], s[6:7]
	global_load_b64 v[38:39], v2, s[6:7]
	s_wait_xcnt 0x0
	s_mov_b32 s6, -1
	s_wait_loadcnt 0x0
	v_cmp_neq_f64_e32 vcc_lo, 0, v[38:39]
	s_cbranch_vccnz .LBB71_8
; %bb.4:                                ;   in Loop: Header=BB71_3 Depth=1
	s_and_saveexec_b32 s8, s64
	s_cbranch_execz .LBB71_7
; %bb.5:                                ;   in Loop: Header=BB71_3 Depth=1
	s_mul_u64 s[6:7], s[38:39], s[10:11]
	s_mov_b32 s9, s35
	s_add_nc_u64 s[6:7], s[50:51], s[6:7]
.LBB71_6:                               ;   Parent Loop BB71_3 Depth=1
                                        ; =>  This Inner Loop Header: Depth=2
	s_add_co_i32 s9, s9, -1
	global_store_b64 v2, v[26:27], s[6:7]
	s_cmp_eq_u32 s9, 0
	s_wait_xcnt 0x0
	s_add_nc_u64 s[6:7], s[6:7], s[40:41]
	s_cbranch_scc0 .LBB71_6
.LBB71_7:                               ;   in Loop: Header=BB71_3 Depth=1
	s_or_b32 exec_lo, exec_lo, s8
	s_mov_b32 s6, 0
.LBB71_8:                               ;   in Loop: Header=BB71_3 Depth=1
	s_delay_alu instid0(SALU_CYCLE_1)
	s_and_not1_b32 vcc_lo, exec_lo, s6
	s_cbranch_vccnz .LBB71_2
; %bb.9:                                ;   in Loop: Header=BB71_3 Depth=1
	v_mad_nc_u64_u32 v[40:41], s42, s10, v[36:37]
	s_mul_u64 s[6:7], s[24:25], s[10:11]
	s_mul_u64 s[8:9], s[16:17], s[10:11]
	s_lshl_b64 s[6:7], s[6:7], 3
	s_mul_u64 s[58:59], s[20:21], s[10:11]
	s_add_nc_u64 s[6:7], s[18:19], s[6:7]
	s_lshl_b64 s[62:63], s[8:9], 3
	v_lshl_add_u64 v[42:43], s[58:59], 3, v[34:35]
	v_lshl_add_u64 v[44:45], v[0:1], 3, s[6:7]
	;; [unrolled: 1-line block ×4, first 2 shown]
	v_mad_u32 v41, s43, s10, v41
	v_lshl_add_u64 v[50:51], v[32:33], 3, s[6:7]
	v_cmp_gt_u32_e64 s9, 24, v54
	v_cmp_gt_u32_e64 s8, 28, v54
	;; [unrolled: 1-line block ×3, first 2 shown]
	v_cmp_ne_u32_e64 s6, 31, v54
	s_add_nc_u64 s[58:59], s[26:27], s[62:63]
	s_mul_u64 s[60:61], s[46:47], s[10:11]
	s_and_not1_b32 vcc_lo, exec_lo, s67
	s_add_nc_u64 s[58:59], s[58:59], s[22:23]
	s_cbranch_vccnz .LBB71_36
; %bb.10:                               ;   in Loop: Header=BB71_3 Depth=1
	v_cndmask_b32_e64 v10, 0, 8, s9
	v_cndmask_b32_e64 v11, 0, 4, s8
	;; [unrolled: 1-line block ×3, first 2 shown]
	v_add_co_ci_u32_e64 v13, null, 0, v54, s6
	s_wait_dscnt 0x0
	v_dual_mov_b32 v7, v2 :: v_dual_mov_b32 v8, v2
	s_delay_alu instid0(VALU_DEP_2)
	v_dual_mov_b32 v9, v2 :: v_dual_lshlrev_b32 v61, 2, v13
	v_dual_mov_b32 v3, v2 :: v_dual_mov_b32 v4, v2
	v_dual_mov_b32 v5, v2 :: v_dual_mov_b32 v6, v2
	v_add_lshl_u32 v58, v10, v54, 2
	v_add_lshl_u32 v59, v11, v54, 2
	v_add_lshl_u32 v60, v12, v54, 2
	v_mov_b64_e32 v[16:17], v[8:9]
	v_add_nc_u64_e32 v[52:53], s[60:61], v[34:35]
	v_mov_b64_e32 v[14:15], v[6:7]
	v_mov_b64_e32 v[12:13], v[4:5]
	;; [unrolled: 1-line block ×3, first 2 shown]
	s_mov_b32 s28, 0
	s_branch .LBB71_12
.LBB71_11:                              ;   in Loop: Header=BB71_12 Depth=2
	s_wait_xcnt 0x0
	s_or_b32 exec_lo, exec_lo, s6
	v_add_nc_u64_e32 v[52:53], s[48:49], v[52:53]
	s_add_co_i32 s28, s28, 4
	s_delay_alu instid0(SALU_CYCLE_1)
	s_cmp_ge_i32 s28, s65
	s_cbranch_scc1 .LBB71_37
.LBB71_12:                              ;   Parent Loop BB71_3 Depth=1
                                        ; =>  This Loop Header: Depth=2
                                        ;       Child Loop BB71_18 Depth 3
                                        ;       Child Loop BB71_21 Depth 3
                                        ;       Child Loop BB71_26 Depth 3
                                        ; implicit-def: $vgpr18_vgpr19_vgpr20_vgpr21_vgpr22_vgpr23_vgpr24_vgpr25
	s_and_saveexec_b32 s6, s4
	s_delay_alu instid0(SALU_CYCLE_1)
	s_xor_b32 s6, exec_lo, s6
	s_cbranch_execz .LBB71_14
; %bb.13:                               ;   in Loop: Header=BB71_12 Depth=2
	s_or_b32 s8, s28, 1
	s_mov_b32 s9, s29
	s_mul_u64 s[62:63], s[28:29], s[30:31]
	s_mul_u64 s[8:9], s[8:9], s[30:31]
	v_lshl_add_u64 v[8:9], s[62:63], 3, v[42:43]
	v_lshl_add_u64 v[16:17], s[8:9], 3, v[42:43]
	s_or_b32 s8, s28, 2
	s_mov_b32 s9, s29
	s_or_b32 s62, s28, 3
	s_mov_b32 s63, s29
	s_mul_u64 s[8:9], s[8:9], s[30:31]
	s_mul_u64 s[62:63], s[62:63], s[30:31]
	v_lshl_add_u64 v[18:19], s[8:9], 3, v[42:43]
	v_lshl_add_u64 v[20:21], s[62:63], 3, v[42:43]
	global_load_b64 v[10:11], v[44:45], off
	s_clause 0x3
	global_load_b128 v[4:7], v[8:9], off
	global_load_b128 v[62:65], v[16:17], off
	;; [unrolled: 1-line block ×4, first 2 shown]
	global_load_b64 v[12:13], v[46:47], off
	global_load_b128 v[74:77], v[8:9], off offset:16
	global_load_b64 v[14:15], v[48:49], off
	s_clause 0x2
	global_load_b128 v[78:81], v[16:17], off offset:16
	global_load_b128 v[82:85], v[18:19], off offset:16
	;; [unrolled: 1-line block ×3, first 2 shown]
	global_load_b64 v[16:17], v[50:51], off
	s_wait_loadcnt 0xa
	s_wait_xcnt 0x2
	v_fma_f64 v[18:19], v[10:11], v[4:5], 0
	s_wait_loadcnt 0x9
	s_wait_xcnt 0x1
	v_fma_f64 v[20:21], v[10:11], v[62:63], 0
	s_wait_loadcnt 0x8
	v_fma_f64 v[22:23], v[10:11], v[66:67], 0
	s_wait_loadcnt 0x7
	;; [unrolled: 2-line block ×3, first 2 shown]
	s_delay_alu instid0(VALU_DEP_4) | instskip(NEXT) | instid1(VALU_DEP_4)
	v_fmac_f64_e32 v[18:19], v[12:13], v[6:7]
	v_fmac_f64_e32 v[20:21], v[12:13], v[64:65]
	s_delay_alu instid0(VALU_DEP_4) | instskip(NEXT) | instid1(VALU_DEP_4)
	v_fmac_f64_e32 v[22:23], v[12:13], v[68:69]
	v_fmac_f64_e32 v[24:25], v[12:13], v[72:73]
	s_wait_loadcnt 0x4
	s_delay_alu instid0(VALU_DEP_4) | instskip(SKIP_1) | instid1(VALU_DEP_4)
	v_fmac_f64_e32 v[18:19], v[14:15], v[74:75]
	s_wait_loadcnt 0x3
	v_fmac_f64_e32 v[20:21], v[14:15], v[78:79]
	s_wait_loadcnt 0x2
	s_delay_alu instid0(VALU_DEP_4) | instskip(SKIP_1) | instid1(VALU_DEP_4)
	v_fmac_f64_e32 v[22:23], v[14:15], v[82:83]
	s_wait_loadcnt 0x1
	v_fmac_f64_e32 v[24:25], v[14:15], v[86:87]
	s_wait_loadcnt 0x0
	s_delay_alu instid0(VALU_DEP_4) | instskip(NEXT) | instid1(VALU_DEP_4)
	v_fmac_f64_e32 v[18:19], v[16:17], v[76:77]
	v_fmac_f64_e32 v[20:21], v[16:17], v[80:81]
	s_delay_alu instid0(VALU_DEP_4) | instskip(NEXT) | instid1(VALU_DEP_4)
	v_fmac_f64_e32 v[22:23], v[16:17], v[84:85]
	v_fmac_f64_e32 v[24:25], v[16:17], v[88:89]
.LBB71_14:                              ;   in Loop: Header=BB71_12 Depth=2
	s_wait_xcnt 0x0
	s_and_not1_saveexec_b32 s11, s6
	s_cbranch_execz .LBB71_24
; %bb.15:                               ;   in Loop: Header=BB71_12 Depth=2
	v_dual_mov_b32 v7, v2 :: v_dual_mov_b32 v8, v2
	v_dual_mov_b32 v9, v2 :: v_dual_mov_b32 v3, v2
	;; [unrolled: 1-line block ×3, first 2 shown]
	v_mov_b32_e32 v6, v2
	s_delay_alu instid0(VALU_DEP_3) | instskip(NEXT) | instid1(VALU_DEP_4)
	v_mov_b64_e32 v[24:25], v[8:9]
	v_mov_b64_e32 v[18:19], v[2:3]
	s_delay_alu instid0(VALU_DEP_4) | instskip(NEXT) | instid1(VALU_DEP_4)
	v_mov_b64_e32 v[20:21], v[4:5]
	v_mov_b64_e32 v[22:23], v[6:7]
	s_and_saveexec_b32 s34, s5
	s_cbranch_execz .LBB71_23
; %bb.16:                               ;   in Loop: Header=BB71_12 Depth=2
	s_and_not1_b32 vcc_lo, exec_lo, s68
	s_cbranch_vccnz .LBB71_19
; %bb.17:                               ;   in Loop: Header=BB71_12 Depth=2
	v_mov_b64_e32 v[4:5], v[40:41]
	s_mov_b64 s[62:63], 0
.LBB71_18:                              ;   Parent Loop BB71_3 Depth=1
                                        ;     Parent Loop BB71_12 Depth=2
                                        ; =>    This Inner Loop Header: Depth=3
	global_load_b64 v[6:7], v[4:5], off
	s_cmp_eq_u32 s62, 3
	s_wait_xcnt 0x0
	v_add_nc_u64_e32 v[4:5], s[44:45], v[4:5]
	s_cselect_b32 vcc_lo, -1, 0
	s_cmp_eq_u32 s62, 2
	s_cselect_b32 s6, -1, 0
	s_cmp_eq_u32 s62, 1
	s_cselect_b32 s7, -1, 0
	s_cmp_eq_u32 s62, 0
	s_add_nc_u64 s[62:63], s[62:63], 1
	s_cselect_b32 s8, -1, 0
	s_cmp_eq_u32 s66, s62
	s_wait_loadcnt 0x0
	v_dual_cndmask_b32 v17, v17, v7 :: v_dual_cndmask_b32 v16, v16, v6
	v_dual_cndmask_b32 v15, v15, v7, s6 :: v_dual_cndmask_b32 v14, v14, v6, s6
	v_dual_cndmask_b32 v13, v13, v7, s7 :: v_dual_cndmask_b32 v12, v12, v6, s7
	;; [unrolled: 1-line block ×3, first 2 shown]
	s_cbranch_scc0 .LBB71_18
.LBB71_19:                              ;   in Loop: Header=BB71_12 Depth=2
	s_and_not1_b32 vcc_lo, exec_lo, s68
	s_cbranch_vccnz .LBB71_22
; %bb.20:                               ;   in Loop: Header=BB71_12 Depth=2
	v_mov_b64_e32 v[18:19], 0
	v_mov_b64_e32 v[20:21], 0
	;; [unrolled: 1-line block ×5, first 2 shown]
	s_mov_b64 s[8:9], 0
.LBB71_21:                              ;   Parent Loop BB71_3 Depth=1
                                        ;     Parent Loop BB71_12 Depth=2
                                        ; =>    This Inner Loop Header: Depth=3
	s_wait_xcnt 0x2
	s_delay_alu instid0(VALU_DEP_1)
	v_add_nc_u64_e32 v[6:7], s[52:53], v[4:5]
	s_wait_xcnt 0x1
	v_add_nc_u64_e32 v[8:9], s[54:55], v[4:5]
	s_wait_xcnt 0x0
	v_add_nc_u64_e32 v[62:63], s[56:57], v[4:5]
	s_cmp_eq_u32 s8, 1
	s_clause 0x3
	global_load_b64 v[64:65], v[4:5], off
	global_load_b64 v[6:7], v[6:7], off
	;; [unrolled: 1-line block ×4, first 2 shown]
	s_cselect_b32 vcc_lo, -1, 0
	s_cmp_eq_u32 s8, 2
	v_dual_cndmask_b32 v3, v11, v13 :: v_dual_cndmask_b32 v66, v10, v12
	s_cselect_b32 vcc_lo, -1, 0
	s_cmp_eq_u32 s8, 3
	s_wait_xcnt 0x3
	v_add_nc_u64_e32 v[4:5], 8, v[4:5]
	v_dual_cndmask_b32 v3, v3, v15 :: v_dual_cndmask_b32 v66, v66, v14
	s_cselect_b32 s6, -1, 0
	s_add_nc_u64 s[8:9], s[8:9], 1
	s_delay_alu instid0(VALU_DEP_1) | instskip(SKIP_2) | instid1(VALU_DEP_1)
	v_dual_cndmask_b32 v67, v3, v17, s6 :: v_dual_cndmask_b32 v66, v66, v16, s6
	s_cmp_lg_u32 s66, s8
	s_wait_loadcnt 0x3
	v_fmac_f64_e32 v[18:19], v[66:67], v[64:65]
	s_wait_loadcnt 0x2
	v_fmac_f64_e32 v[20:21], v[66:67], v[6:7]
	;; [unrolled: 2-line block ×4, first 2 shown]
	s_cbranch_scc1 .LBB71_21
	s_branch .LBB71_23
.LBB71_22:                              ;   in Loop: Header=BB71_12 Depth=2
	v_dual_mov_b32 v7, v2 :: v_dual_mov_b32 v8, v2
	v_dual_mov_b32 v9, v2 :: v_dual_mov_b32 v3, v2
	;; [unrolled: 1-line block ×3, first 2 shown]
	v_mov_b32_e32 v6, v2
	s_delay_alu instid0(VALU_DEP_3) | instskip(NEXT) | instid1(VALU_DEP_4)
	v_mov_b64_e32 v[24:25], v[8:9]
	v_mov_b64_e32 v[18:19], v[2:3]
	s_delay_alu instid0(VALU_DEP_4) | instskip(NEXT) | instid1(VALU_DEP_4)
	v_mov_b64_e32 v[20:21], v[4:5]
	v_mov_b64_e32 v[22:23], v[6:7]
.LBB71_23:                              ;   in Loop: Header=BB71_12 Depth=2
	s_wait_xcnt 0x0
	s_or_b32 exec_lo, exec_lo, s34
.LBB71_24:                              ;   in Loop: Header=BB71_12 Depth=2
	s_delay_alu instid0(SALU_CYCLE_1)
	s_or_b32 exec_lo, exec_lo, s11
	s_mov_b64 s[6:7], 0
	s_branch .LBB71_26
.LBB71_25:                              ;   in Loop: Header=BB71_26 Depth=3
	s_or_b32 exec_lo, exec_lo, s8
	s_cmp_eq_u32 s6, 3
	s_cselect_b32 vcc_lo, -1, 0
	s_cmp_eq_u32 s6, 2
	s_wait_dscnt 0x0
	s_delay_alu instid0(VALU_DEP_1)
	v_dual_cndmask_b32 v25, v25, v5 :: v_dual_cndmask_b32 v24, v24, v4
	s_cselect_b32 vcc_lo, -1, 0
	s_cmp_eq_u32 s6, 1
	v_dual_cndmask_b32 v23, v23, v5 :: v_dual_cndmask_b32 v22, v22, v4
	s_cselect_b32 vcc_lo, -1, 0
	s_cmp_eq_u32 s6, 0
	v_dual_cndmask_b32 v21, v21, v5 :: v_dual_cndmask_b32 v20, v20, v4
	s_cselect_b32 vcc_lo, -1, 0
	s_add_nc_u64 s[6:7], s[6:7], 1
	v_dual_cndmask_b32 v19, v19, v5 :: v_dual_cndmask_b32 v18, v18, v4
	s_cmp_eq_u32 s6, 4
	s_cbranch_scc1 .LBB71_34
.LBB71_26:                              ;   Parent Loop BB71_3 Depth=1
                                        ;     Parent Loop BB71_12 Depth=2
                                        ; =>    This Inner Loop Header: Depth=3
	s_and_saveexec_b32 s8, s1
; %bb.27:                               ;   in Loop: Header=BB71_26 Depth=3
	ds_store_b64 v55, v[26:27]
; %bb.28:                               ;   in Loop: Header=BB71_26 Depth=3
	s_or_b32 exec_lo, exec_lo, s8
	s_cmp_eq_u32 s6, 1
	s_wait_storecnt_dscnt 0x0
	s_cselect_b32 vcc_lo, -1, 0
	s_cmp_eq_u32 s6, 2
	v_dual_cndmask_b32 v3, v19, v21 :: v_dual_cndmask_b32 v4, v18, v20
	s_cselect_b32 vcc_lo, -1, 0
	s_cmp_eq_u32 s6, 3
	s_barrier_signal -1
	s_delay_alu instid0(VALU_DEP_1) | instskip(SKIP_2) | instid1(VALU_DEP_1)
	v_dual_cndmask_b32 v3, v3, v23 :: v_dual_cndmask_b32 v4, v4, v22
	s_cselect_b32 vcc_lo, -1, 0
	s_barrier_wait -1
	v_dual_cndmask_b32 v5, v3, v25 :: v_dual_cndmask_b32 v4, v4, v24
	ds_bpermute_b32 v7, v57, v5
	ds_bpermute_b32 v6, v57, v4
	s_wait_dscnt 0x0
	v_add_f64_e32 v[4:5], v[4:5], v[6:7]
	ds_bpermute_b32 v6, v58, v4
	ds_bpermute_b32 v7, v58, v5
	s_wait_dscnt 0x0
	v_add_f64_e32 v[4:5], v[4:5], v[6:7]
	;; [unrolled: 4-line block ×4, first 2 shown]
	ds_bpermute_b32 v6, v61, v4
	ds_bpermute_b32 v7, v61, v5
	s_and_saveexec_b32 s8, s3
	s_cbranch_execz .LBB71_30
; %bb.29:                               ;   in Loop: Header=BB71_26 Depth=3
	s_wait_dscnt 0x0
	v_add_f64_e32 v[4:5], v[4:5], v[6:7]
	ds_store_b64 v56, v[4:5]
.LBB71_30:                              ;   in Loop: Header=BB71_26 Depth=3
	s_or_b32 exec_lo, exec_lo, s8
	v_mov_b64_e32 v[4:5], 0
	s_wait_dscnt 0x0
	s_barrier_signal -1
	s_barrier_wait -1
	s_and_saveexec_b32 s8, s2
; %bb.31:                               ;   in Loop: Header=BB71_26 Depth=3
	ds_load_b64 v[4:5], v55
; %bb.32:                               ;   in Loop: Header=BB71_26 Depth=3
	s_or_b32 exec_lo, exec_lo, s8
	s_and_saveexec_b32 s8, s1
	s_cbranch_execz .LBB71_25
; %bb.33:                               ;   in Loop: Header=BB71_26 Depth=3
	s_wait_dscnt 0x0
	ds_bpermute_b32 v6, v59, v4
	ds_bpermute_b32 v7, v59, v5
	s_wait_dscnt 0x0
	v_add_f64_e32 v[4:5], v[4:5], v[6:7]
	ds_bpermute_b32 v6, v60, v4
	ds_bpermute_b32 v7, v60, v5
	s_wait_dscnt 0x0
	v_add_f64_e32 v[4:5], v[4:5], v[6:7]
	;; [unrolled: 4-line block ×3, first 2 shown]
	s_branch .LBB71_25
.LBB71_34:                              ;   in Loop: Header=BB71_12 Depth=2
	s_and_saveexec_b32 s6, s0
	s_cbranch_execz .LBB71_11
; %bb.35:                               ;   in Loop: Header=BB71_12 Depth=2
	v_mul_f64_e32 v[4:5], v[38:39], v[18:19]
	v_mul_f64_e32 v[6:7], v[38:39], v[20:21]
	;; [unrolled: 1-line block ×4, first 2 shown]
	s_or_b32 s62, s28, 1
	s_mov_b32 s63, s29
	s_mul_u64 s[8:9], s[28:29], s[36:37]
	s_or_b32 s70, s28, 2
	s_mov_b32 s71, s29
	s_or_b32 s72, s28, 3
	s_mov_b32 s73, s29
	s_mul_u64 s[62:63], s[62:63], s[36:37]
	s_lshl_b64 s[8:9], s[8:9], 3
	s_mul_u64 s[70:71], s[70:71], s[36:37]
	s_mul_u64 s[72:73], s[72:73], s[36:37]
	s_lshl_b64 s[62:63], s[62:63], 3
	s_add_nc_u64 s[8:9], s[58:59], s[8:9]
	s_lshl_b64 s[70:71], s[70:71], 3
	s_lshl_b64 s[72:73], s[72:73], 3
	s_add_nc_u64 s[62:63], s[58:59], s[62:63]
	s_add_nc_u64 s[70:71], s[58:59], s[70:71]
	;; [unrolled: 1-line block ×3, first 2 shown]
	s_clause 0x3
	global_store_b64 v2, v[4:5], s[8:9]
	global_store_b64 v2, v[6:7], s[62:63]
	;; [unrolled: 1-line block ×4, first 2 shown]
	s_branch .LBB71_11
.LBB71_36:                              ;   in Loop: Header=BB71_3 Depth=1
	s_wait_dscnt 0x0
	v_dual_mov_b32 v7, v2 :: v_dual_mov_b32 v8, v2
	v_dual_mov_b32 v9, v2 :: v_dual_mov_b32 v3, v2
	;; [unrolled: 1-line block ×3, first 2 shown]
	v_mov_b32_e32 v6, v2
	s_delay_alu instid0(VALU_DEP_3) | instskip(NEXT) | instid1(VALU_DEP_4)
	v_mov_b64_e32 v[16:17], v[8:9]
	v_mov_b64_e32 v[10:11], v[2:3]
	s_mov_b32 s28, 0
	v_mov_b64_e32 v[12:13], v[4:5]
	v_mov_b64_e32 v[14:15], v[6:7]
.LBB71_37:                              ;   in Loop: Header=BB71_3 Depth=1
	s_cmp_ge_i32 s28, s35
	s_cbranch_scc1 .LBB71_2
; %bb.38:                               ;   in Loop: Header=BB71_3 Depth=1
	v_cmp_gt_u32_e32 vcc_lo, 24, v54
	s_mul_u64 s[6:7], s[52:53], s[28:29]
	s_delay_alu instid0(SALU_CYCLE_1) | instskip(SKIP_2) | instid1(VALU_DEP_2)
	s_add_nc_u64 s[6:7], s[6:7], s[60:61]
	v_cndmask_b32_e64 v3, 0, 8, vcc_lo
	v_cmp_gt_u32_e32 vcc_lo, 28, v54
	v_add_lshl_u32 v3, v3, v54, 2
	v_cndmask_b32_e64 v4, 0, 4, vcc_lo
	v_cmp_gt_u32_e32 vcc_lo, 30, v54
	s_delay_alu instid0(VALU_DEP_2) | instskip(SKIP_3) | instid1(VALU_DEP_3)
	v_add_lshl_u32 v18, v4, v54, 2
	v_cndmask_b32_e64 v6, 0, 2, vcc_lo
	v_cmp_ne_u32_e32 vcc_lo, 31, v54
	v_add_nc_u64_e32 v[4:5], s[6:7], v[34:35]
	v_add_lshl_u32 v19, v6, v54, 2
	v_add_co_ci_u32_e64 v7, null, 0, v54, vcc_lo
	s_delay_alu instid0(VALU_DEP_1)
	v_lshlrev_b32_e32 v20, 2, v7
	s_branch .LBB71_40
.LBB71_39:                              ;   in Loop: Header=BB71_40 Depth=2
	s_wait_xcnt 0x0
	s_or_b32 exec_lo, exec_lo, s6
	v_add_nc_u64_e32 v[4:5], s[52:53], v[4:5]
	s_add_co_i32 s28, s28, 1
	s_delay_alu instid0(SALU_CYCLE_1)
	s_cmp_ge_i32 s28, s35
	s_cbranch_scc1 .LBB71_2
.LBB71_40:                              ;   Parent Loop BB71_3 Depth=1
                                        ; =>  This Loop Header: Depth=2
                                        ;       Child Loop BB71_53 Depth 3
                                        ;       Child Loop BB71_56 Depth 3
	s_wait_dscnt 0x0
	v_dual_mov_b32 v6, s29 :: v_dual_mov_b32 v7, s29
	s_and_saveexec_b32 s6, s4
	s_delay_alu instid0(SALU_CYCLE_1)
	s_xor_b32 s6, exec_lo, s6
	s_cbranch_execnz .LBB71_49
; %bb.41:                               ;   in Loop: Header=BB71_40 Depth=2
	s_and_not1_saveexec_b32 s9, s6
	s_cbranch_execnz .LBB71_50
.LBB71_42:                              ;   in Loop: Header=BB71_40 Depth=2
	s_or_b32 exec_lo, exec_lo, s9
	s_and_saveexec_b32 s6, s1
.LBB71_43:                              ;   in Loop: Header=BB71_40 Depth=2
	ds_store_b64 v55, v[26:27]
.LBB71_44:                              ;   in Loop: Header=BB71_40 Depth=2
	s_or_b32 exec_lo, exec_lo, s6
	ds_bpermute_b32 v8, v57, v6
	ds_bpermute_b32 v9, v57, v7
	s_wait_storecnt_dscnt 0x0
	s_barrier_signal -1
	s_barrier_wait -1
	v_add_f64_e32 v[6:7], v[6:7], v[8:9]
	ds_bpermute_b32 v8, v3, v6
	ds_bpermute_b32 v9, v3, v7
	s_wait_dscnt 0x0
	v_add_f64_e32 v[6:7], v[6:7], v[8:9]
	ds_bpermute_b32 v8, v18, v6
	ds_bpermute_b32 v9, v18, v7
	s_wait_dscnt 0x0
	;; [unrolled: 4-line block ×3, first 2 shown]
	v_add_f64_e32 v[6:7], v[6:7], v[8:9]
	ds_bpermute_b32 v8, v20, v6
	ds_bpermute_b32 v9, v20, v7
	s_and_saveexec_b32 s6, s3
	s_cbranch_execz .LBB71_46
; %bb.45:                               ;   in Loop: Header=BB71_40 Depth=2
	s_wait_dscnt 0x0
	v_add_f64_e32 v[6:7], v[6:7], v[8:9]
	ds_store_b64 v56, v[6:7]
.LBB71_46:                              ;   in Loop: Header=BB71_40 Depth=2
	s_or_b32 exec_lo, exec_lo, s6
	v_mov_b64_e32 v[6:7], 0
	s_wait_dscnt 0x0
	s_barrier_signal -1
	s_barrier_wait -1
	s_and_saveexec_b32 s6, s2
	s_cbranch_execnz .LBB71_58
; %bb.47:                               ;   in Loop: Header=BB71_40 Depth=2
	s_or_b32 exec_lo, exec_lo, s6
	s_and_saveexec_b32 s6, s1
	s_cbranch_execnz .LBB71_59
.LBB71_48:                              ;   in Loop: Header=BB71_40 Depth=2
	s_or_b32 exec_lo, exec_lo, s6
	s_and_saveexec_b32 s6, s0
	s_cbranch_execz .LBB71_39
	s_branch .LBB71_60
.LBB71_49:                              ;   in Loop: Header=BB71_40 Depth=2
	s_mul_u64 s[8:9], s[28:29], s[30:31]
	s_delay_alu instid0(SALU_CYCLE_1)
	v_lshl_add_u64 v[14:15], s[8:9], 3, v[42:43]
	global_load_b128 v[6:9], v[14:15], off
	s_clause 0x1
	global_load_b64 v[10:11], v[44:45], off
	global_load_b64 v[12:13], v[46:47], off
	global_load_b128 v[22:25], v[14:15], off offset:16
	s_clause 0x1
	global_load_b64 v[14:15], v[48:49], off
	global_load_b64 v[16:17], v[50:51], off
	s_wait_loadcnt 0x4
	v_fma_f64 v[6:7], v[10:11], v[6:7], 0
	s_wait_loadcnt 0x3
	s_delay_alu instid0(VALU_DEP_1) | instskip(SKIP_1) | instid1(VALU_DEP_1)
	v_fmac_f64_e32 v[6:7], v[12:13], v[8:9]
	s_wait_loadcnt 0x1
	v_fmac_f64_e32 v[6:7], v[14:15], v[22:23]
	s_wait_loadcnt 0x0
	s_delay_alu instid0(VALU_DEP_1)
	v_fmac_f64_e32 v[6:7], v[16:17], v[24:25]
	s_wait_xcnt 0x0
	s_and_not1_saveexec_b32 s9, s6
	s_cbranch_execz .LBB71_42
.LBB71_50:                              ;   in Loop: Header=BB71_40 Depth=2
	s_and_saveexec_b32 s11, s5
	s_cbranch_execz .LBB71_57
; %bb.51:                               ;   in Loop: Header=BB71_40 Depth=2
	s_and_not1_b32 vcc_lo, exec_lo, s68
	s_cbranch_vccnz .LBB71_54
; %bb.52:                               ;   in Loop: Header=BB71_40 Depth=2
	v_mov_b64_e32 v[8:9], v[40:41]
	s_mov_b64 s[60:61], 0
.LBB71_53:                              ;   Parent Loop BB71_3 Depth=1
                                        ;     Parent Loop BB71_40 Depth=2
                                        ; =>    This Inner Loop Header: Depth=3
	global_load_b64 v[22:23], v[8:9], off
	s_cmp_eq_u32 s60, 3
	s_wait_xcnt 0x0
	v_add_nc_u64_e32 v[8:9], s[44:45], v[8:9]
	s_cselect_b32 vcc_lo, -1, 0
	s_cmp_eq_u32 s60, 2
	s_cselect_b32 s6, -1, 0
	s_cmp_eq_u32 s60, 1
	s_cselect_b32 s7, -1, 0
	s_cmp_eq_u32 s60, 0
	s_add_nc_u64 s[60:61], s[60:61], 1
	s_cselect_b32 s8, -1, 0
	s_cmp_eq_u32 s66, s60
	s_wait_loadcnt 0x0
	v_dual_cndmask_b32 v17, v17, v23 :: v_dual_cndmask_b32 v16, v16, v22
	v_dual_cndmask_b32 v15, v15, v23, s6 :: v_dual_cndmask_b32 v14, v14, v22, s6
	v_dual_cndmask_b32 v13, v13, v23, s7 :: v_dual_cndmask_b32 v12, v12, v22, s7
	;; [unrolled: 1-line block ×3, first 2 shown]
	s_cbranch_scc0 .LBB71_53
.LBB71_54:                              ;   in Loop: Header=BB71_40 Depth=2
	s_and_not1_b32 vcc_lo, exec_lo, s68
	s_cbranch_vccnz .LBB71_57
; %bb.55:                               ;   in Loop: Header=BB71_40 Depth=2
	v_mov_b64_e32 v[8:9], v[4:5]
	s_mov_b64 s[6:7], 0
.LBB71_56:                              ;   Parent Loop BB71_3 Depth=1
                                        ;     Parent Loop BB71_40 Depth=2
                                        ; =>    This Inner Loop Header: Depth=3
	global_load_b64 v[22:23], v[8:9], off
	s_cmp_eq_u32 s6, 1
	s_wait_xcnt 0x0
	v_add_nc_u64_e32 v[8:9], 8, v[8:9]
	s_cselect_b32 vcc_lo, -1, 0
	s_cmp_eq_u32 s6, 2
	v_dual_cndmask_b32 v21, v11, v13 :: v_dual_cndmask_b32 v24, v10, v12
	s_cselect_b32 vcc_lo, -1, 0
	s_cmp_eq_u32 s6, 3
	s_add_nc_u64 s[6:7], s[6:7], 1
	s_delay_alu instid0(VALU_DEP_1) | instskip(SKIP_2) | instid1(VALU_DEP_1)
	v_dual_cndmask_b32 v21, v21, v15 :: v_dual_cndmask_b32 v24, v24, v14
	s_cselect_b32 vcc_lo, -1, 0
	s_cmp_lg_u32 s66, s6
	v_dual_cndmask_b32 v25, v21, v17 :: v_dual_cndmask_b32 v24, v24, v16
	s_wait_loadcnt 0x0
	s_delay_alu instid0(VALU_DEP_1)
	v_fmac_f64_e32 v[6:7], v[24:25], v[22:23]
	s_cbranch_scc1 .LBB71_56
.LBB71_57:                              ;   in Loop: Header=BB71_40 Depth=2
	s_or_b32 exec_lo, exec_lo, s11
	s_delay_alu instid0(SALU_CYCLE_1)
	s_or_b32 exec_lo, exec_lo, s9
	s_and_saveexec_b32 s6, s1
	s_cbranch_execnz .LBB71_43
	s_branch .LBB71_44
.LBB71_58:                              ;   in Loop: Header=BB71_40 Depth=2
	ds_load_b64 v[6:7], v55
	s_or_b32 exec_lo, exec_lo, s6
	s_and_saveexec_b32 s6, s1
	s_cbranch_execz .LBB71_48
.LBB71_59:                              ;   in Loop: Header=BB71_40 Depth=2
	s_wait_dscnt 0x0
	ds_bpermute_b32 v8, v18, v6
	ds_bpermute_b32 v9, v18, v7
	s_wait_dscnt 0x0
	v_add_f64_e32 v[6:7], v[6:7], v[8:9]
	ds_bpermute_b32 v8, v19, v6
	ds_bpermute_b32 v9, v19, v7
	s_wait_dscnt 0x0
	v_add_f64_e32 v[6:7], v[6:7], v[8:9]
	;; [unrolled: 4-line block ×3, first 2 shown]
	s_or_b32 exec_lo, exec_lo, s6
	s_and_saveexec_b32 s6, s0
	s_cbranch_execz .LBB71_39
.LBB71_60:                              ;   in Loop: Header=BB71_40 Depth=2
	s_wait_dscnt 0x0
	s_delay_alu instid0(VALU_DEP_1) | instskip(SKIP_1) | instid1(SALU_CYCLE_1)
	v_mul_f64_e32 v[6:7], v[38:39], v[6:7]
	s_mul_u64 s[8:9], s[28:29], s[36:37]
	s_lshl_b64 s[8:9], s[8:9], 3
	s_delay_alu instid0(SALU_CYCLE_1)
	s_add_nc_u64 s[8:9], s[58:59], s[8:9]
	global_store_b64 v2, v[6:7], s[8:9]
	s_branch .LBB71_39
.LBB71_61:
	s_sendmsg sendmsg(MSG_DEALLOC_VGPRS)
	s_endpgm
	.section	.rodata,"a",@progbits
	.p2align	6, 0x0
	.amdhsa_kernel _ZL23rocblas_gemvt_sn_kernelILb0ELi256ELi4EldPKddEviiT4_lPKT3_lilS5_lilPT5_i
		.amdhsa_group_segment_fixed_size 256
		.amdhsa_private_segment_fixed_size 0
		.amdhsa_kernarg_size 360
		.amdhsa_user_sgpr_count 2
		.amdhsa_user_sgpr_dispatch_ptr 0
		.amdhsa_user_sgpr_queue_ptr 0
		.amdhsa_user_sgpr_kernarg_segment_ptr 1
		.amdhsa_user_sgpr_dispatch_id 0
		.amdhsa_user_sgpr_kernarg_preload_length 0
		.amdhsa_user_sgpr_kernarg_preload_offset 0
		.amdhsa_user_sgpr_private_segment_size 0
		.amdhsa_wavefront_size32 1
		.amdhsa_uses_dynamic_stack 0
		.amdhsa_enable_private_segment 0
		.amdhsa_system_sgpr_workgroup_id_x 1
		.amdhsa_system_sgpr_workgroup_id_y 0
		.amdhsa_system_sgpr_workgroup_id_z 1
		.amdhsa_system_sgpr_workgroup_info 0
		.amdhsa_system_vgpr_workitem_id 0
		.amdhsa_next_free_vgpr 90
		.amdhsa_next_free_sgpr 74
		.amdhsa_named_barrier_count 0
		.amdhsa_reserve_vcc 1
		.amdhsa_float_round_mode_32 0
		.amdhsa_float_round_mode_16_64 0
		.amdhsa_float_denorm_mode_32 3
		.amdhsa_float_denorm_mode_16_64 3
		.amdhsa_fp16_overflow 0
		.amdhsa_memory_ordered 1
		.amdhsa_forward_progress 1
		.amdhsa_inst_pref_size 28
		.amdhsa_round_robin_scheduling 0
		.amdhsa_exception_fp_ieee_invalid_op 0
		.amdhsa_exception_fp_denorm_src 0
		.amdhsa_exception_fp_ieee_div_zero 0
		.amdhsa_exception_fp_ieee_overflow 0
		.amdhsa_exception_fp_ieee_underflow 0
		.amdhsa_exception_fp_ieee_inexact 0
		.amdhsa_exception_int_div_zero 0
	.end_amdhsa_kernel
	.section	.text._ZL23rocblas_gemvt_sn_kernelILb0ELi256ELi4EldPKddEviiT4_lPKT3_lilS5_lilPT5_i,"axG",@progbits,_ZL23rocblas_gemvt_sn_kernelILb0ELi256ELi4EldPKddEviiT4_lPKT3_lilS5_lilPT5_i,comdat
.Lfunc_end71:
	.size	_ZL23rocblas_gemvt_sn_kernelILb0ELi256ELi4EldPKddEviiT4_lPKT3_lilS5_lilPT5_i, .Lfunc_end71-_ZL23rocblas_gemvt_sn_kernelILb0ELi256ELi4EldPKddEviiT4_lPKT3_lilS5_lilPT5_i
                                        ; -- End function
	.set _ZL23rocblas_gemvt_sn_kernelILb0ELi256ELi4EldPKddEviiT4_lPKT3_lilS5_lilPT5_i.num_vgpr, 90
	.set _ZL23rocblas_gemvt_sn_kernelILb0ELi256ELi4EldPKddEviiT4_lPKT3_lilS5_lilPT5_i.num_agpr, 0
	.set _ZL23rocblas_gemvt_sn_kernelILb0ELi256ELi4EldPKddEviiT4_lPKT3_lilS5_lilPT5_i.numbered_sgpr, 74
	.set _ZL23rocblas_gemvt_sn_kernelILb0ELi256ELi4EldPKddEviiT4_lPKT3_lilS5_lilPT5_i.num_named_barrier, 0
	.set _ZL23rocblas_gemvt_sn_kernelILb0ELi256ELi4EldPKddEviiT4_lPKT3_lilS5_lilPT5_i.private_seg_size, 0
	.set _ZL23rocblas_gemvt_sn_kernelILb0ELi256ELi4EldPKddEviiT4_lPKT3_lilS5_lilPT5_i.uses_vcc, 1
	.set _ZL23rocblas_gemvt_sn_kernelILb0ELi256ELi4EldPKddEviiT4_lPKT3_lilS5_lilPT5_i.uses_flat_scratch, 0
	.set _ZL23rocblas_gemvt_sn_kernelILb0ELi256ELi4EldPKddEviiT4_lPKT3_lilS5_lilPT5_i.has_dyn_sized_stack, 0
	.set _ZL23rocblas_gemvt_sn_kernelILb0ELi256ELi4EldPKddEviiT4_lPKT3_lilS5_lilPT5_i.has_recursion, 0
	.set _ZL23rocblas_gemvt_sn_kernelILb0ELi256ELi4EldPKddEviiT4_lPKT3_lilS5_lilPT5_i.has_indirect_call, 0
	.section	.AMDGPU.csdata,"",@progbits
; Kernel info:
; codeLenInByte = 3468
; TotalNumSgprs: 76
; NumVgprs: 90
; ScratchSize: 0
; MemoryBound: 1
; FloatMode: 240
; IeeeMode: 1
; LDSByteSize: 256 bytes/workgroup (compile time only)
; SGPRBlocks: 0
; VGPRBlocks: 5
; NumSGPRsForWavesPerEU: 76
; NumVGPRsForWavesPerEU: 90
; NamedBarCnt: 0
; Occupancy: 10
; WaveLimiterHint : 0
; COMPUTE_PGM_RSRC2:SCRATCH_EN: 0
; COMPUTE_PGM_RSRC2:USER_SGPR: 2
; COMPUTE_PGM_RSRC2:TRAP_HANDLER: 0
; COMPUTE_PGM_RSRC2:TGID_X_EN: 1
; COMPUTE_PGM_RSRC2:TGID_Y_EN: 0
; COMPUTE_PGM_RSRC2:TGID_Z_EN: 1
; COMPUTE_PGM_RSRC2:TIDIG_COMP_CNT: 0
	.section	.text._ZL23rocblas_gemvt_sn_reduceILi256ELi8EdPKddEviT2_lPT3_lilPT1_i,"axG",@progbits,_ZL23rocblas_gemvt_sn_reduceILi256ELi8EdPKddEviT2_lPT3_lilPT1_i,comdat
	.globl	_ZL23rocblas_gemvt_sn_reduceILi256ELi8EdPKddEviT2_lPT3_lilPT1_i ; -- Begin function _ZL23rocblas_gemvt_sn_reduceILi256ELi8EdPKddEviT2_lPT3_lilPT1_i
	.p2align	8
	.type	_ZL23rocblas_gemvt_sn_reduceILi256ELi8EdPKddEviT2_lPT3_lilPT1_i,@function
_ZL23rocblas_gemvt_sn_reduceILi256ELi8EdPKddEviT2_lPT3_lilPT1_i: ; @_ZL23rocblas_gemvt_sn_reduceILi256ELi8EdPKddEviT2_lPT3_lilPT1_i
; %bb.0:
	s_load_b32 s30, s[0:1], 0x40
	s_bfe_u32 s2, ttmp6, 0x40014
	s_lshr_b32 s3, ttmp7, 16
	s_add_co_i32 s2, s2, 1
	s_bfe_u32 s5, ttmp6, 0x40008
	s_mul_i32 s4, s3, s2
	s_getreg_b32 s2, hwreg(HW_REG_IB_STS2, 6, 4)
	s_add_co_i32 s5, s5, s4
	s_cmp_eq_u32 s2, 0
	s_mov_b32 s7, 0
	s_cselect_b32 s6, s3, s5
	s_wait_kmcnt 0x0
	s_cmp_ge_u32 s6, s30
	s_cbranch_scc1 .LBB72_21
; %bb.1:
	s_clause 0x5
	s_load_b32 s20, s[0:1], 0x0
	s_load_b32 s31, s[0:1], 0x4c
	;; [unrolled: 1-line block ×4, first 2 shown]
	s_load_b256 s[8:15], s[0:1], 0x8
	s_load_b128 s[16:19], s[0:1], 0x30
	v_mbcnt_lo_u32_b32 v1, -1, 0
	s_wait_xcnt 0x0
	s_bfe_u32 s0, ttmp6, 0x40010
	v_dual_lshlrev_b32 v12, 3, v0 :: v_dual_bitop2_b32 v6, 31, v0 bitop3:0x40
	v_mov_b32_e32 v3, 0
	v_cmp_gt_u32_e32 vcc_lo, 24, v1
	s_and_b32 s4, ttmp7, 0xffff
	s_add_co_i32 s0, s0, 1
	s_bfe_u32 s1, ttmp6, 0x40004
	s_mul_i32 s0, s4, s0
	v_cndmask_b32_e64 v4, 0, 8, vcc_lo
	v_cmp_gt_u32_e32 vcc_lo, 28, v1
	v_lshlrev_b32_e32 v13, 3, v6
	s_add_co_i32 s5, s1, s0
	v_mov_b32_e32 v5, v3
	v_add_lshl_u32 v15, v4, v1, 2
	v_cndmask_b32_e64 v7, 0, 4, vcc_lo
	v_cmp_gt_u32_e32 vcc_lo, 30, v1
	v_lshlrev_b32_e32 v4, 6, v0
	s_wait_kmcnt 0x0
	s_ashr_i32 s21, s20, 31
	s_ashr_i32 s23, s22, 31
	s_lshl_b64 s[0:1], s[14:15], 3
	s_cmp_eq_u32 s2, 0
	v_cndmask_b32_e64 v8, 0, 2, vcc_lo
	s_cselect_b32 s14, s4, s5
	s_lshr_b32 s2, s21, 29
	v_cmp_ne_u32_e32 vcc_lo, 31, v1
	v_add_nc_u64_e32 v[4:5], s[18:19], v[4:5]
	s_add_nc_u64 s[12:13], s[12:13], s[0:1]
	s_add_co_i32 s0, s20, s2
	v_add_lshl_u32 v16, v7, v1, 2
	s_and_b32 s33, s0, -8
	v_add_co_ci_u32_e64 v9, null, 0, v1, vcc_lo
	v_lshrrev_b32_e32 v7, 2, v0
	s_sub_co_i32 s1, s20, s33
	v_xad_u32 v2, v0, -1, s20
	v_cmp_gt_u32_e64 s1, s1, v0
	v_cmp_gt_u32_e64 s2, 32, v0
	v_lshl_or_b32 v14, v1, 2, 64
	v_add_lshl_u32 v17, v8, v1, 2
	v_cmp_gt_u32_e64 s4, 8, v0
	v_cmp_eq_u32_e64 s5, 0, v0
	v_add_nc_u64_e32 v[0:1], 56, v[4:5]
	v_mov_b64_e32 v[4:5], 0
	s_mov_b32 s15, s7
	s_and_b32 s24, s3, 0xffff
	v_cmp_gt_i32_e64 s0, s33, v12
	v_lshlrev_b32_e32 v18, 2, v9
	v_cmp_eq_u32_e64 s3, 0, v6
	v_and_b32_e32 v19, 56, v7
	s_mul_u64 s[26:27], s[22:23], s[14:15]
	s_mul_i32 s15, s6, s31
	s_lshl_b32 s34, s24, 3
	s_lshl_b64 s[22:23], s[20:21], 3
	s_add_co_i32 s15, s14, s15
	s_lshl_b32 s35, s31, 16
	s_lshl_b32 s24, s24, 6
	s_mov_b32 s25, s7
	s_lshl_b64 s[26:27], s[26:27], 3
	s_branch .LBB72_4
.LBB72_2:                               ;   in Loop: Header=BB72_4 Depth=1
	s_wait_dscnt 0x0
	global_store_b64 v3, v[8:9], s[28:29]
.LBB72_3:                               ;   in Loop: Header=BB72_4 Depth=1
	s_wait_xcnt 0x0
	s_or_b32 exec_lo, exec_lo, s36
	s_add_co_i32 s6, s6, 0x10000
	s_add_co_i32 s15, s15, s35
	s_cmp_lt_u32 s6, s30
	s_cbranch_scc0 .LBB72_21
.LBB72_4:                               ; =>This Loop Header: Depth=1
                                        ;     Child Loop BB72_14 Depth 2
	s_mul_u64 s[28:29], s[10:11], s[6:7]
	s_wait_dscnt 0x0
	v_mov_b64_e32 v[8:9], 0
	s_lshl_b64 s[28:29], s[28:29], 3
	s_delay_alu instid0(SALU_CYCLE_1)
	s_add_nc_u64 s[28:29], s[8:9], s[28:29]
	global_load_b64 v[6:7], v3, s[28:29]
	s_wait_xcnt 0x0
	s_and_saveexec_b32 s28, s0
	s_cbranch_execnz .LBB72_13
; %bb.5:                                ;   in Loop: Header=BB72_4 Depth=1
	s_or_b32 exec_lo, exec_lo, s28
	s_and_saveexec_b32 s28, s1
	s_cbranch_execnz .LBB72_16
.LBB72_6:                               ;   in Loop: Header=BB72_4 Depth=1
	s_or_b32 exec_lo, exec_lo, s28
	s_and_saveexec_b32 s28, s2
.LBB72_7:                               ;   in Loop: Header=BB72_4 Depth=1
	ds_store_b64 v13, v[4:5]
.LBB72_8:                               ;   in Loop: Header=BB72_4 Depth=1
	s_or_b32 exec_lo, exec_lo, s28
	ds_bpermute_b32 v10, v14, v8
	ds_bpermute_b32 v11, v14, v9
	s_wait_loadcnt_dscnt 0x0
	s_barrier_signal -1
	s_barrier_wait -1
	v_add_f64_e32 v[8:9], v[8:9], v[10:11]
	ds_bpermute_b32 v10, v15, v8
	ds_bpermute_b32 v11, v15, v9
	s_wait_dscnt 0x0
	v_add_f64_e32 v[8:9], v[8:9], v[10:11]
	ds_bpermute_b32 v10, v16, v8
	ds_bpermute_b32 v11, v16, v9
	s_wait_dscnt 0x0
	;; [unrolled: 4-line block ×3, first 2 shown]
	v_add_f64_e32 v[8:9], v[8:9], v[10:11]
	ds_bpermute_b32 v10, v18, v8
	ds_bpermute_b32 v11, v18, v9
	s_and_saveexec_b32 s28, s3
	s_cbranch_execz .LBB72_10
; %bb.9:                                ;   in Loop: Header=BB72_4 Depth=1
	s_wait_dscnt 0x0
	v_add_f64_e32 v[8:9], v[8:9], v[10:11]
	ds_store_b64 v19, v[8:9]
.LBB72_10:                              ;   in Loop: Header=BB72_4 Depth=1
	s_or_b32 exec_lo, exec_lo, s28
	v_mov_b64_e32 v[8:9], 0
	s_wait_dscnt 0x0
	s_barrier_signal -1
	s_barrier_wait -1
	s_and_saveexec_b32 s28, s4
	s_cbranch_execnz .LBB72_17
; %bb.11:                               ;   in Loop: Header=BB72_4 Depth=1
	s_or_b32 exec_lo, exec_lo, s28
	s_and_saveexec_b32 s28, s2
	s_cbranch_execnz .LBB72_18
.LBB72_12:                              ;   in Loop: Header=BB72_4 Depth=1
	s_or_b32 exec_lo, exec_lo, s28
	s_and_saveexec_b32 s36, s5
	s_cbranch_execz .LBB72_3
	s_branch .LBB72_19
.LBB72_13:                              ;   in Loop: Header=BB72_4 Depth=1
	v_mad_nc_u64_u32 v[10:11], s22, s15, v[0:1]
	v_mov_b64_e32 v[8:9], 0
	v_mov_b32_e32 v20, v12
	s_mov_b32 s29, 0
	s_delay_alu instid0(VALU_DEP_3)
	v_mad_u32 v11, s23, s15, v11
.LBB72_14:                              ;   Parent Loop BB72_4 Depth=1
                                        ; =>  This Inner Loop Header: Depth=2
	s_clause 0x3
	global_load_b128 v[22:25], v[10:11], off offset:-56
	global_load_b128 v[26:29], v[10:11], off offset:-40
	;; [unrolled: 1-line block ×4, first 2 shown]
	s_wait_xcnt 0x0
	v_add_nc_u64_e32 v[10:11], s[24:25], v[10:11]
	v_add_nc_u32_e32 v20, s34, v20
	s_delay_alu instid0(VALU_DEP_1) | instskip(SKIP_3) | instid1(VALU_DEP_1)
	v_cmp_le_i32_e32 vcc_lo, s33, v20
	s_or_b32 s29, vcc_lo, s29
	s_wait_loadcnt 0x3
	v_add_f64_e32 v[8:9], v[8:9], v[22:23]
	v_add_f64_e32 v[8:9], v[8:9], v[24:25]
	s_wait_loadcnt 0x2
	s_delay_alu instid0(VALU_DEP_1) | instskip(NEXT) | instid1(VALU_DEP_1)
	v_add_f64_e32 v[8:9], v[8:9], v[26:27]
	v_add_f64_e32 v[8:9], v[8:9], v[28:29]
	s_wait_loadcnt 0x1
	s_delay_alu instid0(VALU_DEP_1) | instskip(NEXT) | instid1(VALU_DEP_1)
	;; [unrolled: 4-line block ×3, first 2 shown]
	v_add_f64_e32 v[8:9], v[8:9], v[34:35]
	v_add_f64_e32 v[8:9], v[8:9], v[36:37]
	s_and_not1_b32 exec_lo, exec_lo, s29
	s_cbranch_execnz .LBB72_14
; %bb.15:                               ;   in Loop: Header=BB72_4 Depth=1
	s_or_b32 exec_lo, exec_lo, s29
	s_delay_alu instid0(SALU_CYCLE_1)
	s_or_b32 exec_lo, exec_lo, s28
	s_and_saveexec_b32 s28, s1
	s_cbranch_execz .LBB72_6
.LBB72_16:                              ;   in Loop: Header=BB72_4 Depth=1
	s_mul_i32 s29, s31, s6
	s_mov_b32 s37, s7
	s_add_co_i32 s36, s29, s14
	s_delay_alu instid0(SALU_CYCLE_1) | instskip(NEXT) | instid1(SALU_CYCLE_1)
	s_mul_u64 s[36:37], s[36:37], s[20:21]
	s_lshl_b64 s[36:37], s[36:37], 3
	s_delay_alu instid0(SALU_CYCLE_1) | instskip(NEXT) | instid1(SALU_CYCLE_1)
	s_add_nc_u64 s[36:37], s[18:19], s[36:37]
	v_lshl_add_u64 v[10:11], v[2:3], 3, s[36:37]
	global_load_b64 v[10:11], v[10:11], off
	s_wait_loadcnt 0x0
	v_add_f64_e32 v[8:9], v[8:9], v[10:11]
	s_wait_xcnt 0x0
	s_or_b32 exec_lo, exec_lo, s28
	s_and_saveexec_b32 s28, s2
	s_cbranch_execnz .LBB72_7
	s_branch .LBB72_8
.LBB72_17:                              ;   in Loop: Header=BB72_4 Depth=1
	ds_load_b64 v[8:9], v13
	s_or_b32 exec_lo, exec_lo, s28
	s_and_saveexec_b32 s28, s2
	s_cbranch_execz .LBB72_12
.LBB72_18:                              ;   in Loop: Header=BB72_4 Depth=1
	s_wait_dscnt 0x0
	ds_bpermute_b32 v10, v16, v8
	ds_bpermute_b32 v11, v16, v9
	s_wait_dscnt 0x0
	v_add_f64_e32 v[8:9], v[8:9], v[10:11]
	ds_bpermute_b32 v10, v17, v8
	ds_bpermute_b32 v11, v17, v9
	s_wait_dscnt 0x0
	v_add_f64_e32 v[8:9], v[8:9], v[10:11]
	;; [unrolled: 4-line block ×3, first 2 shown]
	s_or_b32 exec_lo, exec_lo, s28
	s_and_saveexec_b32 s36, s5
	s_cbranch_execz .LBB72_3
.LBB72_19:                              ;   in Loop: Header=BB72_4 Depth=1
	v_cmp_eq_f64_e32 vcc_lo, 0, v[6:7]
	s_mul_u64 s[28:29], s[16:17], s[6:7]
	s_delay_alu instid0(SALU_CYCLE_1) | instskip(NEXT) | instid1(SALU_CYCLE_1)
	s_lshl_b64 s[28:29], s[28:29], 3
	s_add_nc_u64 s[28:29], s[12:13], s[28:29]
	s_delay_alu instid0(SALU_CYCLE_1)
	s_add_nc_u64 s[28:29], s[28:29], s[26:27]
	s_cbranch_vccnz .LBB72_2
; %bb.20:                               ;   in Loop: Header=BB72_4 Depth=1
	global_load_b64 v[10:11], v3, s[28:29]
	s_wait_loadcnt_dscnt 0x0
	v_fmac_f64_e32 v[8:9], v[6:7], v[10:11]
	s_branch .LBB72_2
.LBB72_21:
	s_endpgm
	.section	.rodata,"a",@progbits
	.p2align	6, 0x0
	.amdhsa_kernel _ZL23rocblas_gemvt_sn_reduceILi256ELi8EdPKddEviT2_lPT3_lilPT1_i
		.amdhsa_group_segment_fixed_size 256
		.amdhsa_private_segment_fixed_size 0
		.amdhsa_kernarg_size 328
		.amdhsa_user_sgpr_count 2
		.amdhsa_user_sgpr_dispatch_ptr 0
		.amdhsa_user_sgpr_queue_ptr 0
		.amdhsa_user_sgpr_kernarg_segment_ptr 1
		.amdhsa_user_sgpr_dispatch_id 0
		.amdhsa_user_sgpr_kernarg_preload_length 0
		.amdhsa_user_sgpr_kernarg_preload_offset 0
		.amdhsa_user_sgpr_private_segment_size 0
		.amdhsa_wavefront_size32 1
		.amdhsa_uses_dynamic_stack 0
		.amdhsa_enable_private_segment 0
		.amdhsa_system_sgpr_workgroup_id_x 1
		.amdhsa_system_sgpr_workgroup_id_y 1
		.amdhsa_system_sgpr_workgroup_id_z 1
		.amdhsa_system_sgpr_workgroup_info 0
		.amdhsa_system_vgpr_workitem_id 0
		.amdhsa_next_free_vgpr 38
		.amdhsa_next_free_sgpr 38
		.amdhsa_named_barrier_count 0
		.amdhsa_reserve_vcc 1
		.amdhsa_float_round_mode_32 0
		.amdhsa_float_round_mode_16_64 0
		.amdhsa_float_denorm_mode_32 3
		.amdhsa_float_denorm_mode_16_64 3
		.amdhsa_fp16_overflow 0
		.amdhsa_memory_ordered 1
		.amdhsa_forward_progress 1
		.amdhsa_inst_pref_size 10
		.amdhsa_round_robin_scheduling 0
		.amdhsa_exception_fp_ieee_invalid_op 0
		.amdhsa_exception_fp_denorm_src 0
		.amdhsa_exception_fp_ieee_div_zero 0
		.amdhsa_exception_fp_ieee_overflow 0
		.amdhsa_exception_fp_ieee_underflow 0
		.amdhsa_exception_fp_ieee_inexact 0
		.amdhsa_exception_int_div_zero 0
	.end_amdhsa_kernel
	.section	.text._ZL23rocblas_gemvt_sn_reduceILi256ELi8EdPKddEviT2_lPT3_lilPT1_i,"axG",@progbits,_ZL23rocblas_gemvt_sn_reduceILi256ELi8EdPKddEviT2_lPT3_lilPT1_i,comdat
.Lfunc_end72:
	.size	_ZL23rocblas_gemvt_sn_reduceILi256ELi8EdPKddEviT2_lPT3_lilPT1_i, .Lfunc_end72-_ZL23rocblas_gemvt_sn_reduceILi256ELi8EdPKddEviT2_lPT3_lilPT1_i
                                        ; -- End function
	.set _ZL23rocblas_gemvt_sn_reduceILi256ELi8EdPKddEviT2_lPT3_lilPT1_i.num_vgpr, 38
	.set _ZL23rocblas_gemvt_sn_reduceILi256ELi8EdPKddEviT2_lPT3_lilPT1_i.num_agpr, 0
	.set _ZL23rocblas_gemvt_sn_reduceILi256ELi8EdPKddEviT2_lPT3_lilPT1_i.numbered_sgpr, 38
	.set _ZL23rocblas_gemvt_sn_reduceILi256ELi8EdPKddEviT2_lPT3_lilPT1_i.num_named_barrier, 0
	.set _ZL23rocblas_gemvt_sn_reduceILi256ELi8EdPKddEviT2_lPT3_lilPT1_i.private_seg_size, 0
	.set _ZL23rocblas_gemvt_sn_reduceILi256ELi8EdPKddEviT2_lPT3_lilPT1_i.uses_vcc, 1
	.set _ZL23rocblas_gemvt_sn_reduceILi256ELi8EdPKddEviT2_lPT3_lilPT1_i.uses_flat_scratch, 0
	.set _ZL23rocblas_gemvt_sn_reduceILi256ELi8EdPKddEviT2_lPT3_lilPT1_i.has_dyn_sized_stack, 0
	.set _ZL23rocblas_gemvt_sn_reduceILi256ELi8EdPKddEviT2_lPT3_lilPT1_i.has_recursion, 0
	.set _ZL23rocblas_gemvt_sn_reduceILi256ELi8EdPKddEviT2_lPT3_lilPT1_i.has_indirect_call, 0
	.section	.AMDGPU.csdata,"",@progbits
; Kernel info:
; codeLenInByte = 1220
; TotalNumSgprs: 40
; NumVgprs: 38
; ScratchSize: 0
; MemoryBound: 1
; FloatMode: 240
; IeeeMode: 1
; LDSByteSize: 256 bytes/workgroup (compile time only)
; SGPRBlocks: 0
; VGPRBlocks: 2
; NumSGPRsForWavesPerEU: 40
; NumVGPRsForWavesPerEU: 38
; NamedBarCnt: 0
; Occupancy: 16
; WaveLimiterHint : 0
; COMPUTE_PGM_RSRC2:SCRATCH_EN: 0
; COMPUTE_PGM_RSRC2:USER_SGPR: 2
; COMPUTE_PGM_RSRC2:TRAP_HANDLER: 0
; COMPUTE_PGM_RSRC2:TGID_X_EN: 1
; COMPUTE_PGM_RSRC2:TGID_Y_EN: 1
; COMPUTE_PGM_RSRC2:TGID_Z_EN: 1
; COMPUTE_PGM_RSRC2:TIDIG_COMP_CNT: 0
	.section	.text._ZL23rocblas_gemvt_sn_kernelILb0ELi256ELi4EidddEviiT4_lPKT3_lilS3_lilPT5_i,"axG",@progbits,_ZL23rocblas_gemvt_sn_kernelILb0ELi256ELi4EidddEviiT4_lPKT3_lilS3_lilPT5_i,comdat
	.globl	_ZL23rocblas_gemvt_sn_kernelILb0ELi256ELi4EidddEviiT4_lPKT3_lilS3_lilPT5_i ; -- Begin function _ZL23rocblas_gemvt_sn_kernelILb0ELi256ELi4EidddEviiT4_lPKT3_lilS3_lilPT5_i
	.p2align	8
	.type	_ZL23rocblas_gemvt_sn_kernelILb0ELi256ELi4EidddEviiT4_lPKT3_lilS3_lilPT5_i,@function
_ZL23rocblas_gemvt_sn_kernelILb0ELi256ELi4EidddEviiT4_lPKT3_lilS3_lilPT5_i: ; @_ZL23rocblas_gemvt_sn_kernelILb0ELi256ELi4EidddEviiT4_lPKT3_lilS3_lilPT5_i
; %bb.0:
	s_load_b32 s11, s[0:1], 0x60
	s_bfe_u32 s2, ttmp6, 0x40014
	s_lshr_b32 s3, ttmp7, 16
	s_add_co_i32 s2, s2, 1
	s_bfe_u32 s4, ttmp6, 0x40008
	s_mul_i32 s2, s3, s2
	s_getreg_b32 s25, hwreg(HW_REG_IB_STS2, 6, 4)
	s_add_co_i32 s4, s4, s2
	s_cmp_eq_u32 s25, 0
	s_mov_b32 s27, 0
	s_cselect_b32 s24, s3, s4
	s_wait_kmcnt 0x0
	s_cmp_ge_u32 s24, s11
	s_cbranch_scc1 .LBB73_61
; %bb.1:
	s_clause 0x6
	s_load_b96 s[8:10], s[0:1], 0x40
	s_load_b128 s[4:7], s[0:1], 0x18
	s_load_b128 s[12:15], s[0:1], 0x0
	s_load_b32 s28, s[0:1], 0x28
	s_load_b128 s[16:19], s[0:1], 0x30
	s_load_b128 s[20:23], s[0:1], 0x50
	s_load_b32 s30, s[0:1], 0x68
	s_wait_xcnt 0x0
	v_cmp_eq_u32_e64 s0, 0, v0
	v_dual_lshrrev_b32 v2, 2, v0 :: v_dual_bitop2_b32 v1, 31, v0 bitop3:0x40
	v_cmp_gt_u32_e64 s1, 32, v0
	v_cmp_gt_u32_e64 s2, 8, v0
	v_mbcnt_lo_u32_b32 v50, -1, 0
	s_delay_alu instid0(VALU_DEP_4)
	v_cmp_eq_u32_e64 s3, 0, v1
	v_dual_lshlrev_b32 v48, 3, v1 :: v_dual_bitop2_b32 v49, 56, v2 bitop3:0x40
	v_mov_b64_e32 v[34:35], 0
	s_mov_b32 s31, s27
	s_mov_b32 s35, s27
	v_lshl_or_b32 v51, v50, 2, 64
	s_wait_kmcnt 0x0
	s_lshl_b64 s[8:9], s[8:9], 3
	s_lshl_b64 s[6:7], s[6:7], 3
	s_ashr_i32 s39, s13, 31
	s_cmp_gt_i32 s13, 0
	s_add_nc_u64 s[4:5], s[4:5], s[6:7]
	s_cselect_b32 s26, -1, 0
	s_bfe_u32 s33, ttmp6, 0x4000c
	s_and_b32 s34, ttmp6, 15
	s_add_co_i32 s33, s33, 1
	s_mov_b32 s38, s13
	s_mul_i32 s36, ttmp9, s33
	s_and_b32 s33, s0, s26
	s_add_co_i32 s34, s34, s36
	s_cmp_eq_u32 s25, 0
	s_mul_u64 s[36:37], s[38:39], s[30:31]
	s_cselect_b32 s34, ttmp9, s34
	s_ashr_i32 s7, s12, 31
	s_lshl_b32 s6, s34, 10
	s_mov_b32 s29, s27
	v_lshl_or_b32 v0, v0, 2, s6
	s_lshr_b32 s6, s7, 30
	s_lshr_b32 s7, s39, 30
	s_add_co_i32 s6, s12, s6
	s_add_co_i32 s7, s13, s7
	v_mul_lo_u32 v24, s10, v0
	s_and_b32 s6, s6, -4
	v_dual_ashrrev_i32 v1, 31, v0 :: v_dual_add_nc_u32 v2, 4, v0
	s_sub_co_i32 s69, s12, s6
	s_and_b32 s68, s7, -4
	s_add_nc_u64 s[18:19], s[18:19], s[8:9]
	s_delay_alu instid0(VALU_DEP_1)
	v_lshl_add_u64 v[30:31], v[0:1], 3, s[4:5]
	v_cmp_ge_i32_e64 s4, s12, v2
	s_cmp_gt_i32 s68, 0
	s_mov_b32 s47, s27
	v_dual_add_nc_u32 v26, s10, v24 :: v_dual_ashrrev_i32 v25, 31, v24
	v_add_nc_u32_e32 v3, s69, v0
	s_cselect_b32 s70, -1, 0
	s_cmp_gt_i32 s69, 0
	s_delay_alu instid0(VALU_DEP_2)
	v_add_nc_u32_e32 v28, s10, v26
	s_cselect_b32 s71, -1, 0
	v_cmp_ge_i32_e64 s5, s12, v3
	v_cmp_eq_f64_e64 s12, s[14:15], 0
	s_lshl_b32 s26, s28, 1
	v_dual_add_nc_u32 v32, s10, v28 :: v_dual_ashrrev_i32 v27, 31, v26
	v_dual_mov_b32 v0, 0 :: v_dual_ashrrev_i32 v29, 31, v28
	s_lshl_b64 s[38:39], s[34:35], 3
	s_delay_alu instid0(VALU_DEP_2)
	v_ashrrev_i32_e32 v33, 31, v32
	s_mov_b64 s[48:49], s[26:27]
	s_mul_i32 s26, s28, 3
	s_lshl_b64 s[40:41], s[36:37], 3
	s_lshl_b64 s[42:43], s[30:31], 3
	s_add_nc_u64 s[44:45], s[22:23], s[38:39]
	s_lshl_b32 s46, s28, 2
	s_mov_b64 s[50:51], s[26:27]
	s_lshl_b64 s[52:53], s[16:17], 3
	s_branch .LBB73_3
.LBB73_2:                               ;   in Loop: Header=BB73_3 Depth=1
	s_add_co_i32 s24, s24, 0x10000
	s_delay_alu instid0(SALU_CYCLE_1)
	s_cmp_lt_u32 s24, s11
	s_cbranch_scc0 .LBB73_61
.LBB73_3:                               ; =>This Loop Header: Depth=1
                                        ;     Child Loop BB73_6 Depth 2
                                        ;     Child Loop BB73_12 Depth 2
                                        ;       Child Loop BB73_18 Depth 3
                                        ;       Child Loop BB73_21 Depth 3
	;; [unrolled: 1-line block ×3, first 2 shown]
                                        ;     Child Loop BB73_40 Depth 2
                                        ;       Child Loop BB73_53 Depth 3
                                        ;       Child Loop BB73_56 Depth 3
	s_mov_b32 s25, s27
	s_and_not1_b32 vcc_lo, exec_lo, s12
	s_mov_b32 s6, -1
	s_cbranch_vccnz .LBB73_8
; %bb.4:                                ;   in Loop: Header=BB73_3 Depth=1
	s_and_saveexec_b32 s8, s33
	s_cbranch_execz .LBB73_7
; %bb.5:                                ;   in Loop: Header=BB73_3 Depth=1
	s_mul_u64 s[6:7], s[40:41], s[24:25]
	s_mov_b32 s9, s13
	s_add_nc_u64 s[6:7], s[44:45], s[6:7]
.LBB73_6:                               ;   Parent Loop BB73_3 Depth=1
                                        ; =>  This Inner Loop Header: Depth=2
	s_add_co_i32 s9, s9, -1
	global_store_b64 v0, v[34:35], s[6:7]
	s_cmp_eq_u32 s9, 0
	s_wait_xcnt 0x0
	s_add_nc_u64 s[6:7], s[6:7], s[42:43]
	s_cbranch_scc0 .LBB73_6
.LBB73_7:                               ;   in Loop: Header=BB73_3 Depth=1
	s_or_b32 exec_lo, exec_lo, s8
	s_mov_b32 s6, 0
.LBB73_8:                               ;   in Loop: Header=BB73_3 Depth=1
	s_delay_alu instid0(SALU_CYCLE_1)
	s_and_not1_b32 vcc_lo, exec_lo, s6
	s_cbranch_vccnz .LBB73_2
; %bb.9:                                ;   in Loop: Header=BB73_3 Depth=1
	s_mul_u64 s[6:7], s[20:21], s[24:25]
	s_mul_u64 s[8:9], s[52:53], s[24:25]
	s_lshl_b64 s[6:7], s[6:7], 3
	s_mul_u64 s[56:57], s[16:17], s[24:25]
	s_add_nc_u64 s[54:55], s[18:19], s[6:7]
	v_add_nc_u64_e32 v[46:47], s[8:9], v[30:31]
	s_mul_u64 s[58:59], s[36:37], s[24:25]
	v_lshl_add_u64 v[36:37], s[56:57], 3, v[30:31]
	v_lshl_add_u64 v[38:39], v[24:25], 3, s[54:55]
	;; [unrolled: 1-line block ×5, first 2 shown]
	v_cmp_gt_u32_e64 s9, 24, v50
	v_cmp_gt_u32_e64 s8, 28, v50
	;; [unrolled: 1-line block ×3, first 2 shown]
	v_cmp_ne_u32_e64 s6, 31, v50
	s_lshl_b64 s[56:57], s[58:59], 3
	s_and_not1_b32 vcc_lo, exec_lo, s70
	s_add_nc_u64 s[56:57], s[22:23], s[56:57]
	s_cbranch_vccnz .LBB73_36
; %bb.10:                               ;   in Loop: Header=BB73_3 Depth=1
	v_cndmask_b32_e64 v1, 0, 8, s9
	v_cndmask_b32_e64 v8, 0, 4, s8
	;; [unrolled: 1-line block ×3, first 2 shown]
	v_add_co_ci_u32_e64 v10, null, 0, v50, s6
	v_dual_mov_b32 v5, v0 :: v_dual_mov_b32 v6, v0
	s_delay_alu instid0(VALU_DEP_2)
	v_dual_mov_b32 v7, v0 :: v_dual_lshlrev_b32 v55, 2, v10
	v_add_lshl_u32 v52, v1, v50, 2
	s_wait_dscnt 0x0
	v_dual_mov_b32 v1, v0 :: v_dual_mov_b32 v2, v0
	v_dual_mov_b32 v3, v0 :: v_dual_mov_b32 v4, v0
	v_add_lshl_u32 v53, v8, v50, 2
	v_add_lshl_u32 v54, v9, v50, 2
	v_mov_b64_e32 v[14:15], v[6:7]
	s_delay_alu instid0(VALU_DEP_4)
	v_mov_b64_e32 v[10:11], v[2:3]
	v_mov_b64_e32 v[12:13], v[4:5]
	;; [unrolled: 1-line block ×3, first 2 shown]
	s_mov_b32 s58, 0
	s_mov_b64 s[60:61], s[50:51]
	s_mov_b64 s[62:63], s[48:49]
	;; [unrolled: 1-line block ×3, first 2 shown]
	s_mov_b32 s26, s58
	s_branch .LBB73_12
.LBB73_11:                              ;   in Loop: Header=BB73_12 Depth=2
	s_wait_xcnt 0x0
	s_or_b32 exec_lo, exec_lo, s6
	s_add_co_i32 s26, s26, 4
	s_add_co_i32 s58, s58, s46
	s_add_nc_u64 s[64:65], s[64:65], s[46:47]
	s_add_nc_u64 s[62:63], s[62:63], s[46:47]
	s_cmp_ge_i32 s26, s68
	s_add_nc_u64 s[60:61], s[60:61], s[46:47]
	s_cbranch_scc1 .LBB73_37
.LBB73_12:                              ;   Parent Loop BB73_3 Depth=1
                                        ; =>  This Loop Header: Depth=2
                                        ;       Child Loop BB73_18 Depth 3
                                        ;       Child Loop BB73_21 Depth 3
	;; [unrolled: 1-line block ×3, first 2 shown]
                                        ; implicit-def: $vgpr16_vgpr17_vgpr18_vgpr19_vgpr20_vgpr21_vgpr22_vgpr23
	s_and_saveexec_b32 s6, s4
	s_delay_alu instid0(SALU_CYCLE_1)
	s_xor_b32 s6, exec_lo, s6
	s_cbranch_execz .LBB73_14
; %bb.13:                               ;   in Loop: Header=BB73_12 Depth=2
	s_mul_i32 s8, s26, s28
	s_delay_alu instid0(SALU_CYCLE_1)
	s_ashr_i32 s9, s8, 31
	s_add_co_i32 s66, s8, s28
	v_lshl_add_u64 v[6:7], s[8:9], 3, v[36:37]
	s_ashr_i32 s67, s66, 31
	s_add_co_i32 s8, s66, s28
	v_lshl_add_u64 v[14:15], s[66:67], 3, v[36:37]
	s_add_co_i32 s66, s8, s28
	s_ashr_i32 s9, s8, 31
	s_ashr_i32 s67, s66, 31
	v_lshl_add_u64 v[16:17], s[8:9], 3, v[36:37]
	v_lshl_add_u64 v[18:19], s[66:67], 3, v[36:37]
	global_load_b64 v[8:9], v[38:39], off
	s_clause 0x3
	global_load_b128 v[2:5], v[6:7], off
	global_load_b128 v[56:59], v[14:15], off
	;; [unrolled: 1-line block ×4, first 2 shown]
	global_load_b64 v[10:11], v[40:41], off
	global_load_b128 v[68:71], v[6:7], off offset:16
	global_load_b64 v[12:13], v[42:43], off
	s_clause 0x2
	global_load_b128 v[72:75], v[14:15], off offset:16
	global_load_b128 v[76:79], v[16:17], off offset:16
	;; [unrolled: 1-line block ×3, first 2 shown]
	global_load_b64 v[14:15], v[44:45], off
	s_wait_loadcnt 0xa
	s_wait_xcnt 0x2
	v_fma_f64 v[16:17], v[8:9], v[2:3], 0
	s_wait_loadcnt 0x9
	s_wait_xcnt 0x1
	v_fma_f64 v[18:19], v[8:9], v[56:57], 0
	s_wait_loadcnt 0x8
	v_fma_f64 v[20:21], v[8:9], v[60:61], 0
	s_wait_loadcnt 0x7
	;; [unrolled: 2-line block ×3, first 2 shown]
	s_delay_alu instid0(VALU_DEP_4) | instskip(NEXT) | instid1(VALU_DEP_4)
	v_fmac_f64_e32 v[16:17], v[10:11], v[4:5]
	v_fmac_f64_e32 v[18:19], v[10:11], v[58:59]
	s_delay_alu instid0(VALU_DEP_4) | instskip(NEXT) | instid1(VALU_DEP_4)
	v_fmac_f64_e32 v[20:21], v[10:11], v[62:63]
	v_fmac_f64_e32 v[22:23], v[10:11], v[66:67]
	s_wait_loadcnt 0x4
	s_delay_alu instid0(VALU_DEP_4) | instskip(SKIP_1) | instid1(VALU_DEP_4)
	v_fmac_f64_e32 v[16:17], v[12:13], v[68:69]
	s_wait_loadcnt 0x3
	v_fmac_f64_e32 v[18:19], v[12:13], v[72:73]
	s_wait_loadcnt 0x2
	s_delay_alu instid0(VALU_DEP_4) | instskip(SKIP_1) | instid1(VALU_DEP_4)
	v_fmac_f64_e32 v[20:21], v[12:13], v[76:77]
	s_wait_loadcnt 0x1
	v_fmac_f64_e32 v[22:23], v[12:13], v[80:81]
	s_wait_loadcnt 0x0
	s_delay_alu instid0(VALU_DEP_4) | instskip(NEXT) | instid1(VALU_DEP_4)
	v_fmac_f64_e32 v[16:17], v[14:15], v[70:71]
	v_fmac_f64_e32 v[18:19], v[14:15], v[74:75]
	s_delay_alu instid0(VALU_DEP_4) | instskip(NEXT) | instid1(VALU_DEP_4)
	v_fmac_f64_e32 v[20:21], v[14:15], v[78:79]
	v_fmac_f64_e32 v[22:23], v[14:15], v[82:83]
.LBB73_14:                              ;   in Loop: Header=BB73_12 Depth=2
	s_wait_xcnt 0x0
	s_and_not1_saveexec_b32 s25, s6
	s_cbranch_execz .LBB73_24
; %bb.15:                               ;   in Loop: Header=BB73_12 Depth=2
	v_dual_mov_b32 v5, v0 :: v_dual_mov_b32 v6, v0
	v_dual_mov_b32 v7, v0 :: v_dual_mov_b32 v1, v0
	;; [unrolled: 1-line block ×3, first 2 shown]
	v_mov_b32_e32 v4, v0
	s_delay_alu instid0(VALU_DEP_3) | instskip(NEXT) | instid1(VALU_DEP_4)
	v_mov_b64_e32 v[22:23], v[6:7]
	v_mov_b64_e32 v[16:17], v[0:1]
	s_delay_alu instid0(VALU_DEP_4) | instskip(NEXT) | instid1(VALU_DEP_4)
	v_mov_b64_e32 v[18:19], v[2:3]
	v_mov_b64_e32 v[20:21], v[4:5]
	s_and_saveexec_b32 s35, s5
	s_cbranch_execz .LBB73_23
; %bb.16:                               ;   in Loop: Header=BB73_12 Depth=2
	s_and_not1_b32 vcc_lo, exec_lo, s71
	s_cbranch_vccnz .LBB73_19
; %bb.17:                               ;   in Loop: Header=BB73_12 Depth=2
	v_mov_b32_e32 v1, v24
	s_mov_b64 s[66:67], 0
.LBB73_18:                              ;   Parent Loop BB73_3 Depth=1
                                        ;     Parent Loop BB73_12 Depth=2
                                        ; =>    This Inner Loop Header: Depth=3
	global_load_b64 v[2:3], v1, s[54:55] scale_offset
	s_cmp_eq_u32 s66, 3
	s_cselect_b32 vcc_lo, -1, 0
	s_cmp_eq_u32 s66, 2
	s_wait_xcnt 0x0
	v_add_nc_u32_e32 v1, s10, v1
	s_cselect_b32 s6, -1, 0
	s_cmp_eq_u32 s66, 1
	s_cselect_b32 s7, -1, 0
	s_cmp_eq_u32 s66, 0
	s_add_nc_u64 s[66:67], s[66:67], 1
	s_cselect_b32 s8, -1, 0
	s_cmp_eq_u32 s69, s66
	s_wait_loadcnt 0x0
	v_dual_cndmask_b32 v15, v15, v3 :: v_dual_cndmask_b32 v14, v14, v2
	v_dual_cndmask_b32 v13, v13, v3, s6 :: v_dual_cndmask_b32 v12, v12, v2, s6
	v_dual_cndmask_b32 v11, v11, v3, s7 :: v_dual_cndmask_b32 v10, v10, v2, s7
	;; [unrolled: 1-line block ×3, first 2 shown]
	s_cbranch_scc0 .LBB73_18
.LBB73_19:                              ;   in Loop: Header=BB73_12 Depth=2
	s_and_not1_b32 vcc_lo, exec_lo, s71
	s_cbranch_vccnz .LBB73_22
; %bb.20:                               ;   in Loop: Header=BB73_12 Depth=2
	s_ashr_i32 s59, s58, 31
	v_mov_b64_e32 v[16:17], 0
	v_mov_b64_e32 v[18:19], 0
	;; [unrolled: 1-line block ×4, first 2 shown]
	v_lshl_add_u64 v[2:3], s[58:59], 3, v[46:47]
	s_mov_b64 s[8:9], 0
.LBB73_21:                              ;   Parent Loop BB73_3 Depth=1
                                        ;     Parent Loop BB73_12 Depth=2
                                        ; =>    This Inner Loop Header: Depth=3
	s_delay_alu instid0(SALU_CYCLE_1)
	s_cmp_eq_u32 s8, 1
	s_cselect_b32 vcc_lo, -1, 0
	s_cmp_eq_u32 s8, 2
	v_dual_cndmask_b32 v1, v9, v11 :: v_dual_cndmask_b32 v60, v8, v10
	s_cselect_b32 s6, -1, 0
	s_cmp_eq_u32 s8, 3
	s_cselect_b32 s7, -1, 0
	s_add_co_i32 s66, s64, s8
	s_add_co_i32 s72, s62, s8
	;; [unrolled: 1-line block ×3, first 2 shown]
	s_ashr_i32 s67, s66, 31
	s_ashr_i32 s73, s72, 31
	;; [unrolled: 1-line block ×3, first 2 shown]
	s_wait_xcnt 0x2
	v_lshl_add_u64 v[4:5], s[66:67], 3, v[36:37]
	s_wait_xcnt 0x1
	v_lshl_add_u64 v[6:7], s[72:73], 3, v[36:37]
	;; [unrolled: 2-line block ×3, first 2 shown]
	global_load_b64 v[58:59], v[2:3], off
	s_clause 0x2
	global_load_b64 v[4:5], v[4:5], off
	global_load_b64 v[6:7], v[6:7], off
	;; [unrolled: 1-line block ×3, first 2 shown]
	v_dual_cndmask_b32 v1, v1, v13, s6 :: v_dual_cndmask_b32 v60, v60, v12, s6
	s_wait_xcnt 0x3
	v_add_nc_u64_e32 v[2:3], 8, v[2:3]
	s_add_nc_u64 s[8:9], s[8:9], 1
	s_delay_alu instid0(VALU_DEP_2) | instskip(SKIP_2) | instid1(VALU_DEP_1)
	v_dual_cndmask_b32 v61, v1, v15, s7 :: v_dual_cndmask_b32 v60, v60, v14, s7
	s_cmp_lg_u32 s69, s8
	s_wait_loadcnt 0x3
	v_fmac_f64_e32 v[16:17], v[60:61], v[58:59]
	s_wait_loadcnt 0x2
	v_fmac_f64_e32 v[18:19], v[60:61], v[4:5]
	s_wait_loadcnt 0x1
	v_fmac_f64_e32 v[20:21], v[60:61], v[6:7]
	s_wait_loadcnt 0x0
	v_fmac_f64_e32 v[22:23], v[60:61], v[56:57]
	s_cbranch_scc1 .LBB73_21
	s_branch .LBB73_23
.LBB73_22:                              ;   in Loop: Header=BB73_12 Depth=2
	v_dual_mov_b32 v5, v0 :: v_dual_mov_b32 v6, v0
	v_dual_mov_b32 v7, v0 :: v_dual_mov_b32 v1, v0
	;; [unrolled: 1-line block ×3, first 2 shown]
	v_mov_b32_e32 v4, v0
	s_delay_alu instid0(VALU_DEP_3) | instskip(NEXT) | instid1(VALU_DEP_4)
	v_mov_b64_e32 v[22:23], v[6:7]
	v_mov_b64_e32 v[16:17], v[0:1]
	s_delay_alu instid0(VALU_DEP_4) | instskip(NEXT) | instid1(VALU_DEP_4)
	v_mov_b64_e32 v[18:19], v[2:3]
	v_mov_b64_e32 v[20:21], v[4:5]
.LBB73_23:                              ;   in Loop: Header=BB73_12 Depth=2
	s_wait_xcnt 0x0
	s_or_b32 exec_lo, exec_lo, s35
.LBB73_24:                              ;   in Loop: Header=BB73_12 Depth=2
	s_delay_alu instid0(SALU_CYCLE_1)
	s_or_b32 exec_lo, exec_lo, s25
	s_mov_b64 s[6:7], 0
	s_branch .LBB73_26
.LBB73_25:                              ;   in Loop: Header=BB73_26 Depth=3
	s_or_b32 exec_lo, exec_lo, s8
	s_cmp_eq_u32 s6, 3
	s_cselect_b32 vcc_lo, -1, 0
	s_cmp_eq_u32 s6, 2
	s_wait_dscnt 0x0
	s_delay_alu instid0(VALU_DEP_1)
	v_dual_cndmask_b32 v23, v23, v3 :: v_dual_cndmask_b32 v22, v22, v2
	s_cselect_b32 vcc_lo, -1, 0
	s_cmp_eq_u32 s6, 1
	v_dual_cndmask_b32 v21, v21, v3 :: v_dual_cndmask_b32 v20, v20, v2
	s_cselect_b32 vcc_lo, -1, 0
	s_cmp_eq_u32 s6, 0
	v_dual_cndmask_b32 v19, v19, v3 :: v_dual_cndmask_b32 v18, v18, v2
	s_cselect_b32 vcc_lo, -1, 0
	s_add_nc_u64 s[6:7], s[6:7], 1
	v_dual_cndmask_b32 v17, v17, v3 :: v_dual_cndmask_b32 v16, v16, v2
	s_cmp_eq_u32 s6, 4
	s_cbranch_scc1 .LBB73_34
.LBB73_26:                              ;   Parent Loop BB73_3 Depth=1
                                        ;     Parent Loop BB73_12 Depth=2
                                        ; =>    This Inner Loop Header: Depth=3
	s_and_saveexec_b32 s8, s1
; %bb.27:                               ;   in Loop: Header=BB73_26 Depth=3
	ds_store_b64 v48, v[34:35]
; %bb.28:                               ;   in Loop: Header=BB73_26 Depth=3
	s_or_b32 exec_lo, exec_lo, s8
	s_cmp_eq_u32 s6, 1
	s_wait_storecnt_dscnt 0x0
	s_cselect_b32 vcc_lo, -1, 0
	s_cmp_eq_u32 s6, 2
	v_dual_cndmask_b32 v1, v17, v19 :: v_dual_cndmask_b32 v2, v16, v18
	s_cselect_b32 vcc_lo, -1, 0
	s_cmp_eq_u32 s6, 3
	s_barrier_signal -1
	s_delay_alu instid0(VALU_DEP_1) | instskip(SKIP_2) | instid1(VALU_DEP_1)
	v_dual_cndmask_b32 v1, v1, v21 :: v_dual_cndmask_b32 v2, v2, v20
	s_cselect_b32 vcc_lo, -1, 0
	s_barrier_wait -1
	v_dual_cndmask_b32 v3, v1, v23 :: v_dual_cndmask_b32 v2, v2, v22
	ds_bpermute_b32 v5, v51, v3
	ds_bpermute_b32 v4, v51, v2
	s_wait_dscnt 0x0
	v_add_f64_e32 v[2:3], v[2:3], v[4:5]
	ds_bpermute_b32 v4, v52, v2
	ds_bpermute_b32 v5, v52, v3
	s_wait_dscnt 0x0
	v_add_f64_e32 v[2:3], v[2:3], v[4:5]
	;; [unrolled: 4-line block ×4, first 2 shown]
	ds_bpermute_b32 v4, v55, v2
	ds_bpermute_b32 v5, v55, v3
	s_and_saveexec_b32 s8, s3
	s_cbranch_execz .LBB73_30
; %bb.29:                               ;   in Loop: Header=BB73_26 Depth=3
	s_wait_dscnt 0x0
	v_add_f64_e32 v[2:3], v[2:3], v[4:5]
	ds_store_b64 v49, v[2:3]
.LBB73_30:                              ;   in Loop: Header=BB73_26 Depth=3
	s_or_b32 exec_lo, exec_lo, s8
	v_mov_b64_e32 v[2:3], 0
	s_wait_dscnt 0x0
	s_barrier_signal -1
	s_barrier_wait -1
	s_and_saveexec_b32 s8, s2
; %bb.31:                               ;   in Loop: Header=BB73_26 Depth=3
	ds_load_b64 v[2:3], v48
; %bb.32:                               ;   in Loop: Header=BB73_26 Depth=3
	s_or_b32 exec_lo, exec_lo, s8
	s_and_saveexec_b32 s8, s1
	s_cbranch_execz .LBB73_25
; %bb.33:                               ;   in Loop: Header=BB73_26 Depth=3
	s_wait_dscnt 0x0
	ds_bpermute_b32 v4, v53, v2
	ds_bpermute_b32 v5, v53, v3
	s_wait_dscnt 0x0
	v_add_f64_e32 v[2:3], v[2:3], v[4:5]
	ds_bpermute_b32 v4, v54, v2
	ds_bpermute_b32 v5, v54, v3
	s_wait_dscnt 0x0
	v_add_f64_e32 v[2:3], v[2:3], v[4:5]
	;; [unrolled: 4-line block ×3, first 2 shown]
	s_branch .LBB73_25
.LBB73_34:                              ;   in Loop: Header=BB73_12 Depth=2
	s_and_saveexec_b32 s6, s0
	s_cbranch_execz .LBB73_11
; %bb.35:                               ;   in Loop: Header=BB73_12 Depth=2
	s_mul_i32 s7, s26, s30
	s_delay_alu instid0(SALU_CYCLE_1) | instskip(NEXT) | instid1(SALU_CYCLE_1)
	s_add_co_i32 s7, s7, s34
	v_dual_mul_f64 v[2:3], s[14:15], v[16:17] :: v_dual_mov_b32 v1, s7
	s_add_co_i32 s8, s7, s30
	s_delay_alu instid0(SALU_CYCLE_1) | instskip(SKIP_1) | instid1(SALU_CYCLE_1)
	v_dual_mul_f64 v[4:5], s[14:15], v[18:19] :: v_dual_mov_b32 v18, s8
	s_add_co_i32 s7, s8, s30
	v_dual_mul_f64 v[6:7], s[14:15], v[20:21] :: v_dual_mov_b32 v19, s7
	s_add_co_i32 s8, s7, s30
	s_delay_alu instid0(SALU_CYCLE_1)
	v_dual_mul_f64 v[16:17], s[14:15], v[22:23] :: v_dual_mov_b32 v20, s8
	s_clause 0x3
	global_store_b64 v1, v[2:3], s[56:57] scale_offset
	global_store_b64 v18, v[4:5], s[56:57] scale_offset
	global_store_b64 v19, v[6:7], s[56:57] scale_offset
	global_store_b64 v20, v[16:17], s[56:57] scale_offset
	s_branch .LBB73_11
.LBB73_36:                              ;   in Loop: Header=BB73_3 Depth=1
	v_dual_mov_b32 v5, v0 :: v_dual_mov_b32 v6, v0
	v_dual_mov_b32 v7, v0 :: v_dual_mov_b32 v1, v0
	s_wait_dscnt 0x0
	v_dual_mov_b32 v2, v0 :: v_dual_mov_b32 v3, v0
	v_mov_b32_e32 v4, v0
	s_delay_alu instid0(VALU_DEP_3)
	v_mov_b64_e32 v[14:15], v[6:7]
	v_mov_b64_e32 v[8:9], v[0:1]
	s_mov_b32 s26, 0
	v_mov_b64_e32 v[10:11], v[2:3]
	v_mov_b64_e32 v[12:13], v[4:5]
.LBB73_37:                              ;   in Loop: Header=BB73_3 Depth=1
	s_cmp_ge_i32 s26, s13
	s_cbranch_scc1 .LBB73_2
; %bb.38:                               ;   in Loop: Header=BB73_3 Depth=1
	v_cmp_gt_u32_e32 vcc_lo, 24, v50
	s_add_nc_u64 s[56:57], s[56:57], s[38:39]
	s_mul_i32 s58, s28, s26
	v_cndmask_b32_e64 v1, 0, 8, vcc_lo
	v_cmp_gt_u32_e32 vcc_lo, 28, v50
	s_delay_alu instid0(VALU_DEP_2) | instskip(SKIP_2) | instid1(VALU_DEP_2)
	v_add_lshl_u32 v1, v1, v50, 2
	v_cndmask_b32_e64 v2, 0, 4, vcc_lo
	v_cmp_gt_u32_e32 vcc_lo, 30, v50
	v_add_lshl_u32 v6, v2, v50, 2
	v_cndmask_b32_e64 v3, 0, 2, vcc_lo
	v_cmp_ne_u32_e32 vcc_lo, 31, v50
	s_delay_alu instid0(VALU_DEP_2) | instskip(SKIP_1) | instid1(VALU_DEP_1)
	v_add_lshl_u32 v7, v3, v50, 2
	v_add_co_ci_u32_e64 v4, null, 0, v50, vcc_lo
	v_lshlrev_b32_e32 v16, 2, v4
	s_branch .LBB73_40
.LBB73_39:                              ;   in Loop: Header=BB73_40 Depth=2
	s_wait_xcnt 0x0
	s_or_b32 exec_lo, exec_lo, s6
	s_add_co_i32 s26, s26, 1
	s_add_co_i32 s58, s58, s28
	s_cmp_ge_i32 s26, s13
	s_cbranch_scc1 .LBB73_2
.LBB73_40:                              ;   Parent Loop BB73_3 Depth=1
                                        ; =>  This Loop Header: Depth=2
                                        ;       Child Loop BB73_53 Depth 3
                                        ;       Child Loop BB73_56 Depth 3
	s_wait_dscnt 0x0
	v_dual_mov_b32 v2, s27 :: v_dual_mov_b32 v3, s27
	s_and_saveexec_b32 s6, s4
	s_delay_alu instid0(SALU_CYCLE_1)
	s_xor_b32 s6, exec_lo, s6
	s_cbranch_execnz .LBB73_49
; %bb.41:                               ;   in Loop: Header=BB73_40 Depth=2
	s_and_not1_saveexec_b32 s9, s6
	s_cbranch_execnz .LBB73_50
.LBB73_42:                              ;   in Loop: Header=BB73_40 Depth=2
	s_or_b32 exec_lo, exec_lo, s9
	s_and_saveexec_b32 s6, s1
.LBB73_43:                              ;   in Loop: Header=BB73_40 Depth=2
	ds_store_b64 v48, v[34:35]
.LBB73_44:                              ;   in Loop: Header=BB73_40 Depth=2
	s_or_b32 exec_lo, exec_lo, s6
	ds_bpermute_b32 v4, v51, v2
	ds_bpermute_b32 v5, v51, v3
	s_wait_storecnt_dscnt 0x0
	s_barrier_signal -1
	s_barrier_wait -1
	v_add_f64_e32 v[2:3], v[2:3], v[4:5]
	ds_bpermute_b32 v4, v1, v2
	ds_bpermute_b32 v5, v1, v3
	s_wait_dscnt 0x0
	v_add_f64_e32 v[2:3], v[2:3], v[4:5]
	ds_bpermute_b32 v4, v6, v2
	ds_bpermute_b32 v5, v6, v3
	s_wait_dscnt 0x0
	;; [unrolled: 4-line block ×3, first 2 shown]
	v_add_f64_e32 v[2:3], v[2:3], v[4:5]
	ds_bpermute_b32 v4, v16, v2
	ds_bpermute_b32 v5, v16, v3
	s_and_saveexec_b32 s6, s3
	s_cbranch_execz .LBB73_46
; %bb.45:                               ;   in Loop: Header=BB73_40 Depth=2
	s_wait_dscnt 0x0
	v_add_f64_e32 v[2:3], v[2:3], v[4:5]
	ds_store_b64 v49, v[2:3]
.LBB73_46:                              ;   in Loop: Header=BB73_40 Depth=2
	s_or_b32 exec_lo, exec_lo, s6
	v_mov_b64_e32 v[2:3], 0
	s_wait_dscnt 0x0
	s_barrier_signal -1
	s_barrier_wait -1
	s_and_saveexec_b32 s6, s2
	s_cbranch_execnz .LBB73_58
; %bb.47:                               ;   in Loop: Header=BB73_40 Depth=2
	s_or_b32 exec_lo, exec_lo, s6
	s_and_saveexec_b32 s6, s1
	s_cbranch_execnz .LBB73_59
.LBB73_48:                              ;   in Loop: Header=BB73_40 Depth=2
	s_or_b32 exec_lo, exec_lo, s6
	s_and_saveexec_b32 s6, s0
	s_cbranch_execz .LBB73_39
	s_branch .LBB73_60
.LBB73_49:                              ;   in Loop: Header=BB73_40 Depth=2
	s_mul_i32 s8, s26, s28
	s_delay_alu instid0(SALU_CYCLE_1) | instskip(NEXT) | instid1(SALU_CYCLE_1)
	s_ashr_i32 s9, s8, 31
	v_lshl_add_u64 v[12:13], s[8:9], 3, v[36:37]
	global_load_b128 v[2:5], v[12:13], off
	s_clause 0x1
	global_load_b64 v[8:9], v[38:39], off
	global_load_b64 v[10:11], v[40:41], off
	global_load_b128 v[18:21], v[12:13], off offset:16
	s_clause 0x1
	global_load_b64 v[12:13], v[42:43], off
	global_load_b64 v[14:15], v[44:45], off
	s_wait_loadcnt 0x4
	v_fma_f64 v[2:3], v[8:9], v[2:3], 0
	s_wait_loadcnt 0x3
	s_delay_alu instid0(VALU_DEP_1) | instskip(SKIP_1) | instid1(VALU_DEP_1)
	v_fmac_f64_e32 v[2:3], v[10:11], v[4:5]
	s_wait_loadcnt 0x1
	v_fmac_f64_e32 v[2:3], v[12:13], v[18:19]
	s_wait_loadcnt 0x0
	s_delay_alu instid0(VALU_DEP_1)
	v_fmac_f64_e32 v[2:3], v[14:15], v[20:21]
	s_wait_xcnt 0x0
	s_and_not1_saveexec_b32 s9, s6
	s_cbranch_execz .LBB73_42
.LBB73_50:                              ;   in Loop: Header=BB73_40 Depth=2
	s_and_saveexec_b32 s25, s5
	s_cbranch_execz .LBB73_57
; %bb.51:                               ;   in Loop: Header=BB73_40 Depth=2
	s_and_not1_b32 vcc_lo, exec_lo, s71
	s_cbranch_vccnz .LBB73_54
; %bb.52:                               ;   in Loop: Header=BB73_40 Depth=2
	v_mov_b32_e32 v4, v24
	s_mov_b64 s[60:61], 0
.LBB73_53:                              ;   Parent Loop BB73_3 Depth=1
                                        ;     Parent Loop BB73_40 Depth=2
                                        ; =>    This Inner Loop Header: Depth=3
	global_load_b64 v[18:19], v4, s[54:55] scale_offset
	s_cmp_eq_u32 s60, 3
	s_cselect_b32 vcc_lo, -1, 0
	s_cmp_eq_u32 s60, 2
	s_wait_xcnt 0x0
	v_add_nc_u32_e32 v4, s10, v4
	s_cselect_b32 s6, -1, 0
	s_cmp_eq_u32 s60, 1
	s_cselect_b32 s7, -1, 0
	s_cmp_eq_u32 s60, 0
	s_add_nc_u64 s[60:61], s[60:61], 1
	s_cselect_b32 s8, -1, 0
	s_cmp_eq_u32 s69, s60
	s_wait_loadcnt 0x0
	v_dual_cndmask_b32 v15, v15, v19 :: v_dual_cndmask_b32 v14, v14, v18
	v_dual_cndmask_b32 v13, v13, v19, s6 :: v_dual_cndmask_b32 v12, v12, v18, s6
	v_dual_cndmask_b32 v11, v11, v19, s7 :: v_dual_cndmask_b32 v10, v10, v18, s7
	;; [unrolled: 1-line block ×3, first 2 shown]
	s_cbranch_scc0 .LBB73_53
.LBB73_54:                              ;   in Loop: Header=BB73_40 Depth=2
	s_and_not1_b32 vcc_lo, exec_lo, s71
	s_cbranch_vccnz .LBB73_57
; %bb.55:                               ;   in Loop: Header=BB73_40 Depth=2
	s_ashr_i32 s59, s58, 31
	s_mov_b64 s[6:7], 0
	v_lshl_add_u64 v[4:5], s[58:59], 3, v[46:47]
.LBB73_56:                              ;   Parent Loop BB73_3 Depth=1
                                        ;     Parent Loop BB73_40 Depth=2
                                        ; =>    This Inner Loop Header: Depth=3
	global_load_b64 v[18:19], v[4:5], off
	s_cmp_eq_u32 s6, 1
	s_wait_xcnt 0x0
	v_add_nc_u64_e32 v[4:5], 8, v[4:5]
	s_cselect_b32 vcc_lo, -1, 0
	s_cmp_eq_u32 s6, 2
	v_dual_cndmask_b32 v17, v9, v11 :: v_dual_cndmask_b32 v20, v8, v10
	s_cselect_b32 vcc_lo, -1, 0
	s_cmp_eq_u32 s6, 3
	s_add_nc_u64 s[6:7], s[6:7], 1
	s_delay_alu instid0(VALU_DEP_1) | instskip(SKIP_2) | instid1(VALU_DEP_1)
	v_dual_cndmask_b32 v17, v17, v13 :: v_dual_cndmask_b32 v20, v20, v12
	s_cselect_b32 vcc_lo, -1, 0
	s_cmp_lg_u32 s69, s6
	v_dual_cndmask_b32 v21, v17, v15 :: v_dual_cndmask_b32 v20, v20, v14
	s_wait_loadcnt 0x0
	s_delay_alu instid0(VALU_DEP_1)
	v_fmac_f64_e32 v[2:3], v[20:21], v[18:19]
	s_cbranch_scc1 .LBB73_56
.LBB73_57:                              ;   in Loop: Header=BB73_40 Depth=2
	s_or_b32 exec_lo, exec_lo, s25
	s_delay_alu instid0(SALU_CYCLE_1)
	s_or_b32 exec_lo, exec_lo, s9
	s_and_saveexec_b32 s6, s1
	s_cbranch_execnz .LBB73_43
	s_branch .LBB73_44
.LBB73_58:                              ;   in Loop: Header=BB73_40 Depth=2
	ds_load_b64 v[2:3], v48
	s_or_b32 exec_lo, exec_lo, s6
	s_and_saveexec_b32 s6, s1
	s_cbranch_execz .LBB73_48
.LBB73_59:                              ;   in Loop: Header=BB73_40 Depth=2
	s_wait_dscnt 0x0
	ds_bpermute_b32 v4, v6, v2
	ds_bpermute_b32 v5, v6, v3
	s_wait_dscnt 0x0
	v_add_f64_e32 v[2:3], v[2:3], v[4:5]
	ds_bpermute_b32 v4, v7, v2
	ds_bpermute_b32 v5, v7, v3
	s_wait_dscnt 0x0
	v_add_f64_e32 v[2:3], v[2:3], v[4:5]
	;; [unrolled: 4-line block ×3, first 2 shown]
	s_or_b32 exec_lo, exec_lo, s6
	s_and_saveexec_b32 s6, s0
	s_cbranch_execz .LBB73_39
.LBB73_60:                              ;   in Loop: Header=BB73_40 Depth=2
	s_wait_dscnt 0x0
	s_delay_alu instid0(VALU_DEP_1) | instskip(SKIP_1) | instid1(SALU_CYCLE_1)
	v_mul_f64_e32 v[2:3], s[14:15], v[2:3]
	s_mul_u64 s[8:9], s[26:27], s[30:31]
	s_lshl_b64 s[8:9], s[8:9], 3
	s_delay_alu instid0(SALU_CYCLE_1)
	s_add_nc_u64 s[8:9], s[56:57], s[8:9]
	global_store_b64 v0, v[2:3], s[8:9]
	s_branch .LBB73_39
.LBB73_61:
	s_sendmsg sendmsg(MSG_DEALLOC_VGPRS)
	s_endpgm
	.section	.rodata,"a",@progbits
	.p2align	6, 0x0
	.amdhsa_kernel _ZL23rocblas_gemvt_sn_kernelILb0ELi256ELi4EidddEviiT4_lPKT3_lilS3_lilPT5_i
		.amdhsa_group_segment_fixed_size 256
		.amdhsa_private_segment_fixed_size 0
		.amdhsa_kernarg_size 360
		.amdhsa_user_sgpr_count 2
		.amdhsa_user_sgpr_dispatch_ptr 0
		.amdhsa_user_sgpr_queue_ptr 0
		.amdhsa_user_sgpr_kernarg_segment_ptr 1
		.amdhsa_user_sgpr_dispatch_id 0
		.amdhsa_user_sgpr_kernarg_preload_length 0
		.amdhsa_user_sgpr_kernarg_preload_offset 0
		.amdhsa_user_sgpr_private_segment_size 0
		.amdhsa_wavefront_size32 1
		.amdhsa_uses_dynamic_stack 0
		.amdhsa_enable_private_segment 0
		.amdhsa_system_sgpr_workgroup_id_x 1
		.amdhsa_system_sgpr_workgroup_id_y 0
		.amdhsa_system_sgpr_workgroup_id_z 1
		.amdhsa_system_sgpr_workgroup_info 0
		.amdhsa_system_vgpr_workitem_id 0
		.amdhsa_next_free_vgpr 84
		.amdhsa_next_free_sgpr 76
		.amdhsa_named_barrier_count 0
		.amdhsa_reserve_vcc 1
		.amdhsa_float_round_mode_32 0
		.amdhsa_float_round_mode_16_64 0
		.amdhsa_float_denorm_mode_32 3
		.amdhsa_float_denorm_mode_16_64 3
		.amdhsa_fp16_overflow 0
		.amdhsa_memory_ordered 1
		.amdhsa_forward_progress 1
		.amdhsa_inst_pref_size 28
		.amdhsa_round_robin_scheduling 0
		.amdhsa_exception_fp_ieee_invalid_op 0
		.amdhsa_exception_fp_denorm_src 0
		.amdhsa_exception_fp_ieee_div_zero 0
		.amdhsa_exception_fp_ieee_overflow 0
		.amdhsa_exception_fp_ieee_underflow 0
		.amdhsa_exception_fp_ieee_inexact 0
		.amdhsa_exception_int_div_zero 0
	.end_amdhsa_kernel
	.section	.text._ZL23rocblas_gemvt_sn_kernelILb0ELi256ELi4EidddEviiT4_lPKT3_lilS3_lilPT5_i,"axG",@progbits,_ZL23rocblas_gemvt_sn_kernelILb0ELi256ELi4EidddEviiT4_lPKT3_lilS3_lilPT5_i,comdat
.Lfunc_end73:
	.size	_ZL23rocblas_gemvt_sn_kernelILb0ELi256ELi4EidddEviiT4_lPKT3_lilS3_lilPT5_i, .Lfunc_end73-_ZL23rocblas_gemvt_sn_kernelILb0ELi256ELi4EidddEviiT4_lPKT3_lilS3_lilPT5_i
                                        ; -- End function
	.set _ZL23rocblas_gemvt_sn_kernelILb0ELi256ELi4EidddEviiT4_lPKT3_lilS3_lilPT5_i.num_vgpr, 84
	.set _ZL23rocblas_gemvt_sn_kernelILb0ELi256ELi4EidddEviiT4_lPKT3_lilS3_lilPT5_i.num_agpr, 0
	.set _ZL23rocblas_gemvt_sn_kernelILb0ELi256ELi4EidddEviiT4_lPKT3_lilS3_lilPT5_i.numbered_sgpr, 76
	.set _ZL23rocblas_gemvt_sn_kernelILb0ELi256ELi4EidddEviiT4_lPKT3_lilS3_lilPT5_i.num_named_barrier, 0
	.set _ZL23rocblas_gemvt_sn_kernelILb0ELi256ELi4EidddEviiT4_lPKT3_lilS3_lilPT5_i.private_seg_size, 0
	.set _ZL23rocblas_gemvt_sn_kernelILb0ELi256ELi4EidddEviiT4_lPKT3_lilS3_lilPT5_i.uses_vcc, 1
	.set _ZL23rocblas_gemvt_sn_kernelILb0ELi256ELi4EidddEviiT4_lPKT3_lilS3_lilPT5_i.uses_flat_scratch, 0
	.set _ZL23rocblas_gemvt_sn_kernelILb0ELi256ELi4EidddEviiT4_lPKT3_lilS3_lilPT5_i.has_dyn_sized_stack, 0
	.set _ZL23rocblas_gemvt_sn_kernelILb0ELi256ELi4EidddEviiT4_lPKT3_lilS3_lilPT5_i.has_recursion, 0
	.set _ZL23rocblas_gemvt_sn_kernelILb0ELi256ELi4EidddEviiT4_lPKT3_lilS3_lilPT5_i.has_indirect_call, 0
	.section	.AMDGPU.csdata,"",@progbits
; Kernel info:
; codeLenInByte = 3476
; TotalNumSgprs: 78
; NumVgprs: 84
; ScratchSize: 0
; MemoryBound: 1
; FloatMode: 240
; IeeeMode: 1
; LDSByteSize: 256 bytes/workgroup (compile time only)
; SGPRBlocks: 0
; VGPRBlocks: 5
; NumSGPRsForWavesPerEU: 78
; NumVGPRsForWavesPerEU: 84
; NamedBarCnt: 0
; Occupancy: 10
; WaveLimiterHint : 0
; COMPUTE_PGM_RSRC2:SCRATCH_EN: 0
; COMPUTE_PGM_RSRC2:USER_SGPR: 2
; COMPUTE_PGM_RSRC2:TRAP_HANDLER: 0
; COMPUTE_PGM_RSRC2:TGID_X_EN: 1
; COMPUTE_PGM_RSRC2:TGID_Y_EN: 0
; COMPUTE_PGM_RSRC2:TGID_Z_EN: 1
; COMPUTE_PGM_RSRC2:TIDIG_COMP_CNT: 0
	.section	.text._ZL23rocblas_gemvt_sn_kernelILb0ELi256ELi4EldddEviiT4_lPKT3_lilS3_lilPT5_i,"axG",@progbits,_ZL23rocblas_gemvt_sn_kernelILb0ELi256ELi4EldddEviiT4_lPKT3_lilS3_lilPT5_i,comdat
	.globl	_ZL23rocblas_gemvt_sn_kernelILb0ELi256ELi4EldddEviiT4_lPKT3_lilS3_lilPT5_i ; -- Begin function _ZL23rocblas_gemvt_sn_kernelILb0ELi256ELi4EldddEviiT4_lPKT3_lilS3_lilPT5_i
	.p2align	8
	.type	_ZL23rocblas_gemvt_sn_kernelILb0ELi256ELi4EldddEviiT4_lPKT3_lilS3_lilPT5_i,@function
_ZL23rocblas_gemvt_sn_kernelILb0ELi256ELi4EldddEviiT4_lPKT3_lilS3_lilPT5_i: ; @_ZL23rocblas_gemvt_sn_kernelILb0ELi256ELi4EldddEviiT4_lPKT3_lilS3_lilPT5_i
; %bb.0:
	s_load_b32 s33, s[0:1], 0x60
	s_bfe_u32 s2, ttmp6, 0x40014
	s_lshr_b32 s3, ttmp7, 16
	s_add_co_i32 s2, s2, 1
	s_bfe_u32 s4, ttmp6, 0x40008
	s_mul_i32 s2, s3, s2
	s_getreg_b32 s11, hwreg(HW_REG_IB_STS2, 6, 4)
	s_add_co_i32 s4, s4, s2
	s_cmp_eq_u32 s11, 0
	s_mov_b32 s27, 0
	s_cselect_b32 s24, s3, s4
	s_wait_kmcnt 0x0
	s_cmp_ge_u32 s24, s33
	s_cbranch_scc1 .LBB74_61
; %bb.1:
	s_clause 0x6
	s_load_b32 s28, s[0:1], 0x28
	s_load_b96 s[8:10], s[0:1], 0x40
	s_load_b128 s[4:7], s[0:1], 0x18
	s_load_b128 s[12:15], s[0:1], 0x0
	s_load_b128 s[16:19], s[0:1], 0x30
	s_load_b128 s[20:23], s[0:1], 0x50
	s_load_b32 s30, s[0:1], 0x68
	s_wait_xcnt 0x0
	v_cmp_eq_u32_e64 s0, 0, v0
	v_dual_lshrrev_b32 v3, 2, v0 :: v_dual_bitop2_b32 v1, 31, v0 bitop3:0x40
	v_cmp_gt_u32_e64 s1, 32, v0
	v_cmp_gt_u32_e64 s2, 8, v0
	s_delay_alu instid0(VALU_DEP_3) | instskip(SKIP_4) | instid1(VALU_DEP_2)
	v_dual_mov_b32 v2, 0 :: v_dual_lshlrev_b32 v53, 3, v1
	v_cmp_eq_u32_e64 s3, 0, v1
	v_mbcnt_lo_u32_b32 v52, -1, 0
	v_mov_b64_e32 v[36:37], 0
	s_mov_b32 s31, s27
	v_lshl_or_b32 v55, v52, 2, 64
	s_wait_kmcnt 0x0
	s_ashr_i32 s29, s28, 31
	s_ashr_i32 s43, s10, 31
	s_lshl_b64 s[8:9], s[8:9], 3
	s_lshl_b64 s[6:7], s[6:7], 3
	s_ashr_i32 s35, s13, 31
	s_cmp_gt_i32 s13, 0
	s_mov_b32 s42, s10
	s_cselect_b32 s25, -1, 0
	s_bfe_u32 s26, ttmp6, 0x4000c
	s_and_b32 s34, ttmp6, 15
	s_add_co_i32 s26, s26, 1
	s_and_b32 s62, s0, s25
	s_mul_i32 s26, ttmp9, s26
	v_cmp_eq_f64_e64 s63, s[14:15], 0
	s_add_co_i32 s34, s34, s26
	s_cmp_eq_u32 s11, 0
	s_add_nc_u64 s[4:5], s[4:5], s[6:7]
	s_cselect_b32 s26, ttmp9, s34
	s_ashr_i32 s6, s12, 31
	s_lshl_b32 s10, s26, 10
	s_lshr_b32 s6, s6, 30
	v_lshl_or_b32 v4, v0, 2, s10
	v_and_b32_e32 v54, 56, v3
	s_add_co_i32 s6, s12, s6
	s_lshr_b32 s7, s35, 30
	s_and_b32 s6, s6, -4
	v_dual_add_nc_u32 v3, 4, v4 :: v_dual_bitop2_b32 v10, 3, v4 bitop3:0x54
	v_dual_ashrrev_i32 v5, 31, v4 :: v_dual_bitop2_b32 v6, 1, v4 bitop3:0x54
	s_add_co_i32 s7, s13, s7
	s_delay_alu instid0(VALU_DEP_2) | instskip(NEXT) | instid1(VALU_DEP_2)
	v_dual_ashrrev_i32 v11, 31, v10 :: v_dual_bitop2_b32 v8, 2, v4 bitop3:0x54
	v_mul_u64_e32 v[0:1], s[42:43], v[4:5]
	s_delay_alu instid0(VALU_DEP_3) | instskip(SKIP_1) | instid1(VALU_DEP_3)
	v_ashrrev_i32_e32 v7, 31, v6
	s_sub_co_i32 s65, s12, s6
	v_mul_u64_e32 v[30:31], s[42:43], v[10:11]
	v_ashrrev_i32_e32 v9, 31, v8
	s_and_b32 s64, s7, -4
	v_mul_u64_e32 v[26:27], s[42:43], v[6:7]
	v_add_nc_u32_e32 v6, s65, v4
	s_cmp_gt_i32 s64, 0
	v_mul_u64_e32 v[28:29], s[42:43], v[8:9]
	s_add_nc_u64 s[10:11], s[18:19], s[8:9]
	s_mov_b32 s34, s13
	s_cselect_b32 s66, -1, 0
	s_cmp_gt_i32 s65, 0
	v_lshl_add_u64 v[32:33], v[4:5], 3, s[4:5]
	v_cmp_ge_i32_e64 s4, s12, v3
	v_cmp_ge_i32_e64 s5, s12, v6
	s_mul_u64 s[18:19], s[34:35], s[30:31]
	s_cselect_b32 s67, -1, 0
	s_lshl_b64 s[34:35], s[26:27], 3
	s_lshl_b64 s[36:37], s[18:19], 3
	;; [unrolled: 1-line block ×7, first 2 shown]
	s_add_nc_u64 s[48:49], s[22:23], s[34:35]
	s_lshl_b64 s[50:51], s[28:29], 3
	s_lshl_b64 s[52:53], s[28:29], 4
	s_mul_u64 s[54:55], s[28:29], 24
	v_lshl_add_u64 v[34:35], v[0:1], 3, s[10:11]
	s_branch .LBB74_3
.LBB74_2:                               ;   in Loop: Header=BB74_3 Depth=1
	s_add_co_i32 s24, s24, 0x10000
	s_delay_alu instid0(SALU_CYCLE_1)
	s_cmp_lt_u32 s24, s33
	s_cbranch_scc0 .LBB74_61
.LBB74_3:                               ; =>This Loop Header: Depth=1
                                        ;     Child Loop BB74_6 Depth 2
                                        ;     Child Loop BB74_12 Depth 2
                                        ;       Child Loop BB74_18 Depth 3
                                        ;       Child Loop BB74_21 Depth 3
	;; [unrolled: 1-line block ×3, first 2 shown]
                                        ;     Child Loop BB74_40 Depth 2
                                        ;       Child Loop BB74_53 Depth 3
                                        ;       Child Loop BB74_56 Depth 3
	s_mov_b32 s25, s27
	s_and_not1_b32 vcc_lo, exec_lo, s63
	s_mov_b32 s6, -1
	s_cbranch_vccnz .LBB74_8
; %bb.4:                                ;   in Loop: Header=BB74_3 Depth=1
	s_and_saveexec_b32 s8, s62
	s_cbranch_execz .LBB74_7
; %bb.5:                                ;   in Loop: Header=BB74_3 Depth=1
	s_mul_u64 s[6:7], s[36:37], s[24:25]
	s_mov_b32 s9, s13
	s_add_nc_u64 s[6:7], s[48:49], s[6:7]
.LBB74_6:                               ;   Parent Loop BB74_3 Depth=1
                                        ; =>  This Inner Loop Header: Depth=2
	s_add_co_i32 s9, s9, -1
	global_store_b64 v2, v[36:37], s[6:7]
	s_cmp_eq_u32 s9, 0
	s_wait_xcnt 0x0
	s_add_nc_u64 s[6:7], s[6:7], s[38:39]
	s_cbranch_scc0 .LBB74_6
.LBB74_7:                               ;   in Loop: Header=BB74_3 Depth=1
	s_or_b32 exec_lo, exec_lo, s8
	s_mov_b32 s6, 0
.LBB74_8:                               ;   in Loop: Header=BB74_3 Depth=1
	s_delay_alu instid0(SALU_CYCLE_1)
	s_and_not1_b32 vcc_lo, exec_lo, s6
	s_cbranch_vccnz .LBB74_2
; %bb.9:                                ;   in Loop: Header=BB74_3 Depth=1
	v_mad_nc_u64_u32 v[38:39], s40, s24, v[34:35]
	s_mul_u64 s[6:7], s[20:21], s[24:25]
	s_mul_u64 s[8:9], s[18:19], s[24:25]
	s_lshl_b64 s[6:7], s[6:7], 3
	s_mul_u64 s[56:57], s[16:17], s[24:25]
	s_add_nc_u64 s[6:7], s[10:11], s[6:7]
	s_lshl_b64 s[60:61], s[8:9], 3
	v_lshl_add_u64 v[40:41], s[56:57], 3, v[32:33]
	v_lshl_add_u64 v[42:43], v[0:1], 3, s[6:7]
	;; [unrolled: 1-line block ×4, first 2 shown]
	v_mad_u32 v39, s41, s24, v39
	v_lshl_add_u64 v[48:49], v[30:31], 3, s[6:7]
	v_cmp_gt_u32_e64 s9, 24, v52
	v_cmp_gt_u32_e64 s8, 28, v52
	;; [unrolled: 1-line block ×3, first 2 shown]
	v_cmp_ne_u32_e64 s6, 31, v52
	s_add_nc_u64 s[56:57], s[22:23], s[60:61]
	s_mul_u64 s[58:59], s[44:45], s[24:25]
	s_and_not1_b32 vcc_lo, exec_lo, s66
	s_add_nc_u64 s[56:57], s[56:57], s[34:35]
	s_cbranch_vccnz .LBB74_36
; %bb.10:                               ;   in Loop: Header=BB74_3 Depth=1
	v_cndmask_b32_e64 v10, 0, 8, s9
	v_cndmask_b32_e64 v11, 0, 4, s8
	;; [unrolled: 1-line block ×3, first 2 shown]
	v_add_co_ci_u32_e64 v13, null, 0, v52, s6
	s_wait_dscnt 0x0
	v_dual_mov_b32 v7, v2 :: v_dual_mov_b32 v8, v2
	s_delay_alu instid0(VALU_DEP_2)
	v_dual_mov_b32 v9, v2 :: v_dual_lshlrev_b32 v59, 2, v13
	v_dual_mov_b32 v3, v2 :: v_dual_mov_b32 v4, v2
	v_dual_mov_b32 v5, v2 :: v_dual_mov_b32 v6, v2
	v_add_lshl_u32 v56, v10, v52, 2
	v_add_lshl_u32 v57, v11, v52, 2
	;; [unrolled: 1-line block ×3, first 2 shown]
	v_mov_b64_e32 v[16:17], v[8:9]
	v_add_nc_u64_e32 v[50:51], s[58:59], v[32:33]
	v_mov_b64_e32 v[14:15], v[6:7]
	v_mov_b64_e32 v[12:13], v[4:5]
	;; [unrolled: 1-line block ×3, first 2 shown]
	s_mov_b32 s26, 0
	s_branch .LBB74_12
.LBB74_11:                              ;   in Loop: Header=BB74_12 Depth=2
	s_wait_xcnt 0x0
	s_or_b32 exec_lo, exec_lo, s6
	v_add_nc_u64_e32 v[50:51], s[46:47], v[50:51]
	s_add_co_i32 s26, s26, 4
	s_delay_alu instid0(SALU_CYCLE_1)
	s_cmp_ge_i32 s26, s64
	s_cbranch_scc1 .LBB74_37
.LBB74_12:                              ;   Parent Loop BB74_3 Depth=1
                                        ; =>  This Loop Header: Depth=2
                                        ;       Child Loop BB74_18 Depth 3
                                        ;       Child Loop BB74_21 Depth 3
	;; [unrolled: 1-line block ×3, first 2 shown]
                                        ; implicit-def: $vgpr18_vgpr19_vgpr20_vgpr21_vgpr22_vgpr23_vgpr24_vgpr25
	s_and_saveexec_b32 s6, s4
	s_delay_alu instid0(SALU_CYCLE_1)
	s_xor_b32 s6, exec_lo, s6
	s_cbranch_execz .LBB74_14
; %bb.13:                               ;   in Loop: Header=BB74_12 Depth=2
	s_or_b32 s8, s26, 1
	s_mov_b32 s9, s27
	s_mul_u64 s[60:61], s[26:27], s[28:29]
	s_mul_u64 s[8:9], s[8:9], s[28:29]
	v_lshl_add_u64 v[8:9], s[60:61], 3, v[40:41]
	v_lshl_add_u64 v[16:17], s[8:9], 3, v[40:41]
	s_or_b32 s8, s26, 2
	s_mov_b32 s9, s27
	s_or_b32 s60, s26, 3
	s_mov_b32 s61, s27
	s_mul_u64 s[8:9], s[8:9], s[28:29]
	s_mul_u64 s[60:61], s[60:61], s[28:29]
	v_lshl_add_u64 v[18:19], s[8:9], 3, v[40:41]
	v_lshl_add_u64 v[20:21], s[60:61], 3, v[40:41]
	global_load_b64 v[10:11], v[42:43], off
	s_clause 0x3
	global_load_b128 v[4:7], v[8:9], off
	global_load_b128 v[60:63], v[16:17], off
	;; [unrolled: 1-line block ×4, first 2 shown]
	global_load_b64 v[12:13], v[44:45], off
	global_load_b128 v[72:75], v[8:9], off offset:16
	global_load_b64 v[14:15], v[46:47], off
	s_clause 0x2
	global_load_b128 v[76:79], v[16:17], off offset:16
	global_load_b128 v[80:83], v[18:19], off offset:16
	;; [unrolled: 1-line block ×3, first 2 shown]
	global_load_b64 v[16:17], v[48:49], off
	s_wait_loadcnt 0xa
	s_wait_xcnt 0x2
	v_fma_f64 v[18:19], v[10:11], v[4:5], 0
	s_wait_loadcnt 0x9
	s_wait_xcnt 0x1
	v_fma_f64 v[20:21], v[10:11], v[60:61], 0
	s_wait_loadcnt 0x8
	v_fma_f64 v[22:23], v[10:11], v[64:65], 0
	s_wait_loadcnt 0x7
	;; [unrolled: 2-line block ×3, first 2 shown]
	s_delay_alu instid0(VALU_DEP_4) | instskip(NEXT) | instid1(VALU_DEP_4)
	v_fmac_f64_e32 v[18:19], v[12:13], v[6:7]
	v_fmac_f64_e32 v[20:21], v[12:13], v[62:63]
	s_delay_alu instid0(VALU_DEP_4) | instskip(NEXT) | instid1(VALU_DEP_4)
	v_fmac_f64_e32 v[22:23], v[12:13], v[66:67]
	v_fmac_f64_e32 v[24:25], v[12:13], v[70:71]
	s_wait_loadcnt 0x4
	s_delay_alu instid0(VALU_DEP_4) | instskip(SKIP_1) | instid1(VALU_DEP_4)
	v_fmac_f64_e32 v[18:19], v[14:15], v[72:73]
	s_wait_loadcnt 0x3
	v_fmac_f64_e32 v[20:21], v[14:15], v[76:77]
	s_wait_loadcnt 0x2
	s_delay_alu instid0(VALU_DEP_4) | instskip(SKIP_1) | instid1(VALU_DEP_4)
	v_fmac_f64_e32 v[22:23], v[14:15], v[80:81]
	s_wait_loadcnt 0x1
	v_fmac_f64_e32 v[24:25], v[14:15], v[84:85]
	s_wait_loadcnt 0x0
	s_delay_alu instid0(VALU_DEP_4) | instskip(NEXT) | instid1(VALU_DEP_4)
	v_fmac_f64_e32 v[18:19], v[16:17], v[74:75]
	v_fmac_f64_e32 v[20:21], v[16:17], v[78:79]
	s_delay_alu instid0(VALU_DEP_4) | instskip(NEXT) | instid1(VALU_DEP_4)
	v_fmac_f64_e32 v[22:23], v[16:17], v[82:83]
	v_fmac_f64_e32 v[24:25], v[16:17], v[86:87]
.LBB74_14:                              ;   in Loop: Header=BB74_12 Depth=2
	s_wait_xcnt 0x0
	s_and_not1_saveexec_b32 s12, s6
	s_cbranch_execz .LBB74_24
; %bb.15:                               ;   in Loop: Header=BB74_12 Depth=2
	v_dual_mov_b32 v7, v2 :: v_dual_mov_b32 v8, v2
	v_dual_mov_b32 v9, v2 :: v_dual_mov_b32 v3, v2
	;; [unrolled: 1-line block ×3, first 2 shown]
	v_mov_b32_e32 v6, v2
	s_delay_alu instid0(VALU_DEP_3) | instskip(NEXT) | instid1(VALU_DEP_4)
	v_mov_b64_e32 v[24:25], v[8:9]
	v_mov_b64_e32 v[18:19], v[2:3]
	s_delay_alu instid0(VALU_DEP_4) | instskip(NEXT) | instid1(VALU_DEP_4)
	v_mov_b64_e32 v[20:21], v[4:5]
	v_mov_b64_e32 v[22:23], v[6:7]
	s_and_saveexec_b32 s25, s5
	s_cbranch_execz .LBB74_23
; %bb.16:                               ;   in Loop: Header=BB74_12 Depth=2
	s_and_not1_b32 vcc_lo, exec_lo, s67
	s_cbranch_vccnz .LBB74_19
; %bb.17:                               ;   in Loop: Header=BB74_12 Depth=2
	v_mov_b64_e32 v[4:5], v[38:39]
	s_mov_b64 s[60:61], 0
.LBB74_18:                              ;   Parent Loop BB74_3 Depth=1
                                        ;     Parent Loop BB74_12 Depth=2
                                        ; =>    This Inner Loop Header: Depth=3
	global_load_b64 v[6:7], v[4:5], off
	s_cmp_eq_u32 s60, 3
	s_wait_xcnt 0x0
	v_add_nc_u64_e32 v[4:5], s[42:43], v[4:5]
	s_cselect_b32 vcc_lo, -1, 0
	s_cmp_eq_u32 s60, 2
	s_cselect_b32 s6, -1, 0
	s_cmp_eq_u32 s60, 1
	s_cselect_b32 s7, -1, 0
	s_cmp_eq_u32 s60, 0
	s_add_nc_u64 s[60:61], s[60:61], 1
	s_cselect_b32 s8, -1, 0
	s_cmp_eq_u32 s65, s60
	s_wait_loadcnt 0x0
	v_dual_cndmask_b32 v17, v17, v7 :: v_dual_cndmask_b32 v16, v16, v6
	v_dual_cndmask_b32 v15, v15, v7, s6 :: v_dual_cndmask_b32 v14, v14, v6, s6
	v_dual_cndmask_b32 v13, v13, v7, s7 :: v_dual_cndmask_b32 v12, v12, v6, s7
	;; [unrolled: 1-line block ×3, first 2 shown]
	s_cbranch_scc0 .LBB74_18
.LBB74_19:                              ;   in Loop: Header=BB74_12 Depth=2
	s_and_not1_b32 vcc_lo, exec_lo, s67
	s_cbranch_vccnz .LBB74_22
; %bb.20:                               ;   in Loop: Header=BB74_12 Depth=2
	v_mov_b64_e32 v[18:19], 0
	v_mov_b64_e32 v[20:21], 0
	;; [unrolled: 1-line block ×5, first 2 shown]
	s_mov_b64 s[8:9], 0
.LBB74_21:                              ;   Parent Loop BB74_3 Depth=1
                                        ;     Parent Loop BB74_12 Depth=2
                                        ; =>    This Inner Loop Header: Depth=3
	s_wait_xcnt 0x2
	s_delay_alu instid0(VALU_DEP_1)
	v_add_nc_u64_e32 v[6:7], s[50:51], v[4:5]
	s_wait_xcnt 0x1
	v_add_nc_u64_e32 v[8:9], s[52:53], v[4:5]
	s_wait_xcnt 0x0
	v_add_nc_u64_e32 v[60:61], s[54:55], v[4:5]
	s_cmp_eq_u32 s8, 1
	s_clause 0x3
	global_load_b64 v[62:63], v[4:5], off
	global_load_b64 v[6:7], v[6:7], off
	;; [unrolled: 1-line block ×4, first 2 shown]
	s_cselect_b32 vcc_lo, -1, 0
	s_cmp_eq_u32 s8, 2
	v_dual_cndmask_b32 v3, v11, v13 :: v_dual_cndmask_b32 v64, v10, v12
	s_cselect_b32 vcc_lo, -1, 0
	s_cmp_eq_u32 s8, 3
	s_wait_xcnt 0x3
	v_add_nc_u64_e32 v[4:5], 8, v[4:5]
	v_dual_cndmask_b32 v3, v3, v15 :: v_dual_cndmask_b32 v64, v64, v14
	s_cselect_b32 s6, -1, 0
	s_add_nc_u64 s[8:9], s[8:9], 1
	s_delay_alu instid0(VALU_DEP_1) | instskip(SKIP_2) | instid1(VALU_DEP_1)
	v_dual_cndmask_b32 v65, v3, v17, s6 :: v_dual_cndmask_b32 v64, v64, v16, s6
	s_cmp_lg_u32 s65, s8
	s_wait_loadcnt 0x3
	v_fmac_f64_e32 v[18:19], v[64:65], v[62:63]
	s_wait_loadcnt 0x2
	v_fmac_f64_e32 v[20:21], v[64:65], v[6:7]
	;; [unrolled: 2-line block ×4, first 2 shown]
	s_cbranch_scc1 .LBB74_21
	s_branch .LBB74_23
.LBB74_22:                              ;   in Loop: Header=BB74_12 Depth=2
	v_dual_mov_b32 v7, v2 :: v_dual_mov_b32 v8, v2
	v_dual_mov_b32 v9, v2 :: v_dual_mov_b32 v3, v2
	;; [unrolled: 1-line block ×3, first 2 shown]
	v_mov_b32_e32 v6, v2
	s_delay_alu instid0(VALU_DEP_3) | instskip(NEXT) | instid1(VALU_DEP_4)
	v_mov_b64_e32 v[24:25], v[8:9]
	v_mov_b64_e32 v[18:19], v[2:3]
	s_delay_alu instid0(VALU_DEP_4) | instskip(NEXT) | instid1(VALU_DEP_4)
	v_mov_b64_e32 v[20:21], v[4:5]
	v_mov_b64_e32 v[22:23], v[6:7]
.LBB74_23:                              ;   in Loop: Header=BB74_12 Depth=2
	s_wait_xcnt 0x0
	s_or_b32 exec_lo, exec_lo, s25
.LBB74_24:                              ;   in Loop: Header=BB74_12 Depth=2
	s_delay_alu instid0(SALU_CYCLE_1)
	s_or_b32 exec_lo, exec_lo, s12
	s_mov_b64 s[6:7], 0
	s_branch .LBB74_26
.LBB74_25:                              ;   in Loop: Header=BB74_26 Depth=3
	s_or_b32 exec_lo, exec_lo, s8
	s_cmp_eq_u32 s6, 3
	s_cselect_b32 vcc_lo, -1, 0
	s_cmp_eq_u32 s6, 2
	s_wait_dscnt 0x0
	s_delay_alu instid0(VALU_DEP_1)
	v_dual_cndmask_b32 v25, v25, v5 :: v_dual_cndmask_b32 v24, v24, v4
	s_cselect_b32 vcc_lo, -1, 0
	s_cmp_eq_u32 s6, 1
	v_dual_cndmask_b32 v23, v23, v5 :: v_dual_cndmask_b32 v22, v22, v4
	s_cselect_b32 vcc_lo, -1, 0
	s_cmp_eq_u32 s6, 0
	v_dual_cndmask_b32 v21, v21, v5 :: v_dual_cndmask_b32 v20, v20, v4
	s_cselect_b32 vcc_lo, -1, 0
	s_add_nc_u64 s[6:7], s[6:7], 1
	v_dual_cndmask_b32 v19, v19, v5 :: v_dual_cndmask_b32 v18, v18, v4
	s_cmp_eq_u32 s6, 4
	s_cbranch_scc1 .LBB74_34
.LBB74_26:                              ;   Parent Loop BB74_3 Depth=1
                                        ;     Parent Loop BB74_12 Depth=2
                                        ; =>    This Inner Loop Header: Depth=3
	s_and_saveexec_b32 s8, s1
; %bb.27:                               ;   in Loop: Header=BB74_26 Depth=3
	ds_store_b64 v53, v[36:37]
; %bb.28:                               ;   in Loop: Header=BB74_26 Depth=3
	s_or_b32 exec_lo, exec_lo, s8
	s_cmp_eq_u32 s6, 1
	s_wait_storecnt_dscnt 0x0
	s_cselect_b32 vcc_lo, -1, 0
	s_cmp_eq_u32 s6, 2
	v_dual_cndmask_b32 v3, v19, v21 :: v_dual_cndmask_b32 v4, v18, v20
	s_cselect_b32 vcc_lo, -1, 0
	s_cmp_eq_u32 s6, 3
	s_barrier_signal -1
	s_delay_alu instid0(VALU_DEP_1) | instskip(SKIP_2) | instid1(VALU_DEP_1)
	v_dual_cndmask_b32 v3, v3, v23 :: v_dual_cndmask_b32 v4, v4, v22
	s_cselect_b32 vcc_lo, -1, 0
	s_barrier_wait -1
	v_dual_cndmask_b32 v5, v3, v25 :: v_dual_cndmask_b32 v4, v4, v24
	ds_bpermute_b32 v7, v55, v5
	ds_bpermute_b32 v6, v55, v4
	s_wait_dscnt 0x0
	v_add_f64_e32 v[4:5], v[4:5], v[6:7]
	ds_bpermute_b32 v6, v56, v4
	ds_bpermute_b32 v7, v56, v5
	s_wait_dscnt 0x0
	v_add_f64_e32 v[4:5], v[4:5], v[6:7]
	;; [unrolled: 4-line block ×4, first 2 shown]
	ds_bpermute_b32 v6, v59, v4
	ds_bpermute_b32 v7, v59, v5
	s_and_saveexec_b32 s8, s3
	s_cbranch_execz .LBB74_30
; %bb.29:                               ;   in Loop: Header=BB74_26 Depth=3
	s_wait_dscnt 0x0
	v_add_f64_e32 v[4:5], v[4:5], v[6:7]
	ds_store_b64 v54, v[4:5]
.LBB74_30:                              ;   in Loop: Header=BB74_26 Depth=3
	s_or_b32 exec_lo, exec_lo, s8
	v_mov_b64_e32 v[4:5], 0
	s_wait_dscnt 0x0
	s_barrier_signal -1
	s_barrier_wait -1
	s_and_saveexec_b32 s8, s2
; %bb.31:                               ;   in Loop: Header=BB74_26 Depth=3
	ds_load_b64 v[4:5], v53
; %bb.32:                               ;   in Loop: Header=BB74_26 Depth=3
	s_or_b32 exec_lo, exec_lo, s8
	s_and_saveexec_b32 s8, s1
	s_cbranch_execz .LBB74_25
; %bb.33:                               ;   in Loop: Header=BB74_26 Depth=3
	s_wait_dscnt 0x0
	ds_bpermute_b32 v6, v57, v4
	ds_bpermute_b32 v7, v57, v5
	s_wait_dscnt 0x0
	v_add_f64_e32 v[4:5], v[4:5], v[6:7]
	ds_bpermute_b32 v6, v58, v4
	ds_bpermute_b32 v7, v58, v5
	s_wait_dscnt 0x0
	v_add_f64_e32 v[4:5], v[4:5], v[6:7]
	;; [unrolled: 4-line block ×3, first 2 shown]
	s_branch .LBB74_25
.LBB74_34:                              ;   in Loop: Header=BB74_12 Depth=2
	s_and_saveexec_b32 s6, s0
	s_cbranch_execz .LBB74_11
; %bb.35:                               ;   in Loop: Header=BB74_12 Depth=2
	v_mul_f64_e32 v[4:5], s[14:15], v[18:19]
	v_mul_f64_e32 v[6:7], s[14:15], v[20:21]
	;; [unrolled: 1-line block ×4, first 2 shown]
	s_or_b32 s60, s26, 1
	s_mov_b32 s61, s27
	s_mul_u64 s[8:9], s[26:27], s[30:31]
	s_or_b32 s68, s26, 2
	s_mov_b32 s69, s27
	s_or_b32 s70, s26, 3
	s_mov_b32 s71, s27
	s_mul_u64 s[60:61], s[60:61], s[30:31]
	s_lshl_b64 s[8:9], s[8:9], 3
	s_mul_u64 s[68:69], s[68:69], s[30:31]
	s_mul_u64 s[70:71], s[70:71], s[30:31]
	s_lshl_b64 s[60:61], s[60:61], 3
	s_add_nc_u64 s[8:9], s[56:57], s[8:9]
	s_lshl_b64 s[68:69], s[68:69], 3
	s_lshl_b64 s[70:71], s[70:71], 3
	s_add_nc_u64 s[60:61], s[56:57], s[60:61]
	s_add_nc_u64 s[68:69], s[56:57], s[68:69]
	;; [unrolled: 1-line block ×3, first 2 shown]
	s_clause 0x3
	global_store_b64 v2, v[4:5], s[8:9]
	global_store_b64 v2, v[6:7], s[60:61]
	;; [unrolled: 1-line block ×4, first 2 shown]
	s_branch .LBB74_11
.LBB74_36:                              ;   in Loop: Header=BB74_3 Depth=1
	s_wait_dscnt 0x0
	v_dual_mov_b32 v7, v2 :: v_dual_mov_b32 v8, v2
	v_dual_mov_b32 v9, v2 :: v_dual_mov_b32 v3, v2
	;; [unrolled: 1-line block ×3, first 2 shown]
	v_mov_b32_e32 v6, v2
	s_delay_alu instid0(VALU_DEP_3) | instskip(NEXT) | instid1(VALU_DEP_4)
	v_mov_b64_e32 v[16:17], v[8:9]
	v_mov_b64_e32 v[10:11], v[2:3]
	s_mov_b32 s26, 0
	v_mov_b64_e32 v[12:13], v[4:5]
	v_mov_b64_e32 v[14:15], v[6:7]
.LBB74_37:                              ;   in Loop: Header=BB74_3 Depth=1
	s_cmp_ge_i32 s26, s13
	s_cbranch_scc1 .LBB74_2
; %bb.38:                               ;   in Loop: Header=BB74_3 Depth=1
	v_cmp_gt_u32_e32 vcc_lo, 24, v52
	s_mul_u64 s[6:7], s[50:51], s[26:27]
	s_delay_alu instid0(SALU_CYCLE_1) | instskip(SKIP_2) | instid1(VALU_DEP_2)
	s_add_nc_u64 s[6:7], s[6:7], s[58:59]
	v_cndmask_b32_e64 v3, 0, 8, vcc_lo
	v_cmp_gt_u32_e32 vcc_lo, 28, v52
	v_add_lshl_u32 v3, v3, v52, 2
	v_cndmask_b32_e64 v4, 0, 4, vcc_lo
	v_cmp_gt_u32_e32 vcc_lo, 30, v52
	s_delay_alu instid0(VALU_DEP_2) | instskip(SKIP_3) | instid1(VALU_DEP_3)
	v_add_lshl_u32 v18, v4, v52, 2
	v_cndmask_b32_e64 v6, 0, 2, vcc_lo
	v_cmp_ne_u32_e32 vcc_lo, 31, v52
	v_add_nc_u64_e32 v[4:5], s[6:7], v[32:33]
	v_add_lshl_u32 v19, v6, v52, 2
	v_add_co_ci_u32_e64 v7, null, 0, v52, vcc_lo
	s_delay_alu instid0(VALU_DEP_1)
	v_lshlrev_b32_e32 v20, 2, v7
	s_branch .LBB74_40
.LBB74_39:                              ;   in Loop: Header=BB74_40 Depth=2
	s_wait_xcnt 0x0
	s_or_b32 exec_lo, exec_lo, s6
	v_add_nc_u64_e32 v[4:5], s[50:51], v[4:5]
	s_add_co_i32 s26, s26, 1
	s_delay_alu instid0(SALU_CYCLE_1)
	s_cmp_ge_i32 s26, s13
	s_cbranch_scc1 .LBB74_2
.LBB74_40:                              ;   Parent Loop BB74_3 Depth=1
                                        ; =>  This Loop Header: Depth=2
                                        ;       Child Loop BB74_53 Depth 3
                                        ;       Child Loop BB74_56 Depth 3
	s_wait_dscnt 0x0
	v_dual_mov_b32 v6, s27 :: v_dual_mov_b32 v7, s27
	s_and_saveexec_b32 s6, s4
	s_delay_alu instid0(SALU_CYCLE_1)
	s_xor_b32 s6, exec_lo, s6
	s_cbranch_execnz .LBB74_49
; %bb.41:                               ;   in Loop: Header=BB74_40 Depth=2
	s_and_not1_saveexec_b32 s9, s6
	s_cbranch_execnz .LBB74_50
.LBB74_42:                              ;   in Loop: Header=BB74_40 Depth=2
	s_or_b32 exec_lo, exec_lo, s9
	s_and_saveexec_b32 s6, s1
.LBB74_43:                              ;   in Loop: Header=BB74_40 Depth=2
	ds_store_b64 v53, v[36:37]
.LBB74_44:                              ;   in Loop: Header=BB74_40 Depth=2
	s_or_b32 exec_lo, exec_lo, s6
	ds_bpermute_b32 v8, v55, v6
	ds_bpermute_b32 v9, v55, v7
	s_wait_storecnt_dscnt 0x0
	s_barrier_signal -1
	s_barrier_wait -1
	v_add_f64_e32 v[6:7], v[6:7], v[8:9]
	ds_bpermute_b32 v8, v3, v6
	ds_bpermute_b32 v9, v3, v7
	s_wait_dscnt 0x0
	v_add_f64_e32 v[6:7], v[6:7], v[8:9]
	ds_bpermute_b32 v8, v18, v6
	ds_bpermute_b32 v9, v18, v7
	s_wait_dscnt 0x0
	;; [unrolled: 4-line block ×3, first 2 shown]
	v_add_f64_e32 v[6:7], v[6:7], v[8:9]
	ds_bpermute_b32 v8, v20, v6
	ds_bpermute_b32 v9, v20, v7
	s_and_saveexec_b32 s6, s3
	s_cbranch_execz .LBB74_46
; %bb.45:                               ;   in Loop: Header=BB74_40 Depth=2
	s_wait_dscnt 0x0
	v_add_f64_e32 v[6:7], v[6:7], v[8:9]
	ds_store_b64 v54, v[6:7]
.LBB74_46:                              ;   in Loop: Header=BB74_40 Depth=2
	s_or_b32 exec_lo, exec_lo, s6
	v_mov_b64_e32 v[6:7], 0
	s_wait_dscnt 0x0
	s_barrier_signal -1
	s_barrier_wait -1
	s_and_saveexec_b32 s6, s2
	s_cbranch_execnz .LBB74_58
; %bb.47:                               ;   in Loop: Header=BB74_40 Depth=2
	s_or_b32 exec_lo, exec_lo, s6
	s_and_saveexec_b32 s6, s1
	s_cbranch_execnz .LBB74_59
.LBB74_48:                              ;   in Loop: Header=BB74_40 Depth=2
	s_or_b32 exec_lo, exec_lo, s6
	s_and_saveexec_b32 s6, s0
	s_cbranch_execz .LBB74_39
	s_branch .LBB74_60
.LBB74_49:                              ;   in Loop: Header=BB74_40 Depth=2
	s_mul_u64 s[8:9], s[26:27], s[28:29]
	s_delay_alu instid0(SALU_CYCLE_1)
	v_lshl_add_u64 v[14:15], s[8:9], 3, v[40:41]
	global_load_b128 v[6:9], v[14:15], off
	s_clause 0x1
	global_load_b64 v[10:11], v[42:43], off
	global_load_b64 v[12:13], v[44:45], off
	global_load_b128 v[22:25], v[14:15], off offset:16
	s_clause 0x1
	global_load_b64 v[14:15], v[46:47], off
	global_load_b64 v[16:17], v[48:49], off
	s_wait_loadcnt 0x4
	v_fma_f64 v[6:7], v[10:11], v[6:7], 0
	s_wait_loadcnt 0x3
	s_delay_alu instid0(VALU_DEP_1) | instskip(SKIP_1) | instid1(VALU_DEP_1)
	v_fmac_f64_e32 v[6:7], v[12:13], v[8:9]
	s_wait_loadcnt 0x1
	v_fmac_f64_e32 v[6:7], v[14:15], v[22:23]
	s_wait_loadcnt 0x0
	s_delay_alu instid0(VALU_DEP_1)
	v_fmac_f64_e32 v[6:7], v[16:17], v[24:25]
	s_wait_xcnt 0x0
	s_and_not1_saveexec_b32 s9, s6
	s_cbranch_execz .LBB74_42
.LBB74_50:                              ;   in Loop: Header=BB74_40 Depth=2
	s_and_saveexec_b32 s12, s5
	s_cbranch_execz .LBB74_57
; %bb.51:                               ;   in Loop: Header=BB74_40 Depth=2
	s_and_not1_b32 vcc_lo, exec_lo, s67
	s_cbranch_vccnz .LBB74_54
; %bb.52:                               ;   in Loop: Header=BB74_40 Depth=2
	v_mov_b64_e32 v[8:9], v[38:39]
	s_mov_b64 s[58:59], 0
.LBB74_53:                              ;   Parent Loop BB74_3 Depth=1
                                        ;     Parent Loop BB74_40 Depth=2
                                        ; =>    This Inner Loop Header: Depth=3
	global_load_b64 v[22:23], v[8:9], off
	s_cmp_eq_u32 s58, 3
	s_wait_xcnt 0x0
	v_add_nc_u64_e32 v[8:9], s[42:43], v[8:9]
	s_cselect_b32 vcc_lo, -1, 0
	s_cmp_eq_u32 s58, 2
	s_cselect_b32 s6, -1, 0
	s_cmp_eq_u32 s58, 1
	s_cselect_b32 s7, -1, 0
	s_cmp_eq_u32 s58, 0
	s_add_nc_u64 s[58:59], s[58:59], 1
	s_cselect_b32 s8, -1, 0
	s_cmp_eq_u32 s65, s58
	s_wait_loadcnt 0x0
	v_dual_cndmask_b32 v17, v17, v23 :: v_dual_cndmask_b32 v16, v16, v22
	v_dual_cndmask_b32 v15, v15, v23, s6 :: v_dual_cndmask_b32 v14, v14, v22, s6
	v_dual_cndmask_b32 v13, v13, v23, s7 :: v_dual_cndmask_b32 v12, v12, v22, s7
	;; [unrolled: 1-line block ×3, first 2 shown]
	s_cbranch_scc0 .LBB74_53
.LBB74_54:                              ;   in Loop: Header=BB74_40 Depth=2
	s_and_not1_b32 vcc_lo, exec_lo, s67
	s_cbranch_vccnz .LBB74_57
; %bb.55:                               ;   in Loop: Header=BB74_40 Depth=2
	v_mov_b64_e32 v[8:9], v[4:5]
	s_mov_b64 s[6:7], 0
.LBB74_56:                              ;   Parent Loop BB74_3 Depth=1
                                        ;     Parent Loop BB74_40 Depth=2
                                        ; =>    This Inner Loop Header: Depth=3
	global_load_b64 v[22:23], v[8:9], off
	s_cmp_eq_u32 s6, 1
	s_wait_xcnt 0x0
	v_add_nc_u64_e32 v[8:9], 8, v[8:9]
	s_cselect_b32 vcc_lo, -1, 0
	s_cmp_eq_u32 s6, 2
	v_dual_cndmask_b32 v21, v11, v13 :: v_dual_cndmask_b32 v24, v10, v12
	s_cselect_b32 vcc_lo, -1, 0
	s_cmp_eq_u32 s6, 3
	s_add_nc_u64 s[6:7], s[6:7], 1
	s_delay_alu instid0(VALU_DEP_1) | instskip(SKIP_2) | instid1(VALU_DEP_1)
	v_dual_cndmask_b32 v21, v21, v15 :: v_dual_cndmask_b32 v24, v24, v14
	s_cselect_b32 vcc_lo, -1, 0
	s_cmp_lg_u32 s65, s6
	v_dual_cndmask_b32 v25, v21, v17 :: v_dual_cndmask_b32 v24, v24, v16
	s_wait_loadcnt 0x0
	s_delay_alu instid0(VALU_DEP_1)
	v_fmac_f64_e32 v[6:7], v[24:25], v[22:23]
	s_cbranch_scc1 .LBB74_56
.LBB74_57:                              ;   in Loop: Header=BB74_40 Depth=2
	s_or_b32 exec_lo, exec_lo, s12
	s_delay_alu instid0(SALU_CYCLE_1)
	s_or_b32 exec_lo, exec_lo, s9
	s_and_saveexec_b32 s6, s1
	s_cbranch_execnz .LBB74_43
	s_branch .LBB74_44
.LBB74_58:                              ;   in Loop: Header=BB74_40 Depth=2
	ds_load_b64 v[6:7], v53
	s_or_b32 exec_lo, exec_lo, s6
	s_and_saveexec_b32 s6, s1
	s_cbranch_execz .LBB74_48
.LBB74_59:                              ;   in Loop: Header=BB74_40 Depth=2
	s_wait_dscnt 0x0
	ds_bpermute_b32 v8, v18, v6
	ds_bpermute_b32 v9, v18, v7
	s_wait_dscnt 0x0
	v_add_f64_e32 v[6:7], v[6:7], v[8:9]
	ds_bpermute_b32 v8, v19, v6
	ds_bpermute_b32 v9, v19, v7
	s_wait_dscnt 0x0
	v_add_f64_e32 v[6:7], v[6:7], v[8:9]
	ds_bpermute_b32 v8, v20, v6
	ds_bpermute_b32 v9, v20, v7
	s_wait_dscnt 0x0
	v_add_f64_e32 v[6:7], v[6:7], v[8:9]
	s_or_b32 exec_lo, exec_lo, s6
	s_and_saveexec_b32 s6, s0
	s_cbranch_execz .LBB74_39
.LBB74_60:                              ;   in Loop: Header=BB74_40 Depth=2
	s_wait_dscnt 0x0
	s_delay_alu instid0(VALU_DEP_1) | instskip(SKIP_1) | instid1(SALU_CYCLE_1)
	v_mul_f64_e32 v[6:7], s[14:15], v[6:7]
	s_mul_u64 s[8:9], s[26:27], s[30:31]
	s_lshl_b64 s[8:9], s[8:9], 3
	s_delay_alu instid0(SALU_CYCLE_1)
	s_add_nc_u64 s[8:9], s[56:57], s[8:9]
	global_store_b64 v2, v[6:7], s[8:9]
	s_branch .LBB74_39
.LBB74_61:
	s_sendmsg sendmsg(MSG_DEALLOC_VGPRS)
	s_endpgm
	.section	.rodata,"a",@progbits
	.p2align	6, 0x0
	.amdhsa_kernel _ZL23rocblas_gemvt_sn_kernelILb0ELi256ELi4EldddEviiT4_lPKT3_lilS3_lilPT5_i
		.amdhsa_group_segment_fixed_size 256
		.amdhsa_private_segment_fixed_size 0
		.amdhsa_kernarg_size 360
		.amdhsa_user_sgpr_count 2
		.amdhsa_user_sgpr_dispatch_ptr 0
		.amdhsa_user_sgpr_queue_ptr 0
		.amdhsa_user_sgpr_kernarg_segment_ptr 1
		.amdhsa_user_sgpr_dispatch_id 0
		.amdhsa_user_sgpr_kernarg_preload_length 0
		.amdhsa_user_sgpr_kernarg_preload_offset 0
		.amdhsa_user_sgpr_private_segment_size 0
		.amdhsa_wavefront_size32 1
		.amdhsa_uses_dynamic_stack 0
		.amdhsa_enable_private_segment 0
		.amdhsa_system_sgpr_workgroup_id_x 1
		.amdhsa_system_sgpr_workgroup_id_y 0
		.amdhsa_system_sgpr_workgroup_id_z 1
		.amdhsa_system_sgpr_workgroup_info 0
		.amdhsa_system_vgpr_workitem_id 0
		.amdhsa_next_free_vgpr 88
		.amdhsa_next_free_sgpr 72
		.amdhsa_named_barrier_count 0
		.amdhsa_reserve_vcc 1
		.amdhsa_float_round_mode_32 0
		.amdhsa_float_round_mode_16_64 0
		.amdhsa_float_denorm_mode_32 3
		.amdhsa_float_denorm_mode_16_64 3
		.amdhsa_fp16_overflow 0
		.amdhsa_memory_ordered 1
		.amdhsa_forward_progress 1
		.amdhsa_inst_pref_size 27
		.amdhsa_round_robin_scheduling 0
		.amdhsa_exception_fp_ieee_invalid_op 0
		.amdhsa_exception_fp_denorm_src 0
		.amdhsa_exception_fp_ieee_div_zero 0
		.amdhsa_exception_fp_ieee_overflow 0
		.amdhsa_exception_fp_ieee_underflow 0
		.amdhsa_exception_fp_ieee_inexact 0
		.amdhsa_exception_int_div_zero 0
	.end_amdhsa_kernel
	.section	.text._ZL23rocblas_gemvt_sn_kernelILb0ELi256ELi4EldddEviiT4_lPKT3_lilS3_lilPT5_i,"axG",@progbits,_ZL23rocblas_gemvt_sn_kernelILb0ELi256ELi4EldddEviiT4_lPKT3_lilS3_lilPT5_i,comdat
.Lfunc_end74:
	.size	_ZL23rocblas_gemvt_sn_kernelILb0ELi256ELi4EldddEviiT4_lPKT3_lilS3_lilPT5_i, .Lfunc_end74-_ZL23rocblas_gemvt_sn_kernelILb0ELi256ELi4EldddEviiT4_lPKT3_lilS3_lilPT5_i
                                        ; -- End function
	.set _ZL23rocblas_gemvt_sn_kernelILb0ELi256ELi4EldddEviiT4_lPKT3_lilS3_lilPT5_i.num_vgpr, 88
	.set _ZL23rocblas_gemvt_sn_kernelILb0ELi256ELi4EldddEviiT4_lPKT3_lilS3_lilPT5_i.num_agpr, 0
	.set _ZL23rocblas_gemvt_sn_kernelILb0ELi256ELi4EldddEviiT4_lPKT3_lilS3_lilPT5_i.numbered_sgpr, 72
	.set _ZL23rocblas_gemvt_sn_kernelILb0ELi256ELi4EldddEviiT4_lPKT3_lilS3_lilPT5_i.num_named_barrier, 0
	.set _ZL23rocblas_gemvt_sn_kernelILb0ELi256ELi4EldddEviiT4_lPKT3_lilS3_lilPT5_i.private_seg_size, 0
	.set _ZL23rocblas_gemvt_sn_kernelILb0ELi256ELi4EldddEviiT4_lPKT3_lilS3_lilPT5_i.uses_vcc, 1
	.set _ZL23rocblas_gemvt_sn_kernelILb0ELi256ELi4EldddEviiT4_lPKT3_lilS3_lilPT5_i.uses_flat_scratch, 0
	.set _ZL23rocblas_gemvt_sn_kernelILb0ELi256ELi4EldddEviiT4_lPKT3_lilS3_lilPT5_i.has_dyn_sized_stack, 0
	.set _ZL23rocblas_gemvt_sn_kernelILb0ELi256ELi4EldddEviiT4_lPKT3_lilS3_lilPT5_i.has_recursion, 0
	.set _ZL23rocblas_gemvt_sn_kernelILb0ELi256ELi4EldddEviiT4_lPKT3_lilS3_lilPT5_i.has_indirect_call, 0
	.section	.AMDGPU.csdata,"",@progbits
; Kernel info:
; codeLenInByte = 3440
; TotalNumSgprs: 74
; NumVgprs: 88
; ScratchSize: 0
; MemoryBound: 1
; FloatMode: 240
; IeeeMode: 1
; LDSByteSize: 256 bytes/workgroup (compile time only)
; SGPRBlocks: 0
; VGPRBlocks: 5
; NumSGPRsForWavesPerEU: 74
; NumVGPRsForWavesPerEU: 88
; NamedBarCnt: 0
; Occupancy: 10
; WaveLimiterHint : 0
; COMPUTE_PGM_RSRC2:SCRATCH_EN: 0
; COMPUTE_PGM_RSRC2:USER_SGPR: 2
; COMPUTE_PGM_RSRC2:TRAP_HANDLER: 0
; COMPUTE_PGM_RSRC2:TGID_X_EN: 1
; COMPUTE_PGM_RSRC2:TGID_Y_EN: 0
; COMPUTE_PGM_RSRC2:TGID_Z_EN: 1
; COMPUTE_PGM_RSRC2:TIDIG_COMP_CNT: 0
	.section	.text._ZL23rocblas_gemvt_sn_reduceILi256ELi8EdddEviT2_lPT3_lilPT1_i,"axG",@progbits,_ZL23rocblas_gemvt_sn_reduceILi256ELi8EdddEviT2_lPT3_lilPT1_i,comdat
	.globl	_ZL23rocblas_gemvt_sn_reduceILi256ELi8EdddEviT2_lPT3_lilPT1_i ; -- Begin function _ZL23rocblas_gemvt_sn_reduceILi256ELi8EdddEviT2_lPT3_lilPT1_i
	.p2align	8
	.type	_ZL23rocblas_gemvt_sn_reduceILi256ELi8EdddEviT2_lPT3_lilPT1_i,@function
_ZL23rocblas_gemvt_sn_reduceILi256ELi8EdddEviT2_lPT3_lilPT1_i: ; @_ZL23rocblas_gemvt_sn_reduceILi256ELi8EdddEviT2_lPT3_lilPT1_i
; %bb.0:
	s_load_b32 s28, s[0:1], 0x40
	s_bfe_u32 s2, ttmp6, 0x40014
	s_lshr_b32 s3, ttmp7, 16
	s_add_co_i32 s2, s2, 1
	s_bfe_u32 s5, ttmp6, 0x40008
	s_mul_i32 s4, s3, s2
	s_getreg_b32 s2, hwreg(HW_REG_IB_STS2, 6, 4)
	s_add_co_i32 s5, s5, s4
	s_cmp_eq_u32 s2, 0
	s_mov_b32 s13, 0
	s_cselect_b32 s12, s3, s5
	s_wait_kmcnt 0x0
	s_cmp_ge_u32 s12, s28
	s_cbranch_scc1 .LBB75_21
; %bb.1:
	s_clause 0x6
	s_load_b32 s14, s[0:1], 0x0
	s_load_b32 s20, s[0:1], 0x28
	s_load_b128 s[4:7], s[0:1], 0x18
	s_load_b64 s[16:17], s[0:1], 0x8
	s_load_b128 s[8:11], s[0:1], 0x30
	s_load_b32 s29, s[0:1], 0x4c
	s_load_b32 s3, s[0:1], 0x54
	v_mbcnt_lo_u32_b32 v6, -1, 0
	s_wait_xcnt 0x0
	s_bfe_u32 s0, ttmp6, 0x40010
	v_dual_mov_b32 v3, 0 :: v_dual_lshlrev_b32 v10, 3, v0
	v_and_b32_e32 v1, 31, v0
	v_cmp_gt_u32_e32 vcc_lo, 24, v6
	s_and_b32 s18, ttmp7, 0xffff
	s_add_co_i32 s0, s0, 1
	s_bfe_u32 s1, ttmp6, 0x40004
	s_mul_i32 s0, s18, s0
	v_cndmask_b32_e64 v4, 0, 8, vcc_lo
	v_cmp_gt_u32_e32 vcc_lo, 28, v6
	s_add_co_i32 s19, s1, s0
	s_wait_kmcnt 0x0
	s_ashr_i32 s15, s14, 31
	v_mov_b32_e32 v5, v3
	v_add_lshl_u32 v13, v4, v6, 2
	v_cmp_neq_f64_e64 s33, s[16:17], 0
	v_cndmask_b32_e64 v7, 0, 4, vcc_lo
	v_cmp_gt_u32_e32 vcc_lo, 30, v6
	v_dual_lshlrev_b32 v4, 6, v0 :: v_dual_lshlrev_b32 v11, 3, v1
	s_ashr_i32 s21, s20, 31
	s_lshl_b64 s[0:1], s[6:7], 3
	s_cmp_eq_u32 s2, 0
	v_cndmask_b32_e64 v8, 0, 2, vcc_lo
	s_cselect_b32 s6, s18, s19
	s_lshr_b32 s2, s15, 29
	v_cmp_ne_u32_e32 vcc_lo, 31, v6
	v_add_nc_u64_e32 v[4:5], s[10:11], v[4:5]
	s_add_nc_u64 s[18:19], s[4:5], s[0:1]
	s_add_co_i32 s0, s14, s2
	v_add_lshl_u32 v14, v7, v6, 2
	s_and_b32 s30, s0, -8
	v_add_co_ci_u32_e64 v9, null, 0, v6, vcc_lo
	v_lshrrev_b32_e32 v7, 2, v0
	s_sub_co_i32 s1, s14, s30
	v_xad_u32 v2, v0, -1, s14
	s_and_b32 s22, s3, 0xffff
	v_cmp_gt_u32_e64 s1, s1, v0
	v_cmp_gt_u32_e64 s2, 32, v0
	v_cmp_eq_u32_e64 s3, 0, v1
	v_cmp_gt_u32_e64 s4, 8, v0
	v_cmp_eq_u32_e64 s5, 0, v0
	v_add_nc_u64_e32 v[0:1], 56, v[4:5]
	v_mov_b64_e32 v[4:5], 0
	s_mov_b32 s7, s13
	v_cmp_gt_i32_e64 s0, s30, v10
	v_lshl_or_b32 v12, v6, 2, 64
	v_add_lshl_u32 v15, v8, v6, 2
	v_dual_lshlrev_b32 v16, 2, v9 :: v_dual_bitop2_b32 v17, 56, v7 bitop3:0x40
	s_mul_u64 s[24:25], s[20:21], s[6:7]
	s_mul_i32 s7, s12, s29
	s_lshl_b32 s31, s22, 3
	s_lshl_b64 s[20:21], s[14:15], 3
	s_add_co_i32 s7, s6, s7
	s_lshl_b32 s34, s29, 16
	s_lshl_b32 s22, s22, 6
	s_mov_b32 s23, s13
	s_lshl_b64 s[24:25], s[24:25], 3
	s_branch .LBB75_4
.LBB75_2:                               ;   in Loop: Header=BB75_4 Depth=1
	s_wait_dscnt 0x0
	global_store_b64 v3, v[6:7], s[26:27]
.LBB75_3:                               ;   in Loop: Header=BB75_4 Depth=1
	s_wait_xcnt 0x0
	s_or_b32 exec_lo, exec_lo, s35
	s_add_co_i32 s12, s12, 0x10000
	s_add_co_i32 s7, s7, s34
	s_cmp_lt_u32 s12, s28
	s_cbranch_scc0 .LBB75_21
.LBB75_4:                               ; =>This Loop Header: Depth=1
                                        ;     Child Loop BB75_14 Depth 2
	s_wait_dscnt 0x0
	v_mov_b64_e32 v[6:7], 0
	s_and_saveexec_b32 s26, s0
	s_cbranch_execnz .LBB75_13
; %bb.5:                                ;   in Loop: Header=BB75_4 Depth=1
	s_or_b32 exec_lo, exec_lo, s26
	s_and_saveexec_b32 s26, s1
	s_cbranch_execnz .LBB75_16
.LBB75_6:                               ;   in Loop: Header=BB75_4 Depth=1
	s_or_b32 exec_lo, exec_lo, s26
	s_and_saveexec_b32 s26, s2
.LBB75_7:                               ;   in Loop: Header=BB75_4 Depth=1
	ds_store_b64 v11, v[4:5]
.LBB75_8:                               ;   in Loop: Header=BB75_4 Depth=1
	s_or_b32 exec_lo, exec_lo, s26
	ds_bpermute_b32 v8, v12, v6
	ds_bpermute_b32 v9, v12, v7
	s_wait_dscnt 0x0
	s_barrier_signal -1
	s_barrier_wait -1
	v_add_f64_e32 v[6:7], v[6:7], v[8:9]
	ds_bpermute_b32 v8, v13, v6
	ds_bpermute_b32 v9, v13, v7
	s_wait_dscnt 0x0
	v_add_f64_e32 v[6:7], v[6:7], v[8:9]
	ds_bpermute_b32 v8, v14, v6
	ds_bpermute_b32 v9, v14, v7
	s_wait_dscnt 0x0
	;; [unrolled: 4-line block ×3, first 2 shown]
	v_add_f64_e32 v[6:7], v[6:7], v[8:9]
	ds_bpermute_b32 v8, v16, v6
	ds_bpermute_b32 v9, v16, v7
	s_and_saveexec_b32 s26, s3
	s_cbranch_execz .LBB75_10
; %bb.9:                                ;   in Loop: Header=BB75_4 Depth=1
	s_wait_dscnt 0x0
	v_add_f64_e32 v[6:7], v[6:7], v[8:9]
	ds_store_b64 v17, v[6:7]
.LBB75_10:                              ;   in Loop: Header=BB75_4 Depth=1
	s_or_b32 exec_lo, exec_lo, s26
	v_mov_b64_e32 v[6:7], 0
	s_wait_dscnt 0x0
	s_barrier_signal -1
	s_barrier_wait -1
	s_and_saveexec_b32 s26, s4
	s_cbranch_execnz .LBB75_17
; %bb.11:                               ;   in Loop: Header=BB75_4 Depth=1
	s_or_b32 exec_lo, exec_lo, s26
	s_and_saveexec_b32 s26, s2
	s_cbranch_execnz .LBB75_18
.LBB75_12:                              ;   in Loop: Header=BB75_4 Depth=1
	s_or_b32 exec_lo, exec_lo, s26
	s_and_saveexec_b32 s35, s5
	s_cbranch_execz .LBB75_3
	s_branch .LBB75_19
.LBB75_13:                              ;   in Loop: Header=BB75_4 Depth=1
	v_mad_nc_u64_u32 v[8:9], s20, s7, v[0:1]
	v_mov_b64_e32 v[6:7], 0
	v_mov_b32_e32 v18, v10
	s_mov_b32 s27, 0
	s_delay_alu instid0(VALU_DEP_3)
	v_mad_u32 v9, s21, s7, v9
.LBB75_14:                              ;   Parent Loop BB75_4 Depth=1
                                        ; =>  This Inner Loop Header: Depth=2
	s_clause 0x3
	global_load_b128 v[20:23], v[8:9], off offset:-56
	global_load_b128 v[24:27], v[8:9], off offset:-40
	;; [unrolled: 1-line block ×4, first 2 shown]
	s_wait_xcnt 0x0
	v_add_nc_u64_e32 v[8:9], s[22:23], v[8:9]
	v_add_nc_u32_e32 v18, s31, v18
	s_delay_alu instid0(VALU_DEP_1) | instskip(SKIP_3) | instid1(VALU_DEP_1)
	v_cmp_le_i32_e32 vcc_lo, s30, v18
	s_or_b32 s27, vcc_lo, s27
	s_wait_loadcnt 0x3
	v_add_f64_e32 v[6:7], v[6:7], v[20:21]
	v_add_f64_e32 v[6:7], v[6:7], v[22:23]
	s_wait_loadcnt 0x2
	s_delay_alu instid0(VALU_DEP_1) | instskip(NEXT) | instid1(VALU_DEP_1)
	v_add_f64_e32 v[6:7], v[6:7], v[24:25]
	v_add_f64_e32 v[6:7], v[6:7], v[26:27]
	s_wait_loadcnt 0x1
	s_delay_alu instid0(VALU_DEP_1) | instskip(NEXT) | instid1(VALU_DEP_1)
	;; [unrolled: 4-line block ×3, first 2 shown]
	v_add_f64_e32 v[6:7], v[6:7], v[32:33]
	v_add_f64_e32 v[6:7], v[6:7], v[34:35]
	s_and_not1_b32 exec_lo, exec_lo, s27
	s_cbranch_execnz .LBB75_14
; %bb.15:                               ;   in Loop: Header=BB75_4 Depth=1
	s_or_b32 exec_lo, exec_lo, s27
	s_delay_alu instid0(SALU_CYCLE_1)
	s_or_b32 exec_lo, exec_lo, s26
	s_and_saveexec_b32 s26, s1
	s_cbranch_execz .LBB75_6
.LBB75_16:                              ;   in Loop: Header=BB75_4 Depth=1
	s_mul_i32 s27, s29, s12
	s_mov_b32 s37, s13
	s_add_co_i32 s36, s27, s6
	s_delay_alu instid0(SALU_CYCLE_1) | instskip(NEXT) | instid1(SALU_CYCLE_1)
	s_mul_u64 s[36:37], s[36:37], s[14:15]
	s_lshl_b64 s[36:37], s[36:37], 3
	s_delay_alu instid0(SALU_CYCLE_1) | instskip(NEXT) | instid1(SALU_CYCLE_1)
	s_add_nc_u64 s[36:37], s[10:11], s[36:37]
	v_lshl_add_u64 v[8:9], v[2:3], 3, s[36:37]
	global_load_b64 v[8:9], v[8:9], off
	s_wait_loadcnt 0x0
	v_add_f64_e32 v[6:7], v[6:7], v[8:9]
	s_wait_xcnt 0x0
	s_or_b32 exec_lo, exec_lo, s26
	s_and_saveexec_b32 s26, s2
	s_cbranch_execnz .LBB75_7
	s_branch .LBB75_8
.LBB75_17:                              ;   in Loop: Header=BB75_4 Depth=1
	ds_load_b64 v[6:7], v11
	s_or_b32 exec_lo, exec_lo, s26
	s_and_saveexec_b32 s26, s2
	s_cbranch_execz .LBB75_12
.LBB75_18:                              ;   in Loop: Header=BB75_4 Depth=1
	s_wait_dscnt 0x0
	ds_bpermute_b32 v8, v14, v6
	ds_bpermute_b32 v9, v14, v7
	s_wait_dscnt 0x0
	v_add_f64_e32 v[6:7], v[6:7], v[8:9]
	ds_bpermute_b32 v8, v15, v6
	ds_bpermute_b32 v9, v15, v7
	s_wait_dscnt 0x0
	v_add_f64_e32 v[6:7], v[6:7], v[8:9]
	;; [unrolled: 4-line block ×3, first 2 shown]
	s_or_b32 exec_lo, exec_lo, s26
	s_and_saveexec_b32 s35, s5
	s_cbranch_execz .LBB75_3
.LBB75_19:                              ;   in Loop: Header=BB75_4 Depth=1
	s_mul_u64 s[26:27], s[8:9], s[12:13]
	s_and_not1_b32 vcc_lo, exec_lo, s33
	s_lshl_b64 s[26:27], s[26:27], 3
	s_delay_alu instid0(SALU_CYCLE_1) | instskip(NEXT) | instid1(SALU_CYCLE_1)
	s_add_nc_u64 s[26:27], s[18:19], s[26:27]
	s_add_nc_u64 s[26:27], s[26:27], s[24:25]
	s_cbranch_vccnz .LBB75_2
; %bb.20:                               ;   in Loop: Header=BB75_4 Depth=1
	global_load_b64 v[8:9], v3, s[26:27]
	s_wait_loadcnt_dscnt 0x0
	v_fmac_f64_e32 v[6:7], s[16:17], v[8:9]
	s_branch .LBB75_2
.LBB75_21:
	s_endpgm
	.section	.rodata,"a",@progbits
	.p2align	6, 0x0
	.amdhsa_kernel _ZL23rocblas_gemvt_sn_reduceILi256ELi8EdddEviT2_lPT3_lilPT1_i
		.amdhsa_group_segment_fixed_size 256
		.amdhsa_private_segment_fixed_size 0
		.amdhsa_kernarg_size 328
		.amdhsa_user_sgpr_count 2
		.amdhsa_user_sgpr_dispatch_ptr 0
		.amdhsa_user_sgpr_queue_ptr 0
		.amdhsa_user_sgpr_kernarg_segment_ptr 1
		.amdhsa_user_sgpr_dispatch_id 0
		.amdhsa_user_sgpr_kernarg_preload_length 0
		.amdhsa_user_sgpr_kernarg_preload_offset 0
		.amdhsa_user_sgpr_private_segment_size 0
		.amdhsa_wavefront_size32 1
		.amdhsa_uses_dynamic_stack 0
		.amdhsa_enable_private_segment 0
		.amdhsa_system_sgpr_workgroup_id_x 1
		.amdhsa_system_sgpr_workgroup_id_y 1
		.amdhsa_system_sgpr_workgroup_id_z 1
		.amdhsa_system_sgpr_workgroup_info 0
		.amdhsa_system_vgpr_workitem_id 0
		.amdhsa_next_free_vgpr 36
		.amdhsa_next_free_sgpr 38
		.amdhsa_named_barrier_count 0
		.amdhsa_reserve_vcc 1
		.amdhsa_float_round_mode_32 0
		.amdhsa_float_round_mode_16_64 0
		.amdhsa_float_denorm_mode_32 3
		.amdhsa_float_denorm_mode_16_64 3
		.amdhsa_fp16_overflow 0
		.amdhsa_memory_ordered 1
		.amdhsa_forward_progress 1
		.amdhsa_inst_pref_size 10
		.amdhsa_round_robin_scheduling 0
		.amdhsa_exception_fp_ieee_invalid_op 0
		.amdhsa_exception_fp_denorm_src 0
		.amdhsa_exception_fp_ieee_div_zero 0
		.amdhsa_exception_fp_ieee_overflow 0
		.amdhsa_exception_fp_ieee_underflow 0
		.amdhsa_exception_fp_ieee_inexact 0
		.amdhsa_exception_int_div_zero 0
	.end_amdhsa_kernel
	.section	.text._ZL23rocblas_gemvt_sn_reduceILi256ELi8EdddEviT2_lPT3_lilPT1_i,"axG",@progbits,_ZL23rocblas_gemvt_sn_reduceILi256ELi8EdddEviT2_lPT3_lilPT1_i,comdat
.Lfunc_end75:
	.size	_ZL23rocblas_gemvt_sn_reduceILi256ELi8EdddEviT2_lPT3_lilPT1_i, .Lfunc_end75-_ZL23rocblas_gemvt_sn_reduceILi256ELi8EdddEviT2_lPT3_lilPT1_i
                                        ; -- End function
	.set _ZL23rocblas_gemvt_sn_reduceILi256ELi8EdddEviT2_lPT3_lilPT1_i.num_vgpr, 36
	.set _ZL23rocblas_gemvt_sn_reduceILi256ELi8EdddEviT2_lPT3_lilPT1_i.num_agpr, 0
	.set _ZL23rocblas_gemvt_sn_reduceILi256ELi8EdddEviT2_lPT3_lilPT1_i.numbered_sgpr, 38
	.set _ZL23rocblas_gemvt_sn_reduceILi256ELi8EdddEviT2_lPT3_lilPT1_i.num_named_barrier, 0
	.set _ZL23rocblas_gemvt_sn_reduceILi256ELi8EdddEviT2_lPT3_lilPT1_i.private_seg_size, 0
	.set _ZL23rocblas_gemvt_sn_reduceILi256ELi8EdddEviT2_lPT3_lilPT1_i.uses_vcc, 1
	.set _ZL23rocblas_gemvt_sn_reduceILi256ELi8EdddEviT2_lPT3_lilPT1_i.uses_flat_scratch, 0
	.set _ZL23rocblas_gemvt_sn_reduceILi256ELi8EdddEviT2_lPT3_lilPT1_i.has_dyn_sized_stack, 0
	.set _ZL23rocblas_gemvt_sn_reduceILi256ELi8EdddEviT2_lPT3_lilPT1_i.has_recursion, 0
	.set _ZL23rocblas_gemvt_sn_reduceILi256ELi8EdddEviT2_lPT3_lilPT1_i.has_indirect_call, 0
	.section	.AMDGPU.csdata,"",@progbits
; Kernel info:
; codeLenInByte = 1204
; TotalNumSgprs: 40
; NumVgprs: 36
; ScratchSize: 0
; MemoryBound: 1
; FloatMode: 240
; IeeeMode: 1
; LDSByteSize: 256 bytes/workgroup (compile time only)
; SGPRBlocks: 0
; VGPRBlocks: 2
; NumSGPRsForWavesPerEU: 40
; NumVGPRsForWavesPerEU: 36
; NamedBarCnt: 0
; Occupancy: 16
; WaveLimiterHint : 0
; COMPUTE_PGM_RSRC2:SCRATCH_EN: 0
; COMPUTE_PGM_RSRC2:USER_SGPR: 2
; COMPUTE_PGM_RSRC2:TRAP_HANDLER: 0
; COMPUTE_PGM_RSRC2:TGID_X_EN: 1
; COMPUTE_PGM_RSRC2:TGID_Y_EN: 1
; COMPUTE_PGM_RSRC2:TGID_Z_EN: 1
; COMPUTE_PGM_RSRC2:TIDIG_COMP_CNT: 0
	.section	.text._ZL36rocblas_gemvt_double_buffered_kernelILb0ELi128ELi4ELi16EdPKddEviiT4_lPKT3_lilS5_lilPT5_lili,"axG",@progbits,_ZL36rocblas_gemvt_double_buffered_kernelILb0ELi128ELi4ELi16EdPKddEviiT4_lPKT3_lilS5_lilPT5_lili,comdat
	.globl	_ZL36rocblas_gemvt_double_buffered_kernelILb0ELi128ELi4ELi16EdPKddEviiT4_lPKT3_lilS5_lilPT5_lili ; -- Begin function _ZL36rocblas_gemvt_double_buffered_kernelILb0ELi128ELi4ELi16EdPKddEviiT4_lPKT3_lilS5_lilPT5_lili
	.p2align	8
	.type	_ZL36rocblas_gemvt_double_buffered_kernelILb0ELi128ELi4ELi16EdPKddEviiT4_lPKT3_lilS5_lilPT5_lili,@function
_ZL36rocblas_gemvt_double_buffered_kernelILb0ELi128ELi4ELi16EdPKddEviiT4_lPKT3_lilS5_lilPT5_lili: ; @_ZL36rocblas_gemvt_double_buffered_kernelILb0ELi128ELi4ELi16EdPKddEviiT4_lPKT3_lilS5_lilPT5_lili
; %bb.0:
	s_load_b32 s33, s[0:1], 0x78
	s_bfe_u32 s2, ttmp6, 0x40014
	s_lshr_b32 s3, ttmp7, 16
	s_add_co_i32 s2, s2, 1
	s_bfe_u32 s4, ttmp6, 0x40008
	s_mul_i32 s2, s3, s2
	s_getreg_b32 s26, hwreg(HW_REG_IB_STS2, 6, 4)
	s_add_co_i32 s4, s4, s2
	s_cmp_eq_u32 s26, 0
	s_cselect_b32 s2, s3, s4
	s_mov_b32 s3, 0
	s_wait_kmcnt 0x0
	s_cmp_ge_u32 s2, s33
	s_cbranch_scc1 .LBB76_15
; %bb.1:
	s_clause 0x7
	s_load_b32 s30, s[0:1], 0x28
	s_load_b96 s[20:22], s[0:1], 0x40
	s_load_b96 s[36:38], s[0:1], 0x60
	s_load_b32 s27, s[0:1], 0x0
	s_load_b256 s[4:11], s[0:1], 0x8
	s_load_b128 s[16:19], s[0:1], 0x50
	s_load_b128 s[12:15], s[0:1], 0x30
	s_load_b64 s[24:25], s[0:1], 0x70
	v_and_b32_e32 v8, 0x3ff, v0
	v_bfe_u32 v1, v0, 10, 10
	s_bfe_u32 s28, ttmp6, 0x40010
	s_bfe_u32 s23, ttmp6, 0x4000c
	s_add_co_i32 s43, s28, 1
	s_and_b32 s41, ttmp7, 0xffff
	v_lshl_add_u32 v4, v1, 7, v8
	s_add_co_i32 s42, s23, 1
	s_and_b32 s40, ttmp6, 15
	v_dual_mov_b32 v3, 0 :: v_dual_lshlrev_b32 v42, 9, v8
	s_delay_alu instid0(VALU_DEP_2)
	v_lshrrev_b32_e32 v5, 2, v4
	s_wait_kmcnt 0x0
	s_ashr_i32 s31, s30, 31
	s_ashr_i32 s23, s22, 31
	s_lshl_b64 s[28:29], s[36:37], 3
	s_ashr_i32 s36, s27, 31
	s_lshl_b64 s[10:11], s[10:11], 3
	s_lshr_b32 s36, s36, 25
	s_ashr_i32 s35, s38, 31
	s_mov_b32 s34, s38
	s_add_co_i32 s27, s27, s36
	s_add_nc_u64 s[38:39], s[8:9], s[10:11]
	s_mul_i32 s9, ttmp9, s42
	s_mul_i32 s10, s41, s43
	s_bfe_u32 s11, ttmp6, 0x40004
	s_ashr_i32 s8, s27, 7
	s_add_co_i32 s40, s40, s9
	s_add_co_i32 s9, s11, s10
	v_and_b32_e32 v6, 0x7ff0, v5
	v_and_b32_e32 v2, 63, v0
	s_cmp_eq_u32 s26, 0
	s_add_nc_u64 s[10:11], s[0:1], 0x80
	s_cselect_b32 s0, ttmp9, s40
	s_cselect_b32 s1, s41, s9
	s_lshl_b32 s40, s0, 7
	v_lshlrev_b32_e32 v40, 9, v6
	v_mad_nc_i64_i32 v[10:11], s30, v6, v[2:3]
	v_lshlrev_b32_e32 v2, 3, v2
	v_cmp_eq_u32_e64 s0, 0, v1
	v_add_nc_u32_e32 v1, 1, v8
	v_lshl_or_b32 v41, v5, 9, 0x1e00
	v_dual_add_nc_u32 v5, 2, v8 :: v_dual_add_nc_u32 v9, 5, v8
	s_delay_alu instid0(VALU_DEP_3) | instskip(SKIP_1) | instid1(VALU_DEP_3)
	v_dual_lshlrev_b32 v4, 1, v4 :: v_dual_bitop2_b32 v1, 63, v1 bitop3:0x40
	v_dual_add_nc_u32 v6, 3, v8 :: v_dual_add_nc_u32 v7, 4, v8
	v_and_b32_e32 v5, 63, v5
	s_delay_alu instid0(VALU_DEP_3) | instskip(NEXT) | instid1(VALU_DEP_4)
	v_and_b32_e32 v4, 0x3ff80, v4
	v_lshl_or_b32 v1, v1, 3, v42
	scratch_store_b64 off, v[10:11], off    ; 8-byte Folded Spill
	v_and_b32_e32 v6, 63, v6
	v_lshl_or_b32 v5, v5, 3, v42
	v_and_b32_e32 v7, 63, v7
	scratch_store_b32 off, v1, off offset:8 ; 4-byte Folded Spill
	s_wait_xcnt 0x0
	v_dual_add_nc_u32 v14, 10, v8 :: v_dual_bitop2_b32 v1, 63, v9 bitop3:0x40
	v_add_nc_u32_e32 v15, 11, v8
	s_ashr_i32 s41, s40, 31
	v_bitop3_b32 v0, v0, 32, 63 bitop3:0x6c
	s_delay_alu instid0(VALU_DEP_3)
	v_lshl_or_b32 v1, v1, 3, v42
	scratch_store_b32 off, v5, off offset:12 ; 4-byte Folded Spill
	v_dual_add_nc_u32 v45, 12, v8 :: v_dual_bitop2_b32 v43, 63, v14 bitop3:0x40
	v_lshl_or_b32 v241, v0, 3, v42
	scratch_store_b32 off, v1, off offset:24 ; 4-byte Folded Spill
	s_wait_xcnt 0x0
	v_add_nc_u32_e32 v1, 6, v8
	v_lshl_or_b32 v5, v6, 3, v42
	v_dual_add_nc_u32 v6, 7, v8 :: v_dual_add_nc_u32 v9, 9, v8
	s_mul_u64 s[26:27], s[34:35], s[40:41]
	s_delay_alu instid0(VALU_DEP_3) | instskip(SKIP_1) | instid1(VALU_DEP_2)
	v_and_b32_e32 v1, 63, v1
	s_add_nc_u64 s[28:29], s[18:19], s[28:29]
	v_and_b32_e32 v6, 63, v6
	s_lshl_b64 s[26:27], s[26:27], 3
	s_mul_u64 s[18:19], s[30:31], s[40:41]
	v_lshl_or_b32 v1, v1, 3, v42
	scratch_store_b32 off, v5, off offset:16 ; 4-byte Folded Spill
	s_wait_xcnt 0x0
	v_lshl_or_b32 v5, v7, 3, v42
	v_add_nc_u32_e32 v7, 8, v8
	s_add_nc_u64 s[36:37], s[28:29], s[26:27]
	scratch_store_b32 off, v1, off offset:28 ; 4-byte Folded Spill
	s_wait_xcnt 0x0
	v_lshl_or_b32 v1, v6, 3, v42
	scratch_store_b32 off, v5, off offset:20 ; 4-byte Folded Spill
	s_wait_xcnt 0x0
	v_dual_mov_b32 v5, v3 :: v_dual_bitop2_b32 v225, v42, v2 bitop3:0x54
	s_lshl_b64 s[18:19], s[18:19], 3
	s_mul_u64 s[26:27], s[30:31], 15
	s_add_nc_u64 s[18:19], s[38:39], s[18:19]
	s_delay_alu instid0(VALU_DEP_1)
	v_lshl_add_u64 v[4:5], s[40:41], 3, v[4:5]
	s_lshl_b64 s[28:29], s[22:23], 10
	s_mov_b32 s9, s3
	s_lshl_b64 s[16:17], s[16:17], 3
	v_add_nc_u32_e32 v227, v2, v41
	v_mul_lo_u32 v5, v5, s30
	v_or_b32_e32 v26, 40, v4
	v_and_b32_e32 v44, 63, v15
	v_and_b32_e32 v9, 63, v9
	v_or_b32_e32 v35, 0x48, v4
	v_or_b32_e32 v37, 0x58, v4
	v_mad_nc_u64_u32 v[18:19], v26, s30, s[38:39]
	v_or_b32_e32 v25, 32, v4
	v_lshl_or_b32 v6, v9, 3, v42
	v_or_b32_e32 v38, 0x60, v4
	v_mad_nc_u64_u32 v[30:31], v37, s30, s[38:39]
	scratch_store_b32 off, v1, off offset:32 ; 4-byte Folded Spill
	v_or_b32_e32 v36, 0x50, v4
	v_or_b32_e32 v46, 0x68, v4
	v_mad_nc_u64_u32 v[32:33], v38, s30, s[38:39]
	v_or_b32_e32 v47, 0x70, v4
	v_dual_add_nc_u32 v0, 35, v8 :: v_dual_add_nc_u32 v19, v5, v19
	v_mad_nc_u64_u32 v[16:17], v25, s30, s[38:39]
	v_or_b32_e32 v24, 24, v4
	v_mad_nc_u64_u32 v[28:29], v36, s30, s[38:39]
	s_delay_alu instid0(VALU_DEP_4)
	v_and_b32_e32 v0, 63, v0
	v_mad_u32 v19, v26, s31, v19
	v_mad_nc_u64_u32 v[26:27], v35, s30, s[38:39]
	v_or_b32_e32 v34, 64, v4
	v_add_nc_u32_e32 v226, v2, v40
	v_lshl_or_b32 v244, v0, 3, v42
	v_dual_add_nc_u32 v0, 40, v8 :: v_dual_add_nc_u32 v17, v5, v17
	v_mad_nc_u64_u32 v[14:15], v24, s30, s[38:39]
	v_or_b32_e32 v9, 16, v4
	s_delay_alu instid0(VALU_DEP_3) | instskip(SKIP_2) | instid1(VALU_DEP_3)
	v_and_b32_e32 v0, 63, v0
	v_add_nc_u64_e32 v[18:19], 0x400, v[18:19]
	v_mad_u32 v17, v25, s31, v17
	v_lshl_or_b32 v249, v0, 3, v42
	v_dual_add_nc_u32 v0, 45, v8 :: v_dual_add_nc_u32 v15, v5, v15
	v_mad_nc_u64_u32 v[12:13], v9, s30, s[38:39]
	v_and_b32_e32 v7, 63, v7
	s_delay_alu instid0(VALU_DEP_3) | instskip(SKIP_2) | instid1(VALU_DEP_3)
	v_and_b32_e32 v0, 63, v0
	v_add_nc_u64_e32 v[16:17], 0x400, v[16:17]
	v_mad_u32 v15, v24, s31, v15
	v_lshl_or_b32 v254, v0, 3, v42
	v_dual_add_nc_u32 v0, 50, v8 :: v_dual_add_nc_u32 v13, v5, v13
	s_wait_xcnt 0x0
	v_lshl_or_b32 v1, v7, 3, v42
	s_delay_alu instid0(VALU_DEP_4) | instskip(NEXT) | instid1(VALU_DEP_3)
	v_add_nc_u64_e32 v[14:15], 0x400, v[14:15]
	v_mad_u32 v13, v9, s31, v13
	v_or_b32_e32 v9, 56, v4
	s_delay_alu instid0(VALU_DEP_1) | instskip(NEXT) | instid1(VALU_DEP_3)
	v_mad_nc_u64_u32 v[22:23], v9, s30, s[38:39]
	v_add_nc_u64_e32 v[12:13], 0x400, v[12:13]
	s_delay_alu instid0(VALU_DEP_2) | instskip(NEXT) | instid1(VALU_DEP_1)
	v_add_nc_u32_e32 v23, v5, v23
	v_mad_u32 v23, v9, s31, v23
	v_add_nc_u32_e32 v9, v5, v27
	v_mad_nc_u64_u32 v[24:25], v34, s30, s[38:39]
	s_delay_alu instid0(VALU_DEP_2) | instskip(SKIP_2) | instid1(VALU_DEP_2)
	v_mad_u32 v27, v35, s31, v9
	v_add_nc_u32_e32 v9, v5, v31
	v_add_nc_u64_e32 v[22:23], 0x400, v[22:23]
	v_mad_u32 v31, v37, s31, v9
	v_add_nc_u32_e32 v9, 13, v8
	v_add_nc_u64_e32 v[26:27], 0x400, v[26:27]
	s_delay_alu instid0(VALU_DEP_2) | instskip(NEXT) | instid1(VALU_DEP_1)
	v_and_b32_e32 v9, 63, v9
	v_lshl_or_b32 v9, v9, 3, v42
	scratch_store_b32 off, v1, off offset:36 ; 4-byte Folded Spill
	s_wait_xcnt 0x0
	v_or_b32_e32 v1, 8, v4
	v_add_nc_u64_e32 v[30:31], 0x400, v[30:31]
	s_delay_alu instid0(VALU_DEP_2) | instskip(NEXT) | instid1(VALU_DEP_1)
	v_mad_nc_u64_u32 v[10:11], v1, s30, s[38:39]
	v_add_nc_u32_e32 v11, v5, v11
	s_delay_alu instid0(VALU_DEP_1) | instskip(SKIP_1) | instid1(VALU_DEP_1)
	v_mad_u32 v11, v1, s31, v11
	v_or_b32_e32 v1, 48, v4
	v_mad_nc_u64_u32 v[20:21], v1, s30, s[38:39]
	s_delay_alu instid0(VALU_DEP_3) | instskip(NEXT) | instid1(VALU_DEP_2)
	v_add_nc_u64_e32 v[10:11], 0x400, v[10:11]
	v_add_nc_u32_e32 v21, v5, v21
	s_delay_alu instid0(VALU_DEP_1) | instskip(SKIP_1) | instid1(VALU_DEP_1)
	v_mad_u32 v21, v1, s31, v21
	v_add_nc_u32_e32 v1, v5, v25
	v_mad_u32 v25, v34, s31, v1
	v_mad_nc_u64_u32 v[34:35], v46, s30, s[38:39]
	v_add_nc_u32_e32 v1, v5, v29
	v_add_nc_u64_e32 v[20:21], 0x400, v[20:21]
	s_delay_alu instid0(VALU_DEP_2) | instskip(SKIP_3) | instid1(VALU_DEP_3)
	v_mad_u32 v29, v36, s31, v1
	v_add_nc_u32_e32 v1, v5, v33
	v_mad_nc_u64_u32 v[36:37], v47, s30, s[38:39]
	v_add_nc_u64_e32 v[24:25], 0x400, v[24:25]
	v_mad_u32 v33, v38, s31, v1
	v_add_nc_u32_e32 v1, v5, v35
	v_lshl_or_b32 v35, v43, 3, v42
	scratch_store_b32 off, v6, off offset:40 ; 4-byte Folded Spill
	s_wait_xcnt 0x0
	v_mad_nc_u64_u32 v[6:7], v4, s30, s[38:39]
	v_dual_add_nc_u32 v45, 54, v8 :: v_dual_bitop2_b32 v43, 63, v45 bitop3:0x40
	v_add_nc_u32_e32 v37, v5, v37
	v_add_nc_u64_e32 v[28:29], 0x400, v[28:29]
	s_delay_alu instid0(VALU_DEP_3)
	v_lshl_or_b32 v43, v43, 3, v42
	scratch_store_b32 off, v35, off offset:44 ; 4-byte Folded Spill
	s_wait_xcnt 0x0
	v_lshl_or_b32 v35, v44, 3, v42
	v_mad_u32 v37, v47, s31, v37
	v_dual_add_nc_u32 v47, 62, v8 :: v_dual_add_nc_u32 v7, v5, v7
	v_add_nc_u64_e32 v[32:33], 0x400, v[32:33]
	s_delay_alu instid0(VALU_DEP_2) | instskip(SKIP_2) | instid1(VALU_DEP_2)
	v_mad_u32 v7, v4, s31, v7
	v_or_b32_e32 v4, 0x78, v4
	v_add_nc_u64_e32 v[36:37], 0x400, v[36:37]
	v_mad_nc_u64_u32 v[38:39], v4, s30, s[38:39]
	s_delay_alu instid0(VALU_DEP_1) | instskip(NEXT) | instid1(VALU_DEP_1)
	v_add_nc_u32_e32 v5, v5, v39
	v_mad_u32 v39, v4, s31, v5
	v_dual_add_nc_u32 v4, 17, v8 :: v_dual_add_nc_u32 v5, 18, v8
	s_delay_alu instid0(VALU_DEP_1) | instskip(NEXT) | instid1(VALU_DEP_2)
	v_and_b32_e32 v4, 63, v4
	v_and_b32_e32 v5, 63, v5
	s_delay_alu instid0(VALU_DEP_2)
	v_lshl_or_b32 v4, v4, 3, v42
	scratch_store_b32 off, v9, off offset:56 ; 4-byte Folded Spill
	s_wait_xcnt 0x0
	v_add_nc_u32_e32 v9, 15, v8
	v_add_nc_u64_e32 v[38:39], 0x400, v[38:39]
	scratch_store_b32 off, v4, off offset:72 ; 4-byte Folded Spill
	s_wait_xcnt 0x0
	v_lshl_or_b32 v4, v5, 3, v42
	v_dual_add_nc_u32 v5, 22, v8 :: v_dual_bitop2_b32 v9, 63, v9 bitop3:0x40
	s_delay_alu instid0(VALU_DEP_1)
	v_lshl_or_b32 v9, v9, 3, v42
	scratch_store_b32 off, v35, off offset:48 ; 4-byte Folded Spill
	s_wait_xcnt 0x0
	v_mad_u32 v35, v46, s31, v1
	v_dual_add_nc_u32 v1, 14, v8 :: v_dual_bitop2_b32 v5, 63, v5 bitop3:0x40
	scratch_store_b32 off, v9, off offset:64 ; 4-byte Folded Spill
	v_and_b32_e32 v46, 63, v45
	s_lshl_b64 s[30:31], s[30:31], 3
	v_and_b32_e32 v1, 63, v1
	s_delay_alu instid0(VALU_DEP_1) | instskip(SKIP_4) | instid1(VALU_DEP_2)
	v_lshl_or_b32 v1, v1, 3, v42
	scratch_store_b32 off, v43, off offset:52 ; 4-byte Folded Spill
	s_wait_xcnt 0x0
	v_add_nc_u32_e32 v43, 16, v8
	v_add_nc_u64_e32 v[34:35], 0x400, v[34:35]
	v_and_b32_e32 v43, 63, v43
	s_delay_alu instid0(VALU_DEP_1) | instskip(SKIP_3) | instid1(VALU_DEP_1)
	v_lshl_or_b32 v9, v43, 3, v42
	scratch_store_b32 off, v1, off offset:60 ; 4-byte Folded Spill
	s_wait_xcnt 0x0
	v_dual_add_nc_u32 v1, 19, v8 :: v_dual_add_nc_u32 v43, 24, v8
	v_and_b32_e32 v1, 63, v1
	s_delay_alu instid0(VALU_DEP_2) | instskip(NEXT) | instid1(VALU_DEP_2)
	v_and_b32_e32 v43, 63, v43
	v_lshl_or_b32 v1, v1, 3, v42
	scratch_store_b32 off, v9, off offset:68 ; 4-byte Folded Spill
	s_wait_xcnt 0x0
	v_add_nc_u32_e32 v9, 23, v8
	scratch_store_b32 off, v1, off offset:80 ; 4-byte Folded Spill
	s_wait_xcnt 0x0
	v_dual_add_nc_u32 v1, 20, v8 :: v_dual_bitop2_b32 v9, 63, v9 bitop3:0x40
	s_delay_alu instid0(VALU_DEP_1) | instskip(NEXT) | instid1(VALU_DEP_1)
	v_and_b32_e32 v1, 63, v1
	v_lshl_or_b32 v1, v1, 3, v42
	scratch_store_b32 off, v4, off offset:76 ; 4-byte Folded Spill
	s_wait_xcnt 0x0
	v_add_nc_u32_e32 v4, 21, v8
	scratch_store_b32 off, v1, off offset:84 ; 4-byte Folded Spill
	v_and_b32_e32 v4, 63, v4
	s_wait_xcnt 0x0
	s_delay_alu instid0(VALU_DEP_1)
	v_lshl_or_b32 v1, v4, 3, v42
	v_add_nc_u32_e32 v4, 26, v8
	scratch_store_b32 off, v1, off offset:88 ; 4-byte Folded Spill
	s_wait_xcnt 0x0
	v_lshl_or_b32 v1, v5, 3, v42
	v_add_nc_u32_e32 v5, 27, v8
	v_and_b32_e32 v4, 63, v4
	scratch_store_b32 off, v1, off offset:92 ; 4-byte Folded Spill
	s_wait_xcnt 0x0
	v_lshl_or_b32 v1, v9, 3, v42
	v_dual_add_nc_u32 v9, 28, v8 :: v_dual_bitop2_b32 v5, 63, v5 bitop3:0x40
	scratch_store_b32 off, v1, off offset:96 ; 4-byte Folded Spill
	s_wait_xcnt 0x0
	v_lshl_or_b32 v1, v43, 3, v42
	v_and_b32_e32 v9, 63, v9
	scratch_store_b32 off, v1, off offset:100 ; 4-byte Folded Spill
	s_wait_xcnt 0x0
	v_dual_add_nc_u32 v1, 25, v8 :: v_dual_add_nc_u32 v43, 29, v8
	s_delay_alu instid0(VALU_DEP_1) | instskip(NEXT) | instid1(VALU_DEP_2)
	v_and_b32_e32 v1, 63, v1
	v_and_b32_e32 v43, 63, v43
	s_delay_alu instid0(VALU_DEP_2)
	v_lshl_or_b32 v1, v1, 3, v42
	scratch_store_b32 off, v1, off offset:104 ; 4-byte Folded Spill
	s_wait_xcnt 0x0
	v_lshl_or_b32 v1, v4, 3, v42
	v_add_nc_u32_e32 v4, 31, v8
	scratch_store_b32 off, v1, off offset:108 ; 4-byte Folded Spill
	s_wait_xcnt 0x0
	v_lshl_or_b32 v1, v5, 3, v42
	v_lshl_or_b32 v5, v43, 3, v42
	v_and_b32_e32 v4, 63, v4
	v_and_b32_e32 v43, 63, v0
	scratch_store_b32 off, v1, off offset:112 ; 4-byte Folded Spill
	s_wait_xcnt 0x0
	v_lshl_or_b32 v1, v9, 3, v42
	v_lshl_or_b32 v240, v4, 3, v42
	v_add_nc_u32_e32 v4, 37, v8
	v_lshl_or_b32 v213, v43, 3, v42
	v_add_nc_u32_e32 v43, 58, v8
	scratch_store_b32 off, v1, off offset:116 ; 4-byte Folded Spill
	s_wait_xcnt 0x0
	v_dual_add_nc_u32 v1, 30, v8 :: v_dual_add_nc_u32 v9, 34, v8
	v_and_b32_e32 v43, 63, v43
	s_delay_alu instid0(VALU_DEP_2) | instskip(NEXT) | instid1(VALU_DEP_3)
	v_and_b32_e32 v1, 63, v1
	v_and_b32_e32 v9, 63, v9
	s_delay_alu instid0(VALU_DEP_3) | instskip(SKIP_1) | instid1(VALU_DEP_4)
	v_lshl_or_b32 v219, v43, 3, v42
	v_add_nc_u32_e32 v43, 61, v8
	v_lshl_or_b32 v1, v1, 3, v42
	scratch_store_b32 off, v5, off offset:120 ; 4-byte Folded Spill
	s_wait_xcnt 0x0
	v_add_nc_u32_e32 v5, 33, v8
	scratch_store_b32 off, v1, off offset:124 ; 4-byte Folded Spill
	s_wait_xcnt 0x0
	v_dual_add_nc_u32 v1, 36, v8 :: v_dual_bitop2_b32 v5, 63, v5 bitop3:0x40
	v_lshl_or_b32 v243, v9, 3, v42
	s_delay_alu instid0(VALU_DEP_2) | instskip(NEXT) | instid1(VALU_DEP_3)
	v_dual_add_nc_u32 v9, 39, v8 :: v_dual_bitop2_b32 v1, 63, v1 bitop3:0x40
	v_lshl_or_b32 v242, v5, 3, v42
	v_add_nc_u32_e32 v5, 38, v8
	v_and_b32_e32 v4, 63, v4
	s_delay_alu instid0(VALU_DEP_4) | instskip(SKIP_1) | instid1(VALU_DEP_4)
	v_and_b32_e32 v9, 63, v9
	v_lshl_or_b32 v245, v1, 3, v42
	v_dual_add_nc_u32 v1, 41, v8 :: v_dual_bitop2_b32 v5, 63, v5 bitop3:0x40
	s_delay_alu instid0(VALU_DEP_4) | instskip(NEXT) | instid1(VALU_DEP_4)
	v_lshl_or_b32 v246, v4, 3, v42
	v_lshl_or_b32 v248, v9, 3, v42
	v_dual_add_nc_u32 v4, 42, v8 :: v_dual_add_nc_u32 v9, 44, v8
	s_delay_alu instid0(VALU_DEP_4) | instskip(SKIP_2) | instid1(VALU_DEP_4)
	v_and_b32_e32 v1, 63, v1
	v_lshl_or_b32 v247, v5, 3, v42
	v_add_nc_u32_e32 v5, 43, v8
	v_and_b32_e32 v4, 63, v4
	v_and_b32_e32 v9, 63, v9
	v_lshl_or_b32 v250, v1, 3, v42
	s_delay_alu instid0(VALU_DEP_4) | instskip(NEXT) | instid1(VALU_DEP_4)
	v_dual_add_nc_u32 v1, 46, v8 :: v_dual_bitop2_b32 v5, 63, v5 bitop3:0x40
	v_lshl_or_b32 v251, v4, 3, v42
	s_delay_alu instid0(VALU_DEP_4) | instskip(SKIP_1) | instid1(VALU_DEP_4)
	v_lshl_or_b32 v253, v9, 3, v42
	v_dual_add_nc_u32 v4, 47, v8 :: v_dual_add_nc_u32 v9, 49, v8
	v_and_b32_e32 v1, 63, v1
	v_lshl_or_b32 v252, v5, 3, v42
	v_add_nc_u32_e32 v5, 48, v8
	s_delay_alu instid0(VALU_DEP_4) | instskip(SKIP_2) | instid1(VALU_DEP_4)
	v_and_b32_e32 v4, 63, v4
	v_and_b32_e32 v9, 63, v9
	v_lshl_or_b32 v255, v1, 3, v42
	v_dual_add_nc_u32 v1, 51, v8 :: v_dual_bitop2_b32 v5, 63, v5 bitop3:0x40
	s_delay_alu instid0(VALU_DEP_4) | instskip(NEXT) | instid1(VALU_DEP_4)
	v_lshl_or_b32 v210, v4, 3, v42
	v_lshl_or_b32 v212, v9, 3, v42
	s_delay_alu instid0(VALU_DEP_3) | instskip(SKIP_3) | instid1(VALU_DEP_4)
	v_dual_mov_b32 v9, v3 :: v_dual_bitop2_b32 v44, 63, v1 bitop3:0x40
	v_cvt_f64_i32_e32 v[0:1], s1
	v_lshl_or_b32 v211, v5, 3, v42
	v_dual_add_nc_u32 v4, 52, v8 :: v_dual_add_nc_u32 v5, 53, v8
	v_lshl_or_b32 v214, v44, 3, v42
	v_mul_u64_e32 v[44:45], s[34:35], v[8:9]
	v_dual_add_nc_u32 v9, 57, v8 :: v_dual_bitop2_b32 v43, 63, v43 bitop3:0x40
	s_delay_alu instid0(VALU_DEP_4) | instskip(SKIP_2) | instid1(VALU_DEP_3)
	v_and_b32_e32 v4, 63, v4
	v_and_b32_e32 v5, 63, v5
	s_sub_nc_u64 s[34:35], 0, s[30:31]
	v_and_b32_e32 v9, 63, v9
	s_delay_alu instid0(VALU_DEP_3)
	v_lshl_or_b32 v215, v4, 3, v42
	v_add_nc_u32_e32 v4, 55, v8
	v_lshl_or_b32 v216, v5, 3, v42
	v_add_nc_u32_e32 v5, 56, v8
	;; [unrolled: 2-line block ×3, first 2 shown]
	v_and_b32_e32 v4, 63, v4
	s_delay_alu instid0(VALU_DEP_4) | instskip(NEXT) | instid1(VALU_DEP_3)
	v_and_b32_e32 v5, 63, v5
	v_and_b32_e32 v46, 63, v46
	s_delay_alu instid0(VALU_DEP_3) | instskip(NEXT) | instid1(VALU_DEP_3)
	v_lshl_or_b32 v218, v4, 3, v42
	v_lshl_or_b32 v4, v5, 3, v42
	;; [unrolled: 1-line block ×3, first 2 shown]
	v_dual_add_nc_u32 v9, 60, v8 :: v_dual_add_nc_u32 v8, -1, v8
	v_lshl_or_b32 v220, v46, 3, v42
	v_dual_max_num_f64 v[0:1], v[0:1], v[0:1] :: v_dual_bitop2_b32 v46, 63, v47 bitop3:0x40
	s_delay_alu instid0(VALU_DEP_3) | instskip(NEXT) | instid1(VALU_DEP_4)
	v_and_b32_e32 v9, 63, v9
	v_and_b32_e32 v8, 63, v8
	v_lshl_or_b32 v222, v43, 3, v42
	s_delay_alu instid0(VALU_DEP_4) | instskip(NEXT) | instid1(VALU_DEP_4)
	v_lshl_or_b32 v223, v46, 3, v42
	v_lshl_or_b32 v221, v9, 3, v42
	s_delay_alu instid0(VALU_DEP_4)
	v_lshl_or_b32 v224, v8, 3, v42
	v_lshl_add_u64 v[8:9], v[44:45], 3, s[36:37]
	s_lshl_b64 s[36:37], s[20:21], 3
	s_lshl_b64 s[20:21], s[12:13], 3
	s_add_nc_u64 s[14:15], s[14:15], s[36:37]
	s_branch .LBB76_4
.LBB76_2:                               ;   in Loop: Header=BB76_4 Depth=1
	s_wait_xcnt 0x0
	s_or_b32 exec_lo, exec_lo, s36
.LBB76_3:                               ;   in Loop: Header=BB76_4 Depth=1
	s_add_co_i32 s2, s2, 0x10000
	s_delay_alu instid0(SALU_CYCLE_1)
	s_cmp_lt_u32 s2, s33
	s_cbranch_scc0 .LBB76_15
.LBB76_4:                               ; =>This Loop Header: Depth=1
                                        ;     Child Loop BB76_8 Depth 2
	s_wait_xcnt 0x0
	s_mul_u64 s[36:37], s[6:7], s[2:3]
	s_delay_alu instid0(SALU_CYCLE_1) | instskip(NEXT) | instid1(SALU_CYCLE_1)
	s_lshl_b64 s[36:37], s[36:37], 3
	s_add_nc_u64 s[36:37], s[4:5], s[36:37]
	global_load_b64 v[40:41], v3, s[36:37]
	s_wait_loadcnt 0x0
	v_cmp_eq_f64_e32 vcc_lo, 0, v[40:41]
	s_cbranch_vccnz .LBB76_3
; %bb.5:                                ;   in Loop: Header=BB76_4 Depth=1
	s_load_b32 s38, s[10:11], 0x4
	s_wait_kmcnt 0x0
	s_cvt_f32_u32 s36, s38
	s_sub_co_i32 s37, 0, s38
	s_delay_alu instid0(SALU_CYCLE_2) | instskip(SKIP_1) | instid1(TRANS32_DEP_1)
	v_rcp_iflag_f32_e32 v42, s36
	v_nop
	v_readfirstlane_b32 s36, v42
	s_mul_f32 s36, s36, 0x4f7ffffe
	s_delay_alu instid0(SALU_CYCLE_3) | instskip(NEXT) | instid1(SALU_CYCLE_3)
	s_cvt_u32_f32 s36, s36
	s_mul_i32 s37, s37, s36
	s_delay_alu instid0(SALU_CYCLE_1) | instskip(NEXT) | instid1(SALU_CYCLE_1)
	s_mul_hi_u32 s37, s36, s37
	s_add_co_i32 s36, s36, s37
	s_mov_b32 s37, s3
	s_delay_alu instid0(SALU_CYCLE_1) | instskip(NEXT) | instid1(SALU_CYCLE_1)
	s_mul_u64 s[36:37], s[8:9], s[36:37]
	s_mul_i32 s36, s37, s38
	s_add_co_i32 s39, s37, 1
	s_sub_co_i32 s36, s8, s36
	s_delay_alu instid0(SALU_CYCLE_1)
	s_sub_co_i32 s40, s36, s38
	s_cmp_ge_u32 s36, s38
	s_cselect_b32 s37, s39, s37
	s_cselect_b32 s36, s40, s36
	s_add_co_i32 s39, s37, 1
	s_cmp_ge_u32 s36, s38
	s_cselect_b32 s36, s39, s37
	s_delay_alu instid0(SALU_CYCLE_1) | instskip(NEXT) | instid1(SALU_CYCLE_1)
	s_mul_i32 s37, s36, s38
	s_sub_co_i32 s37, s8, s37
	s_delay_alu instid0(SALU_CYCLE_1) | instskip(SKIP_1) | instid1(SALU_CYCLE_1)
	s_cmp_lt_u32 s1, s37
	s_cselect_b32 s38, -1, 0
	s_cmp_lg_u32 s38, 0
	s_add_co_ci_u32 s40, s36, 0
	s_delay_alu instid0(SALU_CYCLE_1)
	s_cmp_eq_u32 s40, 0
	s_cbranch_scc1 .LBB76_3
; %bb.6:                                ;   in Loop: Header=BB76_4 Depth=1
	s_cmp_lt_i32 s40, 1
	s_cbranch_scc1 .LBB76_12
; %bb.7:                                ;   in Loop: Header=BB76_4 Depth=1
	v_cvt_f64_u32_e32 v[42:43], s37
	s_mul_i32 s36, s36, s1
	v_or_b32_e32 v74, 0x200, v2
	v_cvt_f64_u32_e32 v[44:45], s36
	s_mul_u64 s[36:37], s[12:13], s[2:3]
	v_mov_b64_e32 v[72:73], 0
	s_lshl_b64 s[36:37], s[36:37], 3
	s_add_co_i32 s41, s40, -1
	s_add_nc_u64 s[42:43], s[18:19], s[36:37]
	s_delay_alu instid0(VALU_DEP_4) | instskip(NEXT) | instid1(VALU_DEP_1)
	v_min_num_f64_e32 v[42:43], v[0:1], v[42:43]
	v_add_f64_e32 v[42:43], v[42:43], v[44:45]
	s_delay_alu instid0(VALU_DEP_1) | instskip(NEXT) | instid1(VALU_DEP_1)
	v_cvt_i32_f64_e32 v42, v[42:43]
	v_readfirstlane_b32 s38, v42
	scratch_load_b64 v[42:43], off, off     ; 8-byte Folded Reload
	s_lshl_b32 s38, s38, 7
	s_delay_alu instid0(SALU_CYCLE_1) | instskip(NEXT) | instid1(SALU_CYCLE_1)
	s_ashr_i32 s39, s38, 31
	s_lshl_b64 s[36:37], s[38:39], 3
	s_delay_alu instid0(SALU_CYCLE_1) | instskip(SKIP_3) | instid1(VALU_DEP_2)
	s_add_nc_u64 s[38:39], s[42:43], s[36:37]
	v_dual_mov_b32 v85, s37 :: v_dual_bitop2_b32 v84, s36, v2 bitop3:0x54
	v_dual_mov_b32 v87, s37 :: v_dual_bitop2_b32 v86, s36, v74 bitop3:0x54
	s_mul_u64 s[42:43], s[20:21], s[2:3]
	v_mul_u64_e32 v[84:85], s[22:23], v[84:85]
	s_add_nc_u64 s[42:43], s[42:43], s[36:37]
	s_delay_alu instid0(VALU_DEP_2)
	v_mul_u64_e32 v[86:87], s[22:23], v[86:87]
	v_add_nc_u64_e32 v[74:75], s[42:43], v[6:7]
	v_add_nc_u64_e32 v[76:77], s[42:43], v[10:11]
	;; [unrolled: 1-line block ×16, first 2 shown]
	s_mov_b32 s42, 0
	s_wait_loadcnt 0x0
	v_lshl_add_u64 v[42:43], v[42:43], 3, s[38:39]
	s_mul_u64 s[38:39], s[16:17], s[2:3]
	s_delay_alu instid0(SALU_CYCLE_1) | instskip(NEXT) | instid1(VALU_DEP_1)
	s_add_nc_u64 s[36:37], s[14:15], s[38:39]
	v_lshl_add_u64 v[44:45], s[26:27], 3, v[42:43]
	s_delay_alu instid0(VALU_DEP_1) | instskip(NEXT) | instid1(VALU_DEP_1)
	v_add_nc_u64_e32 v[46:47], s[34:35], v[44:45]
	v_add_nc_u64_e32 v[48:49], s[34:35], v[46:47]
	s_delay_alu instid0(VALU_DEP_1) | instskip(NEXT) | instid1(VALU_DEP_1)
	v_add_nc_u64_e32 v[50:51], s[34:35], v[48:49]
	v_add_nc_u64_e32 v[52:53], s[34:35], v[50:51]
	;; [unrolled: 3-line block ×3, first 2 shown]
	s_delay_alu instid0(VALU_DEP_1)
	v_add_nc_u64_e32 v[58:59], s[34:35], v[56:57]
	s_clause 0x4
	global_load_b64 v[142:143], v[42:43], off
	global_load_b64 v[144:145], v[46:47], off
	;; [unrolled: 1-line block ×8, first 2 shown]
	s_wait_xcnt 0x1
	v_mov_b64_e32 v[56:57], 0
	v_mov_b64_e32 v[52:53], 0
	;; [unrolled: 1-line block ×5, first 2 shown]
	v_add_nc_u64_e32 v[60:61], s[34:35], v[58:59]
	s_wait_xcnt 0x0
	v_mov_b64_e32 v[58:59], 0
	v_mov_b64_e32 v[46:47], 0
	s_delay_alu instid0(VALU_DEP_3) | instskip(NEXT) | instid1(VALU_DEP_1)
	v_add_nc_u64_e32 v[62:63], s[34:35], v[60:61]
	v_add_nc_u64_e32 v[64:65], s[34:35], v[62:63]
	s_delay_alu instid0(VALU_DEP_1) | instskip(NEXT) | instid1(VALU_DEP_1)
	v_add_nc_u64_e32 v[66:67], s[34:35], v[64:65]
	v_add_nc_u64_e32 v[68:69], s[34:35], v[66:67]
	s_delay_alu instid0(VALU_DEP_1) | instskip(NEXT) | instid1(VALU_DEP_1)
	v_add_nc_u64_e32 v[70:71], s[34:35], v[68:69]
	v_add_nc_u64_e32 v[42:43], s[34:35], v[70:71]
	global_load_b64 v[158:159], v[60:61], off
	global_load_b64 v[160:161], v[62:63], off
	;; [unrolled: 1-line block ×8, first 2 shown]
	s_wait_xcnt 0x1
	v_mov_b64_e32 v[42:43], 0
	v_mov_b64_e32 v[68:69], 0
	;; [unrolled: 1-line block ×7, first 2 shown]
	s_wait_xcnt 0x0
	v_mov_b64_e32 v[44:45], 0
	s_wait_loadcnt 0xf
	v_mov_b64_e32 v[110:111], v[142:143]
	s_wait_loadcnt 0xe
	;; [unrolled: 2-line block ×16, first 2 shown]
	v_mov_b64_e32 v[140:141], v[172:173]
.LBB76_8:                               ;   Parent Loop BB76_4 Depth=1
                                        ; =>  This Inner Loop Header: Depth=2
	v_add_nc_u64_e32 v[208:209], v[74:75], v[2:3]
	v_add_nc_u64_e32 v[236:237], s[36:37], v[84:85]
	s_cmp_lg_u32 s41, s42
	s_delay_alu instid0(VALU_DEP_2) | instskip(NEXT) | instid1(VALU_DEP_1)
	v_add_nc_u64_e32 v[174:175], 0x200, v[208:209]
	v_add_nc_u64_e32 v[174:175], s[30:31], v[174:175]
	s_delay_alu instid0(VALU_DEP_1) | instskip(NEXT) | instid1(VALU_DEP_1)
	v_add_nc_u64_e32 v[176:177], s[30:31], v[174:175]
	v_add_nc_u64_e32 v[178:179], s[30:31], v[176:177]
	s_delay_alu instid0(VALU_DEP_1) | instskip(NEXT) | instid1(VALU_DEP_1)
	;; [unrolled: 3-line block ×3, first 2 shown]
	v_add_nc_u64_e32 v[184:185], s[30:31], v[182:183]
	v_add_nc_u64_e32 v[186:187], s[30:31], v[184:185]
	s_delay_alu instid0(VALU_DEP_1)
	v_add_nc_u64_e32 v[188:189], s[30:31], v[186:187]
	s_clause 0x8
	global_load_b64 v[204:205], v[208:209], off offset:512
	global_load_b64 v[202:203], v[174:175], off
	global_load_b64 v[198:199], v[176:177], off
	;; [unrolled: 1-line block ×8, first 2 shown]
	v_add_nc_u64_e32 v[206:207], s[30:31], v[188:189]
	s_delay_alu instid0(VALU_DEP_1) | instskip(NEXT) | instid1(VALU_DEP_1)
	v_add_nc_u64_e32 v[228:229], s[30:31], v[206:207]
	v_add_nc_u64_e32 v[230:231], s[30:31], v[228:229]
	s_delay_alu instid0(VALU_DEP_1) | instskip(NEXT) | instid1(VALU_DEP_1)
	v_add_nc_u64_e32 v[232:233], s[30:31], v[230:231]
	;; [unrolled: 3-line block ×3, first 2 shown]
	v_add_nc_u64_e32 v[174:175], s[30:31], v[238:239]
	global_load_b64 v[188:189], v[206:207], off
	global_load_b64 v[184:185], v[228:229], off
	;; [unrolled: 1-line block ×8, first 2 shown]
	s_cbranch_scc0 .LBB76_10
; %bb.9:                                ;   in Loop: Header=BB76_8 Depth=2
	v_add_nc_u64_e32 v[112:113], v[76:77], v[2:3]
	v_add_nc_u64_e32 v[114:115], v[78:79], v[2:3]
	;; [unrolled: 1-line block ×15, first 2 shown]
	global_load_b64 v[110:111], v[208:209], off offset:1024
	global_load_b64 v[112:113], v[112:113], off
	global_load_b64 v[114:115], v[114:115], off
	;; [unrolled: 1-line block ×15, first 2 shown]
.LBB76_10:                              ;   in Loop: Header=BB76_8 Depth=2
	s_wait_loadcnt 0x0
	v_fmac_f64_e32 v[42:43], v[142:143], v[206:207]
	v_add_nc_u64_e32 v[142:143], s[36:37], v[86:87]
	v_fmac_f64_e32 v[72:73], v[170:171], v[206:207]
	v_fmac_f64_e32 v[68:69], v[168:169], v[206:207]
	;; [unrolled: 1-line block ×6, first 2 shown]
	global_load_b64 v[142:143], v[142:143], off
	v_fmac_f64_e32 v[62:63], v[158:159], v[206:207]
	v_fmac_f64_e32 v[56:57], v[156:157], v[206:207]
	;; [unrolled: 1-line block ×9, first 2 shown]
	v_add_nc_u64_e32 v[74:75], 0x400, v[74:75]
	v_add_nc_u64_e32 v[76:77], 0x400, v[76:77]
	;; [unrolled: 1-line block ×16, first 2 shown]
	s_add_co_i32 s42, s42, 1
	s_add_nc_u64 s[36:37], s[36:37], s[28:29]
	s_cmp_ge_i32 s42, s40
	s_wait_loadcnt 0x0
	v_fmac_f64_e32 v[42:43], v[204:205], v[142:143]
	v_fmac_f64_e32 v[72:73], v[202:203], v[142:143]
	;; [unrolled: 1-line block ×16, first 2 shown]
	s_cbranch_scc1 .LBB76_13
; %bb.11:                               ;   in Loop: Header=BB76_8 Depth=2
	s_wait_xcnt 0x0
	v_mov_b64_e32 v[142:143], v[110:111]
	v_mov_b64_e32 v[170:171], v[112:113]
	;; [unrolled: 1-line block ×16, first 2 shown]
	s_branch .LBB76_8
.LBB76_12:                              ;   in Loop: Header=BB76_4 Depth=1
	v_mov_b64_e32 v[44:45], 0
	v_mov_b64_e32 v[46:47], 0
	;; [unrolled: 1-line block ×16, first 2 shown]
.LBB76_13:                              ;   in Loop: Header=BB76_4 Depth=1
	ds_store_2addr_stride64_b64 v226, v[42:43], v[72:73] offset1:1
	ds_store_2addr_stride64_b64 v226, v[68:69], v[70:71] offset0:2 offset1:3
	ds_store_2addr_stride64_b64 v226, v[64:65], v[66:67] offset0:4 offset1:5
	ds_store_2addr_stride64_b64 v226, v[60:61], v[62:63] offset0:6 offset1:7
	ds_store_2addr_stride64_b64 v226, v[56:57], v[58:59] offset0:8 offset1:9
	ds_store_2addr_stride64_b64 v226, v[52:53], v[54:55] offset0:10 offset1:11
	ds_store_2addr_stride64_b64 v226, v[48:49], v[50:51] offset0:12 offset1:13
	ds_store_b64 v226, v[46:47] offset:7168
	ds_store_b64 v227, v[44:45]
	s_wait_storecnt_dscnt 0x0
	s_barrier_signal -1
	s_barrier_wait -1
	s_wait_xcnt 0x0
	s_and_saveexec_b32 s36, s0
	s_cbranch_execz .LBB76_2
; %bb.14:                               ;   in Loop: Header=BB76_4 Depth=1
	s_clause 0x3
	scratch_load_b32 v44, off, off offset:8
	scratch_load_b32 v46, off, off offset:12
	;; [unrolled: 1-line block ×4, first 2 shown]
	ds_load_b64 v[42:43], v225
	s_mul_u64 s[38:39], s[24:25], s[2:3]
	s_wait_dscnt 0x0
	v_add_f64_e32 v[42:43], 0, v[42:43]
	s_wait_loadcnt 0x3
	ds_load_b64 v[44:45], v44
	s_wait_loadcnt 0x2
	ds_load_b64 v[46:47], v46
	;; [unrolled: 2-line block ×4, first 2 shown]
	s_wait_dscnt 0x3
	v_add_f64_e32 v[42:43], v[42:43], v[44:45]
	scratch_load_b32 v44, off, off offset:20 ; 4-byte Folded Reload
	s_wait_dscnt 0x2
	v_add_f64_e32 v[42:43], v[42:43], v[46:47]
	scratch_load_b32 v46, off, off offset:24 ; 4-byte Folded Reload
	;; [unrolled: 3-line block ×3, first 2 shown]
	s_wait_loadcnt 0x2
	ds_load_b64 v[44:45], v44
	s_wait_loadcnt 0x1
	ds_load_b64 v[46:47], v46
	;; [unrolled: 2-line block ×3, first 2 shown]
	s_wait_dscnt 0x2
	v_add_f64_e32 v[42:43], v[42:43], v[44:45]
	scratch_load_b32 v44, off, off offset:36 ; 4-byte Folded Reload
	s_wait_dscnt 0x1
	v_add_f64_e32 v[42:43], v[42:43], v[46:47]
	scratch_load_b32 v46, off, off offset:40 ; 4-byte Folded Reload
	;; [unrolled: 3-line block ×3, first 2 shown]
	v_add_f64_e32 v[42:43], v[42:43], v[50:51]
	scratch_load_b32 v50, off, off offset:48 ; 4-byte Folded Reload
	s_wait_loadcnt 0x3
	ds_load_b64 v[44:45], v44
	s_wait_loadcnt 0x2
	ds_load_b64 v[46:47], v46
	s_wait_loadcnt 0x1
	ds_load_b64 v[48:49], v48
	s_wait_loadcnt 0x0
	ds_load_b64 v[50:51], v50
	s_wait_dscnt 0x3
	v_add_f64_e32 v[42:43], v[42:43], v[44:45]
	scratch_load_b32 v44, off, off offset:52 ; 4-byte Folded Reload
	s_wait_dscnt 0x2
	v_add_f64_e32 v[42:43], v[42:43], v[46:47]
	scratch_load_b32 v46, off, off offset:56 ; 4-byte Folded Reload
	s_wait_dscnt 0x1
	v_add_f64_e32 v[42:43], v[42:43], v[48:49]
	scratch_load_b32 v48, off, off offset:60 ; 4-byte Folded Reload
	s_wait_dscnt 0x0
	v_add_f64_e32 v[42:43], v[42:43], v[50:51]
	scratch_load_b32 v50, off, off offset:64 ; 4-byte Folded Reload
	s_wait_loadcnt 0x3
	ds_load_b64 v[44:45], v44
	s_wait_loadcnt 0x2
	ds_load_b64 v[46:47], v46
	s_wait_loadcnt 0x1
	ds_load_b64 v[48:49], v48
	s_wait_loadcnt 0x0
	ds_load_b64 v[50:51], v50
	s_wait_dscnt 0x3
	v_add_f64_e32 v[42:43], v[42:43], v[44:45]
	scratch_load_b32 v44, off, off offset:68 ; 4-byte Folded Reload
	s_wait_dscnt 0x2
	v_add_f64_e32 v[42:43], v[42:43], v[46:47]
	scratch_load_b32 v46, off, off offset:72 ; 4-byte Folded Reload
	s_wait_dscnt 0x1
	v_add_f64_e32 v[42:43], v[42:43], v[48:49]
	scratch_load_b32 v48, off, off offset:76 ; 4-byte Folded Reload
	s_wait_dscnt 0x0
	;; [unrolled: 20-line block ×4, first 2 shown]
	v_add_f64_e32 v[42:43], v[42:43], v[50:51]
	scratch_load_b32 v50, off, off offset:112 ; 4-byte Folded Reload
	s_wait_loadcnt 0x3
	ds_load_b64 v[44:45], v44
	s_wait_loadcnt 0x2
	ds_load_b64 v[46:47], v46
	;; [unrolled: 2-line block ×3, first 2 shown]
	s_wait_dscnt 0x2
	v_add_f64_e32 v[42:43], v[42:43], v[44:45]
	scratch_load_b32 v44, off, off offset:116 ; 4-byte Folded Reload
	s_wait_loadcnt 0x1
	ds_load_b64 v[50:51], v50
	s_wait_dscnt 0x2
	v_add_f64_e32 v[42:43], v[42:43], v[46:47]
	scratch_load_b32 v46, off, off offset:120 ; 4-byte Folded Reload
	s_wait_dscnt 0x1
	v_add_f64_e32 v[42:43], v[42:43], v[48:49]
	scratch_load_b32 v48, off, off offset:124 ; 4-byte Folded Reload
	s_wait_loadcnt 0x2
	ds_load_b64 v[44:45], v44
	s_wait_loadcnt 0x1
	ds_load_b64 v[46:47], v46
	s_wait_dscnt 0x2
	v_add_f64_e32 v[42:43], v[42:43], v[50:51]
	s_wait_loadcnt 0x0
	ds_load_b64 v[48:49], v48
	ds_load_b64 v[50:51], v240
	s_wait_dscnt 0x3
	v_add_f64_e32 v[42:43], v[42:43], v[44:45]
	s_wait_dscnt 0x2
	s_delay_alu instid0(VALU_DEP_1) | instskip(SKIP_1) | instid1(VALU_DEP_1)
	v_add_f64_e32 v[42:43], v[42:43], v[46:47]
	s_wait_dscnt 0x1
	v_add_f64_e32 v[42:43], v[42:43], v[48:49]
	s_wait_dscnt 0x0
	s_delay_alu instid0(VALU_DEP_1)
	v_add_f64_e32 v[42:43], v[42:43], v[50:51]
	ds_load_b64 v[44:45], v241
	ds_load_b64 v[46:47], v242
	ds_load_b64 v[48:49], v243
	ds_load_b64 v[50:51], v244
	s_wait_dscnt 0x3
	v_add_f64_e32 v[42:43], v[42:43], v[44:45]
	s_wait_dscnt 0x2
	s_delay_alu instid0(VALU_DEP_1) | instskip(SKIP_1) | instid1(VALU_DEP_1)
	v_add_f64_e32 v[42:43], v[42:43], v[46:47]
	s_wait_dscnt 0x1
	v_add_f64_e32 v[42:43], v[42:43], v[48:49]
	s_wait_dscnt 0x0
	s_delay_alu instid0(VALU_DEP_1)
	v_add_f64_e32 v[42:43], v[42:43], v[50:51]
	ds_load_b64 v[44:45], v245
	ds_load_b64 v[46:47], v246
	;; [unrolled: 14-line block ×8, first 2 shown]
	ds_load_b64 v[48:49], v223
	ds_load_b64 v[50:51], v224
	s_wait_dscnt 0x3
	v_add_f64_e32 v[42:43], v[42:43], v[44:45]
	s_wait_dscnt 0x2
	s_delay_alu instid0(VALU_DEP_1) | instskip(SKIP_1) | instid1(VALU_DEP_1)
	v_add_f64_e32 v[42:43], v[42:43], v[46:47]
	s_wait_dscnt 0x1
	v_add_f64_e32 v[42:43], v[42:43], v[48:49]
	s_wait_dscnt 0x0
	s_delay_alu instid0(VALU_DEP_1) | instskip(NEXT) | instid1(VALU_DEP_1)
	v_add_f64_e32 v[42:43], v[42:43], v[50:51]
	v_mul_f64_e32 v[40:41], v[40:41], v[42:43]
	v_lshl_add_u64 v[42:43], s[38:39], 3, v[8:9]
	global_atomic_add_f64 v[42:43], v[40:41], off scope:SCOPE_DEV
	s_branch .LBB76_2
.LBB76_15:
	s_sendmsg sendmsg(MSG_DEALLOC_VGPRS)
	s_endpgm
	.section	.rodata,"a",@progbits
	.p2align	6, 0x0
	.amdhsa_kernel _ZL36rocblas_gemvt_double_buffered_kernelILb0ELi128ELi4ELi16EdPKddEviiT4_lPKT3_lilS5_lilPT5_lili
		.amdhsa_group_segment_fixed_size 65536
		.amdhsa_private_segment_fixed_size 132
		.amdhsa_kernarg_size 384
		.amdhsa_user_sgpr_count 2
		.amdhsa_user_sgpr_dispatch_ptr 0
		.amdhsa_user_sgpr_queue_ptr 0
		.amdhsa_user_sgpr_kernarg_segment_ptr 1
		.amdhsa_user_sgpr_dispatch_id 0
		.amdhsa_user_sgpr_kernarg_preload_length 0
		.amdhsa_user_sgpr_kernarg_preload_offset 0
		.amdhsa_user_sgpr_private_segment_size 0
		.amdhsa_wavefront_size32 1
		.amdhsa_uses_dynamic_stack 0
		.amdhsa_enable_private_segment 1
		.amdhsa_system_sgpr_workgroup_id_x 1
		.amdhsa_system_sgpr_workgroup_id_y 1
		.amdhsa_system_sgpr_workgroup_id_z 1
		.amdhsa_system_sgpr_workgroup_info 0
		.amdhsa_system_vgpr_workitem_id 1
		.amdhsa_next_free_vgpr 256
		.amdhsa_next_free_sgpr 44
		.amdhsa_named_barrier_count 0
		.amdhsa_reserve_vcc 1
		.amdhsa_float_round_mode_32 0
		.amdhsa_float_round_mode_16_64 0
		.amdhsa_float_denorm_mode_32 3
		.amdhsa_float_denorm_mode_16_64 3
		.amdhsa_fp16_overflow 0
		.amdhsa_memory_ordered 1
		.amdhsa_forward_progress 1
		.amdhsa_inst_pref_size 52
		.amdhsa_round_robin_scheduling 0
		.amdhsa_exception_fp_ieee_invalid_op 0
		.amdhsa_exception_fp_denorm_src 0
		.amdhsa_exception_fp_ieee_div_zero 0
		.amdhsa_exception_fp_ieee_overflow 0
		.amdhsa_exception_fp_ieee_underflow 0
		.amdhsa_exception_fp_ieee_inexact 0
		.amdhsa_exception_int_div_zero 0
	.end_amdhsa_kernel
	.section	.text._ZL36rocblas_gemvt_double_buffered_kernelILb0ELi128ELi4ELi16EdPKddEviiT4_lPKT3_lilS5_lilPT5_lili,"axG",@progbits,_ZL36rocblas_gemvt_double_buffered_kernelILb0ELi128ELi4ELi16EdPKddEviiT4_lPKT3_lilS5_lilPT5_lili,comdat
.Lfunc_end76:
	.size	_ZL36rocblas_gemvt_double_buffered_kernelILb0ELi128ELi4ELi16EdPKddEviiT4_lPKT3_lilS5_lilPT5_lili, .Lfunc_end76-_ZL36rocblas_gemvt_double_buffered_kernelILb0ELi128ELi4ELi16EdPKddEviiT4_lPKT3_lilS5_lilPT5_lili
                                        ; -- End function
	.set _ZL36rocblas_gemvt_double_buffered_kernelILb0ELi128ELi4ELi16EdPKddEviiT4_lPKT3_lilS5_lilPT5_lili.num_vgpr, 256
	.set _ZL36rocblas_gemvt_double_buffered_kernelILb0ELi128ELi4ELi16EdPKddEviiT4_lPKT3_lilS5_lilPT5_lili.num_agpr, 0
	.set _ZL36rocblas_gemvt_double_buffered_kernelILb0ELi128ELi4ELi16EdPKddEviiT4_lPKT3_lilS5_lilPT5_lili.numbered_sgpr, 44
	.set _ZL36rocblas_gemvt_double_buffered_kernelILb0ELi128ELi4ELi16EdPKddEviiT4_lPKT3_lilS5_lilPT5_lili.num_named_barrier, 0
	.set _ZL36rocblas_gemvt_double_buffered_kernelILb0ELi128ELi4ELi16EdPKddEviiT4_lPKT3_lilS5_lilPT5_lili.private_seg_size, 132
	.set _ZL36rocblas_gemvt_double_buffered_kernelILb0ELi128ELi4ELi16EdPKddEviiT4_lPKT3_lilS5_lilPT5_lili.uses_vcc, 1
	.set _ZL36rocblas_gemvt_double_buffered_kernelILb0ELi128ELi4ELi16EdPKddEviiT4_lPKT3_lilS5_lilPT5_lili.uses_flat_scratch, 1
	.set _ZL36rocblas_gemvt_double_buffered_kernelILb0ELi128ELi4ELi16EdPKddEviiT4_lPKT3_lilS5_lilPT5_lili.has_dyn_sized_stack, 0
	.set _ZL36rocblas_gemvt_double_buffered_kernelILb0ELi128ELi4ELi16EdPKddEviiT4_lPKT3_lilS5_lilPT5_lili.has_recursion, 0
	.set _ZL36rocblas_gemvt_double_buffered_kernelILb0ELi128ELi4ELi16EdPKddEviiT4_lPKT3_lilS5_lilPT5_lili.has_indirect_call, 0
	.section	.AMDGPU.csdata,"",@progbits
; Kernel info:
; codeLenInByte = 6540
; TotalNumSgprs: 46
; NumVgprs: 256
; ScratchSize: 132
; MemoryBound: 0
; FloatMode: 240
; IeeeMode: 1
; LDSByteSize: 65536 bytes/workgroup (compile time only)
; SGPRBlocks: 0
; VGPRBlocks: 15
; NumSGPRsForWavesPerEU: 46
; NumVGPRsForWavesPerEU: 256
; NamedBarCnt: 0
; Occupancy: 4
; WaveLimiterHint : 0
; COMPUTE_PGM_RSRC2:SCRATCH_EN: 1
; COMPUTE_PGM_RSRC2:USER_SGPR: 2
; COMPUTE_PGM_RSRC2:TRAP_HANDLER: 0
; COMPUTE_PGM_RSRC2:TGID_X_EN: 1
; COMPUTE_PGM_RSRC2:TGID_Y_EN: 1
; COMPUTE_PGM_RSRC2:TGID_Z_EN: 1
; COMPUTE_PGM_RSRC2:TIDIG_COMP_CNT: 1
	.section	.text._ZL36rocblas_gemvt_double_buffered_kernelILb0ELi128ELi4ELi16EdddEviiT4_lPKT3_lilS3_lilPT5_lili,"axG",@progbits,_ZL36rocblas_gemvt_double_buffered_kernelILb0ELi128ELi4ELi16EdddEviiT4_lPKT3_lilS3_lilPT5_lili,comdat
	.globl	_ZL36rocblas_gemvt_double_buffered_kernelILb0ELi128ELi4ELi16EdddEviiT4_lPKT3_lilS3_lilPT5_lili ; -- Begin function _ZL36rocblas_gemvt_double_buffered_kernelILb0ELi128ELi4ELi16EdddEviiT4_lPKT3_lilS3_lilPT5_lili
	.p2align	8
	.type	_ZL36rocblas_gemvt_double_buffered_kernelILb0ELi128ELi4ELi16EdddEviiT4_lPKT3_lilS3_lilPT5_lili,@function
_ZL36rocblas_gemvt_double_buffered_kernelILb0ELi128ELi4ELi16EdddEviiT4_lPKT3_lilS3_lilPT5_lili: ; @_ZL36rocblas_gemvt_double_buffered_kernelILb0ELi128ELi4ELi16EdddEviiT4_lPKT3_lilS3_lilPT5_lili
; %bb.0:
	s_load_b32 s33, s[0:1], 0x78
	s_bfe_u32 s2, ttmp6, 0x40014
	s_lshr_b32 s3, ttmp7, 16
	s_add_co_i32 s2, s2, 1
	s_bfe_u32 s4, ttmp6, 0x40008
	s_mul_i32 s2, s3, s2
	s_getreg_b32 s20, hwreg(HW_REG_IB_STS2, 6, 4)
	s_add_co_i32 s4, s4, s2
	s_cmp_eq_u32 s20, 0
	s_cselect_b32 s2, s3, s4
	s_mov_b32 s3, 0
	s_wait_kmcnt 0x0
	s_cmp_ge_u32 s2, s33
	s_cbranch_scc1 .LBB77_15
; %bb.1:
	s_clause 0x8
	s_load_b32 s28, s[0:1], 0x28
	s_load_b96 s[12:14], s[0:1], 0x40
	s_load_b96 s[36:38], s[0:1], 0x60
	s_load_b32 s21, s[0:1], 0x0
	s_load_b128 s[24:27], s[0:1], 0x18
	s_load_b128 s[8:11], s[0:1], 0x50
	;; [unrolled: 1-line block ×3, first 2 shown]
	s_load_b64 s[16:17], s[0:1], 0x8
	s_load_b64 s[18:19], s[0:1], 0x70
	v_and_b32_e32 v8, 0x3ff, v0
	v_bfe_u32 v1, v0, 10, 10
	s_bfe_u32 s15, ttmp6, 0x4000c
	s_bfe_u32 s41, ttmp6, 0x40010
	s_and_b32 s40, ttmp7, 0xffff
	s_add_co_i32 s42, s15, 1
	v_lshl_add_u32 v4, v1, 7, v8
	s_add_co_i32 s41, s41, 1
	s_and_b32 s39, ttmp6, 15
	v_dual_mov_b32 v3, 0 :: v_dual_lshlrev_b32 v42, 9, v8
	s_delay_alu instid0(VALU_DEP_2)
	v_lshrrev_b32_e32 v5, 2, v4
	s_wait_kmcnt 0x0
	s_ashr_i32 s29, s28, 31
	s_lshl_b64 s[22:23], s[36:37], 3
	s_ashr_i32 s34, s21, 31
	s_ashr_i32 s15, s14, 31
	s_lshr_b32 s36, s34, 25
	v_and_b32_e32 v6, 0x7ff0, v5
	v_and_b32_e32 v2, 63, v0
	s_add_co_i32 s21, s21, s36
	s_add_nc_u64 s[34:35], s[10:11], s[22:23]
	s_ashr_i32 s10, s21, 7
	s_mul_i32 s11, ttmp9, s42
	s_mul_i32 s21, s40, s41
	s_bfe_u32 s22, ttmp6, 0x40004
	s_ashr_i32 s31, s38, 31
	s_lshl_b64 s[26:27], s[26:27], 3
	s_add_co_i32 s39, s39, s11
	s_add_co_i32 s22, s22, s21
	v_lshlrev_b32_e32 v40, 9, v6
	v_mad_nc_i64_i32 v[10:11], s28, v6, v[2:3]
	v_lshlrev_b32_e32 v2, 3, v2
	v_lshl_or_b32 v41, v5, 9, 0x1e00
	v_dual_add_nc_u32 v5, 1, v8 :: v_dual_add_nc_u32 v6, 2, v8
	s_cmp_eq_u32 s20, 0
	s_add_nc_u64 s[20:21], s[0:1], 0x80
	s_cselect_b32 s0, ttmp9, s39
	s_mov_b32 s30, s38
	s_cselect_b32 s1, s40, s22
	s_lshl_b32 s38, s0, 7
	v_dual_add_nc_u32 v7, 3, v8 :: v_dual_add_nc_u32 v9, 4, v8
	v_and_b32_e32 v5, 63, v5
	v_cmp_eq_u32_e64 s0, 0, v1
	v_dual_add_nc_u32 v16, 10, v8 :: v_dual_bitop2_b32 v1, 63, v6 bitop3:0x40
	s_delay_alu instid0(VALU_DEP_4) | instskip(NEXT) | instid1(VALU_DEP_4)
	v_dual_add_nc_u32 v44, 11, v8 :: v_dual_bitop2_b32 v6, 63, v7 bitop3:0x40
	v_lshl_or_b32 v5, v5, 3, v42
	s_delay_alu instid0(VALU_DEP_3) | instskip(NEXT) | instid1(VALU_DEP_4)
	v_lshl_or_b32 v1, v1, 3, v42
	v_and_b32_e32 v43, 63, v16
	scratch_store_b64 off, v[10:11], off    ; 8-byte Folded Spill
	v_dual_add_nc_u32 v9, 7, v8 :: v_dual_bitop2_b32 v7, 63, v9 bitop3:0x40
	scratch_store_b32 off, v5, off offset:8 ; 4-byte Folded Spill
	v_and_b32_e32 v44, 63, v44
	v_lshl_or_b32 v43, v43, 3, v42
	scratch_store_b32 off, v1, off offset:12 ; 4-byte Folded Spill
	s_wait_xcnt 0x0
	v_lshl_or_b32 v1, v6, 3, v42
	v_add_nc_u32_e32 v5, 5, v8
	v_lshl_or_b32 v44, v44, 3, v42
	v_add_nc_u32_e32 v10, 8, v8
	s_ashr_i32 s39, s38, 31
	scratch_store_b32 off, v1, off offset:16 ; 4-byte Folded Spill
	s_wait_xcnt 0x0
	v_lshl_or_b32 v1, v7, 3, v42
	v_dual_add_nc_u32 v7, 6, v8 :: v_dual_bitop2_b32 v6, 63, v5 bitop3:0x40
	v_dual_mov_b32 v5, v3 :: v_dual_add_nc_u32 v45, 12, v8
	scratch_store_b32 off, v1, off offset:20 ; 4-byte Folded Spill
	s_wait_xcnt 0x0
	v_lshlrev_b32_e32 v1, 1, v4
	s_add_nc_u64 s[36:37], s[24:25], s[26:27]
	scratch_store_b32 off, v43, off offset:44 ; 4-byte Folded Spill
	v_bitop3_b32 v0, v0, 32, 63 bitop3:0x6c
	v_dual_add_nc_u32 v47, 55, v8 :: v_dual_add_nc_u32 v48, 56, v8
	v_and_b32_e32 v4, 0x3ff80, v1
	v_lshl_or_b32 v1, v6, 3, v42
	v_dual_add_nc_u32 v9, 9, v8 :: v_dual_bitop2_b32 v6, 63, v9 bitop3:0x40
	v_lshl_or_b32 v239, v0, 3, v42
	v_dual_add_nc_u32 v49, 57, v8 :: v_dual_add_nc_u32 v50, 58, v8
	v_dual_add_nc_u32 v51, 59, v8 :: v_dual_add_nc_u32 v52, 60, v8
	s_delay_alu instid0(VALU_DEP_4) | instskip(SKIP_3) | instid1(VALU_DEP_2)
	v_dual_add_nc_u32 v53, 61, v8 :: v_dual_bitop2_b32 v9, 63, v9 bitop3:0x40
	v_add_nc_u32_e32 v54, 62, v8
	s_mul_u64 s[22:23], s[28:29], s[38:39]
	s_mul_u64 s[24:25], s[30:31], s[38:39]
	v_lshl_or_b32 v9, v9, 3, v42
	scratch_store_b32 off, v1, off offset:24 ; 4-byte Folded Spill
	s_wait_xcnt 0x0
	v_and_b32_e32 v1, 63, v7
	v_lshl_add_u64 v[4:5], s[38:39], 3, v[4:5]
	v_cmp_neq_f64_e64 s38, s[16:17], 0
	scratch_store_b32 off, v9, off offset:40 ; 4-byte Folded Spill
	s_lshl_b64 s[24:25], s[24:25], 3
	v_lshl_or_b32 v1, v1, 3, v42
	v_mul_lo_u32 v5, v5, s28
	s_wait_xcnt 0x0
	v_or_b32_e32 v9, 32, v4
	v_or_b32_e32 v37, 0x58, v4
	v_and_b32_e32 v7, 63, v10
	v_or_b32_e32 v21, 24, v4
	v_or_b32_e32 v20, 16, v4
	v_mad_nc_u64_u32 v[16:17], v9, s28, s[36:37]
	v_mad_nc_u64_u32 v[30:31], v37, s28, s[36:37]
	v_or_b32_e32 v36, 0x50, v4
	v_mad_nc_u64_u32 v[14:15], v21, s28, s[36:37]
	v_mad_nc_u64_u32 v[12:13], v20, s28, s[36:37]
	v_or_b32_e32 v38, 0x60, v4
	v_or_b32_e32 v46, 0x70, v4
	s_add_nc_u64 s[34:35], s[34:35], s[24:25]
	v_or_b32_e32 v221, v42, v2
	v_dual_add_nc_u32 v45, 53, v8 :: v_dual_bitop2_b32 v43, 63, v45 bitop3:0x40
	v_add_nc_u32_e32 v17, v5, v17
	s_lshl_b64 s[22:23], s[22:23], 3
	s_mul_u64 s[24:25], s[28:29], 15
	s_add_nc_u64 s[22:23], s[36:37], s[22:23]
	v_add_nc_u32_e32 v13, v5, v13
	v_mad_u32 v17, v9, s29, v17
	v_or_b32_e32 v9, 0x48, v4
	s_lshl_b64 s[26:27], s[14:15], 10
	s_mov_b32 s11, s3
	v_mad_u32 v13, v20, s29, v13
	s_lshl_b64 s[8:9], s[8:9], 3
	v_mad_nc_u64_u32 v[26:27], v9, s28, s[36:37]
	v_or_b32_e32 v34, 64, v4
	v_dual_add_nc_u32 v222, v2, v40 :: v_dual_add_nc_u32 v223, v2, v41
	v_add_nc_u32_e32 v0, 34, v8
	v_add_nc_u64_e32 v[16:17], 0x400, v[16:17]
	v_add_nc_u64_e32 v[12:13], 0x400, v[12:13]
	s_delay_alu instid0(VALU_DEP_3) | instskip(SKIP_1) | instid1(VALU_DEP_2)
	v_dual_add_nc_u32 v27, v5, v27 :: v_dual_bitop2_b32 v0, 63, v0 bitop3:0x40
	v_mad_nc_u64_u32 v[24:25], v34, s28, s[36:37]
	v_lshl_or_b32 v241, v0, 3, v42
	s_delay_alu instid0(VALU_DEP_3) | instskip(SKIP_1) | instid1(VALU_DEP_1)
	v_mad_u32 v27, v9, s29, v27
	v_dual_add_nc_u32 v9, v5, v31 :: v_dual_add_nc_u32 v0, 39, v8
	v_mad_u32 v31, v37, s29, v9
	v_dual_add_nc_u32 v9, 13, v8 :: v_dual_add_nc_u32 v25, v5, v25
	s_delay_alu instid0(VALU_DEP_3) | instskip(SKIP_1) | instid1(VALU_DEP_3)
	v_and_b32_e32 v0, 63, v0
	v_add_nc_u64_e32 v[26:27], 0x400, v[26:27]
	v_and_b32_e32 v9, 63, v9
	s_delay_alu instid0(VALU_DEP_4) | instskip(NEXT) | instid1(VALU_DEP_4)
	v_mad_u32 v25, v34, s29, v25
	v_lshl_or_b32 v246, v0, 3, v42
	v_add_nc_u32_e32 v0, 44, v8
	s_delay_alu instid0(VALU_DEP_4)
	v_lshl_or_b32 v9, v9, 3, v42
	scratch_store_b32 off, v1, off offset:28 ; 4-byte Folded Spill
	s_wait_xcnt 0x0
	v_lshl_or_b32 v1, v6, 3, v42
	v_add_nc_u64_e32 v[30:31], 0x400, v[30:31]
	v_and_b32_e32 v0, 63, v0
	scratch_store_b32 off, v9, off offset:56 ; 4-byte Folded Spill
	s_wait_xcnt 0x0
	v_add_nc_u32_e32 v9, 14, v8
	v_add_nc_u64_e32 v[24:25], 0x400, v[24:25]
	v_lshl_or_b32 v251, v0, 3, v42
	s_delay_alu instid0(VALU_DEP_3) | instskip(NEXT) | instid1(VALU_DEP_1)
	v_and_b32_e32 v9, 63, v9
	v_lshl_or_b32 v9, v9, 3, v42
	scratch_store_b32 off, v1, off offset:32 ; 4-byte Folded Spill
	s_wait_xcnt 0x0
	v_lshl_or_b32 v1, v7, 3, v42
	v_mad_nc_u64_u32 v[6:7], v4, s28, s[36:37]
	scratch_store_b32 off, v1, off offset:36 ; 4-byte Folded Spill
	s_wait_xcnt 0x0
	v_dual_add_nc_u32 v7, v5, v7 :: v_dual_bitop2_b32 v1, 8, v4 bitop3:0x54
	s_delay_alu instid0(VALU_DEP_1) | instskip(NEXT) | instid1(VALU_DEP_2)
	v_mad_nc_u64_u32 v[10:11], v1, s28, s[36:37]
	v_mad_u32 v7, v4, s29, v7
	s_delay_alu instid0(VALU_DEP_2) | instskip(NEXT) | instid1(VALU_DEP_1)
	v_add_nc_u32_e32 v11, v5, v11
	v_mad_u32 v11, v1, s29, v11
	v_add_nc_u32_e32 v1, v5, v15
	s_delay_alu instid0(VALU_DEP_1) | instskip(SKIP_1) | instid1(VALU_DEP_4)
	v_mad_u32 v15, v21, s29, v1
	v_or_b32_e32 v1, 56, v4
	v_add_nc_u64_e32 v[10:11], 0x400, v[10:11]
	s_delay_alu instid0(VALU_DEP_2) | instskip(SKIP_2) | instid1(VALU_DEP_3)
	v_mad_nc_u64_u32 v[22:23], v1, s28, s[36:37]
	v_or_b32_e32 v32, 48, v4
	v_add_nc_u64_e32 v[14:15], 0x400, v[14:15]
	v_add_nc_u32_e32 v23, v5, v23
	s_delay_alu instid0(VALU_DEP_3) | instskip(SKIP_1) | instid1(VALU_DEP_3)
	v_mad_nc_u64_u32 v[20:21], v32, s28, s[36:37]
	v_or_b32_e32 v28, 40, v4
	v_mad_u32 v23, v1, s29, v23
	v_or_b32_e32 v1, 0x68, v4
	v_or_b32_e32 v4, 0x78, v4
	s_delay_alu instid0(VALU_DEP_2) | instskip(SKIP_3) | instid1(VALU_DEP_3)
	v_mad_nc_u64_u32 v[34:35], v1, s28, s[36:37]
	v_add_nc_u32_e32 v21, v5, v21
	v_mad_nc_u64_u32 v[18:19], v28, s28, s[36:37]
	v_add_nc_u64_e32 v[22:23], 0x400, v[22:23]
	v_mad_u32 v21, v32, s29, v21
	v_mad_nc_u64_u32 v[32:33], v38, s28, s[36:37]
	v_add_nc_u32_e32 v35, v5, v35
	v_add_nc_u32_e32 v19, v5, v19
	s_delay_alu instid0(VALU_DEP_2) | instskip(SKIP_1) | instid1(VALU_DEP_3)
	v_mad_u32 v35, v1, s29, v35
	v_add_nc_u64_e32 v[20:21], 0x400, v[20:21]
	v_mad_u32 v19, v28, s29, v19
	v_mad_nc_u64_u32 v[28:29], v36, s28, s[36:37]
	v_add_nc_u32_e32 v33, v5, v33
	s_delay_alu instid0(VALU_DEP_1) | instskip(SKIP_4) | instid1(VALU_DEP_1)
	v_mad_u32 v33, v38, s29, v33
	v_mad_nc_u64_u32 v[38:39], v4, s28, s[36:37]
	v_add_nc_u64_e32 v[34:35], 0x400, v[34:35]
	v_add_nc_u64_e32 v[18:19], 0x400, v[18:19]
	v_add_nc_u32_e32 v29, v5, v29
	v_mad_u32 v29, v36, s29, v29
	v_mad_nc_u64_u32 v[36:37], v46, s28, s[36:37]
	v_add_nc_u64_e32 v[32:33], 0x400, v[32:33]
	s_delay_alu instid0(VALU_DEP_3) | instskip(NEXT) | instid1(VALU_DEP_3)
	v_add_nc_u64_e32 v[28:29], 0x400, v[28:29]
	v_add_nc_u32_e32 v1, v5, v37
	v_lshl_or_b32 v37, v43, 3, v42
	scratch_store_b32 off, v44, off offset:48 ; 4-byte Folded Spill
	v_dual_add_nc_u32 v5, v5, v39 :: v_dual_add_nc_u32 v43, 16, v8
	s_wait_xcnt 0x0
	v_add_nc_u32_e32 v44, 52, v8
	scratch_store_b32 off, v37, off offset:52 ; 4-byte Folded Spill
	s_wait_xcnt 0x0
	v_mad_u32 v37, v46, s29, v1
	v_add_nc_u32_e32 v1, 15, v8
	v_mad_u32 v39, v4, s29, v5
	v_dual_add_nc_u32 v5, 18, v8 :: v_dual_add_nc_u32 v4, 17, v8
	v_and_b32_e32 v43, 63, v43
	s_delay_alu instid0(VALU_DEP_4) | instskip(NEXT) | instid1(VALU_DEP_3)
	v_dual_add_nc_u32 v46, 54, v8 :: v_dual_bitop2_b32 v1, 63, v1 bitop3:0x40
	v_and_b32_e32 v5, 63, v5
	s_delay_alu instid0(VALU_DEP_4) | instskip(SKIP_1) | instid1(VALU_DEP_4)
	v_and_b32_e32 v4, 63, v4
	v_and_b32_e32 v44, 63, v44
	v_lshl_or_b32 v1, v1, 3, v42
	scratch_store_b32 off, v9, off offset:60 ; 4-byte Folded Spill
	s_wait_xcnt 0x0
	v_dual_add_nc_u32 v9, 22, v8 :: v_dual_bitop2_b32 v45, 63, v45 bitop3:0x40
	v_lshl_or_b32 v211, v44, 3, v42
	scratch_store_b32 off, v1, off offset:64 ; 4-byte Folded Spill
	s_wait_xcnt 0x0
	v_lshl_or_b32 v1, v43, 3, v42
	v_dual_add_nc_u32 v43, 23, v8 :: v_dual_bitop2_b32 v9, 63, v9 bitop3:0x40
	v_lshl_or_b32 v212, v45, 3, v42
	v_and_b32_e32 v44, 63, v49
	scratch_store_b32 off, v1, off offset:68 ; 4-byte Folded Spill
	s_wait_xcnt 0x0
	v_lshl_or_b32 v1, v4, 3, v42
	v_dual_add_nc_u32 v4, 20, v8 :: v_dual_bitop2_b32 v43, 63, v43 bitop3:0x40
	v_and_b32_e32 v45, 63, v50
	v_lshl_or_b32 v216, v44, 3, v42
	scratch_store_b32 off, v1, off offset:72 ; 4-byte Folded Spill
	s_wait_xcnt 0x0
	v_lshl_or_b32 v1, v5, 3, v42
	v_add_nc_u32_e32 v5, 21, v8
	v_and_b32_e32 v4, 63, v4
	v_and_b32_e32 v44, 63, v53
	v_add_nc_u64_e32 v[36:37], 0x400, v[36:37]
	scratch_store_b32 off, v1, off offset:76 ; 4-byte Folded Spill
	s_wait_xcnt 0x0
	v_dual_add_nc_u32 v1, 19, v8 :: v_dual_bitop2_b32 v5, 63, v5 bitop3:0x40
	v_add_nc_u64_e32 v[38:39], 0x400, v[38:39]
	v_lshl_or_b32 v218, v44, 3, v42
	s_lshl_b64 s[28:29], s[28:29], 3
	s_delay_alu instid0(VALU_DEP_3) | instskip(NEXT) | instid1(VALU_DEP_1)
	v_and_b32_e32 v1, 63, v1
	v_lshl_or_b32 v1, v1, 3, v42
	scratch_store_b32 off, v1, off offset:80 ; 4-byte Folded Spill
	s_wait_xcnt 0x0
	v_lshl_or_b32 v1, v4, 3, v42
	v_add_nc_u32_e32 v4, 25, v8
	scratch_store_b32 off, v1, off offset:84 ; 4-byte Folded Spill
	s_wait_xcnt 0x0
	v_lshl_or_b32 v1, v5, 3, v42
	v_add_nc_u32_e32 v5, 26, v8
	v_and_b32_e32 v4, 63, v4
	scratch_store_b32 off, v1, off offset:88 ; 4-byte Folded Spill
	s_wait_xcnt 0x0
	v_lshl_or_b32 v1, v9, 3, v42
	v_dual_add_nc_u32 v9, 27, v8 :: v_dual_bitop2_b32 v5, 63, v5 bitop3:0x40
	scratch_store_b32 off, v1, off offset:92 ; 4-byte Folded Spill
	s_wait_xcnt 0x0
	v_lshl_or_b32 v1, v43, 3, v42
	v_and_b32_e32 v9, 63, v9
	scratch_store_b32 off, v1, off offset:96 ; 4-byte Folded Spill
	s_wait_xcnt 0x0
	v_dual_add_nc_u32 v1, 24, v8 :: v_dual_add_nc_u32 v43, 28, v8
	s_delay_alu instid0(VALU_DEP_1) | instskip(NEXT) | instid1(VALU_DEP_2)
	v_and_b32_e32 v1, 63, v1
	v_and_b32_e32 v43, 63, v43
	s_delay_alu instid0(VALU_DEP_2)
	v_lshl_or_b32 v1, v1, 3, v42
	scratch_store_b32 off, v1, off offset:100 ; 4-byte Folded Spill
	s_wait_xcnt 0x0
	v_lshl_or_b32 v1, v4, 3, v42
	v_add_nc_u32_e32 v4, 30, v8
	scratch_store_b32 off, v1, off offset:104 ; 4-byte Folded Spill
	s_wait_xcnt 0x0
	v_lshl_or_b32 v1, v5, 3, v42
	v_add_nc_u32_e32 v5, 31, v8
	v_and_b32_e32 v4, 63, v4
	scratch_store_b32 off, v1, off offset:108 ; 4-byte Folded Spill
	s_wait_xcnt 0x0
	v_lshl_or_b32 v1, v9, 3, v42
	v_lshl_or_b32 v9, v43, 3, v42
	v_and_b32_e32 v5, 63, v5
	v_lshl_or_b32 v237, v4, 3, v42
	v_add_nc_u32_e32 v4, 36, v8
	s_clause 0x1
	scratch_store_b32 off, v1, off offset:112
	scratch_store_b32 off, v9, off offset:116
	s_wait_xcnt 0x0
	v_dual_add_nc_u32 v1, 29, v8 :: v_dual_add_nc_u32 v9, 33, v8
	v_lshl_or_b32 v238, v5, 3, v42
	v_add_nc_u32_e32 v5, 37, v8
	v_and_b32_e32 v4, 63, v4
	s_delay_alu instid0(VALU_DEP_4) | instskip(SKIP_1) | instid1(VALU_DEP_4)
	v_and_b32_e32 v1, 63, v1
	v_dual_add_nc_u32 v43, 51, v8 :: v_dual_bitop2_b32 v9, 63, v9 bitop3:0x40
	v_and_b32_e32 v5, 63, v5
	s_delay_alu instid0(VALU_DEP_4) | instskip(NEXT) | instid1(VALU_DEP_4)
	v_lshl_or_b32 v243, v4, 3, v42
	v_lshl_or_b32 v236, v1, 3, v42
	v_add_nc_u32_e32 v1, 35, v8
	v_lshl_or_b32 v240, v9, 3, v42
	v_add_nc_u32_e32 v9, 38, v8
	v_lshl_or_b32 v244, v5, 3, v42
	v_dual_add_nc_u32 v4, 41, v8 :: v_dual_add_nc_u32 v5, 42, v8
	v_and_b32_e32 v1, 63, v1
	s_delay_alu instid0(VALU_DEP_4) | instskip(NEXT) | instid1(VALU_DEP_3)
	v_and_b32_e32 v9, 63, v9
	v_and_b32_e32 v4, 63, v4
	s_delay_alu instid0(VALU_DEP_4) | instskip(NEXT) | instid1(VALU_DEP_4)
	v_and_b32_e32 v5, 63, v5
	v_lshl_or_b32 v242, v1, 3, v42
	v_add_nc_u32_e32 v1, 40, v8
	v_lshl_or_b32 v245, v9, 3, v42
	v_add_nc_u32_e32 v9, 43, v8
	v_lshl_or_b32 v248, v4, 3, v42
	v_lshl_or_b32 v249, v5, 3, v42
	v_dual_add_nc_u32 v4, 46, v8 :: v_dual_bitop2_b32 v1, 63, v1 bitop3:0x40
	s_delay_alu instid0(VALU_DEP_4) | instskip(NEXT) | instid1(VALU_DEP_2)
	v_dual_add_nc_u32 v5, 47, v8 :: v_dual_bitop2_b32 v9, 63, v9 bitop3:0x40
	v_lshl_or_b32 v247, v1, 3, v42
	v_add_nc_u32_e32 v1, 45, v8
	s_delay_alu instid0(VALU_DEP_4) | instskip(NEXT) | instid1(VALU_DEP_4)
	v_and_b32_e32 v4, 63, v4
	v_lshl_or_b32 v250, v9, 3, v42
	v_dual_add_nc_u32 v9, 48, v8 :: v_dual_bitop2_b32 v5, 63, v5 bitop3:0x40
	s_delay_alu instid0(VALU_DEP_4) | instskip(NEXT) | instid1(VALU_DEP_4)
	v_and_b32_e32 v1, 63, v1
	v_lshl_or_b32 v253, v4, 3, v42
	s_delay_alu instid0(VALU_DEP_3) | instskip(NEXT) | instid1(VALU_DEP_4)
	v_dual_add_nc_u32 v4, 49, v8 :: v_dual_bitop2_b32 v9, 63, v9 bitop3:0x40
	v_lshl_or_b32 v254, v5, 3, v42
	s_delay_alu instid0(VALU_DEP_4)
	v_lshl_or_b32 v252, v1, 3, v42
	v_cvt_f64_i32_e32 v[0:1], s1
	v_add_nc_u32_e32 v5, 50, v8
	v_lshl_or_b32 v255, v9, 3, v42
	v_dual_mov_b32 v9, v3 :: v_dual_add_nc_u32 v55, -1, v8
	v_and_b32_e32 v43, 63, v43
	v_and_b32_e32 v4, 63, v4
	v_and_b32_e32 v5, 63, v5
	s_delay_alu instid0(VALU_DEP_4) | instskip(SKIP_1) | instid1(VALU_DEP_3)
	v_mul_u64_e32 v[8:9], s[30:31], v[8:9]
	s_sub_nc_u64 s[30:31], 0, s[28:29]
	v_lshl_or_b32 v208, v4, 3, v42
	s_delay_alu instid0(VALU_DEP_3) | instskip(SKIP_3) | instid1(VALU_DEP_3)
	v_lshl_or_b32 v209, v5, 3, v42
	v_and_b32_e32 v4, 63, v46
	v_and_b32_e32 v5, 63, v47
	;; [unrolled: 1-line block ×3, first 2 shown]
	v_lshl_or_b32 v213, v4, 3, v42
	s_delay_alu instid0(VALU_DEP_3) | instskip(SKIP_4) | instid1(VALU_DEP_3)
	v_lshl_or_b32 v214, v5, 3, v42
	v_lshl_or_b32 v4, v45, 3, v42
	v_and_b32_e32 v5, 63, v51
	v_and_b32_e32 v45, 63, v54
	v_lshl_or_b32 v220, v46, 3, v42
	v_lshl_or_b32 v5, v5, 3, v42
	s_delay_alu instid0(VALU_DEP_3) | instskip(SKIP_3) | instid1(VALU_DEP_1)
	v_lshl_or_b32 v219, v45, 3, v42
	v_max_num_f64_e32 v[0:1], v[0:1], v[0:1]
	v_lshl_or_b32 v210, v43, 3, v42
	v_and_b32_e32 v43, 63, v48
	v_lshl_or_b32 v215, v43, 3, v42
	v_and_b32_e32 v43, 63, v52
	v_lshl_add_u64 v[8:9], v[8:9], 3, s[34:35]
	s_lshl_b64 s[34:35], s[12:13], 3
	s_lshl_b64 s[12:13], s[4:5], 3
	s_add_nc_u64 s[6:7], s[6:7], s[34:35]
	v_lshl_or_b32 v217, v43, 3, v42
	s_branch .LBB77_4
.LBB77_2:                               ;   in Loop: Header=BB77_4 Depth=1
	s_wait_xcnt 0x0
	s_or_b32 exec_lo, exec_lo, s34
.LBB77_3:                               ;   in Loop: Header=BB77_4 Depth=1
	s_add_co_i32 s2, s2, 0x10000
	s_delay_alu instid0(SALU_CYCLE_1)
	s_cmp_lt_u32 s2, s33
	s_cbranch_scc0 .LBB77_15
.LBB77_4:                               ; =>This Loop Header: Depth=1
                                        ;     Child Loop BB77_8 Depth 2
	s_and_not1_b32 vcc_lo, exec_lo, s38
	s_cbranch_vccnz .LBB77_3
; %bb.5:                                ;   in Loop: Header=BB77_4 Depth=1
	s_load_b32 s36, s[20:21], 0x4
	s_wait_kmcnt 0x0
	s_cvt_f32_u32 s34, s36
	s_sub_co_i32 s35, 0, s36
	s_delay_alu instid0(SALU_CYCLE_2) | instskip(SKIP_1) | instid1(TRANS32_DEP_1)
	v_rcp_iflag_f32_e32 v40, s34
	v_nop
	v_readfirstlane_b32 s34, v40
	s_mul_f32 s34, s34, 0x4f7ffffe
	s_delay_alu instid0(SALU_CYCLE_3) | instskip(NEXT) | instid1(SALU_CYCLE_3)
	s_cvt_u32_f32 s34, s34
	s_mul_i32 s35, s35, s34
	s_delay_alu instid0(SALU_CYCLE_1) | instskip(NEXT) | instid1(SALU_CYCLE_1)
	s_mul_hi_u32 s35, s34, s35
	s_add_co_i32 s34, s34, s35
	s_mov_b32 s35, s3
	s_delay_alu instid0(SALU_CYCLE_1) | instskip(NEXT) | instid1(SALU_CYCLE_1)
	s_mul_u64 s[34:35], s[10:11], s[34:35]
	s_mul_i32 s34, s35, s36
	s_add_co_i32 s37, s35, 1
	s_sub_co_i32 s34, s10, s34
	s_delay_alu instid0(SALU_CYCLE_1)
	s_sub_co_i32 s39, s34, s36
	s_cmp_ge_u32 s34, s36
	s_cselect_b32 s35, s37, s35
	s_cselect_b32 s34, s39, s34
	s_add_co_i32 s37, s35, 1
	s_cmp_ge_u32 s34, s36
	s_cselect_b32 s34, s37, s35
	s_delay_alu instid0(SALU_CYCLE_1) | instskip(NEXT) | instid1(SALU_CYCLE_1)
	s_mul_i32 s35, s34, s36
	s_sub_co_i32 s35, s10, s35
	s_delay_alu instid0(SALU_CYCLE_1) | instskip(SKIP_1) | instid1(SALU_CYCLE_1)
	s_cmp_lt_u32 s1, s35
	s_cselect_b32 s36, -1, 0
	s_cmp_lg_u32 s36, 0
	s_add_co_ci_u32 s39, s34, 0
	s_delay_alu instid0(SALU_CYCLE_1)
	s_cmp_eq_u32 s39, 0
	s_cbranch_scc1 .LBB77_3
; %bb.6:                                ;   in Loop: Header=BB77_4 Depth=1
	s_cmp_lt_i32 s39, 1
	s_cbranch_scc1 .LBB77_12
; %bb.7:                                ;   in Loop: Header=BB77_4 Depth=1
	v_cvt_f64_u32_e32 v[40:41], s35
	s_mul_i32 s34, s34, s1
	v_or_b32_e32 v72, 0x200, v2
	v_cvt_f64_u32_e32 v[42:43], s34
	s_mul_u64 s[34:35], s[4:5], s[2:3]
	v_mov_b64_e32 v[70:71], 0
	s_lshl_b64 s[34:35], s[34:35], 3
	s_delay_alu instid0(SALU_CYCLE_1) | instskip(NEXT) | instid1(VALU_DEP_4)
	s_add_nc_u64 s[40:41], s[22:23], s[34:35]
	v_min_num_f64_e32 v[40:41], v[0:1], v[40:41]
	s_delay_alu instid0(VALU_DEP_1) | instskip(NEXT) | instid1(VALU_DEP_1)
	v_add_f64_e32 v[40:41], v[40:41], v[42:43]
	v_cvt_i32_f64_e32 v40, v[40:41]
	s_delay_alu instid0(VALU_DEP_1) | instskip(SKIP_2) | instid1(SALU_CYCLE_1)
	v_readfirstlane_b32 s36, v40
	scratch_load_b64 v[40:41], off, off     ; 8-byte Folded Reload
	s_lshl_b32 s36, s36, 7
	s_ashr_i32 s37, s36, 31
	s_delay_alu instid0(SALU_CYCLE_1) | instskip(NEXT) | instid1(SALU_CYCLE_1)
	s_lshl_b64 s[34:35], s[36:37], 3
	s_add_nc_u64 s[36:37], s[40:41], s[34:35]
	v_dual_mov_b32 v83, s35 :: v_dual_bitop2_b32 v82, s34, v2 bitop3:0x54
	v_dual_mov_b32 v85, s35 :: v_dual_bitop2_b32 v84, s34, v72 bitop3:0x54
	s_mul_u64 s[40:41], s[12:13], s[2:3]
	s_delay_alu instid0(VALU_DEP_2) | instskip(SKIP_1) | instid1(VALU_DEP_2)
	v_mul_u64_e32 v[82:83], s[14:15], v[82:83]
	s_add_nc_u64 s[40:41], s[40:41], s[34:35]
	v_mul_u64_e32 v[84:85], s[14:15], v[84:85]
	v_add_nc_u64_e32 v[72:73], s[40:41], v[6:7]
	v_add_nc_u64_e32 v[74:75], s[40:41], v[10:11]
	;; [unrolled: 1-line block ×16, first 2 shown]
	s_add_co_i32 s40, s39, -1
	s_mov_b32 s41, 0
	s_wait_loadcnt 0x0
	v_lshl_add_u64 v[40:41], v[40:41], 3, s[36:37]
	s_mul_u64 s[36:37], s[8:9], s[2:3]
	s_delay_alu instid0(SALU_CYCLE_1) | instskip(NEXT) | instid1(VALU_DEP_1)
	s_add_nc_u64 s[34:35], s[6:7], s[36:37]
	v_lshl_add_u64 v[42:43], s[24:25], 3, v[40:41]
	s_delay_alu instid0(VALU_DEP_1) | instskip(NEXT) | instid1(VALU_DEP_1)
	v_add_nc_u64_e32 v[44:45], s[30:31], v[42:43]
	v_add_nc_u64_e32 v[46:47], s[30:31], v[44:45]
	s_delay_alu instid0(VALU_DEP_1) | instskip(NEXT) | instid1(VALU_DEP_1)
	v_add_nc_u64_e32 v[48:49], s[30:31], v[46:47]
	v_add_nc_u64_e32 v[50:51], s[30:31], v[48:49]
	;; [unrolled: 3-line block ×3, first 2 shown]
	s_delay_alu instid0(VALU_DEP_1)
	v_add_nc_u64_e32 v[56:57], s[30:31], v[54:55]
	s_clause 0x4
	global_load_b64 v[140:141], v[40:41], off
	global_load_b64 v[142:143], v[44:45], off
	;; [unrolled: 1-line block ×8, first 2 shown]
	s_wait_xcnt 0x1
	v_mov_b64_e32 v[54:55], 0
	v_mov_b64_e32 v[50:51], 0
	;; [unrolled: 1-line block ×5, first 2 shown]
	v_add_nc_u64_e32 v[58:59], s[30:31], v[56:57]
	s_wait_xcnt 0x0
	v_mov_b64_e32 v[56:57], 0
	v_mov_b64_e32 v[44:45], 0
	s_delay_alu instid0(VALU_DEP_3) | instskip(NEXT) | instid1(VALU_DEP_1)
	v_add_nc_u64_e32 v[60:61], s[30:31], v[58:59]
	v_add_nc_u64_e32 v[62:63], s[30:31], v[60:61]
	s_delay_alu instid0(VALU_DEP_1) | instskip(NEXT) | instid1(VALU_DEP_1)
	v_add_nc_u64_e32 v[64:65], s[30:31], v[62:63]
	v_add_nc_u64_e32 v[66:67], s[30:31], v[64:65]
	s_delay_alu instid0(VALU_DEP_1) | instskip(NEXT) | instid1(VALU_DEP_1)
	v_add_nc_u64_e32 v[68:69], s[30:31], v[66:67]
	v_add_nc_u64_e32 v[40:41], s[30:31], v[68:69]
	global_load_b64 v[156:157], v[58:59], off
	global_load_b64 v[158:159], v[60:61], off
	;; [unrolled: 1-line block ×8, first 2 shown]
	s_wait_xcnt 0x1
	v_mov_b64_e32 v[40:41], 0
	v_mov_b64_e32 v[66:67], 0
	;; [unrolled: 1-line block ×7, first 2 shown]
	s_wait_xcnt 0x0
	v_mov_b64_e32 v[42:43], 0
	s_wait_loadcnt 0xf
	v_mov_b64_e32 v[108:109], v[140:141]
	s_wait_loadcnt 0xe
	;; [unrolled: 2-line block ×16, first 2 shown]
	v_mov_b64_e32 v[138:139], v[170:171]
.LBB77_8:                               ;   Parent Loop BB77_4 Depth=1
                                        ; =>  This Inner Loop Header: Depth=2
	v_add_nc_u64_e32 v[206:207], v[72:73], v[2:3]
	v_add_nc_u64_e32 v[232:233], s[34:35], v[82:83]
	s_cmp_lg_u32 s40, s41
	s_delay_alu instid0(VALU_DEP_2) | instskip(NEXT) | instid1(VALU_DEP_1)
	v_add_nc_u64_e32 v[172:173], 0x200, v[206:207]
	v_add_nc_u64_e32 v[172:173], s[28:29], v[172:173]
	s_delay_alu instid0(VALU_DEP_1) | instskip(NEXT) | instid1(VALU_DEP_1)
	v_add_nc_u64_e32 v[174:175], s[28:29], v[172:173]
	v_add_nc_u64_e32 v[176:177], s[28:29], v[174:175]
	s_delay_alu instid0(VALU_DEP_1) | instskip(NEXT) | instid1(VALU_DEP_1)
	;; [unrolled: 3-line block ×3, first 2 shown]
	v_add_nc_u64_e32 v[182:183], s[28:29], v[180:181]
	v_add_nc_u64_e32 v[184:185], s[28:29], v[182:183]
	s_delay_alu instid0(VALU_DEP_1)
	v_add_nc_u64_e32 v[186:187], s[28:29], v[184:185]
	s_clause 0x8
	global_load_b64 v[202:203], v[206:207], off offset:512
	global_load_b64 v[200:201], v[172:173], off
	global_load_b64 v[196:197], v[174:175], off
	;; [unrolled: 1-line block ×8, first 2 shown]
	v_add_nc_u64_e32 v[204:205], s[28:29], v[186:187]
	s_delay_alu instid0(VALU_DEP_1) | instskip(NEXT) | instid1(VALU_DEP_1)
	v_add_nc_u64_e32 v[224:225], s[28:29], v[204:205]
	v_add_nc_u64_e32 v[226:227], s[28:29], v[224:225]
	s_delay_alu instid0(VALU_DEP_1) | instskip(NEXT) | instid1(VALU_DEP_1)
	v_add_nc_u64_e32 v[228:229], s[28:29], v[226:227]
	;; [unrolled: 3-line block ×3, first 2 shown]
	v_add_nc_u64_e32 v[172:173], s[28:29], v[234:235]
	global_load_b64 v[186:187], v[204:205], off
	global_load_b64 v[182:183], v[224:225], off
	;; [unrolled: 1-line block ×8, first 2 shown]
	s_cbranch_scc0 .LBB77_10
; %bb.9:                                ;   in Loop: Header=BB77_8 Depth=2
	v_add_nc_u64_e32 v[110:111], v[74:75], v[2:3]
	v_add_nc_u64_e32 v[112:113], v[76:77], v[2:3]
	;; [unrolled: 1-line block ×15, first 2 shown]
	global_load_b64 v[108:109], v[206:207], off offset:1024
	global_load_b64 v[110:111], v[110:111], off
	global_load_b64 v[112:113], v[112:113], off
	;; [unrolled: 1-line block ×15, first 2 shown]
.LBB77_10:                              ;   in Loop: Header=BB77_8 Depth=2
	s_wait_loadcnt 0x0
	v_fmac_f64_e32 v[40:41], v[140:141], v[204:205]
	v_add_nc_u64_e32 v[140:141], s[34:35], v[84:85]
	v_fmac_f64_e32 v[70:71], v[168:169], v[204:205]
	v_fmac_f64_e32 v[66:67], v[166:167], v[204:205]
	;; [unrolled: 1-line block ×6, first 2 shown]
	global_load_b64 v[140:141], v[140:141], off
	v_fmac_f64_e32 v[60:61], v[156:157], v[204:205]
	v_fmac_f64_e32 v[54:55], v[154:155], v[204:205]
	;; [unrolled: 1-line block ×9, first 2 shown]
	v_add_nc_u64_e32 v[72:73], 0x400, v[72:73]
	v_add_nc_u64_e32 v[74:75], 0x400, v[74:75]
	;; [unrolled: 1-line block ×16, first 2 shown]
	s_add_co_i32 s41, s41, 1
	s_add_nc_u64 s[34:35], s[34:35], s[26:27]
	s_cmp_ge_i32 s41, s39
	s_wait_loadcnt 0x0
	v_fmac_f64_e32 v[40:41], v[202:203], v[140:141]
	v_fmac_f64_e32 v[70:71], v[200:201], v[140:141]
	v_fmac_f64_e32 v[66:67], v[196:197], v[140:141]
	v_fmac_f64_e32 v[68:69], v[198:199], v[140:141]
	v_fmac_f64_e32 v[62:63], v[194:195], v[140:141]
	v_fmac_f64_e32 v[64:65], v[192:193], v[140:141]
	v_fmac_f64_e32 v[58:59], v[190:191], v[140:141]
	v_fmac_f64_e32 v[60:61], v[188:189], v[140:141]
	v_fmac_f64_e32 v[54:55], v[184:185], v[140:141]
	v_fmac_f64_e32 v[56:57], v[186:187], v[140:141]
	v_fmac_f64_e32 v[50:51], v[182:183], v[140:141]
	v_fmac_f64_e32 v[52:53], v[180:181], v[140:141]
	v_fmac_f64_e32 v[46:47], v[178:179], v[140:141]
	v_fmac_f64_e32 v[48:49], v[176:177], v[140:141]
	v_fmac_f64_e32 v[44:45], v[174:175], v[140:141]
	v_fmac_f64_e32 v[42:43], v[172:173], v[140:141]
	s_cbranch_scc1 .LBB77_13
; %bb.11:                               ;   in Loop: Header=BB77_8 Depth=2
	s_wait_xcnt 0x0
	v_mov_b64_e32 v[140:141], v[108:109]
	v_mov_b64_e32 v[168:169], v[110:111]
	;; [unrolled: 1-line block ×16, first 2 shown]
	s_branch .LBB77_8
.LBB77_12:                              ;   in Loop: Header=BB77_4 Depth=1
	v_mov_b64_e32 v[42:43], 0
	v_mov_b64_e32 v[44:45], 0
	;; [unrolled: 1-line block ×16, first 2 shown]
.LBB77_13:                              ;   in Loop: Header=BB77_4 Depth=1
	ds_store_2addr_stride64_b64 v222, v[40:41], v[70:71] offset1:1
	ds_store_2addr_stride64_b64 v222, v[66:67], v[68:69] offset0:2 offset1:3
	ds_store_2addr_stride64_b64 v222, v[62:63], v[64:65] offset0:4 offset1:5
	;; [unrolled: 1-line block ×6, first 2 shown]
	ds_store_b64 v222, v[44:45] offset:7168
	ds_store_b64 v223, v[42:43]
	s_wait_storecnt_dscnt 0x0
	s_barrier_signal -1
	s_barrier_wait -1
	s_wait_xcnt 0x0
	s_and_saveexec_b32 s34, s0
	s_cbranch_execz .LBB77_2
; %bb.14:                               ;   in Loop: Header=BB77_4 Depth=1
	s_clause 0x3
	scratch_load_b32 v42, off, off offset:8
	scratch_load_b32 v44, off, off offset:12
	;; [unrolled: 1-line block ×4, first 2 shown]
	ds_load_b64 v[40:41], v221
	s_mul_u64 s[36:37], s[18:19], s[2:3]
	s_wait_dscnt 0x0
	v_add_f64_e32 v[40:41], 0, v[40:41]
	s_wait_loadcnt 0x3
	ds_load_b64 v[42:43], v42
	s_wait_loadcnt 0x2
	ds_load_b64 v[44:45], v44
	;; [unrolled: 2-line block ×4, first 2 shown]
	s_wait_dscnt 0x3
	v_add_f64_e32 v[40:41], v[40:41], v[42:43]
	scratch_load_b32 v42, off, off offset:20 ; 4-byte Folded Reload
	s_wait_dscnt 0x2
	v_add_f64_e32 v[40:41], v[40:41], v[44:45]
	scratch_load_b32 v44, off, off offset:24 ; 4-byte Folded Reload
	;; [unrolled: 3-line block ×3, first 2 shown]
	s_wait_loadcnt 0x2
	ds_load_b64 v[42:43], v42
	s_wait_loadcnt 0x1
	ds_load_b64 v[44:45], v44
	;; [unrolled: 2-line block ×3, first 2 shown]
	s_wait_dscnt 0x2
	v_add_f64_e32 v[40:41], v[40:41], v[42:43]
	scratch_load_b32 v42, off, off offset:36 ; 4-byte Folded Reload
	s_wait_dscnt 0x1
	v_add_f64_e32 v[40:41], v[40:41], v[44:45]
	scratch_load_b32 v44, off, off offset:40 ; 4-byte Folded Reload
	s_wait_dscnt 0x0
	v_add_f64_e32 v[40:41], v[40:41], v[46:47]
	scratch_load_b32 v46, off, off offset:44 ; 4-byte Folded Reload
	v_add_f64_e32 v[40:41], v[40:41], v[48:49]
	scratch_load_b32 v48, off, off offset:48 ; 4-byte Folded Reload
	s_wait_loadcnt 0x3
	ds_load_b64 v[42:43], v42
	s_wait_loadcnt 0x2
	ds_load_b64 v[44:45], v44
	s_wait_loadcnt 0x1
	ds_load_b64 v[46:47], v46
	s_wait_loadcnt 0x0
	ds_load_b64 v[48:49], v48
	s_wait_dscnt 0x3
	v_add_f64_e32 v[40:41], v[40:41], v[42:43]
	scratch_load_b32 v42, off, off offset:52 ; 4-byte Folded Reload
	s_wait_dscnt 0x2
	v_add_f64_e32 v[40:41], v[40:41], v[44:45]
	scratch_load_b32 v44, off, off offset:56 ; 4-byte Folded Reload
	s_wait_dscnt 0x1
	v_add_f64_e32 v[40:41], v[40:41], v[46:47]
	scratch_load_b32 v46, off, off offset:60 ; 4-byte Folded Reload
	s_wait_dscnt 0x0
	v_add_f64_e32 v[40:41], v[40:41], v[48:49]
	scratch_load_b32 v48, off, off offset:64 ; 4-byte Folded Reload
	s_wait_loadcnt 0x3
	ds_load_b64 v[42:43], v42
	s_wait_loadcnt 0x2
	ds_load_b64 v[44:45], v44
	s_wait_loadcnt 0x1
	ds_load_b64 v[46:47], v46
	s_wait_loadcnt 0x0
	ds_load_b64 v[48:49], v48
	s_wait_dscnt 0x3
	v_add_f64_e32 v[40:41], v[40:41], v[42:43]
	scratch_load_b32 v42, off, off offset:68 ; 4-byte Folded Reload
	s_wait_dscnt 0x2
	v_add_f64_e32 v[40:41], v[40:41], v[44:45]
	scratch_load_b32 v44, off, off offset:72 ; 4-byte Folded Reload
	s_wait_dscnt 0x1
	v_add_f64_e32 v[40:41], v[40:41], v[46:47]
	scratch_load_b32 v46, off, off offset:76 ; 4-byte Folded Reload
	s_wait_dscnt 0x0
	;; [unrolled: 20-line block ×4, first 2 shown]
	v_add_f64_e32 v[40:41], v[40:41], v[48:49]
	scratch_load_b32 v48, off, off offset:112 ; 4-byte Folded Reload
	s_wait_loadcnt 0x3
	ds_load_b64 v[42:43], v42
	s_wait_loadcnt 0x2
	ds_load_b64 v[44:45], v44
	;; [unrolled: 2-line block ×4, first 2 shown]
	s_wait_dscnt 0x3
	v_add_f64_e32 v[40:41], v[40:41], v[42:43]
	scratch_load_b32 v42, off, off offset:116 ; 4-byte Folded Reload
	s_wait_dscnt 0x2
	v_add_f64_e32 v[40:41], v[40:41], v[44:45]
	s_wait_dscnt 0x1
	s_delay_alu instid0(VALU_DEP_1) | instskip(SKIP_1) | instid1(VALU_DEP_1)
	v_add_f64_e32 v[40:41], v[40:41], v[46:47]
	s_wait_dscnt 0x0
	v_add_f64_e32 v[40:41], v[40:41], v[48:49]
	s_wait_loadcnt 0x0
	ds_load_b64 v[42:43], v42
	ds_load_b64 v[44:45], v236
	ds_load_b64 v[46:47], v237
	ds_load_b64 v[48:49], v238
	s_wait_dscnt 0x3
	v_add_f64_e32 v[40:41], v[40:41], v[42:43]
	s_wait_dscnt 0x2
	s_delay_alu instid0(VALU_DEP_1) | instskip(SKIP_1) | instid1(VALU_DEP_1)
	v_add_f64_e32 v[40:41], v[40:41], v[44:45]
	s_wait_dscnt 0x1
	v_add_f64_e32 v[40:41], v[40:41], v[46:47]
	s_wait_dscnt 0x0
	s_delay_alu instid0(VALU_DEP_1)
	v_add_f64_e32 v[40:41], v[40:41], v[48:49]
	ds_load_b64 v[42:43], v239
	ds_load_b64 v[44:45], v240
	ds_load_b64 v[46:47], v241
	ds_load_b64 v[48:49], v242
	s_wait_dscnt 0x3
	v_add_f64_e32 v[40:41], v[40:41], v[42:43]
	s_wait_dscnt 0x2
	s_delay_alu instid0(VALU_DEP_1) | instskip(SKIP_1) | instid1(VALU_DEP_1)
	v_add_f64_e32 v[40:41], v[40:41], v[44:45]
	s_wait_dscnt 0x1
	v_add_f64_e32 v[40:41], v[40:41], v[46:47]
	s_wait_dscnt 0x0
	s_delay_alu instid0(VALU_DEP_1)
	v_add_f64_e32 v[40:41], v[40:41], v[48:49]
	;; [unrolled: 14-line block ×8, first 2 shown]
	ds_load_b64 v[42:43], v217
	ds_load_b64 v[44:45], v218
	;; [unrolled: 1-line block ×4, first 2 shown]
	s_wait_dscnt 0x3
	v_add_f64_e32 v[40:41], v[40:41], v[42:43]
	v_lshl_add_u64 v[42:43], s[36:37], 3, v[8:9]
	s_wait_dscnt 0x2
	s_delay_alu instid0(VALU_DEP_2) | instskip(SKIP_1) | instid1(VALU_DEP_1)
	v_add_f64_e32 v[40:41], v[40:41], v[44:45]
	s_wait_dscnt 0x1
	v_add_f64_e32 v[40:41], v[40:41], v[46:47]
	s_wait_dscnt 0x0
	s_delay_alu instid0(VALU_DEP_1) | instskip(NEXT) | instid1(VALU_DEP_1)
	v_add_f64_e32 v[40:41], v[40:41], v[48:49]
	v_mul_f64_e32 v[40:41], s[16:17], v[40:41]
	global_atomic_add_f64 v[42:43], v[40:41], off scope:SCOPE_DEV
	s_branch .LBB77_2
.LBB77_15:
	s_sendmsg sendmsg(MSG_DEALLOC_VGPRS)
	s_endpgm
	.section	.rodata,"a",@progbits
	.p2align	6, 0x0
	.amdhsa_kernel _ZL36rocblas_gemvt_double_buffered_kernelILb0ELi128ELi4ELi16EdddEviiT4_lPKT3_lilS3_lilPT5_lili
		.amdhsa_group_segment_fixed_size 65536
		.amdhsa_private_segment_fixed_size 124
		.amdhsa_kernarg_size 384
		.amdhsa_user_sgpr_count 2
		.amdhsa_user_sgpr_dispatch_ptr 0
		.amdhsa_user_sgpr_queue_ptr 0
		.amdhsa_user_sgpr_kernarg_segment_ptr 1
		.amdhsa_user_sgpr_dispatch_id 0
		.amdhsa_user_sgpr_kernarg_preload_length 0
		.amdhsa_user_sgpr_kernarg_preload_offset 0
		.amdhsa_user_sgpr_private_segment_size 0
		.amdhsa_wavefront_size32 1
		.amdhsa_uses_dynamic_stack 0
		.amdhsa_enable_private_segment 1
		.amdhsa_system_sgpr_workgroup_id_x 1
		.amdhsa_system_sgpr_workgroup_id_y 1
		.amdhsa_system_sgpr_workgroup_id_z 1
		.amdhsa_system_sgpr_workgroup_info 0
		.amdhsa_system_vgpr_workitem_id 1
		.amdhsa_next_free_vgpr 256
		.amdhsa_next_free_sgpr 43
		.amdhsa_named_barrier_count 0
		.amdhsa_reserve_vcc 1
		.amdhsa_float_round_mode_32 0
		.amdhsa_float_round_mode_16_64 0
		.amdhsa_float_denorm_mode_32 3
		.amdhsa_float_denorm_mode_16_64 3
		.amdhsa_fp16_overflow 0
		.amdhsa_memory_ordered 1
		.amdhsa_forward_progress 1
		.amdhsa_inst_pref_size 51
		.amdhsa_round_robin_scheduling 0
		.amdhsa_exception_fp_ieee_invalid_op 0
		.amdhsa_exception_fp_denorm_src 0
		.amdhsa_exception_fp_ieee_div_zero 0
		.amdhsa_exception_fp_ieee_overflow 0
		.amdhsa_exception_fp_ieee_underflow 0
		.amdhsa_exception_fp_ieee_inexact 0
		.amdhsa_exception_int_div_zero 0
	.end_amdhsa_kernel
	.section	.text._ZL36rocblas_gemvt_double_buffered_kernelILb0ELi128ELi4ELi16EdddEviiT4_lPKT3_lilS3_lilPT5_lili,"axG",@progbits,_ZL36rocblas_gemvt_double_buffered_kernelILb0ELi128ELi4ELi16EdddEviiT4_lPKT3_lilS3_lilPT5_lili,comdat
.Lfunc_end77:
	.size	_ZL36rocblas_gemvt_double_buffered_kernelILb0ELi128ELi4ELi16EdddEviiT4_lPKT3_lilS3_lilPT5_lili, .Lfunc_end77-_ZL36rocblas_gemvt_double_buffered_kernelILb0ELi128ELi4ELi16EdddEviiT4_lPKT3_lilS3_lilPT5_lili
                                        ; -- End function
	.set _ZL36rocblas_gemvt_double_buffered_kernelILb0ELi128ELi4ELi16EdddEviiT4_lPKT3_lilS3_lilPT5_lili.num_vgpr, 256
	.set _ZL36rocblas_gemvt_double_buffered_kernelILb0ELi128ELi4ELi16EdddEviiT4_lPKT3_lilS3_lilPT5_lili.num_agpr, 0
	.set _ZL36rocblas_gemvt_double_buffered_kernelILb0ELi128ELi4ELi16EdddEviiT4_lPKT3_lilS3_lilPT5_lili.numbered_sgpr, 43
	.set _ZL36rocblas_gemvt_double_buffered_kernelILb0ELi128ELi4ELi16EdddEviiT4_lPKT3_lilS3_lilPT5_lili.num_named_barrier, 0
	.set _ZL36rocblas_gemvt_double_buffered_kernelILb0ELi128ELi4ELi16EdddEviiT4_lPKT3_lilS3_lilPT5_lili.private_seg_size, 124
	.set _ZL36rocblas_gemvt_double_buffered_kernelILb0ELi128ELi4ELi16EdddEviiT4_lPKT3_lilS3_lilPT5_lili.uses_vcc, 1
	.set _ZL36rocblas_gemvt_double_buffered_kernelILb0ELi128ELi4ELi16EdddEviiT4_lPKT3_lilS3_lilPT5_lili.uses_flat_scratch, 1
	.set _ZL36rocblas_gemvt_double_buffered_kernelILb0ELi128ELi4ELi16EdddEviiT4_lPKT3_lilS3_lilPT5_lili.has_dyn_sized_stack, 0
	.set _ZL36rocblas_gemvt_double_buffered_kernelILb0ELi128ELi4ELi16EdddEviiT4_lPKT3_lilS3_lilPT5_lili.has_recursion, 0
	.set _ZL36rocblas_gemvt_double_buffered_kernelILb0ELi128ELi4ELi16EdddEviiT4_lPKT3_lilS3_lilPT5_lili.has_indirect_call, 0
	.section	.AMDGPU.csdata,"",@progbits
; Kernel info:
; codeLenInByte = 6416
; TotalNumSgprs: 45
; NumVgprs: 256
; ScratchSize: 124
; MemoryBound: 0
; FloatMode: 240
; IeeeMode: 1
; LDSByteSize: 65536 bytes/workgroup (compile time only)
; SGPRBlocks: 0
; VGPRBlocks: 15
; NumSGPRsForWavesPerEU: 45
; NumVGPRsForWavesPerEU: 256
; NamedBarCnt: 0
; Occupancy: 4
; WaveLimiterHint : 0
; COMPUTE_PGM_RSRC2:SCRATCH_EN: 1
; COMPUTE_PGM_RSRC2:USER_SGPR: 2
; COMPUTE_PGM_RSRC2:TRAP_HANDLER: 0
; COMPUTE_PGM_RSRC2:TGID_X_EN: 1
; COMPUTE_PGM_RSRC2:TGID_Y_EN: 1
; COMPUTE_PGM_RSRC2:TGID_Z_EN: 1
; COMPUTE_PGM_RSRC2:TIDIG_COMP_CNT: 1
	.section	.text._ZL32rocblas_gemvt_warp_reduce_kernelILb0ELi256EidPKddEviiT3_lPKT2_lT1_lS5_lS6_lS2_lPT4_lS6_li,"axG",@progbits,_ZL32rocblas_gemvt_warp_reduce_kernelILb0ELi256EidPKddEviiT3_lPKT2_lT1_lS5_lS6_lS2_lPT4_lS6_li,comdat
	.globl	_ZL32rocblas_gemvt_warp_reduce_kernelILb0ELi256EidPKddEviiT3_lPKT2_lT1_lS5_lS6_lS2_lPT4_lS6_li ; -- Begin function _ZL32rocblas_gemvt_warp_reduce_kernelILb0ELi256EidPKddEviiT3_lPKT2_lT1_lS5_lS6_lS2_lPT4_lS6_li
	.p2align	8
	.type	_ZL32rocblas_gemvt_warp_reduce_kernelILb0ELi256EidPKddEviiT3_lPKT2_lT1_lS5_lS6_lS2_lPT4_lS6_li,@function
_ZL32rocblas_gemvt_warp_reduce_kernelILb0ELi256EidPKddEviiT3_lPKT2_lT1_lS5_lS6_lS2_lPT4_lS6_li: ; @_ZL32rocblas_gemvt_warp_reduce_kernelILb0ELi256EidPKddEviiT3_lPKT2_lT1_lS5_lS6_lS2_lPT4_lS6_li
; %bb.0:
	s_load_b32 s33, s[0:1], 0x88
	s_bfe_u32 s2, ttmp6, 0x40014
	s_lshr_b32 s3, ttmp7, 16
	s_add_co_i32 s2, s2, 1
	s_bfe_u32 s5, ttmp6, 0x40008
	s_mul_i32 s4, s3, s2
	s_getreg_b32 s2, hwreg(HW_REG_IB_STS2, 6, 4)
	s_add_co_i32 s5, s5, s4
	s_cmp_eq_u32 s2, 0
	s_mov_b32 s35, 0
	s_cselect_b32 s34, s3, s5
	s_wait_kmcnt 0x0
	s_cmp_ge_u32 s34, s33
	s_cbranch_scc1 .LBB78_34
; %bb.1:
	s_clause 0x7
	s_load_b96 s[4:6], s[0:1], 0x40
	s_load_b96 s[28:30], s[0:1], 0x70
	s_load_b256 s[8:15], s[0:1], 0x8
	s_load_b32 s7, s[0:1], 0x0
	s_load_b32 s31, s[0:1], 0x28
	s_load_b128 s[24:27], s[0:1], 0x30
	s_load_b256 s[16:23], s[0:1], 0x50
	s_load_b64 s[36:37], s[0:1], 0x80
	s_wait_xcnt 0x0
	s_bfe_u32 s1, ttmp6, 0x4000c
	s_and_b32 s3, ttmp6, 15
	s_add_co_i32 s1, s1, 1
	v_dual_mov_b32 v3, 0 :: v_dual_bitop2_b32 v8, 31, v0 bitop3:0x40
	s_mul_i32 s1, ttmp9, s1
	v_mbcnt_lo_u32_b32 v21, -1, 0
	s_add_co_i32 s3, s3, s1
	v_mov_b64_e32 v[10:11], 0
	v_cmp_eq_u32_e64 s0, 0, v0
	v_cmp_gt_u32_e64 s1, 32, v0
	s_wait_kmcnt 0x0
	s_lshl_b64 s[4:5], s[4:5], 3
	s_lshl_b64 s[28:29], s[28:29], 3
	;; [unrolled: 1-line block ×3, first 2 shown]
	s_cmp_eq_u32 s2, 0
	v_cmp_gt_i32_e32 vcc_lo, s7, v0
	s_cselect_b32 s15, ttmp9, s3
	s_ashr_i32 s2, s7, 31
	v_lshrrev_b32_e32 v9, 2, v0
	s_lshr_b32 s2, s2, 24
	v_cndmask_b32_e32 v2, 0, v0, vcc_lo
	s_add_co_i32 s2, s7, s2
	v_lshlrev_b32_e32 v1, 3, v8
	s_and_b32 s14, s2, 0xffffff00
	s_add_nc_u64 s[26:27], s[26:27], s[4:5]
	v_dual_lshlrev_b32 v2, 3, v2 :: v_dual_bitop2_b32 v5, s14, v0 bitop3:0x54
	s_mul_i32 s4, s31, s15
	s_add_nc_u64 s[2:3], s[12:13], s[38:39]
	s_ashr_i32 s5, s4, 31
	s_delay_alu instid0(VALU_DEP_1)
	v_mul_lo_u32 v4, s6, v5
	v_add_nc_u64_e32 v[6:7], s[2:3], v[2:3]
	s_lshl_b64 s[4:5], s[4:5], 3
	s_add_nc_u64 s[22:23], s[22:23], s[28:29]
	s_mul_i32 s28, s30, s15
	s_add_nc_u64 s[30:31], s[38:39], s[4:5]
	v_mul_lo_u32 v20, v0, s6
	s_add_nc_u64 s[12:13], s[12:13], s[30:31]
	v_cmp_gt_i32_e64 s3, s7, v5
	v_add_nc_u64_e32 v[6:7], s[4:5], v[6:7]
	v_cmp_eq_u32_e64 s4, 0, v8
	v_dual_ashrrev_i32 v5, 31, v4 :: v_dual_bitop2_b32 v22, 56, v9 bitop3:0x40
	v_add_nc_u64_e32 v[8:9], s[12:13], v[2:3]
	v_cmp_gt_i32_e64 s2, s14, v0
	v_cmp_gt_u32_e64 s5, 8, v0
	v_lshl_or_b32 v2, v21, 2, 64
	s_ashr_i32 s29, s28, 31
	s_ashr_i32 s15, s14, 31
	s_lshl_b64 s[12:13], s[24:25], 3
	s_lshl_b32 s38, s6, 8
	s_lshl_b64 s[28:29], s[28:29], 3
	s_branch .LBB78_4
.LBB78_2:                               ;   in Loop: Header=BB78_4 Depth=1
	s_wait_xcnt 0x0
	s_or_b32 exec_lo, exec_lo, s30
.LBB78_3:                               ;   in Loop: Header=BB78_4 Depth=1
	s_add_co_i32 s34, s34, 0x10000
	s_delay_alu instid0(SALU_CYCLE_1)
	s_cmp_lt_u32 s34, s33
	s_cbranch_scc0 .LBB78_34
.LBB78_4:                               ; =>This Loop Header: Depth=1
                                        ;     Child Loop BB78_23 Depth 2
	s_mul_u64 s[6:7], s[10:11], s[34:35]
	s_wait_xcnt 0x0
	s_mul_u64 s[30:31], s[20:21], s[34:35]
	s_lshl_b64 s[6:7], s[6:7], 3
	s_lshl_b64 s[30:31], s[30:31], 3
	s_add_nc_u64 s[6:7], s[8:9], s[6:7]
	s_add_nc_u64 s[30:31], s[18:19], s[30:31]
	s_clause 0x1
	global_load_b64 v[14:15], v3, s[6:7]
	global_load_b64 v[12:13], v3, s[30:31]
	s_wait_loadcnt 0x1
	v_cmp_eq_f64_e32 vcc_lo, 0, v[14:15]
	s_wait_loadcnt 0x0
	s_wait_xcnt 0x1
	v_cmp_eq_f64_e64 s6, 1.0, v[12:13]
	s_and_b32 s6, vcc_lo, s6
	s_delay_alu instid0(SALU_CYCLE_1)
	s_and_b32 vcc_lo, exec_lo, s6
	s_cbranch_vccnz .LBB78_3
; %bb.5:                                ;   in Loop: Header=BB78_4 Depth=1
	v_cmp_neq_f64_e32 vcc_lo, 0, v[14:15]
	s_mul_u64 s[6:7], s[36:37], s[34:35]
	s_delay_alu instid0(SALU_CYCLE_1) | instskip(NEXT) | instid1(SALU_CYCLE_1)
	s_lshl_b64 s[6:7], s[6:7], 3
	s_add_nc_u64 s[6:7], s[22:23], s[6:7]
	s_cbranch_vccnz .LBB78_9
; %bb.6:                                ;   in Loop: Header=BB78_4 Depth=1
	s_wait_xcnt 0x0
	s_mov_b32 s30, 0
	s_mov_b32 s39, 0
                                        ; implicit-def: $vgpr16_vgpr17
	s_and_saveexec_b32 s31, s0
	s_cbranch_execz .LBB78_10
; %bb.7:                                ;   in Loop: Header=BB78_4 Depth=1
	v_cmp_eq_f64_e32 vcc_lo, 0, v[12:13]
	s_cbranch_vccnz .LBB78_11
; %bb.8:                                ;   in Loop: Header=BB78_4 Depth=1
	s_add_nc_u64 s[40:41], s[6:7], s[28:29]
	global_load_b64 v[16:17], v3, s[40:41]
	s_wait_loadcnt 0x0
	v_mul_f64_e32 v[16:17], v[12:13], v[16:17]
	s_branch .LBB78_12
.LBB78_9:                               ;   in Loop: Header=BB78_4 Depth=1
	s_wait_xcnt 0x0
	s_mov_b32 s39, 0
                                        ; implicit-def: $vgpr16_vgpr17
	s_cbranch_execnz .LBB78_13
	s_branch .LBB78_32
.LBB78_10:                              ;   in Loop: Header=BB78_4 Depth=1
	s_or_b32 exec_lo, exec_lo, s31
	s_delay_alu instid0(SALU_CYCLE_1)
	s_and_b32 vcc_lo, exec_lo, s30
	s_cbranch_vccnz .LBB78_13
	s_branch .LBB78_32
.LBB78_11:                              ;   in Loop: Header=BB78_4 Depth=1
	v_mov_b64_e32 v[16:17], 0
.LBB78_12:                              ;   in Loop: Header=BB78_4 Depth=1
	s_mov_b32 s39, exec_lo
	s_wait_xcnt 0x0
	s_or_b32 exec_lo, exec_lo, s31
	s_delay_alu instid0(SALU_CYCLE_1)
	s_and_b32 vcc_lo, exec_lo, s30
	s_cbranch_vccz .LBB78_32
.LBB78_13:                              ;   in Loop: Header=BB78_4 Depth=1
	v_mov_b64_e32 v[16:17], 0
	s_mul_u64 s[30:31], s[16:17], s[34:35]
	s_delay_alu instid0(SALU_CYCLE_1) | instskip(NEXT) | instid1(SALU_CYCLE_1)
	s_lshl_b64 s[30:31], s[30:31], 3
	s_add_nc_u64 s[30:31], s[26:27], s[30:31]
	s_and_saveexec_b32 s40, s2
	s_cbranch_execnz .LBB78_22
; %bb.14:                               ;   in Loop: Header=BB78_4 Depth=1
	s_or_b32 exec_lo, exec_lo, s40
	s_and_saveexec_b32 s40, s3
	s_cbranch_execnz .LBB78_25
.LBB78_15:                              ;   in Loop: Header=BB78_4 Depth=1
	s_or_b32 exec_lo, exec_lo, s40
	s_and_saveexec_b32 s30, s1
.LBB78_16:                              ;   in Loop: Header=BB78_4 Depth=1
	ds_store_b64 v1, v[10:11]
.LBB78_17:                              ;   in Loop: Header=BB78_4 Depth=1
	s_or_b32 exec_lo, exec_lo, s30
	s_wait_dscnt 0x0
	ds_bpermute_b32 v18, v2, v16
	ds_bpermute_b32 v19, v2, v17
	v_cmp_gt_u32_e32 vcc_lo, 24, v21
	s_wait_dscnt 0x0
	s_barrier_signal -1
	s_barrier_wait -1
	v_add_f64_e32 v[16:17], v[16:17], v[18:19]
	v_cndmask_b32_e64 v18, 0, 8, vcc_lo
	v_cmp_gt_u32_e32 vcc_lo, 28, v21
	s_delay_alu instid0(VALU_DEP_2)
	v_add_lshl_u32 v19, v18, v21, 2
	ds_bpermute_b32 v18, v19, v16
	ds_bpermute_b32 v19, v19, v17
	s_wait_dscnt 0x0
	v_add_f64_e32 v[16:17], v[16:17], v[18:19]
	v_cndmask_b32_e64 v18, 0, 4, vcc_lo
	v_cmp_gt_u32_e32 vcc_lo, 30, v21
	s_delay_alu instid0(VALU_DEP_2)
	v_add_lshl_u32 v23, v18, v21, 2
	ds_bpermute_b32 v18, v23, v16
	ds_bpermute_b32 v19, v23, v17
	s_wait_dscnt 0x0
	v_add_f64_e32 v[16:17], v[16:17], v[18:19]
	v_cndmask_b32_e64 v18, 0, 2, vcc_lo
	v_cmp_ne_u32_e32 vcc_lo, 31, v21
	s_delay_alu instid0(VALU_DEP_2)
	v_add_lshl_u32 v24, v18, v21, 2
	ds_bpermute_b32 v18, v24, v16
	ds_bpermute_b32 v19, v24, v17
	s_wait_dscnt 0x0
	v_add_f64_e32 v[16:17], v[16:17], v[18:19]
	v_add_co_ci_u32_e64 v18, null, 0, v21, vcc_lo
	s_delay_alu instid0(VALU_DEP_1)
	v_lshlrev_b32_e32 v25, 2, v18
	ds_bpermute_b32 v18, v25, v16
	ds_bpermute_b32 v19, v25, v17
	s_and_saveexec_b32 s30, s4
	s_cbranch_execz .LBB78_19
; %bb.18:                               ;   in Loop: Header=BB78_4 Depth=1
	s_wait_dscnt 0x0
	v_add_f64_e32 v[16:17], v[16:17], v[18:19]
	ds_store_b64 v22, v[16:17]
.LBB78_19:                              ;   in Loop: Header=BB78_4 Depth=1
	s_or_b32 exec_lo, exec_lo, s30
	s_wait_dscnt 0x0
	v_mov_b64_e32 v[18:19], 0
	s_barrier_signal -1
	s_barrier_wait -1
	s_and_saveexec_b32 s30, s5
	s_cbranch_execnz .LBB78_26
; %bb.20:                               ;   in Loop: Header=BB78_4 Depth=1
	s_or_b32 exec_lo, exec_lo, s30
	s_and_saveexec_b32 s30, s1
	s_cbranch_execnz .LBB78_27
.LBB78_21:                              ;   in Loop: Header=BB78_4 Depth=1
	s_or_b32 exec_lo, exec_lo, s30
                                        ; implicit-def: $vgpr16_vgpr17
	s_and_saveexec_b32 s30, s0
	s_cbranch_execnz .LBB78_28
	s_branch .LBB78_31
.LBB78_22:                              ;   in Loop: Header=BB78_4 Depth=1
	s_wait_dscnt 0x0
	v_mad_nc_u64_u32 v[18:19], s12, s34, v[8:9]
	v_mov_b64_e32 v[16:17], 0
	v_dual_mov_b32 v23, v20 :: v_dual_mov_b32 v24, v0
	s_mov_b32 s41, 0
	s_delay_alu instid0(VALU_DEP_3)
	v_mad_u32 v19, s13, s34, v19
.LBB78_23:                              ;   Parent Loop BB78_4 Depth=1
                                        ; =>  This Inner Loop Header: Depth=2
	global_load_b64 v[26:27], v[18:19], off
	global_load_b64 v[28:29], v23, s[30:31] scale_offset
	v_add_nc_u32_e32 v24, 0x100, v24
	s_wait_xcnt 0x1
	v_add_nc_u64_e32 v[18:19], 0x800, v[18:19]
	s_wait_xcnt 0x0
	v_add_nc_u32_e32 v23, s38, v23
	v_cmp_le_i32_e32 vcc_lo, s14, v24
	s_or_b32 s41, vcc_lo, s41
	s_wait_loadcnt 0x0
	v_fmac_f64_e32 v[16:17], v[26:27], v[28:29]
	s_and_not1_b32 exec_lo, exec_lo, s41
	s_cbranch_execnz .LBB78_23
; %bb.24:                               ;   in Loop: Header=BB78_4 Depth=1
	s_or_b32 exec_lo, exec_lo, s41
	s_delay_alu instid0(SALU_CYCLE_1)
	s_or_b32 exec_lo, exec_lo, s40
	s_and_saveexec_b32 s40, s3
	s_cbranch_execz .LBB78_15
.LBB78_25:                              ;   in Loop: Header=BB78_4 Depth=1
	s_mul_u64 s[42:43], s[24:25], s[34:35]
	v_lshl_add_u64 v[24:25], v[4:5], 3, s[30:31]
	s_wait_dscnt 0x0
	v_lshl_add_u64 v[18:19], s[42:43], 3, v[6:7]
	s_delay_alu instid0(VALU_DEP_1)
	v_lshl_add_u64 v[18:19], s[14:15], 3, v[18:19]
	global_load_b64 v[26:27], v[18:19], off
	global_load_b64 v[28:29], v[24:25], off
	s_wait_loadcnt 0x0
	v_fmac_f64_e32 v[16:17], v[26:27], v[28:29]
	s_wait_xcnt 0x0
	s_or_b32 exec_lo, exec_lo, s40
	s_and_saveexec_b32 s30, s1
	s_cbranch_execnz .LBB78_16
	s_branch .LBB78_17
.LBB78_26:                              ;   in Loop: Header=BB78_4 Depth=1
	ds_load_b64 v[18:19], v1
	s_or_b32 exec_lo, exec_lo, s30
	s_and_saveexec_b32 s30, s1
	s_cbranch_execz .LBB78_21
.LBB78_27:                              ;   in Loop: Header=BB78_4 Depth=1
	s_wait_dscnt 0x0
	ds_bpermute_b32 v16, v23, v18
	ds_bpermute_b32 v17, v23, v19
	s_wait_dscnt 0x0
	v_add_f64_e32 v[16:17], v[18:19], v[16:17]
	ds_bpermute_b32 v18, v24, v16
	ds_bpermute_b32 v19, v24, v17
	s_wait_dscnt 0x0
	v_add_f64_e32 v[16:17], v[16:17], v[18:19]
	;; [unrolled: 4-line block ×3, first 2 shown]
	s_or_b32 exec_lo, exec_lo, s30
                                        ; implicit-def: $vgpr16_vgpr17
	s_and_saveexec_b32 s30, s0
	s_cbranch_execz .LBB78_31
.LBB78_28:                              ;   in Loop: Header=BB78_4 Depth=1
	v_cmp_eq_f64_e32 vcc_lo, 0, v[12:13]
	s_wait_dscnt 0x0
	s_delay_alu instid0(VALU_DEP_2)
	v_mul_f64_e32 v[16:17], v[14:15], v[18:19]
	s_cbranch_vccnz .LBB78_30
; %bb.29:                               ;   in Loop: Header=BB78_4 Depth=1
	s_add_nc_u64 s[40:41], s[6:7], s[28:29]
	global_load_b64 v[14:15], v3, s[40:41]
	s_wait_loadcnt 0x0
	v_fmac_f64_e32 v[16:17], v[12:13], v[14:15]
.LBB78_30:                              ;   in Loop: Header=BB78_4 Depth=1
	s_or_b32 s39, s39, exec_lo
.LBB78_31:                              ;   in Loop: Header=BB78_4 Depth=1
	s_wait_xcnt 0x0
	s_or_b32 exec_lo, exec_lo, s30
.LBB78_32:                              ;   in Loop: Header=BB78_4 Depth=1
	s_and_saveexec_b32 s30, s39
	s_cbranch_execz .LBB78_2
; %bb.33:                               ;   in Loop: Header=BB78_4 Depth=1
	s_add_nc_u64 s[6:7], s[6:7], s[28:29]
	global_store_b64 v3, v[16:17], s[6:7]
	s_branch .LBB78_2
.LBB78_34:
	s_endpgm
	.section	.rodata,"a",@progbits
	.p2align	6, 0x0
	.amdhsa_kernel _ZL32rocblas_gemvt_warp_reduce_kernelILb0ELi256EidPKddEviiT3_lPKT2_lT1_lS5_lS6_lS2_lPT4_lS6_li
		.amdhsa_group_segment_fixed_size 256
		.amdhsa_private_segment_fixed_size 0
		.amdhsa_kernarg_size 140
		.amdhsa_user_sgpr_count 2
		.amdhsa_user_sgpr_dispatch_ptr 0
		.amdhsa_user_sgpr_queue_ptr 0
		.amdhsa_user_sgpr_kernarg_segment_ptr 1
		.amdhsa_user_sgpr_dispatch_id 0
		.amdhsa_user_sgpr_kernarg_preload_length 0
		.amdhsa_user_sgpr_kernarg_preload_offset 0
		.amdhsa_user_sgpr_private_segment_size 0
		.amdhsa_wavefront_size32 1
		.amdhsa_uses_dynamic_stack 0
		.amdhsa_enable_private_segment 0
		.amdhsa_system_sgpr_workgroup_id_x 1
		.amdhsa_system_sgpr_workgroup_id_y 0
		.amdhsa_system_sgpr_workgroup_id_z 1
		.amdhsa_system_sgpr_workgroup_info 0
		.amdhsa_system_vgpr_workitem_id 0
		.amdhsa_next_free_vgpr 30
		.amdhsa_next_free_sgpr 44
		.amdhsa_named_barrier_count 0
		.amdhsa_reserve_vcc 1
		.amdhsa_float_round_mode_32 0
		.amdhsa_float_round_mode_16_64 0
		.amdhsa_float_denorm_mode_32 3
		.amdhsa_float_denorm_mode_16_64 3
		.amdhsa_fp16_overflow 0
		.amdhsa_memory_ordered 1
		.amdhsa_forward_progress 1
		.amdhsa_inst_pref_size 12
		.amdhsa_round_robin_scheduling 0
		.amdhsa_exception_fp_ieee_invalid_op 0
		.amdhsa_exception_fp_denorm_src 0
		.amdhsa_exception_fp_ieee_div_zero 0
		.amdhsa_exception_fp_ieee_overflow 0
		.amdhsa_exception_fp_ieee_underflow 0
		.amdhsa_exception_fp_ieee_inexact 0
		.amdhsa_exception_int_div_zero 0
	.end_amdhsa_kernel
	.section	.text._ZL32rocblas_gemvt_warp_reduce_kernelILb0ELi256EidPKddEviiT3_lPKT2_lT1_lS5_lS6_lS2_lPT4_lS6_li,"axG",@progbits,_ZL32rocblas_gemvt_warp_reduce_kernelILb0ELi256EidPKddEviiT3_lPKT2_lT1_lS5_lS6_lS2_lPT4_lS6_li,comdat
.Lfunc_end78:
	.size	_ZL32rocblas_gemvt_warp_reduce_kernelILb0ELi256EidPKddEviiT3_lPKT2_lT1_lS5_lS6_lS2_lPT4_lS6_li, .Lfunc_end78-_ZL32rocblas_gemvt_warp_reduce_kernelILb0ELi256EidPKddEviiT3_lPKT2_lT1_lS5_lS6_lS2_lPT4_lS6_li
                                        ; -- End function
	.set _ZL32rocblas_gemvt_warp_reduce_kernelILb0ELi256EidPKddEviiT3_lPKT2_lT1_lS5_lS6_lS2_lPT4_lS6_li.num_vgpr, 30
	.set _ZL32rocblas_gemvt_warp_reduce_kernelILb0ELi256EidPKddEviiT3_lPKT2_lT1_lS5_lS6_lS2_lPT4_lS6_li.num_agpr, 0
	.set _ZL32rocblas_gemvt_warp_reduce_kernelILb0ELi256EidPKddEviiT3_lPKT2_lT1_lS5_lS6_lS2_lPT4_lS6_li.numbered_sgpr, 44
	.set _ZL32rocblas_gemvt_warp_reduce_kernelILb0ELi256EidPKddEviiT3_lPKT2_lT1_lS5_lS6_lS2_lPT4_lS6_li.num_named_barrier, 0
	.set _ZL32rocblas_gemvt_warp_reduce_kernelILb0ELi256EidPKddEviiT3_lPKT2_lT1_lS5_lS6_lS2_lPT4_lS6_li.private_seg_size, 0
	.set _ZL32rocblas_gemvt_warp_reduce_kernelILb0ELi256EidPKddEviiT3_lPKT2_lT1_lS5_lS6_lS2_lPT4_lS6_li.uses_vcc, 1
	.set _ZL32rocblas_gemvt_warp_reduce_kernelILb0ELi256EidPKddEviiT3_lPKT2_lT1_lS5_lS6_lS2_lPT4_lS6_li.uses_flat_scratch, 0
	.set _ZL32rocblas_gemvt_warp_reduce_kernelILb0ELi256EidPKddEviiT3_lPKT2_lT1_lS5_lS6_lS2_lPT4_lS6_li.has_dyn_sized_stack, 0
	.set _ZL32rocblas_gemvt_warp_reduce_kernelILb0ELi256EidPKddEviiT3_lPKT2_lT1_lS5_lS6_lS2_lPT4_lS6_li.has_recursion, 0
	.set _ZL32rocblas_gemvt_warp_reduce_kernelILb0ELi256EidPKddEviiT3_lPKT2_lT1_lS5_lS6_lS2_lPT4_lS6_li.has_indirect_call, 0
	.section	.AMDGPU.csdata,"",@progbits
; Kernel info:
; codeLenInByte = 1464
; TotalNumSgprs: 46
; NumVgprs: 30
; ScratchSize: 0
; MemoryBound: 0
; FloatMode: 240
; IeeeMode: 1
; LDSByteSize: 256 bytes/workgroup (compile time only)
; SGPRBlocks: 0
; VGPRBlocks: 1
; NumSGPRsForWavesPerEU: 46
; NumVGPRsForWavesPerEU: 30
; NamedBarCnt: 0
; Occupancy: 16
; WaveLimiterHint : 0
; COMPUTE_PGM_RSRC2:SCRATCH_EN: 0
; COMPUTE_PGM_RSRC2:USER_SGPR: 2
; COMPUTE_PGM_RSRC2:TRAP_HANDLER: 0
; COMPUTE_PGM_RSRC2:TGID_X_EN: 1
; COMPUTE_PGM_RSRC2:TGID_Y_EN: 0
; COMPUTE_PGM_RSRC2:TGID_Z_EN: 1
; COMPUTE_PGM_RSRC2:TIDIG_COMP_CNT: 0
	.section	.text._ZL32rocblas_gemvt_warp_reduce_kernelILb0ELi256EldPKddEviiT3_lPKT2_lT1_lS5_lS6_lS2_lPT4_lS6_li,"axG",@progbits,_ZL32rocblas_gemvt_warp_reduce_kernelILb0ELi256EldPKddEviiT3_lPKT2_lT1_lS5_lS6_lS2_lPT4_lS6_li,comdat
	.globl	_ZL32rocblas_gemvt_warp_reduce_kernelILb0ELi256EldPKddEviiT3_lPKT2_lT1_lS5_lS6_lS2_lPT4_lS6_li ; -- Begin function _ZL32rocblas_gemvt_warp_reduce_kernelILb0ELi256EldPKddEviiT3_lPKT2_lT1_lS5_lS6_lS2_lPT4_lS6_li
	.p2align	8
	.type	_ZL32rocblas_gemvt_warp_reduce_kernelILb0ELi256EldPKddEviiT3_lPKT2_lT1_lS5_lS6_lS2_lPT4_lS6_li,@function
_ZL32rocblas_gemvt_warp_reduce_kernelILb0ELi256EldPKddEviiT3_lPKT2_lT1_lS5_lS6_lS2_lPT4_lS6_li: ; @_ZL32rocblas_gemvt_warp_reduce_kernelILb0ELi256EldPKddEviiT3_lPKT2_lT1_lS5_lS6_lS2_lPT4_lS6_li
; %bb.0:
	s_load_b32 s30, s[0:1], 0x88
	s_bfe_u32 s2, ttmp6, 0x40014
	s_lshr_b32 s3, ttmp7, 16
	s_add_co_i32 s2, s2, 1
	s_bfe_u32 s5, ttmp6, 0x40008
	s_mul_i32 s4, s3, s2
	s_getreg_b32 s2, hwreg(HW_REG_IB_STS2, 6, 4)
	s_add_co_i32 s5, s5, s4
	s_cmp_eq_u32 s2, 0
	s_mov_b32 s25, 0
	s_cselect_b32 s24, s3, s5
	s_wait_kmcnt 0x0
	s_cmp_ge_u32 s24, s30
	s_cbranch_scc1 .LBB79_34
; %bb.1:
	s_clause 0x2
	s_load_b512 s[8:23], s[0:1], 0x8
	s_load_b512 s[36:51], s[0:1], 0x48
	s_load_b32 s26, s[0:1], 0x0
	s_wait_xcnt 0x0
	s_bfe_u32 s0, ttmp6, 0x4000c
	s_and_b32 s1, ttmp6, 15
	s_add_co_i32 s0, s0, 1
	v_mbcnt_lo_u32_b32 v25, -1, 0
	s_mul_i32 s0, ttmp9, s0
	v_mov_b64_e32 v[10:11], 0
	s_add_co_i32 s3, s1, s0
	s_wait_kmcnt 0x0
	s_lshl_b64 s[0:1], s[22:23], 3
	s_lshl_b64 s[4:5], s[46:47], 3
	;; [unrolled: 1-line block ×3, first 2 shown]
	s_cmp_eq_u32 s2, 0
	v_cmp_gt_i32_e32 vcc_lo, s26, v0
	s_cselect_b32 s2, ttmp9, s3
	s_ashr_i32 s3, s26, 31
	s_add_nc_u64 s[22:23], s[12:13], s[6:7]
	s_lshr_b32 s3, s3, 24
	s_add_nc_u64 s[20:21], s[20:21], s[0:1]
	s_add_co_i32 s3, s26, s3
	v_cmp_eq_u32_e64 s0, 0, v0
	s_and_b32 s14, s3, 0xffffff00
	s_delay_alu instid0(SALU_CYCLE_1) | instskip(SKIP_3) | instid1(VALU_DEP_3)
	v_dual_mov_b32 v3, 0 :: v_dual_bitop2_b32 v8, s14, v0 bitop3:0x54
	v_cndmask_b32_e32 v2, 0, v0, vcc_lo
	s_ashr_i32 s3, s2, 31
	v_cmp_gt_i32_e64 s1, s14, v0
	v_dual_mov_b32 v1, v3 :: v_dual_ashrrev_i32 v9, 31, v8
	s_delay_alu instid0(VALU_DEP_3) | instskip(SKIP_2) | instid1(VALU_DEP_2)
	v_lshlrev_b32_e32 v2, 3, v2
	s_mul_u64 s[28:29], s[48:49], s[2:3]
	s_ashr_i32 s15, s14, 31
	v_mul_u64_e32 v[12:13], s[36:37], v[0:1]
	v_mul_u64_e32 v[4:5], s[36:37], v[8:9]
	v_add_nc_u64_e32 v[6:7], s[22:23], v[2:3]
	s_add_nc_u64 s[22:23], s[44:45], s[4:5]
	s_mul_u64 s[4:5], s[16:17], s[2:3]
	v_and_b32_e32 v9, 31, v0
	s_lshl_b64 s[16:17], s[4:5], 3
	v_cmp_gt_i32_e64 s2, s26, v8
	v_lshrrev_b32_e32 v8, 2, v0
	s_add_nc_u64 s[6:7], s[16:17], s[6:7]
	v_add_nc_u64_e32 v[6:7], s[16:17], v[6:7]
	s_add_nc_u64 s[6:7], s[12:13], s[6:7]
	s_delay_alu instid0(VALU_DEP_2)
	v_dual_lshlrev_b32 v1, 3, v9 :: v_dual_bitop2_b32 v24, 56, v8 bitop3:0x40
	v_cmp_eq_u32_e64 s4, 0, v9
	v_add_nc_u64_e32 v[8:9], s[6:7], v[2:3]
	v_cmp_gt_u32_e64 s3, 32, v0
	v_cmp_gt_u32_e64 s5, 8, v0
	v_lshl_or_b32 v2, v25, 2, 64
	s_lshl_b64 s[12:13], s[18:19], 3
	s_lshl_b64 s[16:17], s[38:39], 3
	;; [unrolled: 1-line block ×4, first 2 shown]
	v_lshl_add_u64 v[12:13], v[12:13], 3, s[20:21]
	s_branch .LBB79_4
.LBB79_2:                               ;   in Loop: Header=BB79_4 Depth=1
	s_wait_xcnt 0x0
	s_or_b32 exec_lo, exec_lo, s33
.LBB79_3:                               ;   in Loop: Header=BB79_4 Depth=1
	s_add_co_i32 s24, s24, 0x10000
	s_delay_alu instid0(SALU_CYCLE_1)
	s_cmp_lt_u32 s24, s30
	s_cbranch_scc0 .LBB79_34
.LBB79_4:                               ; =>This Loop Header: Depth=1
                                        ;     Child Loop BB79_23 Depth 2
	s_mul_u64 s[6:7], s[10:11], s[24:25]
	s_wait_xcnt 0x0
	s_mul_u64 s[34:35], s[42:43], s[24:25]
	s_lshl_b64 s[6:7], s[6:7], 3
	s_lshl_b64 s[34:35], s[34:35], 3
	s_add_nc_u64 s[6:7], s[8:9], s[6:7]
	s_add_nc_u64 s[34:35], s[40:41], s[34:35]
	s_clause 0x1
	global_load_b64 v[16:17], v3, s[6:7]
	global_load_b64 v[14:15], v3, s[34:35]
	s_wait_loadcnt 0x1
	v_cmp_eq_f64_e32 vcc_lo, 0, v[16:17]
	s_wait_loadcnt 0x0
	s_wait_xcnt 0x1
	v_cmp_eq_f64_e64 s6, 1.0, v[14:15]
	s_and_b32 s6, vcc_lo, s6
	s_delay_alu instid0(SALU_CYCLE_1)
	s_and_b32 vcc_lo, exec_lo, s6
	s_cbranch_vccnz .LBB79_3
; %bb.5:                                ;   in Loop: Header=BB79_4 Depth=1
	v_cmp_neq_f64_e32 vcc_lo, 0, v[16:17]
	s_mul_u64 s[6:7], s[50:51], s[24:25]
	s_delay_alu instid0(SALU_CYCLE_1) | instskip(NEXT) | instid1(SALU_CYCLE_1)
	s_lshl_b64 s[6:7], s[6:7], 3
	s_add_nc_u64 s[6:7], s[22:23], s[6:7]
	s_cbranch_vccnz .LBB79_9
; %bb.6:                                ;   in Loop: Header=BB79_4 Depth=1
	s_mov_b32 s33, 0
	s_mov_b32 s31, 0
                                        ; implicit-def: $vgpr18_vgpr19
	s_wait_xcnt 0x0
	s_and_saveexec_b32 s34, s0
	s_cbranch_execz .LBB79_10
; %bb.7:                                ;   in Loop: Header=BB79_4 Depth=1
	v_cmp_eq_f64_e32 vcc_lo, 0, v[14:15]
	s_cbranch_vccnz .LBB79_11
; %bb.8:                                ;   in Loop: Header=BB79_4 Depth=1
	s_add_nc_u64 s[36:37], s[6:7], s[28:29]
	global_load_b64 v[18:19], v3, s[36:37]
	s_wait_loadcnt 0x0
	v_mul_f64_e32 v[18:19], v[14:15], v[18:19]
	s_branch .LBB79_12
.LBB79_9:                               ;   in Loop: Header=BB79_4 Depth=1
	s_mov_b32 s31, 0
                                        ; implicit-def: $vgpr18_vgpr19
	s_cbranch_execnz .LBB79_13
	s_branch .LBB79_32
.LBB79_10:                              ;   in Loop: Header=BB79_4 Depth=1
	s_or_b32 exec_lo, exec_lo, s34
	s_delay_alu instid0(SALU_CYCLE_1)
	s_and_b32 vcc_lo, exec_lo, s33
	s_cbranch_vccnz .LBB79_13
	s_branch .LBB79_32
.LBB79_11:                              ;   in Loop: Header=BB79_4 Depth=1
	v_mov_b64_e32 v[18:19], 0
.LBB79_12:                              ;   in Loop: Header=BB79_4 Depth=1
	s_mov_b32 s31, exec_lo
	s_wait_xcnt 0x0
	s_or_b32 exec_lo, exec_lo, s34
	s_delay_alu instid0(SALU_CYCLE_1)
	s_and_b32 vcc_lo, exec_lo, s33
	s_cbranch_vccz .LBB79_32
.LBB79_13:                              ;   in Loop: Header=BB79_4 Depth=1
	v_mov_b64_e32 v[18:19], 0
	s_wait_xcnt 0x0
	s_and_saveexec_b32 s33, s1
	s_cbranch_execnz .LBB79_22
; %bb.14:                               ;   in Loop: Header=BB79_4 Depth=1
	s_or_b32 exec_lo, exec_lo, s33
	s_and_saveexec_b32 s33, s2
	s_cbranch_execnz .LBB79_25
.LBB79_15:                              ;   in Loop: Header=BB79_4 Depth=1
	s_or_b32 exec_lo, exec_lo, s33
	s_and_saveexec_b32 s33, s3
.LBB79_16:                              ;   in Loop: Header=BB79_4 Depth=1
	ds_store_b64 v1, v[10:11]
.LBB79_17:                              ;   in Loop: Header=BB79_4 Depth=1
	s_or_b32 exec_lo, exec_lo, s33
	s_wait_dscnt 0x0
	ds_bpermute_b32 v20, v2, v18
	ds_bpermute_b32 v21, v2, v19
	v_cmp_gt_u32_e32 vcc_lo, 24, v25
	s_wait_dscnt 0x0
	s_barrier_signal -1
	s_barrier_wait -1
	v_add_f64_e32 v[18:19], v[18:19], v[20:21]
	v_cndmask_b32_e64 v20, 0, 8, vcc_lo
	v_cmp_gt_u32_e32 vcc_lo, 28, v25
	s_delay_alu instid0(VALU_DEP_2)
	v_add_lshl_u32 v21, v20, v25, 2
	ds_bpermute_b32 v20, v21, v18
	ds_bpermute_b32 v21, v21, v19
	s_wait_dscnt 0x0
	v_add_f64_e32 v[18:19], v[18:19], v[20:21]
	v_cndmask_b32_e64 v20, 0, 4, vcc_lo
	v_cmp_gt_u32_e32 vcc_lo, 30, v25
	s_delay_alu instid0(VALU_DEP_2)
	v_add_lshl_u32 v22, v20, v25, 2
	ds_bpermute_b32 v20, v22, v18
	ds_bpermute_b32 v21, v22, v19
	s_wait_dscnt 0x0
	v_add_f64_e32 v[18:19], v[18:19], v[20:21]
	v_cndmask_b32_e64 v20, 0, 2, vcc_lo
	v_cmp_ne_u32_e32 vcc_lo, 31, v25
	s_delay_alu instid0(VALU_DEP_2)
	v_add_lshl_u32 v23, v20, v25, 2
	ds_bpermute_b32 v20, v23, v18
	ds_bpermute_b32 v21, v23, v19
	s_wait_dscnt 0x0
	v_add_f64_e32 v[18:19], v[18:19], v[20:21]
	v_add_co_ci_u32_e64 v20, null, 0, v25, vcc_lo
	s_delay_alu instid0(VALU_DEP_1)
	v_lshlrev_b32_e32 v26, 2, v20
	ds_bpermute_b32 v20, v26, v18
	ds_bpermute_b32 v21, v26, v19
	s_and_saveexec_b32 s33, s4
	s_cbranch_execz .LBB79_19
; %bb.18:                               ;   in Loop: Header=BB79_4 Depth=1
	s_wait_dscnt 0x0
	v_add_f64_e32 v[18:19], v[18:19], v[20:21]
	ds_store_b64 v24, v[18:19]
.LBB79_19:                              ;   in Loop: Header=BB79_4 Depth=1
	s_or_b32 exec_lo, exec_lo, s33
	s_wait_dscnt 0x0
	v_mov_b64_e32 v[20:21], 0
	s_barrier_signal -1
	s_barrier_wait -1
	s_and_saveexec_b32 s33, s5
	s_cbranch_execnz .LBB79_26
; %bb.20:                               ;   in Loop: Header=BB79_4 Depth=1
	s_or_b32 exec_lo, exec_lo, s33
	s_and_saveexec_b32 s33, s3
	s_cbranch_execnz .LBB79_27
.LBB79_21:                              ;   in Loop: Header=BB79_4 Depth=1
	s_or_b32 exec_lo, exec_lo, s33
                                        ; implicit-def: $vgpr18_vgpr19
	s_and_saveexec_b32 s33, s0
	s_cbranch_execnz .LBB79_28
	s_branch .LBB79_31
.LBB79_22:                              ;   in Loop: Header=BB79_4 Depth=1
	s_wait_dscnt 0x0
	v_mad_nc_u64_u32 v[20:21], s12, s24, v[8:9]
	v_mad_nc_u64_u32 v[22:23], s16, s24, v[12:13]
	v_mov_b64_e32 v[18:19], 0
	v_mov_b32_e32 v26, v0
	s_mov_b32 s34, 0
	s_delay_alu instid0(VALU_DEP_4) | instskip(NEXT) | instid1(VALU_DEP_4)
	v_mad_u32 v21, s13, s24, v21
	v_mad_u32 v23, s17, s24, v23
.LBB79_23:                              ;   Parent Loop BB79_4 Depth=1
                                        ; =>  This Inner Loop Header: Depth=2
	global_load_b64 v[28:29], v[20:21], off
	global_load_b64 v[30:31], v[22:23], off
	v_add_nc_u32_e32 v26, 0x100, v26
	s_wait_xcnt 0x1
	v_add_nc_u64_e32 v[20:21], 0x800, v[20:21]
	s_wait_xcnt 0x0
	v_add_nc_u64_e32 v[22:23], s[26:27], v[22:23]
	v_cmp_le_i32_e32 vcc_lo, s14, v26
	s_or_b32 s34, vcc_lo, s34
	s_wait_loadcnt 0x0
	v_fmac_f64_e32 v[18:19], v[28:29], v[30:31]
	s_and_not1_b32 exec_lo, exec_lo, s34
	s_cbranch_execnz .LBB79_23
; %bb.24:                               ;   in Loop: Header=BB79_4 Depth=1
	s_or_b32 exec_lo, exec_lo, s34
	s_delay_alu instid0(SALU_CYCLE_1)
	s_or_b32 exec_lo, exec_lo, s33
	s_and_saveexec_b32 s33, s2
	s_cbranch_execz .LBB79_15
.LBB79_25:                              ;   in Loop: Header=BB79_4 Depth=1
	s_mul_u64 s[34:35], s[18:19], s[24:25]
	s_mul_u64 s[36:37], s[38:39], s[24:25]
	s_wait_dscnt 0x0
	v_lshl_add_u64 v[20:21], s[34:35], 3, v[6:7]
	s_lshl_b64 s[34:35], s[36:37], 3
	s_delay_alu instid0(SALU_CYCLE_1) | instskip(NEXT) | instid1(SALU_CYCLE_1)
	s_add_nc_u64 s[34:35], s[20:21], s[34:35]
	v_lshl_add_u64 v[22:23], v[4:5], 3, s[34:35]
	s_delay_alu instid0(VALU_DEP_2)
	v_lshl_add_u64 v[20:21], s[14:15], 3, v[20:21]
	global_load_b64 v[26:27], v[20:21], off
	global_load_b64 v[28:29], v[22:23], off
	s_wait_loadcnt 0x0
	v_fmac_f64_e32 v[18:19], v[26:27], v[28:29]
	s_wait_xcnt 0x0
	s_or_b32 exec_lo, exec_lo, s33
	s_and_saveexec_b32 s33, s3
	s_cbranch_execnz .LBB79_16
	s_branch .LBB79_17
.LBB79_26:                              ;   in Loop: Header=BB79_4 Depth=1
	ds_load_b64 v[20:21], v1
	s_or_b32 exec_lo, exec_lo, s33
	s_and_saveexec_b32 s33, s3
	s_cbranch_execz .LBB79_21
.LBB79_27:                              ;   in Loop: Header=BB79_4 Depth=1
	s_wait_dscnt 0x0
	ds_bpermute_b32 v18, v22, v20
	ds_bpermute_b32 v19, v22, v21
	s_wait_dscnt 0x0
	v_add_f64_e32 v[18:19], v[20:21], v[18:19]
	ds_bpermute_b32 v20, v23, v18
	ds_bpermute_b32 v21, v23, v19
	s_wait_dscnt 0x0
	v_add_f64_e32 v[18:19], v[18:19], v[20:21]
	;; [unrolled: 4-line block ×3, first 2 shown]
	s_or_b32 exec_lo, exec_lo, s33
                                        ; implicit-def: $vgpr18_vgpr19
	s_and_saveexec_b32 s33, s0
	s_cbranch_execz .LBB79_31
.LBB79_28:                              ;   in Loop: Header=BB79_4 Depth=1
	v_cmp_eq_f64_e32 vcc_lo, 0, v[14:15]
	s_wait_dscnt 0x0
	s_delay_alu instid0(VALU_DEP_2)
	v_mul_f64_e32 v[18:19], v[16:17], v[20:21]
	s_cbranch_vccnz .LBB79_30
; %bb.29:                               ;   in Loop: Header=BB79_4 Depth=1
	s_add_nc_u64 s[34:35], s[6:7], s[28:29]
	global_load_b64 v[16:17], v3, s[34:35]
	s_wait_loadcnt 0x0
	v_fmac_f64_e32 v[18:19], v[14:15], v[16:17]
.LBB79_30:                              ;   in Loop: Header=BB79_4 Depth=1
	s_or_b32 s31, s31, exec_lo
.LBB79_31:                              ;   in Loop: Header=BB79_4 Depth=1
	s_wait_xcnt 0x0
	s_or_b32 exec_lo, exec_lo, s33
.LBB79_32:                              ;   in Loop: Header=BB79_4 Depth=1
	s_wait_xcnt 0x0
	s_and_saveexec_b32 s33, s31
	s_cbranch_execz .LBB79_2
; %bb.33:                               ;   in Loop: Header=BB79_4 Depth=1
	s_add_nc_u64 s[6:7], s[6:7], s[28:29]
	global_store_b64 v3, v[18:19], s[6:7]
	s_branch .LBB79_2
.LBB79_34:
	s_endpgm
	.section	.rodata,"a",@progbits
	.p2align	6, 0x0
	.amdhsa_kernel _ZL32rocblas_gemvt_warp_reduce_kernelILb0ELi256EldPKddEviiT3_lPKT2_lT1_lS5_lS6_lS2_lPT4_lS6_li
		.amdhsa_group_segment_fixed_size 256
		.amdhsa_private_segment_fixed_size 0
		.amdhsa_kernarg_size 140
		.amdhsa_user_sgpr_count 2
		.amdhsa_user_sgpr_dispatch_ptr 0
		.amdhsa_user_sgpr_queue_ptr 0
		.amdhsa_user_sgpr_kernarg_segment_ptr 1
		.amdhsa_user_sgpr_dispatch_id 0
		.amdhsa_user_sgpr_kernarg_preload_length 0
		.amdhsa_user_sgpr_kernarg_preload_offset 0
		.amdhsa_user_sgpr_private_segment_size 0
		.amdhsa_wavefront_size32 1
		.amdhsa_uses_dynamic_stack 0
		.amdhsa_enable_private_segment 0
		.amdhsa_system_sgpr_workgroup_id_x 1
		.amdhsa_system_sgpr_workgroup_id_y 0
		.amdhsa_system_sgpr_workgroup_id_z 1
		.amdhsa_system_sgpr_workgroup_info 0
		.amdhsa_system_vgpr_workitem_id 0
		.amdhsa_next_free_vgpr 32
		.amdhsa_next_free_sgpr 52
		.amdhsa_named_barrier_count 0
		.amdhsa_reserve_vcc 1
		.amdhsa_float_round_mode_32 0
		.amdhsa_float_round_mode_16_64 0
		.amdhsa_float_denorm_mode_32 3
		.amdhsa_float_denorm_mode_16_64 3
		.amdhsa_fp16_overflow 0
		.amdhsa_memory_ordered 1
		.amdhsa_forward_progress 1
		.amdhsa_inst_pref_size 12
		.amdhsa_round_robin_scheduling 0
		.amdhsa_exception_fp_ieee_invalid_op 0
		.amdhsa_exception_fp_denorm_src 0
		.amdhsa_exception_fp_ieee_div_zero 0
		.amdhsa_exception_fp_ieee_overflow 0
		.amdhsa_exception_fp_ieee_underflow 0
		.amdhsa_exception_fp_ieee_inexact 0
		.amdhsa_exception_int_div_zero 0
	.end_amdhsa_kernel
	.section	.text._ZL32rocblas_gemvt_warp_reduce_kernelILb0ELi256EldPKddEviiT3_lPKT2_lT1_lS5_lS6_lS2_lPT4_lS6_li,"axG",@progbits,_ZL32rocblas_gemvt_warp_reduce_kernelILb0ELi256EldPKddEviiT3_lPKT2_lT1_lS5_lS6_lS2_lPT4_lS6_li,comdat
.Lfunc_end79:
	.size	_ZL32rocblas_gemvt_warp_reduce_kernelILb0ELi256EldPKddEviiT3_lPKT2_lT1_lS5_lS6_lS2_lPT4_lS6_li, .Lfunc_end79-_ZL32rocblas_gemvt_warp_reduce_kernelILb0ELi256EldPKddEviiT3_lPKT2_lT1_lS5_lS6_lS2_lPT4_lS6_li
                                        ; -- End function
	.set _ZL32rocblas_gemvt_warp_reduce_kernelILb0ELi256EldPKddEviiT3_lPKT2_lT1_lS5_lS6_lS2_lPT4_lS6_li.num_vgpr, 32
	.set _ZL32rocblas_gemvt_warp_reduce_kernelILb0ELi256EldPKddEviiT3_lPKT2_lT1_lS5_lS6_lS2_lPT4_lS6_li.num_agpr, 0
	.set _ZL32rocblas_gemvt_warp_reduce_kernelILb0ELi256EldPKddEviiT3_lPKT2_lT1_lS5_lS6_lS2_lPT4_lS6_li.numbered_sgpr, 52
	.set _ZL32rocblas_gemvt_warp_reduce_kernelILb0ELi256EldPKddEviiT3_lPKT2_lT1_lS5_lS6_lS2_lPT4_lS6_li.num_named_barrier, 0
	.set _ZL32rocblas_gemvt_warp_reduce_kernelILb0ELi256EldPKddEviiT3_lPKT2_lT1_lS5_lS6_lS2_lPT4_lS6_li.private_seg_size, 0
	.set _ZL32rocblas_gemvt_warp_reduce_kernelILb0ELi256EldPKddEviiT3_lPKT2_lT1_lS5_lS6_lS2_lPT4_lS6_li.uses_vcc, 1
	.set _ZL32rocblas_gemvt_warp_reduce_kernelILb0ELi256EldPKddEviiT3_lPKT2_lT1_lS5_lS6_lS2_lPT4_lS6_li.uses_flat_scratch, 0
	.set _ZL32rocblas_gemvt_warp_reduce_kernelILb0ELi256EldPKddEviiT3_lPKT2_lT1_lS5_lS6_lS2_lPT4_lS6_li.has_dyn_sized_stack, 0
	.set _ZL32rocblas_gemvt_warp_reduce_kernelILb0ELi256EldPKddEviiT3_lPKT2_lT1_lS5_lS6_lS2_lPT4_lS6_li.has_recursion, 0
	.set _ZL32rocblas_gemvt_warp_reduce_kernelILb0ELi256EldPKddEviiT3_lPKT2_lT1_lS5_lS6_lS2_lPT4_lS6_li.has_indirect_call, 0
	.section	.AMDGPU.csdata,"",@progbits
; Kernel info:
; codeLenInByte = 1452
; TotalNumSgprs: 54
; NumVgprs: 32
; ScratchSize: 0
; MemoryBound: 0
; FloatMode: 240
; IeeeMode: 1
; LDSByteSize: 256 bytes/workgroup (compile time only)
; SGPRBlocks: 0
; VGPRBlocks: 1
; NumSGPRsForWavesPerEU: 54
; NumVGPRsForWavesPerEU: 32
; NamedBarCnt: 0
; Occupancy: 16
; WaveLimiterHint : 0
; COMPUTE_PGM_RSRC2:SCRATCH_EN: 0
; COMPUTE_PGM_RSRC2:USER_SGPR: 2
; COMPUTE_PGM_RSRC2:TRAP_HANDLER: 0
; COMPUTE_PGM_RSRC2:TGID_X_EN: 1
; COMPUTE_PGM_RSRC2:TGID_Y_EN: 0
; COMPUTE_PGM_RSRC2:TGID_Z_EN: 1
; COMPUTE_PGM_RSRC2:TIDIG_COMP_CNT: 0
	.section	.text._ZL32rocblas_gemvt_warp_reduce_kernelILb0ELi256EidddEviiT3_lPKT2_lT1_lS3_lS4_lS0_lPT4_lS4_li,"axG",@progbits,_ZL32rocblas_gemvt_warp_reduce_kernelILb0ELi256EidddEviiT3_lPKT2_lT1_lS3_lS4_lS0_lPT4_lS4_li,comdat
	.globl	_ZL32rocblas_gemvt_warp_reduce_kernelILb0ELi256EidddEviiT3_lPKT2_lT1_lS3_lS4_lS0_lPT4_lS4_li ; -- Begin function _ZL32rocblas_gemvt_warp_reduce_kernelILb0ELi256EidddEviiT3_lPKT2_lT1_lS3_lS4_lS0_lPT4_lS4_li
	.p2align	8
	.type	_ZL32rocblas_gemvt_warp_reduce_kernelILb0ELi256EidddEviiT3_lPKT2_lT1_lS3_lS4_lS0_lPT4_lS4_li,@function
_ZL32rocblas_gemvt_warp_reduce_kernelILb0ELi256EidddEviiT3_lPKT2_lT1_lS3_lS4_lS0_lPT4_lS4_li: ; @_ZL32rocblas_gemvt_warp_reduce_kernelILb0ELi256EidddEviiT3_lPKT2_lT1_lS3_lS4_lS0_lPT4_lS4_li
; %bb.0:
	s_load_b32 s33, s[0:1], 0x88
	s_bfe_u32 s2, ttmp6, 0x40014
	s_lshr_b32 s3, ttmp7, 16
	s_add_co_i32 s2, s2, 1
	s_bfe_u32 s4, ttmp6, 0x40008
	s_mul_i32 s2, s3, s2
	s_getreg_b32 s23, hwreg(HW_REG_IB_STS2, 6, 4)
	s_add_co_i32 s4, s4, s2
	s_cmp_eq_u32 s23, 0
	s_mov_b32 s25, 0
	s_cselect_b32 s24, s3, s4
	s_wait_kmcnt 0x0
	s_cmp_ge_u32 s24, s33
	s_cbranch_scc1 .LBB80_34
; %bb.1:
	s_clause 0x9
	s_load_b64 s[26:27], s[0:1], 0x8
	s_load_b128 s[8:11], s[0:1], 0x50
	s_load_b128 s[4:7], s[0:1], 0x68
	s_load_b32 s37, s[0:1], 0x0
	s_load_b128 s[12:15], s[0:1], 0x30
	s_load_b96 s[20:22], s[0:1], 0x40
	s_load_b128 s[16:19], s[0:1], 0x18
	s_load_b32 s40, s[0:1], 0x28
	s_load_b32 s41, s[0:1], 0x78
	s_load_b64 s[28:29], s[0:1], 0x80
	s_bfe_u32 s3, ttmp6, 0x4000c
	s_and_b32 s30, ttmp6, 15
	s_add_co_i32 s3, s3, 1
	v_dual_mov_b32 v3, 0 :: v_dual_bitop2_b32 v2, 31, v0 bitop3:0x40
	s_mul_i32 s31, ttmp9, s3
	v_lshrrev_b32_e32 v6, 2, v0
	s_add_co_i32 s42, s30, s31
	v_mbcnt_lo_u32_b32 v1, -1, 0
	v_lshlrev_b32_e32 v16, 3, v2
	v_cmp_eq_u32_e64 s3, 0, v2
	v_mov_b64_e32 v[4:5], 0
	s_wait_xcnt 0x0
	v_cmp_eq_u32_e64 s0, 0, v0
	s_wait_kmcnt 0x0
	v_cmp_gt_i32_e32 vcc_lo, s37, v0
	v_and_b32_e32 v17, 56, v6
	s_lshl_b64 s[20:21], s[20:21], 3
	v_cmp_neq_f64_e64 s35, s[26:27], 0
	v_cmp_neq_f64_e64 s36, s[10:11], 1.0
	s_lshl_b64 s[30:31], s[6:7], 3
	s_lshl_b64 s[38:39], s[18:19], 3
	v_cmp_eq_f64_e64 s34, s[26:27], 0
	v_cndmask_b32_e32 v2, 0, v0, vcc_lo
	s_add_nc_u64 s[6:7], s[14:15], s[20:21]
	v_mul_lo_u32 v18, v0, s22
	v_cmp_gt_u32_e64 s1, 32, v0
	v_cmp_gt_u32_e64 s2, 8, v0
	s_or_b32 s35, s35, s36
	v_cmp_neq_f64_e64 s36, s[10:11], 0
	s_cmp_eq_u32 s23, 0
	s_cselect_b32 s19, ttmp9, s42
	s_ashr_i32 s18, s37, 31
	s_mul_i32 s20, s41, s19
	s_lshr_b32 s14, s18, 24
	s_ashr_i32 s21, s20, 31
	s_add_co_i32 s18, s37, s14
	s_add_nc_u64 s[14:15], s[4:5], s[30:31]
	s_and_b32 s18, s18, 0xffffff00
	s_delay_alu instid0(SALU_CYCLE_1) | instskip(SKIP_2) | instid1(VALU_DEP_1)
	v_dual_lshlrev_b32 v2, 3, v2 :: v_dual_bitop2_b32 v7, s18, v0 bitop3:0x54
	s_add_nc_u64 s[4:5], s[16:17], s[38:39]
	s_lshl_b64 s[20:21], s[20:21], 3
	v_add_nc_u64_e32 v[8:9], s[4:5], v[2:3]
	s_mul_i32 s4, s40, s19
	v_mul_lo_u32 v6, s22, v7
	s_ashr_i32 s5, s4, 31
	s_ashr_i32 s19, s18, 31
	s_lshl_b64 s[4:5], s[4:5], 3
	s_delay_alu instid0(SALU_CYCLE_1)
	s_add_nc_u64 s[30:31], s[38:39], s[4:5]
	v_add_nc_u64_e32 v[8:9], s[4:5], v[8:9]
	s_add_nc_u64 s[16:17], s[16:17], s[30:31]
	v_cmp_gt_i32_e64 s4, s18, v0
	v_add_nc_u64_e32 v[10:11], s[16:17], v[2:3]
	v_cmp_gt_i32_e64 s5, s37, v7
	v_ashrrev_i32_e32 v7, 31, v6
	v_lshl_or_b32 v2, v1, 2, 64
	s_lshl_b64 s[16:17], s[12:13], 3
	s_lshl_b32 s37, s22, 8
	s_branch .LBB80_4
.LBB80_2:                               ;   in Loop: Header=BB80_4 Depth=1
	s_wait_xcnt 0x0
	s_or_b32 exec_lo, exec_lo, s30
.LBB80_3:                               ;   in Loop: Header=BB80_4 Depth=1
	s_add_co_i32 s24, s24, 0x10000
	s_delay_alu instid0(SALU_CYCLE_1)
	s_cmp_lt_u32 s24, s33
	s_cbranch_scc0 .LBB80_34
.LBB80_4:                               ; =>This Loop Header: Depth=1
                                        ;     Child Loop BB80_23 Depth 2
	s_and_not1_b32 vcc_lo, exec_lo, s35
	s_cbranch_vccnz .LBB80_3
; %bb.5:                                ;   in Loop: Header=BB80_4 Depth=1
	s_mul_u64 s[22:23], s[28:29], s[24:25]
	s_and_not1_b32 vcc_lo, exec_lo, s34
	s_lshl_b64 s[22:23], s[22:23], 3
	s_delay_alu instid0(SALU_CYCLE_1)
	s_add_nc_u64 s[22:23], s[14:15], s[22:23]
	s_cbranch_vccnz .LBB80_9
; %bb.6:                                ;   in Loop: Header=BB80_4 Depth=1
	s_mov_b32 s30, 0
	s_mov_b32 s38, 0
                                        ; implicit-def: $vgpr12_vgpr13
	s_and_saveexec_b32 s31, s0
	s_cbranch_execz .LBB80_10
; %bb.7:                                ;   in Loop: Header=BB80_4 Depth=1
	s_and_not1_b32 vcc_lo, exec_lo, s36
	s_cbranch_vccnz .LBB80_11
; %bb.8:                                ;   in Loop: Header=BB80_4 Depth=1
	s_add_nc_u64 s[38:39], s[22:23], s[20:21]
	global_load_b64 v[12:13], v3, s[38:39]
	s_wait_loadcnt 0x0
	v_mul_f64_e32 v[12:13], s[10:11], v[12:13]
	s_branch .LBB80_12
.LBB80_9:                               ;   in Loop: Header=BB80_4 Depth=1
	s_mov_b32 s38, 0
                                        ; implicit-def: $vgpr12_vgpr13
	s_cbranch_execnz .LBB80_13
	s_branch .LBB80_32
.LBB80_10:                              ;   in Loop: Header=BB80_4 Depth=1
	s_or_b32 exec_lo, exec_lo, s31
	s_delay_alu instid0(SALU_CYCLE_1)
	s_and_b32 vcc_lo, exec_lo, s30
	s_cbranch_vccnz .LBB80_13
	s_branch .LBB80_32
.LBB80_11:                              ;   in Loop: Header=BB80_4 Depth=1
	v_mov_b64_e32 v[12:13], 0
.LBB80_12:                              ;   in Loop: Header=BB80_4 Depth=1
	s_wait_xcnt 0x0
	s_mov_b32 s38, exec_lo
	s_or_b32 exec_lo, exec_lo, s31
	s_delay_alu instid0(SALU_CYCLE_1)
	s_and_b32 vcc_lo, exec_lo, s30
	s_cbranch_vccz .LBB80_32
.LBB80_13:                              ;   in Loop: Header=BB80_4 Depth=1
	v_mov_b64_e32 v[12:13], 0
	s_mul_u64 s[30:31], s[8:9], s[24:25]
	s_delay_alu instid0(SALU_CYCLE_1) | instskip(NEXT) | instid1(SALU_CYCLE_1)
	s_lshl_b64 s[30:31], s[30:31], 3
	s_add_nc_u64 s[30:31], s[6:7], s[30:31]
	s_and_saveexec_b32 s39, s4
	s_cbranch_execnz .LBB80_22
; %bb.14:                               ;   in Loop: Header=BB80_4 Depth=1
	s_or_b32 exec_lo, exec_lo, s39
	s_and_saveexec_b32 s39, s5
	s_cbranch_execnz .LBB80_25
.LBB80_15:                              ;   in Loop: Header=BB80_4 Depth=1
	s_or_b32 exec_lo, exec_lo, s39
	s_and_saveexec_b32 s30, s1
.LBB80_16:                              ;   in Loop: Header=BB80_4 Depth=1
	ds_store_b64 v16, v[4:5]
.LBB80_17:                              ;   in Loop: Header=BB80_4 Depth=1
	s_or_b32 exec_lo, exec_lo, s30
	s_wait_dscnt 0x0
	ds_bpermute_b32 v14, v2, v12
	ds_bpermute_b32 v15, v2, v13
	v_cmp_gt_u32_e32 vcc_lo, 24, v1
	s_wait_dscnt 0x0
	s_barrier_signal -1
	s_barrier_wait -1
	v_add_f64_e32 v[12:13], v[12:13], v[14:15]
	v_cndmask_b32_e64 v14, 0, 8, vcc_lo
	v_cmp_gt_u32_e32 vcc_lo, 28, v1
	s_delay_alu instid0(VALU_DEP_2)
	v_add_lshl_u32 v15, v14, v1, 2
	ds_bpermute_b32 v14, v15, v12
	ds_bpermute_b32 v15, v15, v13
	s_wait_dscnt 0x0
	v_add_f64_e32 v[12:13], v[12:13], v[14:15]
	v_cndmask_b32_e64 v14, 0, 4, vcc_lo
	v_cmp_gt_u32_e32 vcc_lo, 30, v1
	s_delay_alu instid0(VALU_DEP_2)
	v_add_lshl_u32 v19, v14, v1, 2
	ds_bpermute_b32 v14, v19, v12
	ds_bpermute_b32 v15, v19, v13
	s_wait_dscnt 0x0
	v_add_f64_e32 v[12:13], v[12:13], v[14:15]
	v_cndmask_b32_e64 v14, 0, 2, vcc_lo
	v_cmp_ne_u32_e32 vcc_lo, 31, v1
	s_delay_alu instid0(VALU_DEP_2)
	v_add_lshl_u32 v20, v14, v1, 2
	ds_bpermute_b32 v14, v20, v12
	ds_bpermute_b32 v15, v20, v13
	s_wait_dscnt 0x0
	v_add_f64_e32 v[12:13], v[12:13], v[14:15]
	v_add_co_ci_u32_e64 v14, null, 0, v1, vcc_lo
	s_delay_alu instid0(VALU_DEP_1)
	v_lshlrev_b32_e32 v21, 2, v14
	ds_bpermute_b32 v14, v21, v12
	ds_bpermute_b32 v15, v21, v13
	s_and_saveexec_b32 s30, s3
	s_cbranch_execz .LBB80_19
; %bb.18:                               ;   in Loop: Header=BB80_4 Depth=1
	s_wait_dscnt 0x0
	v_add_f64_e32 v[12:13], v[12:13], v[14:15]
	ds_store_b64 v17, v[12:13]
.LBB80_19:                              ;   in Loop: Header=BB80_4 Depth=1
	s_or_b32 exec_lo, exec_lo, s30
	s_wait_dscnt 0x0
	v_mov_b64_e32 v[14:15], 0
	s_barrier_signal -1
	s_barrier_wait -1
	s_and_saveexec_b32 s30, s2
	s_cbranch_execnz .LBB80_26
; %bb.20:                               ;   in Loop: Header=BB80_4 Depth=1
	s_or_b32 exec_lo, exec_lo, s30
	s_and_saveexec_b32 s30, s1
	s_cbranch_execnz .LBB80_27
.LBB80_21:                              ;   in Loop: Header=BB80_4 Depth=1
	s_or_b32 exec_lo, exec_lo, s30
                                        ; implicit-def: $vgpr12_vgpr13
	s_and_saveexec_b32 s30, s0
	s_cbranch_execnz .LBB80_28
	s_branch .LBB80_31
.LBB80_22:                              ;   in Loop: Header=BB80_4 Depth=1
	s_wait_dscnt 0x0
	v_mad_nc_u64_u32 v[14:15], s16, s24, v[10:11]
	v_mov_b64_e32 v[12:13], 0
	v_dual_mov_b32 v19, v18 :: v_dual_mov_b32 v20, v0
	s_mov_b32 s40, 0
	s_delay_alu instid0(VALU_DEP_3)
	v_mad_u32 v15, s17, s24, v15
.LBB80_23:                              ;   Parent Loop BB80_4 Depth=1
                                        ; =>  This Inner Loop Header: Depth=2
	global_load_b64 v[22:23], v[14:15], off
	global_load_b64 v[24:25], v19, s[30:31] scale_offset
	v_add_nc_u32_e32 v20, 0x100, v20
	s_wait_xcnt 0x1
	v_add_nc_u64_e32 v[14:15], 0x800, v[14:15]
	s_wait_xcnt 0x0
	v_add_nc_u32_e32 v19, s37, v19
	v_cmp_le_i32_e32 vcc_lo, s18, v20
	s_or_b32 s40, vcc_lo, s40
	s_wait_loadcnt 0x0
	v_fmac_f64_e32 v[12:13], v[22:23], v[24:25]
	s_and_not1_b32 exec_lo, exec_lo, s40
	s_cbranch_execnz .LBB80_23
; %bb.24:                               ;   in Loop: Header=BB80_4 Depth=1
	s_or_b32 exec_lo, exec_lo, s40
	s_delay_alu instid0(SALU_CYCLE_1)
	s_or_b32 exec_lo, exec_lo, s39
	s_and_saveexec_b32 s39, s5
	s_cbranch_execz .LBB80_15
.LBB80_25:                              ;   in Loop: Header=BB80_4 Depth=1
	s_mul_u64 s[40:41], s[12:13], s[24:25]
	v_lshl_add_u64 v[20:21], v[6:7], 3, s[30:31]
	s_wait_dscnt 0x0
	v_lshl_add_u64 v[14:15], s[40:41], 3, v[8:9]
	s_delay_alu instid0(VALU_DEP_1)
	v_lshl_add_u64 v[14:15], s[18:19], 3, v[14:15]
	global_load_b64 v[22:23], v[14:15], off
	global_load_b64 v[24:25], v[20:21], off
	s_wait_loadcnt 0x0
	v_fmac_f64_e32 v[12:13], v[22:23], v[24:25]
	s_wait_xcnt 0x0
	s_or_b32 exec_lo, exec_lo, s39
	s_and_saveexec_b32 s30, s1
	s_cbranch_execnz .LBB80_16
	s_branch .LBB80_17
.LBB80_26:                              ;   in Loop: Header=BB80_4 Depth=1
	ds_load_b64 v[14:15], v16
	s_or_b32 exec_lo, exec_lo, s30
	s_and_saveexec_b32 s30, s1
	s_cbranch_execz .LBB80_21
.LBB80_27:                              ;   in Loop: Header=BB80_4 Depth=1
	s_wait_dscnt 0x0
	ds_bpermute_b32 v12, v19, v14
	ds_bpermute_b32 v13, v19, v15
	s_wait_dscnt 0x0
	v_add_f64_e32 v[12:13], v[14:15], v[12:13]
	ds_bpermute_b32 v14, v20, v12
	ds_bpermute_b32 v15, v20, v13
	s_wait_dscnt 0x0
	v_add_f64_e32 v[12:13], v[12:13], v[14:15]
	;; [unrolled: 4-line block ×3, first 2 shown]
	s_or_b32 exec_lo, exec_lo, s30
                                        ; implicit-def: $vgpr12_vgpr13
	s_and_saveexec_b32 s30, s0
	s_cbranch_execz .LBB80_31
.LBB80_28:                              ;   in Loop: Header=BB80_4 Depth=1
	s_wait_dscnt 0x0
	s_delay_alu instid0(VALU_DEP_1)
	v_mul_f64_e32 v[12:13], s[26:27], v[14:15]
	s_and_not1_b32 vcc_lo, exec_lo, s36
	s_cbranch_vccnz .LBB80_30
; %bb.29:                               ;   in Loop: Header=BB80_4 Depth=1
	s_add_nc_u64 s[40:41], s[22:23], s[20:21]
	global_load_b64 v[14:15], v3, s[40:41]
	s_wait_loadcnt 0x0
	v_fmac_f64_e32 v[12:13], s[10:11], v[14:15]
.LBB80_30:                              ;   in Loop: Header=BB80_4 Depth=1
	s_or_b32 s38, s38, exec_lo
.LBB80_31:                              ;   in Loop: Header=BB80_4 Depth=1
	s_wait_xcnt 0x0
	s_or_b32 exec_lo, exec_lo, s30
.LBB80_32:                              ;   in Loop: Header=BB80_4 Depth=1
	s_and_saveexec_b32 s30, s38
	s_cbranch_execz .LBB80_2
; %bb.33:                               ;   in Loop: Header=BB80_4 Depth=1
	s_add_nc_u64 s[22:23], s[22:23], s[20:21]
	global_store_b64 v3, v[12:13], s[22:23]
	s_branch .LBB80_2
.LBB80_34:
	s_endpgm
	.section	.rodata,"a",@progbits
	.p2align	6, 0x0
	.amdhsa_kernel _ZL32rocblas_gemvt_warp_reduce_kernelILb0ELi256EidddEviiT3_lPKT2_lT1_lS3_lS4_lS0_lPT4_lS4_li
		.amdhsa_group_segment_fixed_size 256
		.amdhsa_private_segment_fixed_size 0
		.amdhsa_kernarg_size 140
		.amdhsa_user_sgpr_count 2
		.amdhsa_user_sgpr_dispatch_ptr 0
		.amdhsa_user_sgpr_queue_ptr 0
		.amdhsa_user_sgpr_kernarg_segment_ptr 1
		.amdhsa_user_sgpr_dispatch_id 0
		.amdhsa_user_sgpr_kernarg_preload_length 0
		.amdhsa_user_sgpr_kernarg_preload_offset 0
		.amdhsa_user_sgpr_private_segment_size 0
		.amdhsa_wavefront_size32 1
		.amdhsa_uses_dynamic_stack 0
		.amdhsa_enable_private_segment 0
		.amdhsa_system_sgpr_workgroup_id_x 1
		.amdhsa_system_sgpr_workgroup_id_y 0
		.amdhsa_system_sgpr_workgroup_id_z 1
		.amdhsa_system_sgpr_workgroup_info 0
		.amdhsa_system_vgpr_workitem_id 0
		.amdhsa_next_free_vgpr 26
		.amdhsa_next_free_sgpr 43
		.amdhsa_named_barrier_count 0
		.amdhsa_reserve_vcc 1
		.amdhsa_float_round_mode_32 0
		.amdhsa_float_round_mode_16_64 0
		.amdhsa_float_denorm_mode_32 3
		.amdhsa_float_denorm_mode_16_64 3
		.amdhsa_fp16_overflow 0
		.amdhsa_memory_ordered 1
		.amdhsa_forward_progress 1
		.amdhsa_inst_pref_size 12
		.amdhsa_round_robin_scheduling 0
		.amdhsa_exception_fp_ieee_invalid_op 0
		.amdhsa_exception_fp_denorm_src 0
		.amdhsa_exception_fp_ieee_div_zero 0
		.amdhsa_exception_fp_ieee_overflow 0
		.amdhsa_exception_fp_ieee_underflow 0
		.amdhsa_exception_fp_ieee_inexact 0
		.amdhsa_exception_int_div_zero 0
	.end_amdhsa_kernel
	.section	.text._ZL32rocblas_gemvt_warp_reduce_kernelILb0ELi256EidddEviiT3_lPKT2_lT1_lS3_lS4_lS0_lPT4_lS4_li,"axG",@progbits,_ZL32rocblas_gemvt_warp_reduce_kernelILb0ELi256EidddEviiT3_lPKT2_lT1_lS3_lS4_lS0_lPT4_lS4_li,comdat
.Lfunc_end80:
	.size	_ZL32rocblas_gemvt_warp_reduce_kernelILb0ELi256EidddEviiT3_lPKT2_lT1_lS3_lS4_lS0_lPT4_lS4_li, .Lfunc_end80-_ZL32rocblas_gemvt_warp_reduce_kernelILb0ELi256EidddEviiT3_lPKT2_lT1_lS3_lS4_lS0_lPT4_lS4_li
                                        ; -- End function
	.set _ZL32rocblas_gemvt_warp_reduce_kernelILb0ELi256EidddEviiT3_lPKT2_lT1_lS3_lS4_lS0_lPT4_lS4_li.num_vgpr, 26
	.set _ZL32rocblas_gemvt_warp_reduce_kernelILb0ELi256EidddEviiT3_lPKT2_lT1_lS3_lS4_lS0_lPT4_lS4_li.num_agpr, 0
	.set _ZL32rocblas_gemvt_warp_reduce_kernelILb0ELi256EidddEviiT3_lPKT2_lT1_lS3_lS4_lS0_lPT4_lS4_li.numbered_sgpr, 43
	.set _ZL32rocblas_gemvt_warp_reduce_kernelILb0ELi256EidddEviiT3_lPKT2_lT1_lS3_lS4_lS0_lPT4_lS4_li.num_named_barrier, 0
	.set _ZL32rocblas_gemvt_warp_reduce_kernelILb0ELi256EidddEviiT3_lPKT2_lT1_lS3_lS4_lS0_lPT4_lS4_li.private_seg_size, 0
	.set _ZL32rocblas_gemvt_warp_reduce_kernelILb0ELi256EidddEviiT3_lPKT2_lT1_lS3_lS4_lS0_lPT4_lS4_li.uses_vcc, 1
	.set _ZL32rocblas_gemvt_warp_reduce_kernelILb0ELi256EidddEviiT3_lPKT2_lT1_lS3_lS4_lS0_lPT4_lS4_li.uses_flat_scratch, 0
	.set _ZL32rocblas_gemvt_warp_reduce_kernelILb0ELi256EidddEviiT3_lPKT2_lT1_lS3_lS4_lS0_lPT4_lS4_li.has_dyn_sized_stack, 0
	.set _ZL32rocblas_gemvt_warp_reduce_kernelILb0ELi256EidddEviiT3_lPKT2_lT1_lS3_lS4_lS0_lPT4_lS4_li.has_recursion, 0
	.set _ZL32rocblas_gemvt_warp_reduce_kernelILb0ELi256EidddEviiT3_lPKT2_lT1_lS3_lS4_lS0_lPT4_lS4_li.has_indirect_call, 0
	.section	.AMDGPU.csdata,"",@progbits
; Kernel info:
; codeLenInByte = 1420
; TotalNumSgprs: 45
; NumVgprs: 26
; ScratchSize: 0
; MemoryBound: 0
; FloatMode: 240
; IeeeMode: 1
; LDSByteSize: 256 bytes/workgroup (compile time only)
; SGPRBlocks: 0
; VGPRBlocks: 1
; NumSGPRsForWavesPerEU: 45
; NumVGPRsForWavesPerEU: 26
; NamedBarCnt: 0
; Occupancy: 16
; WaveLimiterHint : 0
; COMPUTE_PGM_RSRC2:SCRATCH_EN: 0
; COMPUTE_PGM_RSRC2:USER_SGPR: 2
; COMPUTE_PGM_RSRC2:TRAP_HANDLER: 0
; COMPUTE_PGM_RSRC2:TGID_X_EN: 1
; COMPUTE_PGM_RSRC2:TGID_Y_EN: 0
; COMPUTE_PGM_RSRC2:TGID_Z_EN: 1
; COMPUTE_PGM_RSRC2:TIDIG_COMP_CNT: 0
	.section	.text._ZL32rocblas_gemvt_warp_reduce_kernelILb0ELi256EldddEviiT3_lPKT2_lT1_lS3_lS4_lS0_lPT4_lS4_li,"axG",@progbits,_ZL32rocblas_gemvt_warp_reduce_kernelILb0ELi256EldddEviiT3_lPKT2_lT1_lS3_lS4_lS0_lPT4_lS4_li,comdat
	.globl	_ZL32rocblas_gemvt_warp_reduce_kernelILb0ELi256EldddEviiT3_lPKT2_lT1_lS3_lS4_lS0_lPT4_lS4_li ; -- Begin function _ZL32rocblas_gemvt_warp_reduce_kernelILb0ELi256EldddEviiT3_lPKT2_lT1_lS3_lS4_lS0_lPT4_lS4_li
	.p2align	8
	.type	_ZL32rocblas_gemvt_warp_reduce_kernelILb0ELi256EldddEviiT3_lPKT2_lT1_lS3_lS4_lS0_lPT4_lS4_li,@function
_ZL32rocblas_gemvt_warp_reduce_kernelILb0ELi256EldddEviiT3_lPKT2_lT1_lS3_lS4_lS0_lPT4_lS4_li: ; @_ZL32rocblas_gemvt_warp_reduce_kernelILb0ELi256EldddEviiT3_lPKT2_lT1_lS3_lS4_lS0_lPT4_lS4_li
; %bb.0:
	s_load_b32 s33, s[0:1], 0x88
	s_bfe_u32 s2, ttmp6, 0x40014
	s_lshr_b32 s3, ttmp7, 16
	s_add_co_i32 s2, s2, 1
	s_bfe_u32 s5, ttmp6, 0x40008
	s_mul_i32 s4, s3, s2
	s_getreg_b32 s2, hwreg(HW_REG_IB_STS2, 6, 4)
	s_add_co_i32 s5, s5, s4
	s_cmp_eq_u32 s2, 0
	s_mov_b32 s7, 0
	s_cselect_b32 s6, s3, s5
	s_wait_kmcnt 0x0
	s_cmp_ge_u32 s6, s33
	s_cbranch_scc1 .LBB81_34
; %bb.1:
	s_clause 0x4
	s_load_b64 s[34:35], s[0:1], 0x8
	s_load_b64 s[36:37], s[0:1], 0x58
	s_load_b512 s[8:23], s[0:1], 0x18
	s_load_b256 s[24:31], s[0:1], 0x68
	s_load_b32 s39, s[0:1], 0x0
	s_wait_xcnt 0x0
	s_bfe_u32 s0, ttmp6, 0x4000c
	s_and_b32 s1, ttmp6, 15
	s_add_co_i32 s0, s0, 1
	v_mov_b64_e32 v[12:13], 0
	s_mul_i32 s0, ttmp9, s0
	s_delay_alu instid0(SALU_CYCLE_1)
	s_add_co_i32 s40, s1, s0
	s_wait_kmcnt 0x0
	s_lshl_b64 s[0:1], s[18:19], 3
	v_cmp_neq_f64_e64 s3, s[34:35], 0
	v_cmp_neq_f64_e64 s38, s[36:37], 1.0
	s_lshl_b64 s[4:5], s[26:27], 3
	s_lshl_b64 s[26:27], s[10:11], 3
	v_cmp_gt_i32_e32 vcc_lo, s39, v0
	v_mov_b32_e32 v3, 0
	s_add_nc_u64 s[18:19], s[24:25], s[4:5]
	s_add_nc_u64 s[16:17], s[16:17], s[0:1]
	;; [unrolled: 1-line block ×3, first 2 shown]
	v_cndmask_b32_e32 v2, 0, v0, vcc_lo
	s_or_b32 s38, s3, s38
	s_cmp_eq_u32 s2, 0
	s_cselect_b32 s2, ttmp9, s40
	s_ashr_i32 s3, s39, 31
	s_delay_alu instid0(SALU_CYCLE_1) | instskip(NEXT) | instid1(SALU_CYCLE_1)
	s_lshr_b32 s3, s3, 24
	s_add_co_i32 s3, s39, s3
	s_delay_alu instid0(SALU_CYCLE_1) | instskip(NEXT) | instid1(SALU_CYCLE_1)
	s_and_b32 s10, s3, 0xffffff00
	v_dual_mov_b32 v1, v3 :: v_dual_bitop2_b32 v8, s10, v0 bitop3:0x54
	v_lshlrev_b32_e32 v2, 3, v2
	s_ashr_i32 s3, s2, 31
	s_ashr_i32 s11, s10, 31
	s_delay_alu instid0(VALU_DEP_2)
	v_mul_u64_e32 v[10:11], s[20:21], v[0:1]
	v_ashrrev_i32_e32 v9, 31, v8
	s_mul_u64 s[24:25], s[28:29], s[2:3]
	v_cmp_eq_f64_e64 s28, s[34:35], 0
	v_cmp_neq_f64_e64 s29, s[36:37], 0
	v_add_nc_u64_e32 v[6:7], s[0:1], v[2:3]
	v_mul_u64_e32 v[4:5], s[20:21], v[8:9]
	s_mul_u64 s[4:5], s[12:13], s[2:3]
	v_and_b32_e32 v9, 31, v0
	s_lshl_b64 s[12:13], s[4:5], 3
	v_cmp_gt_i32_e64 s2, s39, v8
	v_lshrrev_b32_e32 v8, 2, v0
	v_add_nc_u64_e32 v[6:7], s[12:13], v[6:7]
	s_add_nc_u64 s[12:13], s[12:13], s[26:27]
	v_lshlrev_b32_e32 v1, 3, v9
	s_add_nc_u64 s[8:9], s[8:9], s[12:13]
	v_cmp_eq_u32_e64 s4, 0, v9
	v_and_b32_e32 v20, 56, v8
	v_add_nc_u64_e32 v[8:9], s[8:9], v[2:3]
	v_mbcnt_lo_u32_b32 v2, -1, 0
	v_cmp_eq_u32_e64 s0, 0, v0
	v_cmp_gt_i32_e64 s1, s10, v0
	v_cmp_gt_u32_e64 s3, 32, v0
	v_cmp_gt_u32_e64 s5, 8, v0
	v_lshl_or_b32 v21, v2, 2, 64
	s_lshl_b64 s[8:9], s[14:15], 3
	s_lshl_b64 s[12:13], s[22:23], 3
	;; [unrolled: 1-line block ×4, first 2 shown]
	v_lshl_add_u64 v[10:11], v[10:11], 3, s[16:17]
	s_branch .LBB81_4
.LBB81_2:                               ;   in Loop: Header=BB81_4 Depth=1
	s_wait_xcnt 0x0
	s_or_b32 exec_lo, exec_lo, s40
.LBB81_3:                               ;   in Loop: Header=BB81_4 Depth=1
	s_add_co_i32 s6, s6, 0x10000
	s_delay_alu instid0(SALU_CYCLE_1)
	s_cmp_lt_u32 s6, s33
	s_cbranch_scc0 .LBB81_34
.LBB81_4:                               ; =>This Loop Header: Depth=1
                                        ;     Child Loop BB81_23 Depth 2
	s_and_not1_b32 vcc_lo, exec_lo, s38
	s_cbranch_vccnz .LBB81_3
; %bb.5:                                ;   in Loop: Header=BB81_4 Depth=1
	s_mul_u64 s[26:27], s[30:31], s[6:7]
	s_and_not1_b32 vcc_lo, exec_lo, s28
	s_lshl_b64 s[26:27], s[26:27], 3
	s_delay_alu instid0(SALU_CYCLE_1)
	s_add_nc_u64 s[26:27], s[18:19], s[26:27]
	s_cbranch_vccnz .LBB81_9
; %bb.6:                                ;   in Loop: Header=BB81_4 Depth=1
	s_mov_b32 s40, 0
	s_mov_b32 s39, 0
                                        ; implicit-def: $vgpr14_vgpr15
	s_and_saveexec_b32 s41, s0
	s_cbranch_execz .LBB81_10
; %bb.7:                                ;   in Loop: Header=BB81_4 Depth=1
	s_and_not1_b32 vcc_lo, exec_lo, s29
	s_cbranch_vccnz .LBB81_11
; %bb.8:                                ;   in Loop: Header=BB81_4 Depth=1
	s_add_nc_u64 s[42:43], s[26:27], s[24:25]
	global_load_b64 v[14:15], v3, s[42:43]
	s_wait_loadcnt 0x0
	v_mul_f64_e32 v[14:15], s[36:37], v[14:15]
	s_branch .LBB81_12
.LBB81_9:                               ;   in Loop: Header=BB81_4 Depth=1
	s_mov_b32 s39, 0
                                        ; implicit-def: $vgpr14_vgpr15
	s_cbranch_execnz .LBB81_13
	s_branch .LBB81_32
.LBB81_10:                              ;   in Loop: Header=BB81_4 Depth=1
	s_or_b32 exec_lo, exec_lo, s41
	s_delay_alu instid0(SALU_CYCLE_1)
	s_and_b32 vcc_lo, exec_lo, s40
	s_cbranch_vccnz .LBB81_13
	s_branch .LBB81_32
.LBB81_11:                              ;   in Loop: Header=BB81_4 Depth=1
	v_mov_b64_e32 v[14:15], 0
.LBB81_12:                              ;   in Loop: Header=BB81_4 Depth=1
	s_mov_b32 s39, exec_lo
	s_wait_xcnt 0x0
	s_or_b32 exec_lo, exec_lo, s41
	s_delay_alu instid0(SALU_CYCLE_1)
	s_and_b32 vcc_lo, exec_lo, s40
	s_cbranch_vccz .LBB81_32
.LBB81_13:                              ;   in Loop: Header=BB81_4 Depth=1
	v_mov_b64_e32 v[14:15], 0
	s_and_saveexec_b32 s40, s1
	s_cbranch_execnz .LBB81_22
; %bb.14:                               ;   in Loop: Header=BB81_4 Depth=1
	s_or_b32 exec_lo, exec_lo, s40
	s_and_saveexec_b32 s40, s2
	s_cbranch_execnz .LBB81_25
.LBB81_15:                              ;   in Loop: Header=BB81_4 Depth=1
	s_or_b32 exec_lo, exec_lo, s40
	s_and_saveexec_b32 s40, s3
.LBB81_16:                              ;   in Loop: Header=BB81_4 Depth=1
	ds_store_b64 v1, v[12:13]
.LBB81_17:                              ;   in Loop: Header=BB81_4 Depth=1
	s_or_b32 exec_lo, exec_lo, s40
	s_wait_dscnt 0x0
	ds_bpermute_b32 v16, v21, v14
	ds_bpermute_b32 v17, v21, v15
	v_cmp_gt_u32_e32 vcc_lo, 24, v2
	s_wait_dscnt 0x0
	s_barrier_signal -1
	s_barrier_wait -1
	v_add_f64_e32 v[14:15], v[14:15], v[16:17]
	v_cndmask_b32_e64 v16, 0, 8, vcc_lo
	v_cmp_gt_u32_e32 vcc_lo, 28, v2
	s_delay_alu instid0(VALU_DEP_2)
	v_add_lshl_u32 v17, v16, v2, 2
	ds_bpermute_b32 v16, v17, v14
	ds_bpermute_b32 v17, v17, v15
	s_wait_dscnt 0x0
	v_add_f64_e32 v[14:15], v[14:15], v[16:17]
	v_cndmask_b32_e64 v16, 0, 4, vcc_lo
	v_cmp_gt_u32_e32 vcc_lo, 30, v2
	s_delay_alu instid0(VALU_DEP_2)
	v_add_lshl_u32 v18, v16, v2, 2
	ds_bpermute_b32 v16, v18, v14
	ds_bpermute_b32 v17, v18, v15
	s_wait_dscnt 0x0
	v_add_f64_e32 v[14:15], v[14:15], v[16:17]
	v_cndmask_b32_e64 v16, 0, 2, vcc_lo
	v_cmp_ne_u32_e32 vcc_lo, 31, v2
	s_delay_alu instid0(VALU_DEP_2)
	v_add_lshl_u32 v19, v16, v2, 2
	ds_bpermute_b32 v16, v19, v14
	ds_bpermute_b32 v17, v19, v15
	s_wait_dscnt 0x0
	v_add_f64_e32 v[14:15], v[14:15], v[16:17]
	v_add_co_ci_u32_e64 v16, null, 0, v2, vcc_lo
	s_delay_alu instid0(VALU_DEP_1)
	v_lshlrev_b32_e32 v22, 2, v16
	ds_bpermute_b32 v16, v22, v14
	ds_bpermute_b32 v17, v22, v15
	s_and_saveexec_b32 s40, s4
	s_cbranch_execz .LBB81_19
; %bb.18:                               ;   in Loop: Header=BB81_4 Depth=1
	s_wait_dscnt 0x0
	v_add_f64_e32 v[14:15], v[14:15], v[16:17]
	ds_store_b64 v20, v[14:15]
.LBB81_19:                              ;   in Loop: Header=BB81_4 Depth=1
	s_or_b32 exec_lo, exec_lo, s40
	s_wait_dscnt 0x0
	v_mov_b64_e32 v[16:17], 0
	s_barrier_signal -1
	s_barrier_wait -1
	s_and_saveexec_b32 s40, s5
	s_cbranch_execnz .LBB81_26
; %bb.20:                               ;   in Loop: Header=BB81_4 Depth=1
	s_or_b32 exec_lo, exec_lo, s40
	s_and_saveexec_b32 s40, s3
	s_cbranch_execnz .LBB81_27
.LBB81_21:                              ;   in Loop: Header=BB81_4 Depth=1
	s_or_b32 exec_lo, exec_lo, s40
                                        ; implicit-def: $vgpr14_vgpr15
	s_and_saveexec_b32 s40, s0
	s_cbranch_execnz .LBB81_28
	s_branch .LBB81_31
.LBB81_22:                              ;   in Loop: Header=BB81_4 Depth=1
	s_wait_dscnt 0x0
	v_mad_nc_u64_u32 v[16:17], s8, s6, v[8:9]
	v_mad_nc_u64_u32 v[18:19], s12, s6, v[10:11]
	v_mov_b64_e32 v[14:15], 0
	v_mov_b32_e32 v22, v0
	s_mov_b32 s41, 0
	s_delay_alu instid0(VALU_DEP_4) | instskip(NEXT) | instid1(VALU_DEP_4)
	v_mad_u32 v17, s9, s6, v17
	v_mad_u32 v19, s13, s6, v19
.LBB81_23:                              ;   Parent Loop BB81_4 Depth=1
                                        ; =>  This Inner Loop Header: Depth=2
	global_load_b64 v[24:25], v[16:17], off
	global_load_b64 v[26:27], v[18:19], off
	v_add_nc_u32_e32 v22, 0x100, v22
	s_wait_xcnt 0x1
	v_add_nc_u64_e32 v[16:17], 0x800, v[16:17]
	s_wait_xcnt 0x0
	v_add_nc_u64_e32 v[18:19], s[20:21], v[18:19]
	v_cmp_le_i32_e32 vcc_lo, s10, v22
	s_or_b32 s41, vcc_lo, s41
	s_wait_loadcnt 0x0
	v_fmac_f64_e32 v[14:15], v[24:25], v[26:27]
	s_and_not1_b32 exec_lo, exec_lo, s41
	s_cbranch_execnz .LBB81_23
; %bb.24:                               ;   in Loop: Header=BB81_4 Depth=1
	s_or_b32 exec_lo, exec_lo, s41
	s_delay_alu instid0(SALU_CYCLE_1)
	s_or_b32 exec_lo, exec_lo, s40
	s_and_saveexec_b32 s40, s2
	s_cbranch_execz .LBB81_15
.LBB81_25:                              ;   in Loop: Header=BB81_4 Depth=1
	s_mul_u64 s[42:43], s[14:15], s[6:7]
	s_mul_u64 s[44:45], s[22:23], s[6:7]
	s_wait_dscnt 0x0
	v_lshl_add_u64 v[16:17], s[42:43], 3, v[6:7]
	s_lshl_b64 s[42:43], s[44:45], 3
	s_delay_alu instid0(SALU_CYCLE_1) | instskip(NEXT) | instid1(SALU_CYCLE_1)
	s_add_nc_u64 s[42:43], s[16:17], s[42:43]
	v_lshl_add_u64 v[18:19], v[4:5], 3, s[42:43]
	s_delay_alu instid0(VALU_DEP_2)
	v_lshl_add_u64 v[16:17], s[10:11], 3, v[16:17]
	global_load_b64 v[22:23], v[16:17], off
	global_load_b64 v[24:25], v[18:19], off
	s_wait_loadcnt 0x0
	v_fmac_f64_e32 v[14:15], v[22:23], v[24:25]
	s_wait_xcnt 0x0
	s_or_b32 exec_lo, exec_lo, s40
	s_and_saveexec_b32 s40, s3
	s_cbranch_execnz .LBB81_16
	s_branch .LBB81_17
.LBB81_26:                              ;   in Loop: Header=BB81_4 Depth=1
	ds_load_b64 v[16:17], v1
	s_or_b32 exec_lo, exec_lo, s40
	s_and_saveexec_b32 s40, s3
	s_cbranch_execz .LBB81_21
.LBB81_27:                              ;   in Loop: Header=BB81_4 Depth=1
	s_wait_dscnt 0x0
	ds_bpermute_b32 v14, v18, v16
	ds_bpermute_b32 v15, v18, v17
	s_wait_dscnt 0x0
	v_add_f64_e32 v[14:15], v[16:17], v[14:15]
	ds_bpermute_b32 v16, v19, v14
	ds_bpermute_b32 v17, v19, v15
	s_wait_dscnt 0x0
	v_add_f64_e32 v[14:15], v[14:15], v[16:17]
	;; [unrolled: 4-line block ×3, first 2 shown]
	s_or_b32 exec_lo, exec_lo, s40
                                        ; implicit-def: $vgpr14_vgpr15
	s_and_saveexec_b32 s40, s0
	s_cbranch_execz .LBB81_31
.LBB81_28:                              ;   in Loop: Header=BB81_4 Depth=1
	s_wait_dscnt 0x0
	s_delay_alu instid0(VALU_DEP_1)
	v_mul_f64_e32 v[14:15], s[34:35], v[16:17]
	s_and_not1_b32 vcc_lo, exec_lo, s29
	s_cbranch_vccnz .LBB81_30
; %bb.29:                               ;   in Loop: Header=BB81_4 Depth=1
	s_add_nc_u64 s[42:43], s[26:27], s[24:25]
	global_load_b64 v[16:17], v3, s[42:43]
	s_wait_loadcnt 0x0
	v_fmac_f64_e32 v[14:15], s[36:37], v[16:17]
.LBB81_30:                              ;   in Loop: Header=BB81_4 Depth=1
	s_or_b32 s39, s39, exec_lo
.LBB81_31:                              ;   in Loop: Header=BB81_4 Depth=1
	s_wait_xcnt 0x0
	s_or_b32 exec_lo, exec_lo, s40
.LBB81_32:                              ;   in Loop: Header=BB81_4 Depth=1
	s_and_saveexec_b32 s40, s39
	s_cbranch_execz .LBB81_2
; %bb.33:                               ;   in Loop: Header=BB81_4 Depth=1
	s_add_nc_u64 s[26:27], s[26:27], s[24:25]
	global_store_b64 v3, v[14:15], s[26:27]
	s_branch .LBB81_2
.LBB81_34:
	s_endpgm
	.section	.rodata,"a",@progbits
	.p2align	6, 0x0
	.amdhsa_kernel _ZL32rocblas_gemvt_warp_reduce_kernelILb0ELi256EldddEviiT3_lPKT2_lT1_lS3_lS4_lS0_lPT4_lS4_li
		.amdhsa_group_segment_fixed_size 256
		.amdhsa_private_segment_fixed_size 0
		.amdhsa_kernarg_size 140
		.amdhsa_user_sgpr_count 2
		.amdhsa_user_sgpr_dispatch_ptr 0
		.amdhsa_user_sgpr_queue_ptr 0
		.amdhsa_user_sgpr_kernarg_segment_ptr 1
		.amdhsa_user_sgpr_dispatch_id 0
		.amdhsa_user_sgpr_kernarg_preload_length 0
		.amdhsa_user_sgpr_kernarg_preload_offset 0
		.amdhsa_user_sgpr_private_segment_size 0
		.amdhsa_wavefront_size32 1
		.amdhsa_uses_dynamic_stack 0
		.amdhsa_enable_private_segment 0
		.amdhsa_system_sgpr_workgroup_id_x 1
		.amdhsa_system_sgpr_workgroup_id_y 0
		.amdhsa_system_sgpr_workgroup_id_z 1
		.amdhsa_system_sgpr_workgroup_info 0
		.amdhsa_system_vgpr_workitem_id 0
		.amdhsa_next_free_vgpr 28
		.amdhsa_next_free_sgpr 46
		.amdhsa_named_barrier_count 0
		.amdhsa_reserve_vcc 1
		.amdhsa_float_round_mode_32 0
		.amdhsa_float_round_mode_16_64 0
		.amdhsa_float_denorm_mode_32 3
		.amdhsa_float_denorm_mode_16_64 3
		.amdhsa_fp16_overflow 0
		.amdhsa_memory_ordered 1
		.amdhsa_forward_progress 1
		.amdhsa_inst_pref_size 11
		.amdhsa_round_robin_scheduling 0
		.amdhsa_exception_fp_ieee_invalid_op 0
		.amdhsa_exception_fp_denorm_src 0
		.amdhsa_exception_fp_ieee_div_zero 0
		.amdhsa_exception_fp_ieee_overflow 0
		.amdhsa_exception_fp_ieee_underflow 0
		.amdhsa_exception_fp_ieee_inexact 0
		.amdhsa_exception_int_div_zero 0
	.end_amdhsa_kernel
	.section	.text._ZL32rocblas_gemvt_warp_reduce_kernelILb0ELi256EldddEviiT3_lPKT2_lT1_lS3_lS4_lS0_lPT4_lS4_li,"axG",@progbits,_ZL32rocblas_gemvt_warp_reduce_kernelILb0ELi256EldddEviiT3_lPKT2_lT1_lS3_lS4_lS0_lPT4_lS4_li,comdat
.Lfunc_end81:
	.size	_ZL32rocblas_gemvt_warp_reduce_kernelILb0ELi256EldddEviiT3_lPKT2_lT1_lS3_lS4_lS0_lPT4_lS4_li, .Lfunc_end81-_ZL32rocblas_gemvt_warp_reduce_kernelILb0ELi256EldddEviiT3_lPKT2_lT1_lS3_lS4_lS0_lPT4_lS4_li
                                        ; -- End function
	.set _ZL32rocblas_gemvt_warp_reduce_kernelILb0ELi256EldddEviiT3_lPKT2_lT1_lS3_lS4_lS0_lPT4_lS4_li.num_vgpr, 28
	.set _ZL32rocblas_gemvt_warp_reduce_kernelILb0ELi256EldddEviiT3_lPKT2_lT1_lS3_lS4_lS0_lPT4_lS4_li.num_agpr, 0
	.set _ZL32rocblas_gemvt_warp_reduce_kernelILb0ELi256EldddEviiT3_lPKT2_lT1_lS3_lS4_lS0_lPT4_lS4_li.numbered_sgpr, 46
	.set _ZL32rocblas_gemvt_warp_reduce_kernelILb0ELi256EldddEviiT3_lPKT2_lT1_lS3_lS4_lS0_lPT4_lS4_li.num_named_barrier, 0
	.set _ZL32rocblas_gemvt_warp_reduce_kernelILb0ELi256EldddEviiT3_lPKT2_lT1_lS3_lS4_lS0_lPT4_lS4_li.private_seg_size, 0
	.set _ZL32rocblas_gemvt_warp_reduce_kernelILb0ELi256EldddEviiT3_lPKT2_lT1_lS3_lS4_lS0_lPT4_lS4_li.uses_vcc, 1
	.set _ZL32rocblas_gemvt_warp_reduce_kernelILb0ELi256EldddEviiT3_lPKT2_lT1_lS3_lS4_lS0_lPT4_lS4_li.uses_flat_scratch, 0
	.set _ZL32rocblas_gemvt_warp_reduce_kernelILb0ELi256EldddEviiT3_lPKT2_lT1_lS3_lS4_lS0_lPT4_lS4_li.has_dyn_sized_stack, 0
	.set _ZL32rocblas_gemvt_warp_reduce_kernelILb0ELi256EldddEviiT3_lPKT2_lT1_lS3_lS4_lS0_lPT4_lS4_li.has_recursion, 0
	.set _ZL32rocblas_gemvt_warp_reduce_kernelILb0ELi256EldddEviiT3_lPKT2_lT1_lS3_lS4_lS0_lPT4_lS4_li.has_indirect_call, 0
	.section	.AMDGPU.csdata,"",@progbits
; Kernel info:
; codeLenInByte = 1400
; TotalNumSgprs: 48
; NumVgprs: 28
; ScratchSize: 0
; MemoryBound: 0
; FloatMode: 240
; IeeeMode: 1
; LDSByteSize: 256 bytes/workgroup (compile time only)
; SGPRBlocks: 0
; VGPRBlocks: 1
; NumSGPRsForWavesPerEU: 48
; NumVGPRsForWavesPerEU: 28
; NamedBarCnt: 0
; Occupancy: 16
; WaveLimiterHint : 0
; COMPUTE_PGM_RSRC2:SCRATCH_EN: 0
; COMPUTE_PGM_RSRC2:USER_SGPR: 2
; COMPUTE_PGM_RSRC2:TRAP_HANDLER: 0
; COMPUTE_PGM_RSRC2:TGID_X_EN: 1
; COMPUTE_PGM_RSRC2:TGID_Y_EN: 0
; COMPUTE_PGM_RSRC2:TGID_Z_EN: 1
; COMPUTE_PGM_RSRC2:TIDIG_COMP_CNT: 0
	.section	.text._ZL20rocblas_gemvt_kernelILb0ELi256EdPKddEviiT2_lPKT1_lilS5_lilS2_lPT3_lili,"axG",@progbits,_ZL20rocblas_gemvt_kernelILb0ELi256EdPKddEviiT2_lPKT1_lilS5_lilS2_lPT3_lili,comdat
	.globl	_ZL20rocblas_gemvt_kernelILb0ELi256EdPKddEviiT2_lPKT1_lilS5_lilS2_lPT3_lili ; -- Begin function _ZL20rocblas_gemvt_kernelILb0ELi256EdPKddEviiT2_lPKT1_lilS5_lilS2_lPT3_lili
	.p2align	8
	.type	_ZL20rocblas_gemvt_kernelILb0ELi256EdPKddEviiT2_lPKT1_lilS5_lilS2_lPT3_lili,@function
_ZL20rocblas_gemvt_kernelILb0ELi256EdPKddEviiT2_lPKT1_lilS5_lilS2_lPT3_lili: ; @_ZL20rocblas_gemvt_kernelILb0ELi256EdPKddEviiT2_lPKT1_lilS5_lilS2_lPT3_lili
; %bb.0:
	s_load_b32 s33, s[0:1], 0x88
	s_bfe_u32 s2, ttmp6, 0x40014
	s_lshr_b32 s3, ttmp7, 16
	s_add_co_i32 s2, s2, 1
	s_bfe_u32 s4, ttmp6, 0x40008
	s_mul_i32 s2, s3, s2
	s_getreg_b32 s7, hwreg(HW_REG_IB_STS2, 6, 4)
	s_add_co_i32 s4, s4, s2
	s_cmp_eq_u32 s7, 0
	s_mov_b32 s35, 0
	s_cselect_b32 s34, s3, s4
	s_wait_kmcnt 0x0
	s_cmp_ge_u32 s34, s33
	s_cbranch_scc1 .LBB82_41
; %bb.1:
	s_clause 0x4
	s_load_b32 s2, s[0:1], 0x28
	s_load_b96 s[4:6], s[0:1], 0x40
	s_load_b96 s[8:10], s[0:1], 0x70
	s_load_b256 s[12:19], s[0:1], 0x8
	s_load_b32 s46, s[0:1], 0x0
	s_bfe_u32 s3, ttmp6, 0x4000c
	s_and_b32 s11, ttmp6, 15
	s_add_co_i32 s3, s3, 1
	s_load_b128 s[28:31], s[0:1], 0x30
	s_mul_i32 s3, ttmp9, s3
	s_load_b64 s[36:37], s[0:1], 0x80
	s_add_co_i32 s11, s11, s3
	s_load_b256 s[20:27], s[0:1], 0x50
	v_lshlrev_b32_e32 v20, 3, v0
	s_wait_kmcnt 0x0
	s_ashr_i32 s3, s2, 31
	s_ashr_i32 s39, s6, 31
	;; [unrolled: 1-line block ×3, first 2 shown]
	s_lshl_b64 s[4:5], s[4:5], 3
	s_lshl_b64 s[8:9], s[8:9], 3
	s_lshl_b64 s[42:43], s[18:19], 3
	s_cmp_eq_u32 s7, 0
	s_mov_b32 s38, s6
	s_cselect_b32 s44, ttmp9, s11
	s_ashr_i32 s7, s46, 31
	v_cmp_gt_i32_e32 vcc_lo, s46, v0
	s_lshr_b32 s0, s7, 24
	s_ashr_i32 s45, s44, 31
	s_add_co_i32 s0, s46, s0
	s_mul_u64 s[2:3], s[2:3], s[44:45]
	s_and_b32 s18, s0, 0xffffff00
	s_delay_alu instid0(SALU_CYCLE_1) | instskip(SKIP_3) | instid1(VALU_DEP_1)
	v_dual_mov_b32 v3, 0 :: v_dual_bitop2_b32 v8, s18, v0 bitop3:0x54
	s_add_nc_u64 s[0:1], s[16:17], s[42:43]
	s_add_nc_u64 s[26:27], s[26:27], s[8:9]
	s_lshl_b64 s[8:9], s[2:3], 3
	v_dual_mov_b32 v1, v3 :: v_dual_ashrrev_i32 v9, 31, v8
	s_mov_b32 s40, s10
	s_add_nc_u64 s[10:11], s[30:31], s[4:5]
	s_add_nc_u64 s[30:31], s[8:9], s[42:43]
	s_delay_alu instid0(VALU_DEP_1)
	v_mul_u64_e32 v[10:11], s[38:39], v[0:1]
	v_mul_u64_e32 v[4:5], s[38:39], v[8:9]
	v_cndmask_b32_e32 v1, 0, v0, vcc_lo
	s_add_nc_u64 s[16:17], s[16:17], s[30:31]
	v_cmp_gt_u32_e64 s2, 0x80, v0
	v_cmp_gt_u32_e64 s3, 64, v0
	;; [unrolled: 1-line block ×3, first 2 shown]
	v_lshlrev_b32_e32 v2, 3, v1
	v_cmp_gt_u32_e64 s5, 16, v0
	v_cmp_gt_u32_e64 s6, 8, v0
	v_cmp_gt_u32_e64 s7, 4, v0
	s_mul_u64 s[40:41], s[40:41], s[44:45]
	v_add_nc_u64_e32 v[6:7], s[0:1], v[2:3]
	v_cmp_gt_i32_e64 s1, s46, v8
	v_add_nc_u64_e32 v[8:9], s[16:17], v[2:3]
	v_cmp_eq_u32_e64 s0, 0, v0
	s_cmp_gt_i32 s46, 0xff
	s_cselect_b32 s44, -1, 0
	v_add_nc_u64_e32 v[6:7], s[8:9], v[6:7]
	v_cmp_gt_u32_e64 s8, 2, v0
	s_ashr_i32 s19, s18, 31
	s_lshl_b64 s[16:17], s[20:21], 3
	s_lshl_b64 s[30:31], s[38:39], 11
	;; [unrolled: 1-line block ×4, first 2 shown]
	v_lshl_add_u64 v[0:1], v[10:11], 3, s[10:11]
	s_branch .LBB82_4
.LBB82_2:                               ;   in Loop: Header=BB82_4 Depth=1
	s_wait_xcnt 0x0
	s_or_b32 exec_lo, exec_lo, s45
.LBB82_3:                               ;   in Loop: Header=BB82_4 Depth=1
	s_add_co_i32 s34, s34, 0x10000
	s_delay_alu instid0(SALU_CYCLE_1)
	s_cmp_lt_u32 s34, s33
	s_cbranch_scc0 .LBB82_41
.LBB82_4:                               ; =>This Loop Header: Depth=1
                                        ;     Child Loop BB82_15 Depth 2
	s_wait_xcnt 0x1
	s_mul_u64 s[42:43], s[14:15], s[34:35]
	s_wait_xcnt 0x0
	s_mul_u64 s[46:47], s[24:25], s[34:35]
	s_lshl_b64 s[42:43], s[42:43], 3
	s_lshl_b64 s[46:47], s[46:47], 3
	s_add_nc_u64 s[42:43], s[12:13], s[42:43]
	s_add_nc_u64 s[46:47], s[22:23], s[46:47]
	s_clause 0x1
	global_load_b64 v[12:13], v3, s[42:43]
	global_load_b64 v[10:11], v3, s[46:47]
	s_wait_loadcnt 0x1
	v_cmp_eq_f64_e32 vcc_lo, 0, v[12:13]
	s_wait_loadcnt 0x0
	v_cmp_eq_f64_e64 s9, 1.0, v[10:11]
	s_and_b32 s9, vcc_lo, s9
	s_delay_alu instid0(SALU_CYCLE_1)
	s_and_b32 vcc_lo, exec_lo, s9
	s_cbranch_vccnz .LBB82_3
; %bb.5:                                ;   in Loop: Header=BB82_4 Depth=1
	v_cmp_neq_f64_e32 vcc_lo, 0, v[12:13]
	s_wait_xcnt 0x1
	s_mul_u64 s[42:43], s[36:37], s[34:35]
	s_delay_alu instid0(SALU_CYCLE_1) | instskip(NEXT) | instid1(SALU_CYCLE_1)
	s_lshl_b64 s[42:43], s[42:43], 3
	s_add_nc_u64 s[42:43], s[26:27], s[42:43]
	s_cbranch_vccnz .LBB82_9
; %bb.6:                                ;   in Loop: Header=BB82_4 Depth=1
	s_mov_b32 s45, 0
	s_mov_b32 s9, 0
                                        ; implicit-def: $vgpr14_vgpr15
	s_wait_xcnt 0x0
	s_and_saveexec_b32 s46, s0
	s_cbranch_execz .LBB82_10
; %bb.7:                                ;   in Loop: Header=BB82_4 Depth=1
	v_cmp_eq_f64_e32 vcc_lo, 0, v[10:11]
	s_cbranch_vccnz .LBB82_11
; %bb.8:                                ;   in Loop: Header=BB82_4 Depth=1
	s_add_nc_u64 s[48:49], s[42:43], s[40:41]
	global_load_b64 v[14:15], v3, s[48:49]
	s_wait_loadcnt 0x0
	v_mul_f64_e32 v[14:15], v[10:11], v[14:15]
	s_branch .LBB82_12
.LBB82_9:                               ;   in Loop: Header=BB82_4 Depth=1
	s_mov_b32 s9, 0
                                        ; implicit-def: $vgpr14_vgpr15
	s_cbranch_execnz .LBB82_13
	s_branch .LBB82_39
.LBB82_10:                              ;   in Loop: Header=BB82_4 Depth=1
	s_or_b32 exec_lo, exec_lo, s46
	s_delay_alu instid0(SALU_CYCLE_1)
	s_and_b32 vcc_lo, exec_lo, s45
	s_cbranch_vccnz .LBB82_13
	s_branch .LBB82_39
.LBB82_11:                              ;   in Loop: Header=BB82_4 Depth=1
	v_mov_b64_e32 v[14:15], 0
.LBB82_12:                              ;   in Loop: Header=BB82_4 Depth=1
	s_mov_b32 s9, exec_lo
	s_wait_xcnt 0x0
	s_or_b32 exec_lo, exec_lo, s46
	s_delay_alu instid0(SALU_CYCLE_1)
	s_and_b32 vcc_lo, exec_lo, s45
	s_cbranch_vccz .LBB82_39
.LBB82_13:                              ;   in Loop: Header=BB82_4 Depth=1
	v_mov_b64_e32 v[14:15], 0
	s_and_not1_b32 vcc_lo, exec_lo, s44
	s_cbranch_vccnz .LBB82_16
; %bb.14:                               ;   in Loop: Header=BB82_4 Depth=1
	v_mad_nc_u64_u32 v[16:17], s16, s34, v[0:1]
	v_mad_nc_u64_u32 v[18:19], s38, s34, v[8:9]
	v_mov_b64_e32 v[14:15], 0
	s_mov_b32 s45, 0
	s_delay_alu instid0(VALU_DEP_3) | instskip(NEXT) | instid1(VALU_DEP_3)
	v_mad_u32 v17, s17, s34, v17
	v_mad_u32 v19, s39, s34, v19
.LBB82_15:                              ;   Parent Loop BB82_4 Depth=1
                                        ; =>  This Inner Loop Header: Depth=2
	global_load_b64 v[22:23], v[18:19], off
	global_load_b64 v[24:25], v[16:17], off
	s_wait_xcnt 0x0
	v_add_nc_u64_e32 v[16:17], s[30:31], v[16:17]
	v_add_nc_u64_e32 v[18:19], 0x800, v[18:19]
	s_addk_co_i32 s45, 0x100
	s_delay_alu instid0(SALU_CYCLE_1)
	s_cmp_ge_i32 s45, s18
	s_wait_loadcnt 0x0
	v_fmac_f64_e32 v[14:15], v[22:23], v[24:25]
	s_cbranch_scc0 .LBB82_15
.LBB82_16:                              ;   in Loop: Header=BB82_4 Depth=1
	s_wait_xcnt 0x0
	s_and_saveexec_b32 s45, s1
	s_cbranch_execz .LBB82_18
; %bb.17:                               ;   in Loop: Header=BB82_4 Depth=1
	s_mul_u64 s[46:47], s[28:29], s[34:35]
	s_mul_u64 s[48:49], s[20:21], s[34:35]
	v_lshl_add_u64 v[16:17], s[46:47], 3, v[6:7]
	s_lshl_b64 s[46:47], s[48:49], 3
	s_delay_alu instid0(SALU_CYCLE_1) | instskip(NEXT) | instid1(SALU_CYCLE_1)
	s_add_nc_u64 s[46:47], s[10:11], s[46:47]
	v_lshl_add_u64 v[18:19], v[4:5], 3, s[46:47]
	s_delay_alu instid0(VALU_DEP_2)
	v_lshl_add_u64 v[16:17], s[18:19], 3, v[16:17]
	global_load_b64 v[22:23], v[16:17], off
	global_load_b64 v[24:25], v[18:19], off
	s_wait_loadcnt 0x0
	v_fmac_f64_e32 v[14:15], v[22:23], v[24:25]
.LBB82_18:                              ;   in Loop: Header=BB82_4 Depth=1
	s_wait_xcnt 0x0
	s_or_b32 exec_lo, exec_lo, s45
	ds_store_b64 v20, v[14:15]
	s_wait_dscnt 0x0
	s_barrier_signal -1
	s_barrier_wait -1
	s_and_saveexec_b32 s45, s2
	s_cbranch_execz .LBB82_20
; %bb.19:                               ;   in Loop: Header=BB82_4 Depth=1
	ds_load_2addr_stride64_b64 v[14:17], v20 offset1:2
	s_wait_dscnt 0x0
	v_add_f64_e32 v[14:15], v[16:17], v[14:15]
	ds_store_b64 v20, v[14:15]
.LBB82_20:                              ;   in Loop: Header=BB82_4 Depth=1
	s_or_b32 exec_lo, exec_lo, s45
	s_wait_dscnt 0x0
	s_barrier_signal -1
	s_barrier_wait -1
	s_and_saveexec_b32 s45, s3
	s_cbranch_execz .LBB82_22
; %bb.21:                               ;   in Loop: Header=BB82_4 Depth=1
	ds_load_2addr_stride64_b64 v[14:17], v20 offset1:1
	s_wait_dscnt 0x0
	v_add_f64_e32 v[14:15], v[16:17], v[14:15]
	ds_store_b64 v20, v[14:15]
.LBB82_22:                              ;   in Loop: Header=BB82_4 Depth=1
	s_or_b32 exec_lo, exec_lo, s45
	s_wait_dscnt 0x0
	s_barrier_signal -1
	s_barrier_wait -1
	s_and_saveexec_b32 s45, s4
	s_cbranch_execz .LBB82_24
; %bb.23:                               ;   in Loop: Header=BB82_4 Depth=1
	ds_load_2addr_b64 v[14:17], v20 offset1:32
	s_wait_dscnt 0x0
	v_add_f64_e32 v[14:15], v[16:17], v[14:15]
	ds_store_b64 v20, v[14:15]
.LBB82_24:                              ;   in Loop: Header=BB82_4 Depth=1
	s_or_b32 exec_lo, exec_lo, s45
	s_wait_dscnt 0x0
	s_barrier_signal -1
	s_barrier_wait -1
	s_and_saveexec_b32 s45, s5
	s_cbranch_execz .LBB82_26
; %bb.25:                               ;   in Loop: Header=BB82_4 Depth=1
	ds_load_2addr_b64 v[14:17], v20 offset1:16
	s_wait_dscnt 0x0
	v_add_f64_e32 v[14:15], v[16:17], v[14:15]
	ds_store_b64 v20, v[14:15]
.LBB82_26:                              ;   in Loop: Header=BB82_4 Depth=1
	;; [unrolled: 12-line block ×5, first 2 shown]
	s_or_b32 exec_lo, exec_lo, s45
	s_wait_dscnt 0x0
	s_barrier_signal -1
	s_barrier_wait -1
	s_and_saveexec_b32 s45, s0
	s_cbranch_execz .LBB82_34
; %bb.33:                               ;   in Loop: Header=BB82_4 Depth=1
	ds_load_b128 v[14:17], v3
	s_wait_dscnt 0x0
	v_add_f64_e32 v[14:15], v[16:17], v[14:15]
	ds_store_b64 v3, v[14:15]
.LBB82_34:                              ;   in Loop: Header=BB82_4 Depth=1
	s_or_b32 exec_lo, exec_lo, s45
	s_wait_dscnt 0x0
	s_barrier_signal -1
	s_barrier_wait -1
                                        ; implicit-def: $vgpr14_vgpr15
	s_and_saveexec_b32 s45, s0
	s_cbranch_execz .LBB82_38
; %bb.35:                               ;   in Loop: Header=BB82_4 Depth=1
	ds_load_b64 v[14:15], v3
	v_cmp_eq_f64_e32 vcc_lo, 0, v[10:11]
	s_wait_dscnt 0x0
	v_mul_f64_e32 v[14:15], v[12:13], v[14:15]
	s_cbranch_vccnz .LBB82_37
; %bb.36:                               ;   in Loop: Header=BB82_4 Depth=1
	s_add_nc_u64 s[46:47], s[42:43], s[40:41]
	global_load_b64 v[12:13], v3, s[46:47]
	s_wait_loadcnt 0x0
	v_fmac_f64_e32 v[14:15], v[10:11], v[12:13]
.LBB82_37:                              ;   in Loop: Header=BB82_4 Depth=1
	s_or_b32 s9, s9, exec_lo
.LBB82_38:                              ;   in Loop: Header=BB82_4 Depth=1
	s_wait_xcnt 0x0
	s_or_b32 exec_lo, exec_lo, s45
.LBB82_39:                              ;   in Loop: Header=BB82_4 Depth=1
	s_wait_xcnt 0x0
	s_and_saveexec_b32 s45, s9
	s_cbranch_execz .LBB82_2
; %bb.40:                               ;   in Loop: Header=BB82_4 Depth=1
	s_add_nc_u64 s[42:43], s[42:43], s[40:41]
	global_store_b64 v3, v[14:15], s[42:43]
	s_branch .LBB82_2
.LBB82_41:
	s_endpgm
	.section	.rodata,"a",@progbits
	.p2align	6, 0x0
	.amdhsa_kernel _ZL20rocblas_gemvt_kernelILb0ELi256EdPKddEviiT2_lPKT1_lilS5_lilS2_lPT3_lili
		.amdhsa_group_segment_fixed_size 2048
		.amdhsa_private_segment_fixed_size 0
		.amdhsa_kernarg_size 140
		.amdhsa_user_sgpr_count 2
		.amdhsa_user_sgpr_dispatch_ptr 0
		.amdhsa_user_sgpr_queue_ptr 0
		.amdhsa_user_sgpr_kernarg_segment_ptr 1
		.amdhsa_user_sgpr_dispatch_id 0
		.amdhsa_user_sgpr_kernarg_preload_length 0
		.amdhsa_user_sgpr_kernarg_preload_offset 0
		.amdhsa_user_sgpr_private_segment_size 0
		.amdhsa_wavefront_size32 1
		.amdhsa_uses_dynamic_stack 0
		.amdhsa_enable_private_segment 0
		.amdhsa_system_sgpr_workgroup_id_x 1
		.amdhsa_system_sgpr_workgroup_id_y 0
		.amdhsa_system_sgpr_workgroup_id_z 1
		.amdhsa_system_sgpr_workgroup_info 0
		.amdhsa_system_vgpr_workitem_id 0
		.amdhsa_next_free_vgpr 26
		.amdhsa_next_free_sgpr 50
		.amdhsa_named_barrier_count 0
		.amdhsa_reserve_vcc 1
		.amdhsa_float_round_mode_32 0
		.amdhsa_float_round_mode_16_64 0
		.amdhsa_float_denorm_mode_32 3
		.amdhsa_float_denorm_mode_16_64 3
		.amdhsa_fp16_overflow 0
		.amdhsa_memory_ordered 1
		.amdhsa_forward_progress 1
		.amdhsa_inst_pref_size 12
		.amdhsa_round_robin_scheduling 0
		.amdhsa_exception_fp_ieee_invalid_op 0
		.amdhsa_exception_fp_denorm_src 0
		.amdhsa_exception_fp_ieee_div_zero 0
		.amdhsa_exception_fp_ieee_overflow 0
		.amdhsa_exception_fp_ieee_underflow 0
		.amdhsa_exception_fp_ieee_inexact 0
		.amdhsa_exception_int_div_zero 0
	.end_amdhsa_kernel
	.section	.text._ZL20rocblas_gemvt_kernelILb0ELi256EdPKddEviiT2_lPKT1_lilS5_lilS2_lPT3_lili,"axG",@progbits,_ZL20rocblas_gemvt_kernelILb0ELi256EdPKddEviiT2_lPKT1_lilS5_lilS2_lPT3_lili,comdat
.Lfunc_end82:
	.size	_ZL20rocblas_gemvt_kernelILb0ELi256EdPKddEviiT2_lPKT1_lilS5_lilS2_lPT3_lili, .Lfunc_end82-_ZL20rocblas_gemvt_kernelILb0ELi256EdPKddEviiT2_lPKT1_lilS5_lilS2_lPT3_lili
                                        ; -- End function
	.set _ZL20rocblas_gemvt_kernelILb0ELi256EdPKddEviiT2_lPKT1_lilS5_lilS2_lPT3_lili.num_vgpr, 26
	.set _ZL20rocblas_gemvt_kernelILb0ELi256EdPKddEviiT2_lPKT1_lilS5_lilS2_lPT3_lili.num_agpr, 0
	.set _ZL20rocblas_gemvt_kernelILb0ELi256EdPKddEviiT2_lPKT1_lilS5_lilS2_lPT3_lili.numbered_sgpr, 50
	.set _ZL20rocblas_gemvt_kernelILb0ELi256EdPKddEviiT2_lPKT1_lilS5_lilS2_lPT3_lili.num_named_barrier, 0
	.set _ZL20rocblas_gemvt_kernelILb0ELi256EdPKddEviiT2_lPKT1_lilS5_lilS2_lPT3_lili.private_seg_size, 0
	.set _ZL20rocblas_gemvt_kernelILb0ELi256EdPKddEviiT2_lPKT1_lilS5_lilS2_lPT3_lili.uses_vcc, 1
	.set _ZL20rocblas_gemvt_kernelILb0ELi256EdPKddEviiT2_lPKT1_lilS5_lilS2_lPT3_lili.uses_flat_scratch, 0
	.set _ZL20rocblas_gemvt_kernelILb0ELi256EdPKddEviiT2_lPKT1_lilS5_lilS2_lPT3_lili.has_dyn_sized_stack, 0
	.set _ZL20rocblas_gemvt_kernelILb0ELi256EdPKddEviiT2_lPKT1_lilS5_lilS2_lPT3_lili.has_recursion, 0
	.set _ZL20rocblas_gemvt_kernelILb0ELi256EdPKddEviiT2_lPKT1_lilS5_lilS2_lPT3_lili.has_indirect_call, 0
	.section	.AMDGPU.csdata,"",@progbits
; Kernel info:
; codeLenInByte = 1444
; TotalNumSgprs: 52
; NumVgprs: 26
; ScratchSize: 0
; MemoryBound: 0
; FloatMode: 240
; IeeeMode: 1
; LDSByteSize: 2048 bytes/workgroup (compile time only)
; SGPRBlocks: 0
; VGPRBlocks: 1
; NumSGPRsForWavesPerEU: 52
; NumVGPRsForWavesPerEU: 26
; NamedBarCnt: 0
; Occupancy: 16
; WaveLimiterHint : 0
; COMPUTE_PGM_RSRC2:SCRATCH_EN: 0
; COMPUTE_PGM_RSRC2:USER_SGPR: 2
; COMPUTE_PGM_RSRC2:TRAP_HANDLER: 0
; COMPUTE_PGM_RSRC2:TGID_X_EN: 1
; COMPUTE_PGM_RSRC2:TGID_Y_EN: 0
; COMPUTE_PGM_RSRC2:TGID_Z_EN: 1
; COMPUTE_PGM_RSRC2:TIDIG_COMP_CNT: 0
	.section	.text._ZL20rocblas_gemvt_kernelILb0ELi256EdddEviiT2_lPKT1_lilS3_lilS0_lPT3_lili,"axG",@progbits,_ZL20rocblas_gemvt_kernelILb0ELi256EdddEviiT2_lPKT1_lilS3_lilS0_lPT3_lili,comdat
	.globl	_ZL20rocblas_gemvt_kernelILb0ELi256EdddEviiT2_lPKT1_lilS3_lilS0_lPT3_lili ; -- Begin function _ZL20rocblas_gemvt_kernelILb0ELi256EdddEviiT2_lPKT1_lilS3_lilS0_lPT3_lili
	.p2align	8
	.type	_ZL20rocblas_gemvt_kernelILb0ELi256EdddEviiT2_lPKT1_lilS3_lilS0_lPT3_lili,@function
_ZL20rocblas_gemvt_kernelILb0ELi256EdddEviiT2_lPKT1_lilS3_lilS0_lPT3_lili: ; @_ZL20rocblas_gemvt_kernelILb0ELi256EdddEviiT2_lPKT1_lilS3_lilS0_lPT3_lili
; %bb.0:
	s_load_b32 s33, s[0:1], 0x88
	s_bfe_u32 s2, ttmp6, 0x40014
	s_lshr_b32 s3, ttmp7, 16
	s_add_co_i32 s2, s2, 1
	s_bfe_u32 s5, ttmp6, 0x40008
	s_mul_i32 s4, s3, s2
	s_getreg_b32 s2, hwreg(HW_REG_IB_STS2, 6, 4)
	s_add_co_i32 s5, s5, s4
	s_cmp_eq_u32 s2, 0
	s_mov_b32 s25, 0
	s_cselect_b32 s24, s3, s5
	s_wait_kmcnt 0x0
	s_cmp_ge_u32 s24, s33
	s_cbranch_scc1 .LBB83_41
; %bb.1:
	s_clause 0x8
	s_load_b64 s[26:27], s[0:1], 0x8
	s_load_b128 s[12:15], s[0:1], 0x50
	s_load_b128 s[4:7], s[0:1], 0x68
	s_load_b32 s30, s[0:1], 0x28
	s_load_b96 s[8:10], s[0:1], 0x40
	s_load_b32 s34, s[0:1], 0x78
	s_load_b128 s[20:23], s[0:1], 0x18
	s_load_b32 s41, s[0:1], 0x0
	s_load_b128 s[16:19], s[0:1], 0x30
	s_bfe_u32 s31, ttmp6, 0x4000c
	s_load_b64 s[28:29], s[0:1], 0x80
	s_add_co_i32 s31, s31, 1
	s_wait_xcnt 0x0
	s_and_b32 s0, ttmp6, 15
	s_mul_i32 s1, ttmp9, s31
	v_lshlrev_b32_e32 v16, 3, v0
	s_add_co_i32 s36, s0, s1
	s_wait_kmcnt 0x0
	s_ashr_i32 s31, s30, 31
	s_ashr_i32 s37, s10, 31
	v_cmp_neq_f64_e64 s3, s[26:27], 0
	v_cmp_neq_f64_e64 s11, s[14:15], 1.0
	s_ashr_i32 s35, s34, 31
	s_lshl_b64 s[0:1], s[8:9], 3
	s_lshl_b64 s[6:7], s[6:7], 3
	;; [unrolled: 1-line block ×3, first 2 shown]
	v_cmp_gt_i32_e32 vcc_lo, s41, v0
	v_mov_b32_e32 v3, 0
	s_add_nc_u64 s[22:23], s[4:5], s[6:7]
	s_add_nc_u64 s[4:5], s[20:21], s[38:39]
	;; [unrolled: 1-line block ×3, first 2 shown]
	v_cmp_neq_f64_e64 s42, s[14:15], 0
	v_cmp_eq_u32_e64 s0, 0, v0
	v_cmp_gt_u32_e64 s6, 8, v0
	v_cmp_gt_u32_e64 s7, 4, v0
	;; [unrolled: 1-line block ×3, first 2 shown]
	s_or_b32 s9, s3, s11
	s_cmp_eq_u32 s2, 0
	s_cselect_b32 s2, ttmp9, s36
	s_ashr_i32 s3, s41, 31
	s_mov_b32 s36, s10
	s_lshr_b32 s3, s3, 24
	s_delay_alu instid0(SALU_CYCLE_1) | instskip(NEXT) | instid1(SALU_CYCLE_1)
	s_add_co_i32 s3, s41, s3
	s_and_b32 s10, s3, 0xffffff00
	s_delay_alu instid0(SALU_CYCLE_1) | instskip(SKIP_1) | instid1(SALU_CYCLE_1)
	v_dual_mov_b32 v1, v3 :: v_dual_bitop2_b32 v10, s10, v0 bitop3:0x54
	s_ashr_i32 s3, s2, 31
	s_mul_u64 s[44:45], s[34:35], s[2:3]
	s_delay_alu instid0(VALU_DEP_1) | instskip(SKIP_2) | instid1(VALU_DEP_2)
	v_mul_u64_e32 v[8:9], s[36:37], v[0:1]
	v_cndmask_b32_e32 v1, 0, v0, vcc_lo
	v_cmp_gt_i32_e64 s1, s41, v10
	v_dual_ashrrev_i32 v11, 31, v10 :: v_dual_lshlrev_b32 v2, 3, v1
	s_delay_alu instid0(VALU_DEP_1) | instskip(NEXT) | instid1(VALU_DEP_2)
	v_mul_u64_e32 v[4:5], s[36:37], v[10:11]
	v_add_nc_u64_e32 v[6:7], s[4:5], v[2:3]
	s_mul_u64 s[4:5], s[30:31], s[2:3]
	v_cmp_gt_u32_e64 s2, 0x80, v0
	s_lshl_b64 s[30:31], s[4:5], 3
	s_cmp_gt_i32 s41, 0xff
	v_cmp_eq_f64_e64 s41, s[26:27], 0
	v_cmp_gt_u32_e64 s3, 64, v0
	v_add_nc_u64_e32 v[6:7], s[30:31], v[6:7]
	s_add_nc_u64 s[30:31], s[30:31], s[38:39]
	v_cmp_gt_u32_e64 s4, 32, v0
	s_add_nc_u64 s[30:31], s[20:21], s[30:31]
	v_cmp_gt_u32_e64 s5, 16, v0
	s_cselect_b32 s40, -1, 0
	s_ashr_i32 s11, s10, 31
	s_lshl_b64 s[20:21], s[12:13], 3
	s_lshl_b64 s[34:35], s[16:17], 3
	v_lshl_add_u64 v[0:1], v[8:9], 3, s[18:19]
	v_add_nc_u64_e32 v[8:9], s[30:31], v[2:3]
	s_lshl_b64 s[30:31], s[36:37], 11
	s_lshl_b64 s[36:37], s[44:45], 3
	s_branch .LBB83_4
.LBB83_2:                               ;   in Loop: Header=BB83_4 Depth=1
	s_wait_xcnt 0x0
	s_or_b32 exec_lo, exec_lo, s44
.LBB83_3:                               ;   in Loop: Header=BB83_4 Depth=1
	s_add_co_i32 s24, s24, 0x10000
	s_delay_alu instid0(SALU_CYCLE_1)
	s_cmp_lt_u32 s24, s33
	s_cbranch_scc0 .LBB83_41
.LBB83_4:                               ; =>This Loop Header: Depth=1
                                        ;     Child Loop BB83_15 Depth 2
	s_and_not1_b32 vcc_lo, exec_lo, s9
	s_cbranch_vccnz .LBB83_3
; %bb.5:                                ;   in Loop: Header=BB83_4 Depth=1
	s_mul_u64 s[38:39], s[28:29], s[24:25]
	s_and_not1_b32 vcc_lo, exec_lo, s41
	s_lshl_b64 s[38:39], s[38:39], 3
	s_delay_alu instid0(SALU_CYCLE_1)
	s_add_nc_u64 s[38:39], s[22:23], s[38:39]
	s_cbranch_vccnz .LBB83_9
; %bb.6:                                ;   in Loop: Header=BB83_4 Depth=1
	s_mov_b32 s44, 0
	s_mov_b32 s43, 0
                                        ; implicit-def: $vgpr10_vgpr11
	s_and_saveexec_b32 s45, s0
	s_cbranch_execz .LBB83_10
; %bb.7:                                ;   in Loop: Header=BB83_4 Depth=1
	s_and_not1_b32 vcc_lo, exec_lo, s42
	s_cbranch_vccnz .LBB83_11
; %bb.8:                                ;   in Loop: Header=BB83_4 Depth=1
	s_add_nc_u64 s[46:47], s[38:39], s[36:37]
	global_load_b64 v[10:11], v3, s[46:47]
	s_wait_loadcnt 0x0
	v_mul_f64_e32 v[10:11], s[14:15], v[10:11]
	s_branch .LBB83_12
.LBB83_9:                               ;   in Loop: Header=BB83_4 Depth=1
	s_mov_b32 s43, 0
                                        ; implicit-def: $vgpr10_vgpr11
	s_cbranch_execnz .LBB83_13
	s_branch .LBB83_39
.LBB83_10:                              ;   in Loop: Header=BB83_4 Depth=1
	s_or_b32 exec_lo, exec_lo, s45
	s_delay_alu instid0(SALU_CYCLE_1)
	s_and_b32 vcc_lo, exec_lo, s44
	s_cbranch_vccnz .LBB83_13
	s_branch .LBB83_39
.LBB83_11:                              ;   in Loop: Header=BB83_4 Depth=1
	v_mov_b64_e32 v[10:11], 0
.LBB83_12:                              ;   in Loop: Header=BB83_4 Depth=1
	s_mov_b32 s43, exec_lo
	s_wait_xcnt 0x0
	s_or_b32 exec_lo, exec_lo, s45
	s_delay_alu instid0(SALU_CYCLE_1)
	s_and_b32 vcc_lo, exec_lo, s44
	s_cbranch_vccz .LBB83_39
.LBB83_13:                              ;   in Loop: Header=BB83_4 Depth=1
	v_mov_b64_e32 v[10:11], 0
	s_and_not1_b32 vcc_lo, exec_lo, s40
	s_cbranch_vccnz .LBB83_16
; %bb.14:                               ;   in Loop: Header=BB83_4 Depth=1
	v_mad_nc_u64_u32 v[12:13], s20, s24, v[0:1]
	v_mad_nc_u64_u32 v[14:15], s34, s24, v[8:9]
	v_mov_b64_e32 v[10:11], 0
	s_mov_b32 s44, 0
	s_delay_alu instid0(VALU_DEP_3) | instskip(NEXT) | instid1(VALU_DEP_3)
	v_mad_u32 v13, s21, s24, v13
	v_mad_u32 v15, s35, s24, v15
.LBB83_15:                              ;   Parent Loop BB83_4 Depth=1
                                        ; =>  This Inner Loop Header: Depth=2
	global_load_b64 v[18:19], v[14:15], off
	global_load_b64 v[20:21], v[12:13], off
	s_wait_xcnt 0x0
	v_add_nc_u64_e32 v[12:13], s[30:31], v[12:13]
	v_add_nc_u64_e32 v[14:15], 0x800, v[14:15]
	s_addk_co_i32 s44, 0x100
	s_delay_alu instid0(SALU_CYCLE_1)
	s_cmp_ge_i32 s44, s10
	s_wait_loadcnt 0x0
	v_fmac_f64_e32 v[10:11], v[18:19], v[20:21]
	s_cbranch_scc0 .LBB83_15
.LBB83_16:                              ;   in Loop: Header=BB83_4 Depth=1
	s_and_saveexec_b32 s44, s1
	s_cbranch_execz .LBB83_18
; %bb.17:                               ;   in Loop: Header=BB83_4 Depth=1
	s_mul_u64 s[46:47], s[16:17], s[24:25]
	s_mul_u64 s[48:49], s[12:13], s[24:25]
	v_lshl_add_u64 v[12:13], s[46:47], 3, v[6:7]
	s_lshl_b64 s[46:47], s[48:49], 3
	s_delay_alu instid0(SALU_CYCLE_1) | instskip(NEXT) | instid1(SALU_CYCLE_1)
	s_add_nc_u64 s[46:47], s[18:19], s[46:47]
	v_lshl_add_u64 v[14:15], v[4:5], 3, s[46:47]
	s_delay_alu instid0(VALU_DEP_2)
	v_lshl_add_u64 v[12:13], s[10:11], 3, v[12:13]
	global_load_b64 v[18:19], v[12:13], off
	global_load_b64 v[20:21], v[14:15], off
	s_wait_loadcnt 0x0
	v_fmac_f64_e32 v[10:11], v[18:19], v[20:21]
.LBB83_18:                              ;   in Loop: Header=BB83_4 Depth=1
	s_wait_xcnt 0x0
	s_or_b32 exec_lo, exec_lo, s44
	ds_store_b64 v16, v[10:11]
	s_wait_dscnt 0x0
	s_barrier_signal -1
	s_barrier_wait -1
	s_and_saveexec_b32 s44, s2
	s_cbranch_execz .LBB83_20
; %bb.19:                               ;   in Loop: Header=BB83_4 Depth=1
	ds_load_2addr_stride64_b64 v[10:13], v16 offset1:2
	s_wait_dscnt 0x0
	v_add_f64_e32 v[10:11], v[12:13], v[10:11]
	ds_store_b64 v16, v[10:11]
.LBB83_20:                              ;   in Loop: Header=BB83_4 Depth=1
	s_or_b32 exec_lo, exec_lo, s44
	s_wait_dscnt 0x0
	s_barrier_signal -1
	s_barrier_wait -1
	s_and_saveexec_b32 s44, s3
	s_cbranch_execz .LBB83_22
; %bb.21:                               ;   in Loop: Header=BB83_4 Depth=1
	ds_load_2addr_stride64_b64 v[10:13], v16 offset1:1
	s_wait_dscnt 0x0
	v_add_f64_e32 v[10:11], v[12:13], v[10:11]
	ds_store_b64 v16, v[10:11]
.LBB83_22:                              ;   in Loop: Header=BB83_4 Depth=1
	s_or_b32 exec_lo, exec_lo, s44
	s_wait_dscnt 0x0
	s_barrier_signal -1
	s_barrier_wait -1
	s_and_saveexec_b32 s44, s4
	s_cbranch_execz .LBB83_24
; %bb.23:                               ;   in Loop: Header=BB83_4 Depth=1
	ds_load_2addr_b64 v[10:13], v16 offset1:32
	s_wait_dscnt 0x0
	v_add_f64_e32 v[10:11], v[12:13], v[10:11]
	ds_store_b64 v16, v[10:11]
.LBB83_24:                              ;   in Loop: Header=BB83_4 Depth=1
	s_or_b32 exec_lo, exec_lo, s44
	s_wait_dscnt 0x0
	s_barrier_signal -1
	s_barrier_wait -1
	s_and_saveexec_b32 s44, s5
	s_cbranch_execz .LBB83_26
; %bb.25:                               ;   in Loop: Header=BB83_4 Depth=1
	ds_load_2addr_b64 v[10:13], v16 offset1:16
	s_wait_dscnt 0x0
	v_add_f64_e32 v[10:11], v[12:13], v[10:11]
	ds_store_b64 v16, v[10:11]
.LBB83_26:                              ;   in Loop: Header=BB83_4 Depth=1
	;; [unrolled: 12-line block ×5, first 2 shown]
	s_or_b32 exec_lo, exec_lo, s44
	s_wait_dscnt 0x0
	s_barrier_signal -1
	s_barrier_wait -1
	s_and_saveexec_b32 s44, s0
	s_cbranch_execz .LBB83_34
; %bb.33:                               ;   in Loop: Header=BB83_4 Depth=1
	ds_load_b128 v[10:13], v3
	s_wait_dscnt 0x0
	v_add_f64_e32 v[10:11], v[12:13], v[10:11]
	ds_store_b64 v3, v[10:11]
.LBB83_34:                              ;   in Loop: Header=BB83_4 Depth=1
	s_or_b32 exec_lo, exec_lo, s44
	s_wait_dscnt 0x0
	s_barrier_signal -1
	s_barrier_wait -1
                                        ; implicit-def: $vgpr10_vgpr11
	s_and_saveexec_b32 s44, s0
	s_cbranch_execz .LBB83_38
; %bb.35:                               ;   in Loop: Header=BB83_4 Depth=1
	ds_load_b64 v[10:11], v3
	s_and_not1_b32 vcc_lo, exec_lo, s42
	s_wait_dscnt 0x0
	v_mul_f64_e32 v[10:11], s[26:27], v[10:11]
	s_cbranch_vccnz .LBB83_37
; %bb.36:                               ;   in Loop: Header=BB83_4 Depth=1
	s_add_nc_u64 s[46:47], s[38:39], s[36:37]
	global_load_b64 v[12:13], v3, s[46:47]
	s_wait_loadcnt 0x0
	v_fmac_f64_e32 v[10:11], s[14:15], v[12:13]
.LBB83_37:                              ;   in Loop: Header=BB83_4 Depth=1
	s_or_b32 s43, s43, exec_lo
.LBB83_38:                              ;   in Loop: Header=BB83_4 Depth=1
	s_wait_xcnt 0x0
	s_or_b32 exec_lo, exec_lo, s44
.LBB83_39:                              ;   in Loop: Header=BB83_4 Depth=1
	s_and_saveexec_b32 s44, s43
	s_cbranch_execz .LBB83_2
; %bb.40:                               ;   in Loop: Header=BB83_4 Depth=1
	s_add_nc_u64 s[38:39], s[38:39], s[36:37]
	global_store_b64 v3, v[10:11], s[38:39]
	s_branch .LBB83_2
.LBB83_41:
	s_endpgm
	.section	.rodata,"a",@progbits
	.p2align	6, 0x0
	.amdhsa_kernel _ZL20rocblas_gemvt_kernelILb0ELi256EdddEviiT2_lPKT1_lilS3_lilS0_lPT3_lili
		.amdhsa_group_segment_fixed_size 2048
		.amdhsa_private_segment_fixed_size 0
		.amdhsa_kernarg_size 140
		.amdhsa_user_sgpr_count 2
		.amdhsa_user_sgpr_dispatch_ptr 0
		.amdhsa_user_sgpr_queue_ptr 0
		.amdhsa_user_sgpr_kernarg_segment_ptr 1
		.amdhsa_user_sgpr_dispatch_id 0
		.amdhsa_user_sgpr_kernarg_preload_length 0
		.amdhsa_user_sgpr_kernarg_preload_offset 0
		.amdhsa_user_sgpr_private_segment_size 0
		.amdhsa_wavefront_size32 1
		.amdhsa_uses_dynamic_stack 0
		.amdhsa_enable_private_segment 0
		.amdhsa_system_sgpr_workgroup_id_x 1
		.amdhsa_system_sgpr_workgroup_id_y 0
		.amdhsa_system_sgpr_workgroup_id_z 1
		.amdhsa_system_sgpr_workgroup_info 0
		.amdhsa_system_vgpr_workitem_id 0
		.amdhsa_next_free_vgpr 22
		.amdhsa_next_free_sgpr 50
		.amdhsa_named_barrier_count 0
		.amdhsa_reserve_vcc 1
		.amdhsa_float_round_mode_32 0
		.amdhsa_float_round_mode_16_64 0
		.amdhsa_float_denorm_mode_32 3
		.amdhsa_float_denorm_mode_16_64 3
		.amdhsa_fp16_overflow 0
		.amdhsa_memory_ordered 1
		.amdhsa_forward_progress 1
		.amdhsa_inst_pref_size 11
		.amdhsa_round_robin_scheduling 0
		.amdhsa_exception_fp_ieee_invalid_op 0
		.amdhsa_exception_fp_denorm_src 0
		.amdhsa_exception_fp_ieee_div_zero 0
		.amdhsa_exception_fp_ieee_overflow 0
		.amdhsa_exception_fp_ieee_underflow 0
		.amdhsa_exception_fp_ieee_inexact 0
		.amdhsa_exception_int_div_zero 0
	.end_amdhsa_kernel
	.section	.text._ZL20rocblas_gemvt_kernelILb0ELi256EdddEviiT2_lPKT1_lilS3_lilS0_lPT3_lili,"axG",@progbits,_ZL20rocblas_gemvt_kernelILb0ELi256EdddEviiT2_lPKT1_lilS3_lilS0_lPT3_lili,comdat
.Lfunc_end83:
	.size	_ZL20rocblas_gemvt_kernelILb0ELi256EdddEviiT2_lPKT1_lilS3_lilS0_lPT3_lili, .Lfunc_end83-_ZL20rocblas_gemvt_kernelILb0ELi256EdddEviiT2_lPKT1_lilS3_lilS0_lPT3_lili
                                        ; -- End function
	.set _ZL20rocblas_gemvt_kernelILb0ELi256EdddEviiT2_lPKT1_lilS3_lilS0_lPT3_lili.num_vgpr, 22
	.set _ZL20rocblas_gemvt_kernelILb0ELi256EdddEviiT2_lPKT1_lilS3_lilS0_lPT3_lili.num_agpr, 0
	.set _ZL20rocblas_gemvt_kernelILb0ELi256EdddEviiT2_lPKT1_lilS3_lilS0_lPT3_lili.numbered_sgpr, 50
	.set _ZL20rocblas_gemvt_kernelILb0ELi256EdddEviiT2_lPKT1_lilS3_lilS0_lPT3_lili.num_named_barrier, 0
	.set _ZL20rocblas_gemvt_kernelILb0ELi256EdddEviiT2_lPKT1_lilS3_lilS0_lPT3_lili.private_seg_size, 0
	.set _ZL20rocblas_gemvt_kernelILb0ELi256EdddEviiT2_lPKT1_lilS3_lilS0_lPT3_lili.uses_vcc, 1
	.set _ZL20rocblas_gemvt_kernelILb0ELi256EdddEviiT2_lPKT1_lilS3_lilS0_lPT3_lili.uses_flat_scratch, 0
	.set _ZL20rocblas_gemvt_kernelILb0ELi256EdddEviiT2_lPKT1_lilS3_lilS0_lPT3_lili.has_dyn_sized_stack, 0
	.set _ZL20rocblas_gemvt_kernelILb0ELi256EdddEviiT2_lPKT1_lilS3_lilS0_lPT3_lili.has_recursion, 0
	.set _ZL20rocblas_gemvt_kernelILb0ELi256EdddEviiT2_lPKT1_lilS3_lilS0_lPT3_lili.has_indirect_call, 0
	.section	.AMDGPU.csdata,"",@progbits
; Kernel info:
; codeLenInByte = 1400
; TotalNumSgprs: 52
; NumVgprs: 22
; ScratchSize: 0
; MemoryBound: 0
; FloatMode: 240
; IeeeMode: 1
; LDSByteSize: 2048 bytes/workgroup (compile time only)
; SGPRBlocks: 0
; VGPRBlocks: 1
; NumSGPRsForWavesPerEU: 52
; NumVGPRsForWavesPerEU: 22
; NamedBarCnt: 0
; Occupancy: 16
; WaveLimiterHint : 0
; COMPUTE_PGM_RSRC2:SCRATCH_EN: 0
; COMPUTE_PGM_RSRC2:USER_SGPR: 2
; COMPUTE_PGM_RSRC2:TRAP_HANDLER: 0
; COMPUTE_PGM_RSRC2:TGID_X_EN: 1
; COMPUTE_PGM_RSRC2:TGID_Y_EN: 0
; COMPUTE_PGM_RSRC2:TGID_Z_EN: 1
; COMPUTE_PGM_RSRC2:TIDIG_COMP_CNT: 0
	.section	.text._ZL32rocblas_gemvt_warp_reduce_kernelILb0ELi1024EidPKddEviiT3_lPKT2_lT1_lS5_lS6_lS2_lPT4_lS6_li,"axG",@progbits,_ZL32rocblas_gemvt_warp_reduce_kernelILb0ELi1024EidPKddEviiT3_lPKT2_lT1_lS5_lS6_lS2_lPT4_lS6_li,comdat
	.globl	_ZL32rocblas_gemvt_warp_reduce_kernelILb0ELi1024EidPKddEviiT3_lPKT2_lT1_lS5_lS6_lS2_lPT4_lS6_li ; -- Begin function _ZL32rocblas_gemvt_warp_reduce_kernelILb0ELi1024EidPKddEviiT3_lPKT2_lT1_lS5_lS6_lS2_lPT4_lS6_li
	.p2align	8
	.type	_ZL32rocblas_gemvt_warp_reduce_kernelILb0ELi1024EidPKddEviiT3_lPKT2_lT1_lS5_lS6_lS2_lPT4_lS6_li,@function
_ZL32rocblas_gemvt_warp_reduce_kernelILb0ELi1024EidPKddEviiT3_lPKT2_lT1_lS5_lS6_lS2_lPT4_lS6_li: ; @_ZL32rocblas_gemvt_warp_reduce_kernelILb0ELi1024EidPKddEviiT3_lPKT2_lT1_lS5_lS6_lS2_lPT4_lS6_li
; %bb.0:
	s_load_b32 s33, s[0:1], 0x88
	s_bfe_u32 s2, ttmp6, 0x40014
	s_lshr_b32 s3, ttmp7, 16
	s_add_co_i32 s2, s2, 1
	s_bfe_u32 s5, ttmp6, 0x40008
	s_mul_i32 s4, s3, s2
	s_getreg_b32 s2, hwreg(HW_REG_IB_STS2, 6, 4)
	s_add_co_i32 s5, s5, s4
	s_cmp_eq_u32 s2, 0
	s_mov_b32 s35, 0
	s_cselect_b32 s34, s3, s5
	s_wait_kmcnt 0x0
	s_cmp_ge_u32 s34, s33
	s_cbranch_scc1 .LBB84_34
; %bb.1:
	s_clause 0x7
	s_load_b96 s[4:6], s[0:1], 0x40
	s_load_b96 s[28:30], s[0:1], 0x70
	s_load_b256 s[8:15], s[0:1], 0x8
	s_load_b32 s7, s[0:1], 0x0
	s_load_b32 s31, s[0:1], 0x28
	s_load_b128 s[24:27], s[0:1], 0x30
	s_load_b256 s[16:23], s[0:1], 0x50
	s_load_b64 s[36:37], s[0:1], 0x80
	s_wait_xcnt 0x0
	s_bfe_u32 s1, ttmp6, 0x4000c
	s_and_b32 s3, ttmp6, 15
	s_add_co_i32 s1, s1, 1
	v_dual_mov_b32 v3, 0 :: v_dual_bitop2_b32 v8, 31, v0 bitop3:0x40
	s_mul_i32 s1, ttmp9, s1
	v_mbcnt_lo_u32_b32 v21, -1, 0
	s_add_co_i32 s3, s3, s1
	v_mov_b64_e32 v[10:11], 0
	v_cmp_eq_u32_e64 s0, 0, v0
	v_cmp_gt_u32_e64 s1, 32, v0
	v_lshl_or_b32 v22, v21, 2, 64
	s_wait_kmcnt 0x0
	s_lshl_b64 s[4:5], s[4:5], 3
	s_lshl_b64 s[28:29], s[28:29], 3
	s_lshl_b64 s[38:39], s[14:15], 3
	s_cmp_eq_u32 s2, 0
	v_cmp_gt_i32_e32 vcc_lo, s7, v0
	s_cselect_b32 s15, ttmp9, s3
	s_ashr_i32 s2, s7, 31
	v_lshrrev_b32_e32 v12, 2, v0
	s_lshr_b32 s2, s2, 22
	v_cndmask_b32_e32 v2, 0, v0, vcc_lo
	s_add_co_i32 s2, s7, s2
	v_lshlrev_b32_e32 v1, 3, v8
	s_and_b32 s14, s2, 0xfffffc00
	s_add_nc_u64 s[26:27], s[26:27], s[4:5]
	v_dual_lshlrev_b32 v2, 3, v2 :: v_dual_bitop2_b32 v5, s14, v0 bitop3:0x54
	s_mul_i32 s4, s31, s15
	s_add_nc_u64 s[2:3], s[12:13], s[38:39]
	s_ashr_i32 s5, s4, 31
	s_delay_alu instid0(VALU_DEP_1)
	v_mul_lo_u32 v4, s6, v5
	v_add_nc_u64_e32 v[6:7], s[2:3], v[2:3]
	s_lshl_b64 s[4:5], s[4:5], 3
	s_add_nc_u64 s[22:23], s[22:23], s[28:29]
	s_mul_i32 s28, s30, s15
	s_add_nc_u64 s[30:31], s[38:39], s[4:5]
	v_mul_lo_u32 v20, v0, s6
	s_add_nc_u64 s[12:13], s[12:13], s[30:31]
	v_add_nc_u64_e32 v[6:7], s[4:5], v[6:7]
	v_cmp_eq_u32_e64 s4, 0, v8
	v_add_nc_u64_e32 v[8:9], s[12:13], v[2:3]
	v_cmp_gt_i32_e64 s2, s14, v0
	v_cmp_gt_i32_e64 s3, s7, v5
	v_ashrrev_i32_e32 v5, 31, v4
	v_and_b32_e32 v2, 0xf8, v12
	s_ashr_i32 s29, s28, 31
	s_ashr_i32 s15, s14, 31
	s_lshl_b32 s38, s6, 10
	s_lshl_b64 s[6:7], s[24:25], 3
	s_lshl_b64 s[12:13], s[28:29], 3
	s_branch .LBB84_4
.LBB84_2:                               ;   in Loop: Header=BB84_4 Depth=1
	s_wait_xcnt 0x0
	s_or_b32 exec_lo, exec_lo, s30
.LBB84_3:                               ;   in Loop: Header=BB84_4 Depth=1
	s_add_co_i32 s34, s34, 0x10000
	s_delay_alu instid0(SALU_CYCLE_1)
	s_cmp_lt_u32 s34, s33
	s_cbranch_scc0 .LBB84_34
.LBB84_4:                               ; =>This Loop Header: Depth=1
                                        ;     Child Loop BB84_23 Depth 2
	s_wait_xcnt 0x1
	s_mul_u64 s[28:29], s[10:11], s[34:35]
	s_wait_xcnt 0x0
	s_mul_u64 s[30:31], s[20:21], s[34:35]
	s_lshl_b64 s[28:29], s[28:29], 3
	s_lshl_b64 s[30:31], s[30:31], 3
	s_add_nc_u64 s[28:29], s[8:9], s[28:29]
	s_add_nc_u64 s[30:31], s[18:19], s[30:31]
	s_clause 0x1
	global_load_b64 v[14:15], v3, s[28:29]
	global_load_b64 v[12:13], v3, s[30:31]
	s_wait_loadcnt 0x1
	v_cmp_eq_f64_e32 vcc_lo, 0, v[14:15]
	s_wait_loadcnt 0x0
	v_cmp_eq_f64_e64 s5, 1.0, v[12:13]
	s_and_b32 s5, vcc_lo, s5
	s_delay_alu instid0(SALU_CYCLE_1)
	s_and_b32 vcc_lo, exec_lo, s5
	s_cbranch_vccnz .LBB84_3
; %bb.5:                                ;   in Loop: Header=BB84_4 Depth=1
	v_cmp_neq_f64_e32 vcc_lo, 0, v[14:15]
	s_wait_xcnt 0x1
	s_mul_u64 s[28:29], s[36:37], s[34:35]
	s_delay_alu instid0(SALU_CYCLE_1) | instskip(NEXT) | instid1(SALU_CYCLE_1)
	s_lshl_b64 s[28:29], s[28:29], 3
	s_add_nc_u64 s[28:29], s[22:23], s[28:29]
	s_cbranch_vccnz .LBB84_9
; %bb.6:                                ;   in Loop: Header=BB84_4 Depth=1
	s_wait_xcnt 0x0
	s_mov_b32 s30, 0
	s_mov_b32 s5, 0
                                        ; implicit-def: $vgpr16_vgpr17
	s_and_saveexec_b32 s31, s0
	s_cbranch_execz .LBB84_10
; %bb.7:                                ;   in Loop: Header=BB84_4 Depth=1
	v_cmp_eq_f64_e32 vcc_lo, 0, v[12:13]
	s_cbranch_vccnz .LBB84_11
; %bb.8:                                ;   in Loop: Header=BB84_4 Depth=1
	s_add_nc_u64 s[40:41], s[28:29], s[12:13]
	global_load_b64 v[16:17], v3, s[40:41]
	s_wait_loadcnt 0x0
	v_mul_f64_e32 v[16:17], v[12:13], v[16:17]
	s_branch .LBB84_12
.LBB84_9:                               ;   in Loop: Header=BB84_4 Depth=1
	s_wait_xcnt 0x0
	s_mov_b32 s5, 0
                                        ; implicit-def: $vgpr16_vgpr17
	s_cbranch_execnz .LBB84_13
	s_branch .LBB84_32
.LBB84_10:                              ;   in Loop: Header=BB84_4 Depth=1
	s_or_b32 exec_lo, exec_lo, s31
	s_delay_alu instid0(SALU_CYCLE_1)
	s_and_b32 vcc_lo, exec_lo, s30
	s_cbranch_vccnz .LBB84_13
	s_branch .LBB84_32
.LBB84_11:                              ;   in Loop: Header=BB84_4 Depth=1
	v_mov_b64_e32 v[16:17], 0
.LBB84_12:                              ;   in Loop: Header=BB84_4 Depth=1
	s_mov_b32 s5, exec_lo
	s_wait_xcnt 0x0
	s_or_b32 exec_lo, exec_lo, s31
	s_delay_alu instid0(SALU_CYCLE_1)
	s_and_b32 vcc_lo, exec_lo, s30
	s_cbranch_vccz .LBB84_32
.LBB84_13:                              ;   in Loop: Header=BB84_4 Depth=1
	v_mov_b64_e32 v[16:17], 0
	s_mul_u64 s[30:31], s[16:17], s[34:35]
	s_delay_alu instid0(SALU_CYCLE_1) | instskip(NEXT) | instid1(SALU_CYCLE_1)
	s_lshl_b64 s[30:31], s[30:31], 3
	s_add_nc_u64 s[30:31], s[26:27], s[30:31]
	s_and_saveexec_b32 s39, s2
	s_cbranch_execnz .LBB84_22
; %bb.14:                               ;   in Loop: Header=BB84_4 Depth=1
	s_or_b32 exec_lo, exec_lo, s39
	s_and_saveexec_b32 s39, s3
	s_cbranch_execnz .LBB84_25
.LBB84_15:                              ;   in Loop: Header=BB84_4 Depth=1
	s_or_b32 exec_lo, exec_lo, s39
	s_and_saveexec_b32 s30, s1
.LBB84_16:                              ;   in Loop: Header=BB84_4 Depth=1
	ds_store_b64 v1, v[10:11]
.LBB84_17:                              ;   in Loop: Header=BB84_4 Depth=1
	s_or_b32 exec_lo, exec_lo, s30
	s_wait_dscnt 0x0
	ds_bpermute_b32 v18, v22, v16
	ds_bpermute_b32 v19, v22, v17
	v_cmp_gt_u32_e32 vcc_lo, 24, v21
	s_wait_dscnt 0x0
	s_barrier_signal -1
	s_barrier_wait -1
	v_add_f64_e32 v[16:17], v[16:17], v[18:19]
	v_cndmask_b32_e64 v18, 0, 8, vcc_lo
	v_cmp_gt_u32_e32 vcc_lo, 28, v21
	s_delay_alu instid0(VALU_DEP_2)
	v_add_lshl_u32 v23, v18, v21, 2
	ds_bpermute_b32 v18, v23, v16
	ds_bpermute_b32 v19, v23, v17
	s_wait_dscnt 0x0
	v_add_f64_e32 v[16:17], v[16:17], v[18:19]
	v_cndmask_b32_e64 v18, 0, 4, vcc_lo
	v_cmp_gt_u32_e32 vcc_lo, 30, v21
	s_delay_alu instid0(VALU_DEP_2)
	v_add_lshl_u32 v24, v18, v21, 2
	ds_bpermute_b32 v18, v24, v16
	ds_bpermute_b32 v19, v24, v17
	s_wait_dscnt 0x0
	v_add_f64_e32 v[16:17], v[16:17], v[18:19]
	v_cndmask_b32_e64 v18, 0, 2, vcc_lo
	v_cmp_ne_u32_e32 vcc_lo, 31, v21
	s_delay_alu instid0(VALU_DEP_2)
	v_add_lshl_u32 v25, v18, v21, 2
	ds_bpermute_b32 v18, v25, v16
	ds_bpermute_b32 v19, v25, v17
	s_wait_dscnt 0x0
	v_add_f64_e32 v[16:17], v[16:17], v[18:19]
	v_add_co_ci_u32_e64 v18, null, 0, v21, vcc_lo
	s_delay_alu instid0(VALU_DEP_1)
	v_lshlrev_b32_e32 v26, 2, v18
	ds_bpermute_b32 v18, v26, v16
	ds_bpermute_b32 v19, v26, v17
	s_and_saveexec_b32 s30, s4
	s_cbranch_execz .LBB84_19
; %bb.18:                               ;   in Loop: Header=BB84_4 Depth=1
	s_wait_dscnt 0x0
	v_add_f64_e32 v[16:17], v[16:17], v[18:19]
	ds_store_b64 v2, v[16:17]
.LBB84_19:                              ;   in Loop: Header=BB84_4 Depth=1
	s_or_b32 exec_lo, exec_lo, s30
	s_wait_dscnt 0x0
	v_mov_b64_e32 v[18:19], 0
	s_barrier_signal -1
	s_barrier_wait -1
	s_and_saveexec_b32 s30, s1
	s_cbranch_execnz .LBB84_26
; %bb.20:                               ;   in Loop: Header=BB84_4 Depth=1
	s_or_b32 exec_lo, exec_lo, s30
	s_and_saveexec_b32 s30, s1
	s_cbranch_execnz .LBB84_27
.LBB84_21:                              ;   in Loop: Header=BB84_4 Depth=1
	s_or_b32 exec_lo, exec_lo, s30
                                        ; implicit-def: $vgpr16_vgpr17
	s_and_saveexec_b32 s30, s0
	s_cbranch_execnz .LBB84_28
	s_branch .LBB84_31
.LBB84_22:                              ;   in Loop: Header=BB84_4 Depth=1
	s_wait_dscnt 0x0
	v_mad_nc_u64_u32 v[18:19], s6, s34, v[8:9]
	v_mov_b64_e32 v[16:17], 0
	v_dual_mov_b32 v23, v0 :: v_dual_mov_b32 v24, v20
	s_mov_b32 s40, 0
	s_delay_alu instid0(VALU_DEP_3)
	v_mad_u32 v19, s7, s34, v19
.LBB84_23:                              ;   Parent Loop BB84_4 Depth=1
                                        ; =>  This Inner Loop Header: Depth=2
	global_load_b64 v[26:27], v[18:19], off
	global_load_b64 v[28:29], v24, s[30:31] scale_offset
	v_add_nc_u32_e32 v23, 0x400, v23
	s_wait_xcnt 0x1
	v_add_nc_u64_e32 v[18:19], 0x2000, v[18:19]
	s_wait_xcnt 0x0
	v_add_nc_u32_e32 v24, s38, v24
	v_cmp_le_i32_e32 vcc_lo, s14, v23
	s_or_b32 s40, vcc_lo, s40
	s_wait_loadcnt 0x0
	v_fmac_f64_e32 v[16:17], v[26:27], v[28:29]
	s_and_not1_b32 exec_lo, exec_lo, s40
	s_cbranch_execnz .LBB84_23
; %bb.24:                               ;   in Loop: Header=BB84_4 Depth=1
	s_or_b32 exec_lo, exec_lo, s40
	s_delay_alu instid0(SALU_CYCLE_1)
	s_or_b32 exec_lo, exec_lo, s39
	s_and_saveexec_b32 s39, s3
	s_cbranch_execz .LBB84_15
.LBB84_25:                              ;   in Loop: Header=BB84_4 Depth=1
	s_mul_u64 s[40:41], s[24:25], s[34:35]
	v_lshl_add_u64 v[24:25], v[4:5], 3, s[30:31]
	s_wait_dscnt 0x0
	v_lshl_add_u64 v[18:19], s[40:41], 3, v[6:7]
	s_delay_alu instid0(VALU_DEP_1)
	v_lshl_add_u64 v[18:19], s[14:15], 3, v[18:19]
	global_load_b64 v[26:27], v[18:19], off
	global_load_b64 v[28:29], v[24:25], off
	s_wait_loadcnt 0x0
	v_fmac_f64_e32 v[16:17], v[26:27], v[28:29]
	s_wait_xcnt 0x0
	s_or_b32 exec_lo, exec_lo, s39
	s_and_saveexec_b32 s30, s1
	s_cbranch_execnz .LBB84_16
	s_branch .LBB84_17
.LBB84_26:                              ;   in Loop: Header=BB84_4 Depth=1
	ds_load_b64 v[18:19], v1
	s_or_b32 exec_lo, exec_lo, s30
	s_and_saveexec_b32 s30, s1
	s_cbranch_execz .LBB84_21
.LBB84_27:                              ;   in Loop: Header=BB84_4 Depth=1
	s_wait_dscnt 0x0
	ds_bpermute_b32 v16, v22, v18
	ds_bpermute_b32 v17, v22, v19
	s_wait_dscnt 0x0
	v_add_f64_e32 v[16:17], v[18:19], v[16:17]
	ds_bpermute_b32 v18, v23, v16
	ds_bpermute_b32 v19, v23, v17
	s_wait_dscnt 0x0
	v_add_f64_e32 v[16:17], v[16:17], v[18:19]
	;; [unrolled: 4-line block ×5, first 2 shown]
	s_or_b32 exec_lo, exec_lo, s30
                                        ; implicit-def: $vgpr16_vgpr17
	s_and_saveexec_b32 s30, s0
	s_cbranch_execz .LBB84_31
.LBB84_28:                              ;   in Loop: Header=BB84_4 Depth=1
	v_cmp_eq_f64_e32 vcc_lo, 0, v[12:13]
	s_wait_dscnt 0x0
	s_delay_alu instid0(VALU_DEP_2)
	v_mul_f64_e32 v[16:17], v[14:15], v[18:19]
	s_cbranch_vccnz .LBB84_30
; %bb.29:                               ;   in Loop: Header=BB84_4 Depth=1
	s_add_nc_u64 s[40:41], s[28:29], s[12:13]
	global_load_b64 v[14:15], v3, s[40:41]
	s_wait_loadcnt 0x0
	v_fmac_f64_e32 v[16:17], v[12:13], v[14:15]
.LBB84_30:                              ;   in Loop: Header=BB84_4 Depth=1
	s_or_b32 s5, s5, exec_lo
.LBB84_31:                              ;   in Loop: Header=BB84_4 Depth=1
	s_wait_xcnt 0x0
	s_or_b32 exec_lo, exec_lo, s30
.LBB84_32:                              ;   in Loop: Header=BB84_4 Depth=1
	s_and_saveexec_b32 s30, s5
	s_cbranch_execz .LBB84_2
; %bb.33:                               ;   in Loop: Header=BB84_4 Depth=1
	s_add_nc_u64 s[28:29], s[28:29], s[12:13]
	global_store_b64 v3, v[16:17], s[28:29]
	s_branch .LBB84_2
.LBB84_34:
	s_endpgm
	.section	.rodata,"a",@progbits
	.p2align	6, 0x0
	.amdhsa_kernel _ZL32rocblas_gemvt_warp_reduce_kernelILb0ELi1024EidPKddEviiT3_lPKT2_lT1_lS5_lS6_lS2_lPT4_lS6_li
		.amdhsa_group_segment_fixed_size 256
		.amdhsa_private_segment_fixed_size 0
		.amdhsa_kernarg_size 140
		.amdhsa_user_sgpr_count 2
		.amdhsa_user_sgpr_dispatch_ptr 0
		.amdhsa_user_sgpr_queue_ptr 0
		.amdhsa_user_sgpr_kernarg_segment_ptr 1
		.amdhsa_user_sgpr_dispatch_id 0
		.amdhsa_user_sgpr_kernarg_preload_length 0
		.amdhsa_user_sgpr_kernarg_preload_offset 0
		.amdhsa_user_sgpr_private_segment_size 0
		.amdhsa_wavefront_size32 1
		.amdhsa_uses_dynamic_stack 0
		.amdhsa_enable_private_segment 0
		.amdhsa_system_sgpr_workgroup_id_x 1
		.amdhsa_system_sgpr_workgroup_id_y 0
		.amdhsa_system_sgpr_workgroup_id_z 1
		.amdhsa_system_sgpr_workgroup_info 0
		.amdhsa_system_vgpr_workitem_id 0
		.amdhsa_next_free_vgpr 30
		.amdhsa_next_free_sgpr 42
		.amdhsa_named_barrier_count 0
		.amdhsa_reserve_vcc 1
		.amdhsa_float_round_mode_32 0
		.amdhsa_float_round_mode_16_64 0
		.amdhsa_float_denorm_mode_32 3
		.amdhsa_float_denorm_mode_16_64 3
		.amdhsa_fp16_overflow 0
		.amdhsa_memory_ordered 1
		.amdhsa_forward_progress 1
		.amdhsa_inst_pref_size 12
		.amdhsa_round_robin_scheduling 0
		.amdhsa_exception_fp_ieee_invalid_op 0
		.amdhsa_exception_fp_denorm_src 0
		.amdhsa_exception_fp_ieee_div_zero 0
		.amdhsa_exception_fp_ieee_overflow 0
		.amdhsa_exception_fp_ieee_underflow 0
		.amdhsa_exception_fp_ieee_inexact 0
		.amdhsa_exception_int_div_zero 0
	.end_amdhsa_kernel
	.section	.text._ZL32rocblas_gemvt_warp_reduce_kernelILb0ELi1024EidPKddEviiT3_lPKT2_lT1_lS5_lS6_lS2_lPT4_lS6_li,"axG",@progbits,_ZL32rocblas_gemvt_warp_reduce_kernelILb0ELi1024EidPKddEviiT3_lPKT2_lT1_lS5_lS6_lS2_lPT4_lS6_li,comdat
.Lfunc_end84:
	.size	_ZL32rocblas_gemvt_warp_reduce_kernelILb0ELi1024EidPKddEviiT3_lPKT2_lT1_lS5_lS6_lS2_lPT4_lS6_li, .Lfunc_end84-_ZL32rocblas_gemvt_warp_reduce_kernelILb0ELi1024EidPKddEviiT3_lPKT2_lT1_lS5_lS6_lS2_lPT4_lS6_li
                                        ; -- End function
	.set _ZL32rocblas_gemvt_warp_reduce_kernelILb0ELi1024EidPKddEviiT3_lPKT2_lT1_lS5_lS6_lS2_lPT4_lS6_li.num_vgpr, 30
	.set _ZL32rocblas_gemvt_warp_reduce_kernelILb0ELi1024EidPKddEviiT3_lPKT2_lT1_lS5_lS6_lS2_lPT4_lS6_li.num_agpr, 0
	.set _ZL32rocblas_gemvt_warp_reduce_kernelILb0ELi1024EidPKddEviiT3_lPKT2_lT1_lS5_lS6_lS2_lPT4_lS6_li.numbered_sgpr, 42
	.set _ZL32rocblas_gemvt_warp_reduce_kernelILb0ELi1024EidPKddEviiT3_lPKT2_lT1_lS5_lS6_lS2_lPT4_lS6_li.num_named_barrier, 0
	.set _ZL32rocblas_gemvt_warp_reduce_kernelILb0ELi1024EidPKddEviiT3_lPKT2_lT1_lS5_lS6_lS2_lPT4_lS6_li.private_seg_size, 0
	.set _ZL32rocblas_gemvt_warp_reduce_kernelILb0ELi1024EidPKddEviiT3_lPKT2_lT1_lS5_lS6_lS2_lPT4_lS6_li.uses_vcc, 1
	.set _ZL32rocblas_gemvt_warp_reduce_kernelILb0ELi1024EidPKddEviiT3_lPKT2_lT1_lS5_lS6_lS2_lPT4_lS6_li.uses_flat_scratch, 0
	.set _ZL32rocblas_gemvt_warp_reduce_kernelILb0ELi1024EidPKddEviiT3_lPKT2_lT1_lS5_lS6_lS2_lPT4_lS6_li.has_dyn_sized_stack, 0
	.set _ZL32rocblas_gemvt_warp_reduce_kernelILb0ELi1024EidPKddEviiT3_lPKT2_lT1_lS5_lS6_lS2_lPT4_lS6_li.has_recursion, 0
	.set _ZL32rocblas_gemvt_warp_reduce_kernelILb0ELi1024EidPKddEviiT3_lPKT2_lT1_lS5_lS6_lS2_lPT4_lS6_li.has_indirect_call, 0
	.section	.AMDGPU.csdata,"",@progbits
; Kernel info:
; codeLenInByte = 1508
; TotalNumSgprs: 44
; NumVgprs: 30
; ScratchSize: 0
; MemoryBound: 0
; FloatMode: 240
; IeeeMode: 1
; LDSByteSize: 256 bytes/workgroup (compile time only)
; SGPRBlocks: 0
; VGPRBlocks: 1
; NumSGPRsForWavesPerEU: 44
; NumVGPRsForWavesPerEU: 30
; NamedBarCnt: 0
; Occupancy: 16
; WaveLimiterHint : 0
; COMPUTE_PGM_RSRC2:SCRATCH_EN: 0
; COMPUTE_PGM_RSRC2:USER_SGPR: 2
; COMPUTE_PGM_RSRC2:TRAP_HANDLER: 0
; COMPUTE_PGM_RSRC2:TGID_X_EN: 1
; COMPUTE_PGM_RSRC2:TGID_Y_EN: 0
; COMPUTE_PGM_RSRC2:TGID_Z_EN: 1
; COMPUTE_PGM_RSRC2:TIDIG_COMP_CNT: 0
	.section	.text._ZL32rocblas_gemvt_warp_reduce_kernelILb0ELi1024EldPKddEviiT3_lPKT2_lT1_lS5_lS6_lS2_lPT4_lS6_li,"axG",@progbits,_ZL32rocblas_gemvt_warp_reduce_kernelILb0ELi1024EldPKddEviiT3_lPKT2_lT1_lS5_lS6_lS2_lPT4_lS6_li,comdat
	.globl	_ZL32rocblas_gemvt_warp_reduce_kernelILb0ELi1024EldPKddEviiT3_lPKT2_lT1_lS5_lS6_lS2_lPT4_lS6_li ; -- Begin function _ZL32rocblas_gemvt_warp_reduce_kernelILb0ELi1024EldPKddEviiT3_lPKT2_lT1_lS5_lS6_lS2_lPT4_lS6_li
	.p2align	8
	.type	_ZL32rocblas_gemvt_warp_reduce_kernelILb0ELi1024EldPKddEviiT3_lPKT2_lT1_lS5_lS6_lS2_lPT4_lS6_li,@function
_ZL32rocblas_gemvt_warp_reduce_kernelILb0ELi1024EldPKddEviiT3_lPKT2_lT1_lS5_lS6_lS2_lPT4_lS6_li: ; @_ZL32rocblas_gemvt_warp_reduce_kernelILb0ELi1024EldPKddEviiT3_lPKT2_lT1_lS5_lS6_lS2_lPT4_lS6_li
; %bb.0:
	s_load_b32 s30, s[0:1], 0x88
	s_bfe_u32 s2, ttmp6, 0x40014
	s_lshr_b32 s3, ttmp7, 16
	s_add_co_i32 s2, s2, 1
	s_bfe_u32 s5, ttmp6, 0x40008
	s_mul_i32 s4, s3, s2
	s_getreg_b32 s2, hwreg(HW_REG_IB_STS2, 6, 4)
	s_add_co_i32 s5, s5, s4
	s_cmp_eq_u32 s2, 0
	s_mov_b32 s7, 0
	s_cselect_b32 s6, s3, s5
	s_wait_kmcnt 0x0
	s_cmp_ge_u32 s6, s30
	s_cbranch_scc1 .LBB85_34
; %bb.1:
	s_clause 0x2
	s_load_b512 s[8:23], s[0:1], 0x8
	s_load_b512 s[36:51], s[0:1], 0x48
	s_load_b32 s28, s[0:1], 0x0
	s_wait_xcnt 0x0
	s_bfe_u32 s0, ttmp6, 0x4000c
	s_and_b32 s1, ttmp6, 15
	s_add_co_i32 s0, s0, 1
	v_mbcnt_lo_u32_b32 v25, -1, 0
	s_mul_i32 s0, ttmp9, s0
	v_mov_b64_e32 v[10:11], 0
	s_add_co_i32 s3, s1, s0
	s_wait_kmcnt 0x0
	s_lshl_b64 s[0:1], s[22:23], 3
	s_lshl_b64 s[4:5], s[46:47], 3
	;; [unrolled: 1-line block ×3, first 2 shown]
	s_cmp_eq_u32 s2, 0
	v_cmp_gt_i32_e32 vcc_lo, s28, v0
	s_cselect_b32 s2, ttmp9, s3
	s_ashr_i32 s3, s28, 31
	s_add_nc_u64 s[22:23], s[12:13], s[24:25]
	s_lshr_b32 s3, s3, 22
	s_add_nc_u64 s[20:21], s[20:21], s[0:1]
	s_add_co_i32 s3, s28, s3
	v_cmp_eq_u32_e64 s0, 0, v0
	s_and_b32 s14, s3, 0xfffffc00
	s_delay_alu instid0(SALU_CYCLE_1) | instskip(SKIP_3) | instid1(VALU_DEP_3)
	v_dual_mov_b32 v3, 0 :: v_dual_bitop2_b32 v8, s14, v0 bitop3:0x54
	v_cndmask_b32_e32 v2, 0, v0, vcc_lo
	s_ashr_i32 s3, s2, 31
	v_cmp_gt_i32_e64 s1, s14, v0
	v_dual_mov_b32 v1, v3 :: v_dual_ashrrev_i32 v9, 31, v8
	s_delay_alu instid0(VALU_DEP_3) | instskip(SKIP_2) | instid1(VALU_DEP_2)
	v_lshlrev_b32_e32 v2, 3, v2
	s_mul_u64 s[26:27], s[48:49], s[2:3]
	s_ashr_i32 s15, s14, 31
	v_mul_u64_e32 v[12:13], s[36:37], v[0:1]
	v_mul_u64_e32 v[4:5], s[36:37], v[8:9]
	v_add_nc_u64_e32 v[6:7], s[22:23], v[2:3]
	s_add_nc_u64 s[22:23], s[44:45], s[4:5]
	s_mul_u64 s[4:5], s[16:17], s[2:3]
	v_and_b32_e32 v9, 31, v0
	s_lshl_b64 s[16:17], s[4:5], 3
	v_cmp_gt_i32_e64 s2, s28, v8
	v_lshrrev_b32_e32 v8, 2, v0
	v_add_nc_u64_e32 v[6:7], s[16:17], v[6:7]
	s_add_nc_u64 s[16:17], s[16:17], s[24:25]
	v_lshlrev_b32_e32 v1, 3, v9
	s_add_nc_u64 s[12:13], s[12:13], s[16:17]
	v_cmp_eq_u32_e64 s4, 0, v9
	v_and_b32_e32 v24, 0xf8, v8
	v_add_nc_u64_e32 v[8:9], s[12:13], v[2:3]
	v_cmp_gt_u32_e64 s3, 32, v0
	v_lshl_or_b32 v2, v25, 2, 64
	s_lshl_b64 s[12:13], s[18:19], 3
	s_lshl_b64 s[16:17], s[38:39], 3
	;; [unrolled: 1-line block ×4, first 2 shown]
	v_lshl_add_u64 v[12:13], v[12:13], 3, s[20:21]
	s_branch .LBB85_4
.LBB85_2:                               ;   in Loop: Header=BB85_4 Depth=1
	s_wait_xcnt 0x0
	s_or_b32 exec_lo, exec_lo, s31
.LBB85_3:                               ;   in Loop: Header=BB85_4 Depth=1
	s_add_co_i32 s6, s6, 0x10000
	s_delay_alu instid0(SALU_CYCLE_1)
	s_cmp_lt_u32 s6, s30
	s_cbranch_scc0 .LBB85_34
.LBB85_4:                               ; =>This Loop Header: Depth=1
                                        ;     Child Loop BB85_23 Depth 2
	s_wait_xcnt 0x1
	s_mul_u64 s[28:29], s[10:11], s[6:7]
	s_wait_xcnt 0x0
	s_mul_u64 s[34:35], s[42:43], s[6:7]
	s_lshl_b64 s[28:29], s[28:29], 3
	s_lshl_b64 s[34:35], s[34:35], 3
	s_add_nc_u64 s[28:29], s[8:9], s[28:29]
	s_add_nc_u64 s[34:35], s[40:41], s[34:35]
	s_clause 0x1
	global_load_b64 v[16:17], v3, s[28:29]
	global_load_b64 v[14:15], v3, s[34:35]
	s_wait_loadcnt 0x1
	v_cmp_eq_f64_e32 vcc_lo, 0, v[16:17]
	s_wait_loadcnt 0x0
	v_cmp_eq_f64_e64 s5, 1.0, v[14:15]
	s_and_b32 s5, vcc_lo, s5
	s_delay_alu instid0(SALU_CYCLE_1)
	s_and_b32 vcc_lo, exec_lo, s5
	s_cbranch_vccnz .LBB85_3
; %bb.5:                                ;   in Loop: Header=BB85_4 Depth=1
	v_cmp_neq_f64_e32 vcc_lo, 0, v[16:17]
	s_wait_xcnt 0x1
	s_mul_u64 s[28:29], s[50:51], s[6:7]
	s_delay_alu instid0(SALU_CYCLE_1) | instskip(NEXT) | instid1(SALU_CYCLE_1)
	s_lshl_b64 s[28:29], s[28:29], 3
	s_add_nc_u64 s[28:29], s[22:23], s[28:29]
	s_cbranch_vccnz .LBB85_9
; %bb.6:                                ;   in Loop: Header=BB85_4 Depth=1
	s_mov_b32 s31, 0
	s_mov_b32 s5, 0
                                        ; implicit-def: $vgpr18_vgpr19
	s_wait_xcnt 0x0
	s_and_saveexec_b32 s33, s0
	s_cbranch_execz .LBB85_10
; %bb.7:                                ;   in Loop: Header=BB85_4 Depth=1
	v_cmp_eq_f64_e32 vcc_lo, 0, v[14:15]
	s_cbranch_vccnz .LBB85_11
; %bb.8:                                ;   in Loop: Header=BB85_4 Depth=1
	s_add_nc_u64 s[34:35], s[28:29], s[26:27]
	global_load_b64 v[18:19], v3, s[34:35]
	s_wait_loadcnt 0x0
	v_mul_f64_e32 v[18:19], v[14:15], v[18:19]
	s_branch .LBB85_12
.LBB85_9:                               ;   in Loop: Header=BB85_4 Depth=1
	s_mov_b32 s5, 0
                                        ; implicit-def: $vgpr18_vgpr19
	s_cbranch_execnz .LBB85_13
	s_branch .LBB85_32
.LBB85_10:                              ;   in Loop: Header=BB85_4 Depth=1
	s_or_b32 exec_lo, exec_lo, s33
	s_delay_alu instid0(SALU_CYCLE_1)
	s_and_b32 vcc_lo, exec_lo, s31
	s_cbranch_vccnz .LBB85_13
	s_branch .LBB85_32
.LBB85_11:                              ;   in Loop: Header=BB85_4 Depth=1
	v_mov_b64_e32 v[18:19], 0
.LBB85_12:                              ;   in Loop: Header=BB85_4 Depth=1
	s_mov_b32 s5, exec_lo
	s_wait_xcnt 0x0
	s_or_b32 exec_lo, exec_lo, s33
	s_delay_alu instid0(SALU_CYCLE_1)
	s_and_b32 vcc_lo, exec_lo, s31
	s_cbranch_vccz .LBB85_32
.LBB85_13:                              ;   in Loop: Header=BB85_4 Depth=1
	v_mov_b64_e32 v[18:19], 0
	s_wait_xcnt 0x0
	s_and_saveexec_b32 s31, s1
	s_cbranch_execnz .LBB85_22
; %bb.14:                               ;   in Loop: Header=BB85_4 Depth=1
	s_or_b32 exec_lo, exec_lo, s31
	s_and_saveexec_b32 s31, s2
	s_cbranch_execnz .LBB85_25
.LBB85_15:                              ;   in Loop: Header=BB85_4 Depth=1
	s_or_b32 exec_lo, exec_lo, s31
	s_and_saveexec_b32 s31, s3
.LBB85_16:                              ;   in Loop: Header=BB85_4 Depth=1
	ds_store_b64 v1, v[10:11]
.LBB85_17:                              ;   in Loop: Header=BB85_4 Depth=1
	s_or_b32 exec_lo, exec_lo, s31
	s_wait_dscnt 0x0
	ds_bpermute_b32 v20, v2, v18
	ds_bpermute_b32 v21, v2, v19
	v_cmp_gt_u32_e32 vcc_lo, 24, v25
	s_wait_dscnt 0x0
	s_barrier_signal -1
	s_barrier_wait -1
	v_add_f64_e32 v[18:19], v[18:19], v[20:21]
	v_cndmask_b32_e64 v20, 0, 8, vcc_lo
	v_cmp_gt_u32_e32 vcc_lo, 28, v25
	s_delay_alu instid0(VALU_DEP_2)
	v_add_lshl_u32 v22, v20, v25, 2
	ds_bpermute_b32 v20, v22, v18
	ds_bpermute_b32 v21, v22, v19
	s_wait_dscnt 0x0
	v_add_f64_e32 v[18:19], v[18:19], v[20:21]
	v_cndmask_b32_e64 v20, 0, 4, vcc_lo
	v_cmp_gt_u32_e32 vcc_lo, 30, v25
	s_delay_alu instid0(VALU_DEP_2)
	v_add_lshl_u32 v23, v20, v25, 2
	ds_bpermute_b32 v20, v23, v18
	ds_bpermute_b32 v21, v23, v19
	s_wait_dscnt 0x0
	v_add_f64_e32 v[18:19], v[18:19], v[20:21]
	v_cndmask_b32_e64 v20, 0, 2, vcc_lo
	v_cmp_ne_u32_e32 vcc_lo, 31, v25
	s_delay_alu instid0(VALU_DEP_2)
	v_add_lshl_u32 v26, v20, v25, 2
	ds_bpermute_b32 v20, v26, v18
	ds_bpermute_b32 v21, v26, v19
	s_wait_dscnt 0x0
	v_add_f64_e32 v[18:19], v[18:19], v[20:21]
	v_add_co_ci_u32_e64 v20, null, 0, v25, vcc_lo
	s_delay_alu instid0(VALU_DEP_1)
	v_lshlrev_b32_e32 v27, 2, v20
	ds_bpermute_b32 v20, v27, v18
	ds_bpermute_b32 v21, v27, v19
	s_and_saveexec_b32 s31, s4
	s_cbranch_execz .LBB85_19
; %bb.18:                               ;   in Loop: Header=BB85_4 Depth=1
	s_wait_dscnt 0x0
	v_add_f64_e32 v[18:19], v[18:19], v[20:21]
	ds_store_b64 v24, v[18:19]
.LBB85_19:                              ;   in Loop: Header=BB85_4 Depth=1
	s_or_b32 exec_lo, exec_lo, s31
	s_wait_dscnt 0x0
	v_mov_b64_e32 v[20:21], 0
	s_barrier_signal -1
	s_barrier_wait -1
	s_and_saveexec_b32 s31, s3
	s_cbranch_execnz .LBB85_26
; %bb.20:                               ;   in Loop: Header=BB85_4 Depth=1
	s_or_b32 exec_lo, exec_lo, s31
	s_and_saveexec_b32 s31, s3
	s_cbranch_execnz .LBB85_27
.LBB85_21:                              ;   in Loop: Header=BB85_4 Depth=1
	s_or_b32 exec_lo, exec_lo, s31
                                        ; implicit-def: $vgpr18_vgpr19
	s_and_saveexec_b32 s31, s0
	s_cbranch_execnz .LBB85_28
	s_branch .LBB85_31
.LBB85_22:                              ;   in Loop: Header=BB85_4 Depth=1
	s_wait_dscnt 0x0
	v_mad_nc_u64_u32 v[20:21], s12, s6, v[8:9]
	v_mad_nc_u64_u32 v[22:23], s16, s6, v[12:13]
	v_mov_b64_e32 v[18:19], 0
	v_mov_b32_e32 v26, v0
	s_mov_b32 s33, 0
	s_delay_alu instid0(VALU_DEP_4) | instskip(NEXT) | instid1(VALU_DEP_4)
	v_mad_u32 v21, s13, s6, v21
	v_mad_u32 v23, s17, s6, v23
.LBB85_23:                              ;   Parent Loop BB85_4 Depth=1
                                        ; =>  This Inner Loop Header: Depth=2
	global_load_b64 v[28:29], v[20:21], off
	global_load_b64 v[30:31], v[22:23], off
	v_add_nc_u32_e32 v26, 0x400, v26
	s_wait_xcnt 0x1
	v_add_nc_u64_e32 v[20:21], 0x2000, v[20:21]
	s_wait_xcnt 0x0
	v_add_nc_u64_e32 v[22:23], s[24:25], v[22:23]
	v_cmp_le_i32_e32 vcc_lo, s14, v26
	s_or_b32 s33, vcc_lo, s33
	s_wait_loadcnt 0x0
	v_fmac_f64_e32 v[18:19], v[28:29], v[30:31]
	s_and_not1_b32 exec_lo, exec_lo, s33
	s_cbranch_execnz .LBB85_23
; %bb.24:                               ;   in Loop: Header=BB85_4 Depth=1
	s_or_b32 exec_lo, exec_lo, s33
	s_delay_alu instid0(SALU_CYCLE_1)
	s_or_b32 exec_lo, exec_lo, s31
	s_and_saveexec_b32 s31, s2
	s_cbranch_execz .LBB85_15
.LBB85_25:                              ;   in Loop: Header=BB85_4 Depth=1
	s_mul_u64 s[34:35], s[18:19], s[6:7]
	s_mul_u64 s[36:37], s[38:39], s[6:7]
	s_wait_dscnt 0x0
	v_lshl_add_u64 v[20:21], s[34:35], 3, v[6:7]
	s_lshl_b64 s[34:35], s[36:37], 3
	s_delay_alu instid0(SALU_CYCLE_1) | instskip(NEXT) | instid1(SALU_CYCLE_1)
	s_add_nc_u64 s[34:35], s[20:21], s[34:35]
	v_lshl_add_u64 v[22:23], v[4:5], 3, s[34:35]
	s_delay_alu instid0(VALU_DEP_2)
	v_lshl_add_u64 v[20:21], s[14:15], 3, v[20:21]
	global_load_b64 v[26:27], v[20:21], off
	global_load_b64 v[28:29], v[22:23], off
	s_wait_loadcnt 0x0
	v_fmac_f64_e32 v[18:19], v[26:27], v[28:29]
	s_wait_xcnt 0x0
	s_or_b32 exec_lo, exec_lo, s31
	s_and_saveexec_b32 s31, s3
	s_cbranch_execnz .LBB85_16
	s_branch .LBB85_17
.LBB85_26:                              ;   in Loop: Header=BB85_4 Depth=1
	ds_load_b64 v[20:21], v1
	s_or_b32 exec_lo, exec_lo, s31
	s_and_saveexec_b32 s31, s3
	s_cbranch_execz .LBB85_21
.LBB85_27:                              ;   in Loop: Header=BB85_4 Depth=1
	s_wait_dscnt 0x0
	ds_bpermute_b32 v18, v2, v20
	ds_bpermute_b32 v19, v2, v21
	s_wait_dscnt 0x0
	v_add_f64_e32 v[18:19], v[20:21], v[18:19]
	ds_bpermute_b32 v20, v22, v18
	ds_bpermute_b32 v21, v22, v19
	s_wait_dscnt 0x0
	v_add_f64_e32 v[18:19], v[18:19], v[20:21]
	;; [unrolled: 4-line block ×5, first 2 shown]
	s_or_b32 exec_lo, exec_lo, s31
                                        ; implicit-def: $vgpr18_vgpr19
	s_and_saveexec_b32 s31, s0
	s_cbranch_execz .LBB85_31
.LBB85_28:                              ;   in Loop: Header=BB85_4 Depth=1
	v_cmp_eq_f64_e32 vcc_lo, 0, v[14:15]
	s_wait_dscnt 0x0
	s_delay_alu instid0(VALU_DEP_2)
	v_mul_f64_e32 v[18:19], v[16:17], v[20:21]
	s_cbranch_vccnz .LBB85_30
; %bb.29:                               ;   in Loop: Header=BB85_4 Depth=1
	s_add_nc_u64 s[34:35], s[28:29], s[26:27]
	global_load_b64 v[16:17], v3, s[34:35]
	s_wait_loadcnt 0x0
	v_fmac_f64_e32 v[18:19], v[14:15], v[16:17]
.LBB85_30:                              ;   in Loop: Header=BB85_4 Depth=1
	s_or_b32 s5, s5, exec_lo
.LBB85_31:                              ;   in Loop: Header=BB85_4 Depth=1
	s_wait_xcnt 0x0
	s_or_b32 exec_lo, exec_lo, s31
.LBB85_32:                              ;   in Loop: Header=BB85_4 Depth=1
	s_wait_xcnt 0x0
	s_and_saveexec_b32 s31, s5
	s_cbranch_execz .LBB85_2
; %bb.33:                               ;   in Loop: Header=BB85_4 Depth=1
	s_add_nc_u64 s[28:29], s[28:29], s[26:27]
	global_store_b64 v3, v[18:19], s[28:29]
	s_branch .LBB85_2
.LBB85_34:
	s_endpgm
	.section	.rodata,"a",@progbits
	.p2align	6, 0x0
	.amdhsa_kernel _ZL32rocblas_gemvt_warp_reduce_kernelILb0ELi1024EldPKddEviiT3_lPKT2_lT1_lS5_lS6_lS2_lPT4_lS6_li
		.amdhsa_group_segment_fixed_size 256
		.amdhsa_private_segment_fixed_size 0
		.amdhsa_kernarg_size 140
		.amdhsa_user_sgpr_count 2
		.amdhsa_user_sgpr_dispatch_ptr 0
		.amdhsa_user_sgpr_queue_ptr 0
		.amdhsa_user_sgpr_kernarg_segment_ptr 1
		.amdhsa_user_sgpr_dispatch_id 0
		.amdhsa_user_sgpr_kernarg_preload_length 0
		.amdhsa_user_sgpr_kernarg_preload_offset 0
		.amdhsa_user_sgpr_private_segment_size 0
		.amdhsa_wavefront_size32 1
		.amdhsa_uses_dynamic_stack 0
		.amdhsa_enable_private_segment 0
		.amdhsa_system_sgpr_workgroup_id_x 1
		.amdhsa_system_sgpr_workgroup_id_y 0
		.amdhsa_system_sgpr_workgroup_id_z 1
		.amdhsa_system_sgpr_workgroup_info 0
		.amdhsa_system_vgpr_workitem_id 0
		.amdhsa_next_free_vgpr 32
		.amdhsa_next_free_sgpr 52
		.amdhsa_named_barrier_count 0
		.amdhsa_reserve_vcc 1
		.amdhsa_float_round_mode_32 0
		.amdhsa_float_round_mode_16_64 0
		.amdhsa_float_denorm_mode_32 3
		.amdhsa_float_denorm_mode_16_64 3
		.amdhsa_fp16_overflow 0
		.amdhsa_memory_ordered 1
		.amdhsa_forward_progress 1
		.amdhsa_inst_pref_size 12
		.amdhsa_round_robin_scheduling 0
		.amdhsa_exception_fp_ieee_invalid_op 0
		.amdhsa_exception_fp_denorm_src 0
		.amdhsa_exception_fp_ieee_div_zero 0
		.amdhsa_exception_fp_ieee_overflow 0
		.amdhsa_exception_fp_ieee_underflow 0
		.amdhsa_exception_fp_ieee_inexact 0
		.amdhsa_exception_int_div_zero 0
	.end_amdhsa_kernel
	.section	.text._ZL32rocblas_gemvt_warp_reduce_kernelILb0ELi1024EldPKddEviiT3_lPKT2_lT1_lS5_lS6_lS2_lPT4_lS6_li,"axG",@progbits,_ZL32rocblas_gemvt_warp_reduce_kernelILb0ELi1024EldPKddEviiT3_lPKT2_lT1_lS5_lS6_lS2_lPT4_lS6_li,comdat
.Lfunc_end85:
	.size	_ZL32rocblas_gemvt_warp_reduce_kernelILb0ELi1024EldPKddEviiT3_lPKT2_lT1_lS5_lS6_lS2_lPT4_lS6_li, .Lfunc_end85-_ZL32rocblas_gemvt_warp_reduce_kernelILb0ELi1024EldPKddEviiT3_lPKT2_lT1_lS5_lS6_lS2_lPT4_lS6_li
                                        ; -- End function
	.set _ZL32rocblas_gemvt_warp_reduce_kernelILb0ELi1024EldPKddEviiT3_lPKT2_lT1_lS5_lS6_lS2_lPT4_lS6_li.num_vgpr, 32
	.set _ZL32rocblas_gemvt_warp_reduce_kernelILb0ELi1024EldPKddEviiT3_lPKT2_lT1_lS5_lS6_lS2_lPT4_lS6_li.num_agpr, 0
	.set _ZL32rocblas_gemvt_warp_reduce_kernelILb0ELi1024EldPKddEviiT3_lPKT2_lT1_lS5_lS6_lS2_lPT4_lS6_li.numbered_sgpr, 52
	.set _ZL32rocblas_gemvt_warp_reduce_kernelILb0ELi1024EldPKddEviiT3_lPKT2_lT1_lS5_lS6_lS2_lPT4_lS6_li.num_named_barrier, 0
	.set _ZL32rocblas_gemvt_warp_reduce_kernelILb0ELi1024EldPKddEviiT3_lPKT2_lT1_lS5_lS6_lS2_lPT4_lS6_li.private_seg_size, 0
	.set _ZL32rocblas_gemvt_warp_reduce_kernelILb0ELi1024EldPKddEviiT3_lPKT2_lT1_lS5_lS6_lS2_lPT4_lS6_li.uses_vcc, 1
	.set _ZL32rocblas_gemvt_warp_reduce_kernelILb0ELi1024EldPKddEviiT3_lPKT2_lT1_lS5_lS6_lS2_lPT4_lS6_li.uses_flat_scratch, 0
	.set _ZL32rocblas_gemvt_warp_reduce_kernelILb0ELi1024EldPKddEviiT3_lPKT2_lT1_lS5_lS6_lS2_lPT4_lS6_li.has_dyn_sized_stack, 0
	.set _ZL32rocblas_gemvt_warp_reduce_kernelILb0ELi1024EldPKddEviiT3_lPKT2_lT1_lS5_lS6_lS2_lPT4_lS6_li.has_recursion, 0
	.set _ZL32rocblas_gemvt_warp_reduce_kernelILb0ELi1024EldPKddEviiT3_lPKT2_lT1_lS5_lS6_lS2_lPT4_lS6_li.has_indirect_call, 0
	.section	.AMDGPU.csdata,"",@progbits
; Kernel info:
; codeLenInByte = 1492
; TotalNumSgprs: 54
; NumVgprs: 32
; ScratchSize: 0
; MemoryBound: 0
; FloatMode: 240
; IeeeMode: 1
; LDSByteSize: 256 bytes/workgroup (compile time only)
; SGPRBlocks: 0
; VGPRBlocks: 1
; NumSGPRsForWavesPerEU: 54
; NumVGPRsForWavesPerEU: 32
; NamedBarCnt: 0
; Occupancy: 16
; WaveLimiterHint : 0
; COMPUTE_PGM_RSRC2:SCRATCH_EN: 0
; COMPUTE_PGM_RSRC2:USER_SGPR: 2
; COMPUTE_PGM_RSRC2:TRAP_HANDLER: 0
; COMPUTE_PGM_RSRC2:TGID_X_EN: 1
; COMPUTE_PGM_RSRC2:TGID_Y_EN: 0
; COMPUTE_PGM_RSRC2:TGID_Z_EN: 1
; COMPUTE_PGM_RSRC2:TIDIG_COMP_CNT: 0
	.section	.text._ZL32rocblas_gemvt_warp_reduce_kernelILb0ELi1024EidddEviiT3_lPKT2_lT1_lS3_lS4_lS0_lPT4_lS4_li,"axG",@progbits,_ZL32rocblas_gemvt_warp_reduce_kernelILb0ELi1024EidddEviiT3_lPKT2_lT1_lS3_lS4_lS0_lPT4_lS4_li,comdat
	.globl	_ZL32rocblas_gemvt_warp_reduce_kernelILb0ELi1024EidddEviiT3_lPKT2_lT1_lS3_lS4_lS0_lPT4_lS4_li ; -- Begin function _ZL32rocblas_gemvt_warp_reduce_kernelILb0ELi1024EidddEviiT3_lPKT2_lT1_lS3_lS4_lS0_lPT4_lS4_li
	.p2align	8
	.type	_ZL32rocblas_gemvt_warp_reduce_kernelILb0ELi1024EidddEviiT3_lPKT2_lT1_lS3_lS4_lS0_lPT4_lS4_li,@function
_ZL32rocblas_gemvt_warp_reduce_kernelILb0ELi1024EidddEviiT3_lPKT2_lT1_lS3_lS4_lS0_lPT4_lS4_li: ; @_ZL32rocblas_gemvt_warp_reduce_kernelILb0ELi1024EidddEviiT3_lPKT2_lT1_lS3_lS4_lS0_lPT4_lS4_li
; %bb.0:
	s_load_b32 s33, s[0:1], 0x88
	s_bfe_u32 s2, ttmp6, 0x40014
	s_lshr_b32 s4, ttmp7, 16
	s_add_co_i32 s2, s2, 1
	s_bfe_u32 s5, ttmp6, 0x40008
	s_mul_i32 s2, s4, s2
	s_getreg_b32 s3, hwreg(HW_REG_IB_STS2, 6, 4)
	s_add_co_i32 s5, s5, s2
	s_cmp_eq_u32 s3, 0
	s_mov_b32 s25, 0
	s_cselect_b32 s24, s4, s5
	s_wait_kmcnt 0x0
	s_cmp_ge_u32 s24, s33
	s_cbranch_scc1 .LBB86_34
; %bb.1:
	s_clause 0x9
	s_load_b64 s[26:27], s[0:1], 0x8
	s_load_b128 s[8:11], s[0:1], 0x50
	s_load_b128 s[4:7], s[0:1], 0x68
	s_load_b32 s37, s[0:1], 0x0
	s_load_b128 s[12:15], s[0:1], 0x30
	s_load_b96 s[20:22], s[0:1], 0x40
	s_load_b128 s[16:19], s[0:1], 0x18
	s_load_b32 s40, s[0:1], 0x28
	s_load_b32 s41, s[0:1], 0x78
	s_load_b64 s[28:29], s[0:1], 0x80
	s_bfe_u32 s2, ttmp6, 0x4000c
	s_and_b32 s30, ttmp6, 15
	s_add_co_i32 s2, s2, 1
	v_dual_mov_b32 v3, 0 :: v_dual_bitop2_b32 v2, 31, v0 bitop3:0x40
	s_mul_i32 s31, ttmp9, s2
	v_lshrrev_b32_e32 v6, 2, v0
	s_add_co_i32 s42, s30, s31
	v_mbcnt_lo_u32_b32 v1, -1, 0
	v_lshlrev_b32_e32 v16, 3, v2
	v_cmp_eq_u32_e64 s2, 0, v2
	v_and_b32_e32 v17, 0xf8, v6
	v_mov_b64_e32 v[4:5], 0
	s_wait_kmcnt 0x0
	v_cmp_gt_i32_e32 vcc_lo, s37, v0
	v_cmp_eq_u32_e64 s0, 0, v0
	s_lshl_b64 s[20:21], s[20:21], 3
	v_cmp_neq_f64_e64 s23, s[26:27], 0
	v_cmp_neq_f64_e64 s35, s[10:11], 1.0
	s_lshl_b64 s[30:31], s[6:7], 3
	s_lshl_b64 s[38:39], s[18:19], 3
	v_cmp_eq_f64_e64 s34, s[26:27], 0
	v_cmp_neq_f64_e64 s36, s[10:11], 0
	s_add_nc_u64 s[6:7], s[14:15], s[20:21]
	v_mul_lo_u32 v18, v0, s22
	v_cmp_gt_u32_e64 s1, 32, v0
	s_or_b32 s35, s23, s35
	s_cmp_eq_u32 s3, 0
	s_cselect_b32 s3, ttmp9, s42
	s_ashr_i32 s18, s37, 31
	s_mul_i32 s20, s41, s3
	s_lshr_b32 s14, s18, 22
	s_ashr_i32 s21, s20, 31
	s_add_co_i32 s18, s37, s14
	s_add_nc_u64 s[14:15], s[4:5], s[30:31]
	s_and_b32 s18, s18, 0xfffffc00
	s_delay_alu instid0(SALU_CYCLE_1) | instskip(SKIP_3) | instid1(VALU_DEP_1)
	v_dual_cndmask_b32 v2, 0, v0, vcc_lo :: v_dual_bitop2_b32 v7, s18, v0 bitop3:0x54
	s_add_nc_u64 s[4:5], s[16:17], s[38:39]
	s_ashr_i32 s19, s18, 31
	s_lshl_b64 s[20:21], s[20:21], 3
	v_lshlrev_b32_e32 v2, 3, v2
	v_mul_lo_u32 v6, s22, v7
	s_delay_alu instid0(VALU_DEP_2) | instskip(SKIP_3) | instid1(SALU_CYCLE_1)
	v_add_nc_u64_e32 v[8:9], s[4:5], v[2:3]
	s_mul_i32 s4, s40, s3
	v_cmp_gt_i32_e64 s3, s18, v0
	s_ashr_i32 s5, s4, 31
	s_lshl_b64 s[4:5], s[4:5], 3
	s_delay_alu instid0(SALU_CYCLE_1) | instskip(SKIP_1) | instid1(SALU_CYCLE_1)
	v_add_nc_u64_e32 v[8:9], s[4:5], v[8:9]
	s_add_nc_u64 s[4:5], s[38:39], s[4:5]
	s_add_nc_u64 s[4:5], s[16:17], s[4:5]
	s_lshl_b64 s[16:17], s[12:13], 3
	v_add_nc_u64_e32 v[10:11], s[4:5], v[2:3]
	v_cmp_gt_i32_e64 s4, s37, v7
	v_ashrrev_i32_e32 v7, 31, v6
	v_lshl_or_b32 v2, v1, 2, 64
	s_lshl_b32 s5, s22, 10
	s_branch .LBB86_4
.LBB86_2:                               ;   in Loop: Header=BB86_4 Depth=1
	s_wait_xcnt 0x0
	s_or_b32 exec_lo, exec_lo, s30
.LBB86_3:                               ;   in Loop: Header=BB86_4 Depth=1
	s_add_co_i32 s24, s24, 0x10000
	s_delay_alu instid0(SALU_CYCLE_1)
	s_cmp_lt_u32 s24, s33
	s_cbranch_scc0 .LBB86_34
.LBB86_4:                               ; =>This Loop Header: Depth=1
                                        ;     Child Loop BB86_23 Depth 2
	s_and_not1_b32 vcc_lo, exec_lo, s35
	s_cbranch_vccnz .LBB86_3
; %bb.5:                                ;   in Loop: Header=BB86_4 Depth=1
	s_mul_u64 s[22:23], s[28:29], s[24:25]
	s_and_not1_b32 vcc_lo, exec_lo, s34
	s_lshl_b64 s[22:23], s[22:23], 3
	s_delay_alu instid0(SALU_CYCLE_1)
	s_add_nc_u64 s[22:23], s[14:15], s[22:23]
	s_cbranch_vccnz .LBB86_9
; %bb.6:                                ;   in Loop: Header=BB86_4 Depth=1
	s_mov_b32 s30, 0
	s_mov_b32 s37, 0
                                        ; implicit-def: $vgpr12_vgpr13
	s_and_saveexec_b32 s31, s0
	s_cbranch_execz .LBB86_10
; %bb.7:                                ;   in Loop: Header=BB86_4 Depth=1
	s_and_not1_b32 vcc_lo, exec_lo, s36
	s_cbranch_vccnz .LBB86_11
; %bb.8:                                ;   in Loop: Header=BB86_4 Depth=1
	s_add_nc_u64 s[38:39], s[22:23], s[20:21]
	global_load_b64 v[12:13], v3, s[38:39]
	s_wait_loadcnt 0x0
	v_mul_f64_e32 v[12:13], s[10:11], v[12:13]
	s_branch .LBB86_12
.LBB86_9:                               ;   in Loop: Header=BB86_4 Depth=1
	s_mov_b32 s37, 0
                                        ; implicit-def: $vgpr12_vgpr13
	s_cbranch_execnz .LBB86_13
	s_branch .LBB86_32
.LBB86_10:                              ;   in Loop: Header=BB86_4 Depth=1
	s_or_b32 exec_lo, exec_lo, s31
	s_delay_alu instid0(SALU_CYCLE_1)
	s_and_b32 vcc_lo, exec_lo, s30
	s_cbranch_vccnz .LBB86_13
	s_branch .LBB86_32
.LBB86_11:                              ;   in Loop: Header=BB86_4 Depth=1
	v_mov_b64_e32 v[12:13], 0
.LBB86_12:                              ;   in Loop: Header=BB86_4 Depth=1
	s_mov_b32 s37, exec_lo
	s_wait_xcnt 0x0
	s_or_b32 exec_lo, exec_lo, s31
	s_delay_alu instid0(SALU_CYCLE_1)
	s_and_b32 vcc_lo, exec_lo, s30
	s_cbranch_vccz .LBB86_32
.LBB86_13:                              ;   in Loop: Header=BB86_4 Depth=1
	v_mov_b64_e32 v[12:13], 0
	s_mul_u64 s[30:31], s[8:9], s[24:25]
	s_delay_alu instid0(SALU_CYCLE_1) | instskip(NEXT) | instid1(SALU_CYCLE_1)
	s_lshl_b64 s[30:31], s[30:31], 3
	s_add_nc_u64 s[30:31], s[6:7], s[30:31]
	s_and_saveexec_b32 s38, s3
	s_cbranch_execnz .LBB86_22
; %bb.14:                               ;   in Loop: Header=BB86_4 Depth=1
	s_or_b32 exec_lo, exec_lo, s38
	s_and_saveexec_b32 s38, s4
	s_cbranch_execnz .LBB86_25
.LBB86_15:                              ;   in Loop: Header=BB86_4 Depth=1
	s_or_b32 exec_lo, exec_lo, s38
	s_and_saveexec_b32 s30, s1
.LBB86_16:                              ;   in Loop: Header=BB86_4 Depth=1
	ds_store_b64 v16, v[4:5]
.LBB86_17:                              ;   in Loop: Header=BB86_4 Depth=1
	s_or_b32 exec_lo, exec_lo, s30
	s_wait_dscnt 0x0
	ds_bpermute_b32 v14, v2, v12
	ds_bpermute_b32 v15, v2, v13
	v_cmp_gt_u32_e32 vcc_lo, 24, v1
	s_wait_dscnt 0x0
	s_barrier_signal -1
	s_barrier_wait -1
	v_add_f64_e32 v[12:13], v[12:13], v[14:15]
	v_cndmask_b32_e64 v14, 0, 8, vcc_lo
	v_cmp_gt_u32_e32 vcc_lo, 28, v1
	s_delay_alu instid0(VALU_DEP_2)
	v_add_lshl_u32 v19, v14, v1, 2
	ds_bpermute_b32 v14, v19, v12
	ds_bpermute_b32 v15, v19, v13
	s_wait_dscnt 0x0
	v_add_f64_e32 v[12:13], v[12:13], v[14:15]
	v_cndmask_b32_e64 v14, 0, 4, vcc_lo
	v_cmp_gt_u32_e32 vcc_lo, 30, v1
	s_delay_alu instid0(VALU_DEP_2)
	v_add_lshl_u32 v20, v14, v1, 2
	ds_bpermute_b32 v14, v20, v12
	ds_bpermute_b32 v15, v20, v13
	s_wait_dscnt 0x0
	v_add_f64_e32 v[12:13], v[12:13], v[14:15]
	v_cndmask_b32_e64 v14, 0, 2, vcc_lo
	v_cmp_ne_u32_e32 vcc_lo, 31, v1
	s_delay_alu instid0(VALU_DEP_2)
	v_add_lshl_u32 v21, v14, v1, 2
	ds_bpermute_b32 v14, v21, v12
	ds_bpermute_b32 v15, v21, v13
	s_wait_dscnt 0x0
	v_add_f64_e32 v[12:13], v[12:13], v[14:15]
	v_add_co_ci_u32_e64 v14, null, 0, v1, vcc_lo
	s_delay_alu instid0(VALU_DEP_1)
	v_lshlrev_b32_e32 v22, 2, v14
	ds_bpermute_b32 v14, v22, v12
	ds_bpermute_b32 v15, v22, v13
	s_and_saveexec_b32 s30, s2
	s_cbranch_execz .LBB86_19
; %bb.18:                               ;   in Loop: Header=BB86_4 Depth=1
	s_wait_dscnt 0x0
	v_add_f64_e32 v[12:13], v[12:13], v[14:15]
	ds_store_b64 v17, v[12:13]
.LBB86_19:                              ;   in Loop: Header=BB86_4 Depth=1
	s_or_b32 exec_lo, exec_lo, s30
	s_wait_dscnt 0x0
	v_mov_b64_e32 v[14:15], 0
	s_barrier_signal -1
	s_barrier_wait -1
	s_and_saveexec_b32 s30, s1
	s_cbranch_execnz .LBB86_26
; %bb.20:                               ;   in Loop: Header=BB86_4 Depth=1
	s_or_b32 exec_lo, exec_lo, s30
	s_and_saveexec_b32 s30, s1
	s_cbranch_execnz .LBB86_27
.LBB86_21:                              ;   in Loop: Header=BB86_4 Depth=1
	s_or_b32 exec_lo, exec_lo, s30
                                        ; implicit-def: $vgpr12_vgpr13
	s_and_saveexec_b32 s30, s0
	s_cbranch_execnz .LBB86_28
	s_branch .LBB86_31
.LBB86_22:                              ;   in Loop: Header=BB86_4 Depth=1
	s_wait_dscnt 0x0
	v_mad_nc_u64_u32 v[14:15], s16, s24, v[10:11]
	v_mov_b64_e32 v[12:13], 0
	v_dual_mov_b32 v19, v0 :: v_dual_mov_b32 v20, v18
	s_mov_b32 s39, 0
	s_delay_alu instid0(VALU_DEP_3)
	v_mad_u32 v15, s17, s24, v15
.LBB86_23:                              ;   Parent Loop BB86_4 Depth=1
                                        ; =>  This Inner Loop Header: Depth=2
	global_load_b64 v[22:23], v[14:15], off
	global_load_b64 v[24:25], v20, s[30:31] scale_offset
	v_add_nc_u32_e32 v19, 0x400, v19
	s_wait_xcnt 0x1
	v_add_nc_u64_e32 v[14:15], 0x2000, v[14:15]
	s_wait_xcnt 0x0
	v_add_nc_u32_e32 v20, s5, v20
	v_cmp_le_i32_e32 vcc_lo, s18, v19
	s_or_b32 s39, vcc_lo, s39
	s_wait_loadcnt 0x0
	v_fmac_f64_e32 v[12:13], v[22:23], v[24:25]
	s_and_not1_b32 exec_lo, exec_lo, s39
	s_cbranch_execnz .LBB86_23
; %bb.24:                               ;   in Loop: Header=BB86_4 Depth=1
	s_or_b32 exec_lo, exec_lo, s39
	s_delay_alu instid0(SALU_CYCLE_1)
	s_or_b32 exec_lo, exec_lo, s38
	s_and_saveexec_b32 s38, s4
	s_cbranch_execz .LBB86_15
.LBB86_25:                              ;   in Loop: Header=BB86_4 Depth=1
	s_mul_u64 s[40:41], s[12:13], s[24:25]
	v_lshl_add_u64 v[20:21], v[6:7], 3, s[30:31]
	s_wait_dscnt 0x0
	v_lshl_add_u64 v[14:15], s[40:41], 3, v[8:9]
	s_delay_alu instid0(VALU_DEP_1)
	v_lshl_add_u64 v[14:15], s[18:19], 3, v[14:15]
	global_load_b64 v[22:23], v[14:15], off
	global_load_b64 v[24:25], v[20:21], off
	s_wait_loadcnt 0x0
	v_fmac_f64_e32 v[12:13], v[22:23], v[24:25]
	s_wait_xcnt 0x0
	s_or_b32 exec_lo, exec_lo, s38
	s_and_saveexec_b32 s30, s1
	s_cbranch_execnz .LBB86_16
	s_branch .LBB86_17
.LBB86_26:                              ;   in Loop: Header=BB86_4 Depth=1
	ds_load_b64 v[14:15], v16
	s_or_b32 exec_lo, exec_lo, s30
	s_and_saveexec_b32 s30, s1
	s_cbranch_execz .LBB86_21
.LBB86_27:                              ;   in Loop: Header=BB86_4 Depth=1
	s_wait_dscnt 0x0
	ds_bpermute_b32 v12, v2, v14
	ds_bpermute_b32 v13, v2, v15
	s_wait_dscnt 0x0
	v_add_f64_e32 v[12:13], v[14:15], v[12:13]
	ds_bpermute_b32 v14, v19, v12
	ds_bpermute_b32 v15, v19, v13
	s_wait_dscnt 0x0
	v_add_f64_e32 v[12:13], v[12:13], v[14:15]
	;; [unrolled: 4-line block ×5, first 2 shown]
	s_or_b32 exec_lo, exec_lo, s30
                                        ; implicit-def: $vgpr12_vgpr13
	s_and_saveexec_b32 s30, s0
	s_cbranch_execz .LBB86_31
.LBB86_28:                              ;   in Loop: Header=BB86_4 Depth=1
	s_wait_dscnt 0x0
	s_delay_alu instid0(VALU_DEP_1)
	v_mul_f64_e32 v[12:13], s[26:27], v[14:15]
	s_and_not1_b32 vcc_lo, exec_lo, s36
	s_cbranch_vccnz .LBB86_30
; %bb.29:                               ;   in Loop: Header=BB86_4 Depth=1
	s_add_nc_u64 s[38:39], s[22:23], s[20:21]
	global_load_b64 v[14:15], v3, s[38:39]
	s_wait_loadcnt 0x0
	v_fmac_f64_e32 v[12:13], s[10:11], v[14:15]
.LBB86_30:                              ;   in Loop: Header=BB86_4 Depth=1
	s_or_b32 s37, s37, exec_lo
.LBB86_31:                              ;   in Loop: Header=BB86_4 Depth=1
	s_wait_xcnt 0x0
	s_or_b32 exec_lo, exec_lo, s30
.LBB86_32:                              ;   in Loop: Header=BB86_4 Depth=1
	s_and_saveexec_b32 s30, s37
	s_cbranch_execz .LBB86_2
; %bb.33:                               ;   in Loop: Header=BB86_4 Depth=1
	s_add_nc_u64 s[22:23], s[22:23], s[20:21]
	global_store_b64 v3, v[12:13], s[22:23]
	s_branch .LBB86_2
.LBB86_34:
	s_endpgm
	.section	.rodata,"a",@progbits
	.p2align	6, 0x0
	.amdhsa_kernel _ZL32rocblas_gemvt_warp_reduce_kernelILb0ELi1024EidddEviiT3_lPKT2_lT1_lS3_lS4_lS0_lPT4_lS4_li
		.amdhsa_group_segment_fixed_size 256
		.amdhsa_private_segment_fixed_size 0
		.amdhsa_kernarg_size 140
		.amdhsa_user_sgpr_count 2
		.amdhsa_user_sgpr_dispatch_ptr 0
		.amdhsa_user_sgpr_queue_ptr 0
		.amdhsa_user_sgpr_kernarg_segment_ptr 1
		.amdhsa_user_sgpr_dispatch_id 0
		.amdhsa_user_sgpr_kernarg_preload_length 0
		.amdhsa_user_sgpr_kernarg_preload_offset 0
		.amdhsa_user_sgpr_private_segment_size 0
		.amdhsa_wavefront_size32 1
		.amdhsa_uses_dynamic_stack 0
		.amdhsa_enable_private_segment 0
		.amdhsa_system_sgpr_workgroup_id_x 1
		.amdhsa_system_sgpr_workgroup_id_y 0
		.amdhsa_system_sgpr_workgroup_id_z 1
		.amdhsa_system_sgpr_workgroup_info 0
		.amdhsa_system_vgpr_workitem_id 0
		.amdhsa_next_free_vgpr 26
		.amdhsa_next_free_sgpr 43
		.amdhsa_named_barrier_count 0
		.amdhsa_reserve_vcc 1
		.amdhsa_float_round_mode_32 0
		.amdhsa_float_round_mode_16_64 0
		.amdhsa_float_denorm_mode_32 3
		.amdhsa_float_denorm_mode_16_64 3
		.amdhsa_fp16_overflow 0
		.amdhsa_memory_ordered 1
		.amdhsa_forward_progress 1
		.amdhsa_inst_pref_size 12
		.amdhsa_round_robin_scheduling 0
		.amdhsa_exception_fp_ieee_invalid_op 0
		.amdhsa_exception_fp_denorm_src 0
		.amdhsa_exception_fp_ieee_div_zero 0
		.amdhsa_exception_fp_ieee_overflow 0
		.amdhsa_exception_fp_ieee_underflow 0
		.amdhsa_exception_fp_ieee_inexact 0
		.amdhsa_exception_int_div_zero 0
	.end_amdhsa_kernel
	.section	.text._ZL32rocblas_gemvt_warp_reduce_kernelILb0ELi1024EidddEviiT3_lPKT2_lT1_lS3_lS4_lS0_lPT4_lS4_li,"axG",@progbits,_ZL32rocblas_gemvt_warp_reduce_kernelILb0ELi1024EidddEviiT3_lPKT2_lT1_lS3_lS4_lS0_lPT4_lS4_li,comdat
.Lfunc_end86:
	.size	_ZL32rocblas_gemvt_warp_reduce_kernelILb0ELi1024EidddEviiT3_lPKT2_lT1_lS3_lS4_lS0_lPT4_lS4_li, .Lfunc_end86-_ZL32rocblas_gemvt_warp_reduce_kernelILb0ELi1024EidddEviiT3_lPKT2_lT1_lS3_lS4_lS0_lPT4_lS4_li
                                        ; -- End function
	.set _ZL32rocblas_gemvt_warp_reduce_kernelILb0ELi1024EidddEviiT3_lPKT2_lT1_lS3_lS4_lS0_lPT4_lS4_li.num_vgpr, 26
	.set _ZL32rocblas_gemvt_warp_reduce_kernelILb0ELi1024EidddEviiT3_lPKT2_lT1_lS3_lS4_lS0_lPT4_lS4_li.num_agpr, 0
	.set _ZL32rocblas_gemvt_warp_reduce_kernelILb0ELi1024EidddEviiT3_lPKT2_lT1_lS3_lS4_lS0_lPT4_lS4_li.numbered_sgpr, 43
	.set _ZL32rocblas_gemvt_warp_reduce_kernelILb0ELi1024EidddEviiT3_lPKT2_lT1_lS3_lS4_lS0_lPT4_lS4_li.num_named_barrier, 0
	.set _ZL32rocblas_gemvt_warp_reduce_kernelILb0ELi1024EidddEviiT3_lPKT2_lT1_lS3_lS4_lS0_lPT4_lS4_li.private_seg_size, 0
	.set _ZL32rocblas_gemvt_warp_reduce_kernelILb0ELi1024EidddEviiT3_lPKT2_lT1_lS3_lS4_lS0_lPT4_lS4_li.uses_vcc, 1
	.set _ZL32rocblas_gemvt_warp_reduce_kernelILb0ELi1024EidddEviiT3_lPKT2_lT1_lS3_lS4_lS0_lPT4_lS4_li.uses_flat_scratch, 0
	.set _ZL32rocblas_gemvt_warp_reduce_kernelILb0ELi1024EidddEviiT3_lPKT2_lT1_lS3_lS4_lS0_lPT4_lS4_li.has_dyn_sized_stack, 0
	.set _ZL32rocblas_gemvt_warp_reduce_kernelILb0ELi1024EidddEviiT3_lPKT2_lT1_lS3_lS4_lS0_lPT4_lS4_li.has_recursion, 0
	.set _ZL32rocblas_gemvt_warp_reduce_kernelILb0ELi1024EidddEviiT3_lPKT2_lT1_lS3_lS4_lS0_lPT4_lS4_li.has_indirect_call, 0
	.section	.AMDGPU.csdata,"",@progbits
; Kernel info:
; codeLenInByte = 1464
; TotalNumSgprs: 45
; NumVgprs: 26
; ScratchSize: 0
; MemoryBound: 0
; FloatMode: 240
; IeeeMode: 1
; LDSByteSize: 256 bytes/workgroup (compile time only)
; SGPRBlocks: 0
; VGPRBlocks: 1
; NumSGPRsForWavesPerEU: 45
; NumVGPRsForWavesPerEU: 26
; NamedBarCnt: 0
; Occupancy: 16
; WaveLimiterHint : 0
; COMPUTE_PGM_RSRC2:SCRATCH_EN: 0
; COMPUTE_PGM_RSRC2:USER_SGPR: 2
; COMPUTE_PGM_RSRC2:TRAP_HANDLER: 0
; COMPUTE_PGM_RSRC2:TGID_X_EN: 1
; COMPUTE_PGM_RSRC2:TGID_Y_EN: 0
; COMPUTE_PGM_RSRC2:TGID_Z_EN: 1
; COMPUTE_PGM_RSRC2:TIDIG_COMP_CNT: 0
	.section	.text._ZL32rocblas_gemvt_warp_reduce_kernelILb0ELi1024EldddEviiT3_lPKT2_lT1_lS3_lS4_lS0_lPT4_lS4_li,"axG",@progbits,_ZL32rocblas_gemvt_warp_reduce_kernelILb0ELi1024EldddEviiT3_lPKT2_lT1_lS3_lS4_lS0_lPT4_lS4_li,comdat
	.globl	_ZL32rocblas_gemvt_warp_reduce_kernelILb0ELi1024EldddEviiT3_lPKT2_lT1_lS3_lS4_lS0_lPT4_lS4_li ; -- Begin function _ZL32rocblas_gemvt_warp_reduce_kernelILb0ELi1024EldddEviiT3_lPKT2_lT1_lS3_lS4_lS0_lPT4_lS4_li
	.p2align	8
	.type	_ZL32rocblas_gemvt_warp_reduce_kernelILb0ELi1024EldddEviiT3_lPKT2_lT1_lS3_lS4_lS0_lPT4_lS4_li,@function
_ZL32rocblas_gemvt_warp_reduce_kernelILb0ELi1024EldddEviiT3_lPKT2_lT1_lS3_lS4_lS0_lPT4_lS4_li: ; @_ZL32rocblas_gemvt_warp_reduce_kernelILb0ELi1024EldddEviiT3_lPKT2_lT1_lS3_lS4_lS0_lPT4_lS4_li
; %bb.0:
	s_load_b32 s5, s[0:1], 0x88
	s_bfe_u32 s2, ttmp6, 0x40014
	s_lshr_b32 s3, ttmp7, 16
	s_add_co_i32 s2, s2, 1
	s_bfe_u32 s6, ttmp6, 0x40008
	s_mul_i32 s4, s3, s2
	s_getreg_b32 s2, hwreg(HW_REG_IB_STS2, 6, 4)
	s_add_co_i32 s6, s6, s4
	s_cmp_eq_u32 s2, 0
	s_mov_b32 s7, 0
	s_cselect_b32 s6, s3, s6
	s_wait_kmcnt 0x0
	s_cmp_ge_u32 s6, s5
	s_cbranch_scc1 .LBB87_34
; %bb.1:
	s_clause 0x4
	s_load_b64 s[34:35], s[0:1], 0x8
	s_load_b64 s[36:37], s[0:1], 0x58
	s_load_b512 s[8:23], s[0:1], 0x18
	s_load_b256 s[24:31], s[0:1], 0x68
	s_load_b32 s38, s[0:1], 0x0
	s_wait_xcnt 0x0
	s_bfe_u32 s0, ttmp6, 0x4000c
	s_and_b32 s1, ttmp6, 15
	s_add_co_i32 s0, s0, 1
	v_mov_b64_e32 v[12:13], 0
	s_mul_i32 s0, ttmp9, s0
	s_delay_alu instid0(SALU_CYCLE_1)
	s_add_co_i32 s39, s1, s0
	s_wait_kmcnt 0x0
	s_lshl_b64 s[0:1], s[18:19], 3
	v_cmp_neq_f64_e64 s3, s[34:35], 0
	v_cmp_neq_f64_e64 s4, s[36:37], 1.0
	s_lshl_b64 s[18:19], s[26:27], 3
	s_lshl_b64 s[26:27], s[10:11], 3
	v_cmp_gt_i32_e32 vcc_lo, s38, v0
	v_mov_b32_e32 v3, 0
	s_add_nc_u64 s[18:19], s[24:25], s[18:19]
	s_add_nc_u64 s[16:17], s[16:17], s[0:1]
	;; [unrolled: 1-line block ×3, first 2 shown]
	v_cndmask_b32_e32 v2, 0, v0, vcc_lo
	s_or_b32 s33, s3, s4
	s_cmp_eq_u32 s2, 0
	s_cselect_b32 s2, ttmp9, s39
	s_ashr_i32 s3, s38, 31
	s_delay_alu instid0(SALU_CYCLE_1) | instskip(NEXT) | instid1(SALU_CYCLE_1)
	s_lshr_b32 s3, s3, 22
	s_add_co_i32 s3, s38, s3
	s_delay_alu instid0(SALU_CYCLE_1) | instskip(NEXT) | instid1(SALU_CYCLE_1)
	s_and_b32 s10, s3, 0xfffffc00
	v_dual_mov_b32 v1, v3 :: v_dual_bitop2_b32 v8, s10, v0 bitop3:0x54
	v_lshlrev_b32_e32 v2, 3, v2
	s_ashr_i32 s3, s2, 31
	s_ashr_i32 s11, s10, 31
	s_delay_alu instid0(VALU_DEP_2)
	v_mul_u64_e32 v[10:11], s[20:21], v[0:1]
	v_ashrrev_i32_e32 v9, 31, v8
	s_mul_u64 s[24:25], s[28:29], s[2:3]
	v_cmp_eq_f64_e64 s28, s[34:35], 0
	v_cmp_neq_f64_e64 s29, s[36:37], 0
	v_add_nc_u64_e32 v[6:7], s[0:1], v[2:3]
	v_mul_u64_e32 v[4:5], s[20:21], v[8:9]
	s_mul_u64 s[12:13], s[12:13], s[2:3]
	v_and_b32_e32 v9, 31, v0
	s_lshl_b64 s[12:13], s[12:13], 3
	v_cmp_gt_i32_e64 s2, s38, v8
	v_lshrrev_b32_e32 v8, 2, v0
	v_add_nc_u64_e32 v[6:7], s[12:13], v[6:7]
	s_add_nc_u64 s[12:13], s[12:13], s[26:27]
	v_lshlrev_b32_e32 v1, 3, v9
	s_add_nc_u64 s[8:9], s[8:9], s[12:13]
	v_cmp_eq_u32_e64 s4, 0, v9
	v_and_b32_e32 v20, 0xf8, v8
	v_add_nc_u64_e32 v[8:9], s[8:9], v[2:3]
	v_mbcnt_lo_u32_b32 v2, -1, 0
	v_cmp_eq_u32_e64 s0, 0, v0
	v_cmp_gt_i32_e64 s1, s10, v0
	v_cmp_gt_u32_e64 s3, 32, v0
	s_lshl_b64 s[8:9], s[14:15], 3
	v_lshl_or_b32 v21, v2, 2, 64
	s_lshl_b64 s[12:13], s[22:23], 3
	s_lshl_b64 s[20:21], s[20:21], 13
	;; [unrolled: 1-line block ×3, first 2 shown]
	v_lshl_add_u64 v[10:11], v[10:11], 3, s[16:17]
	s_branch .LBB87_4
.LBB87_2:                               ;   in Loop: Header=BB87_4 Depth=1
	s_wait_xcnt 0x0
	s_or_b32 exec_lo, exec_lo, s39
.LBB87_3:                               ;   in Loop: Header=BB87_4 Depth=1
	s_add_co_i32 s6, s6, 0x10000
	s_delay_alu instid0(SALU_CYCLE_1)
	s_cmp_lt_u32 s6, s5
	s_cbranch_scc0 .LBB87_34
.LBB87_4:                               ; =>This Loop Header: Depth=1
                                        ;     Child Loop BB87_23 Depth 2
	s_and_not1_b32 vcc_lo, exec_lo, s33
	s_cbranch_vccnz .LBB87_3
; %bb.5:                                ;   in Loop: Header=BB87_4 Depth=1
	s_mul_u64 s[26:27], s[30:31], s[6:7]
	s_and_not1_b32 vcc_lo, exec_lo, s28
	s_lshl_b64 s[26:27], s[26:27], 3
	s_delay_alu instid0(SALU_CYCLE_1)
	s_add_nc_u64 s[26:27], s[18:19], s[26:27]
	s_cbranch_vccnz .LBB87_9
; %bb.6:                                ;   in Loop: Header=BB87_4 Depth=1
	s_mov_b32 s39, 0
	s_mov_b32 s38, 0
                                        ; implicit-def: $vgpr14_vgpr15
	s_and_saveexec_b32 s40, s0
	s_cbranch_execz .LBB87_10
; %bb.7:                                ;   in Loop: Header=BB87_4 Depth=1
	s_and_not1_b32 vcc_lo, exec_lo, s29
	s_cbranch_vccnz .LBB87_11
; %bb.8:                                ;   in Loop: Header=BB87_4 Depth=1
	s_add_nc_u64 s[42:43], s[26:27], s[24:25]
	global_load_b64 v[14:15], v3, s[42:43]
	s_wait_loadcnt 0x0
	v_mul_f64_e32 v[14:15], s[36:37], v[14:15]
	s_branch .LBB87_12
.LBB87_9:                               ;   in Loop: Header=BB87_4 Depth=1
	s_mov_b32 s38, 0
                                        ; implicit-def: $vgpr14_vgpr15
	s_cbranch_execnz .LBB87_13
	s_branch .LBB87_32
.LBB87_10:                              ;   in Loop: Header=BB87_4 Depth=1
	s_or_b32 exec_lo, exec_lo, s40
	s_delay_alu instid0(SALU_CYCLE_1)
	s_and_b32 vcc_lo, exec_lo, s39
	s_cbranch_vccnz .LBB87_13
	s_branch .LBB87_32
.LBB87_11:                              ;   in Loop: Header=BB87_4 Depth=1
	v_mov_b64_e32 v[14:15], 0
.LBB87_12:                              ;   in Loop: Header=BB87_4 Depth=1
	s_mov_b32 s38, exec_lo
	s_wait_xcnt 0x0
	s_or_b32 exec_lo, exec_lo, s40
	s_delay_alu instid0(SALU_CYCLE_1)
	s_and_b32 vcc_lo, exec_lo, s39
	s_cbranch_vccz .LBB87_32
.LBB87_13:                              ;   in Loop: Header=BB87_4 Depth=1
	v_mov_b64_e32 v[14:15], 0
	s_and_saveexec_b32 s39, s1
	s_cbranch_execnz .LBB87_22
; %bb.14:                               ;   in Loop: Header=BB87_4 Depth=1
	s_or_b32 exec_lo, exec_lo, s39
	s_and_saveexec_b32 s39, s2
	s_cbranch_execnz .LBB87_25
.LBB87_15:                              ;   in Loop: Header=BB87_4 Depth=1
	s_or_b32 exec_lo, exec_lo, s39
	s_and_saveexec_b32 s39, s3
.LBB87_16:                              ;   in Loop: Header=BB87_4 Depth=1
	ds_store_b64 v1, v[12:13]
.LBB87_17:                              ;   in Loop: Header=BB87_4 Depth=1
	s_or_b32 exec_lo, exec_lo, s39
	s_wait_dscnt 0x0
	ds_bpermute_b32 v16, v21, v14
	ds_bpermute_b32 v17, v21, v15
	v_cmp_gt_u32_e32 vcc_lo, 24, v2
	s_wait_dscnt 0x0
	s_barrier_signal -1
	s_barrier_wait -1
	v_add_f64_e32 v[14:15], v[14:15], v[16:17]
	v_cndmask_b32_e64 v16, 0, 8, vcc_lo
	v_cmp_gt_u32_e32 vcc_lo, 28, v2
	s_delay_alu instid0(VALU_DEP_2)
	v_add_lshl_u32 v18, v16, v2, 2
	ds_bpermute_b32 v16, v18, v14
	ds_bpermute_b32 v17, v18, v15
	s_wait_dscnt 0x0
	v_add_f64_e32 v[14:15], v[14:15], v[16:17]
	v_cndmask_b32_e64 v16, 0, 4, vcc_lo
	v_cmp_gt_u32_e32 vcc_lo, 30, v2
	s_delay_alu instid0(VALU_DEP_2)
	v_add_lshl_u32 v19, v16, v2, 2
	ds_bpermute_b32 v16, v19, v14
	ds_bpermute_b32 v17, v19, v15
	s_wait_dscnt 0x0
	v_add_f64_e32 v[14:15], v[14:15], v[16:17]
	v_cndmask_b32_e64 v16, 0, 2, vcc_lo
	v_cmp_ne_u32_e32 vcc_lo, 31, v2
	s_delay_alu instid0(VALU_DEP_2)
	v_add_lshl_u32 v22, v16, v2, 2
	ds_bpermute_b32 v16, v22, v14
	ds_bpermute_b32 v17, v22, v15
	s_wait_dscnt 0x0
	v_add_f64_e32 v[14:15], v[14:15], v[16:17]
	v_add_co_ci_u32_e64 v16, null, 0, v2, vcc_lo
	s_delay_alu instid0(VALU_DEP_1)
	v_lshlrev_b32_e32 v23, 2, v16
	ds_bpermute_b32 v16, v23, v14
	ds_bpermute_b32 v17, v23, v15
	s_and_saveexec_b32 s39, s4
	s_cbranch_execz .LBB87_19
; %bb.18:                               ;   in Loop: Header=BB87_4 Depth=1
	s_wait_dscnt 0x0
	v_add_f64_e32 v[14:15], v[14:15], v[16:17]
	ds_store_b64 v20, v[14:15]
.LBB87_19:                              ;   in Loop: Header=BB87_4 Depth=1
	s_or_b32 exec_lo, exec_lo, s39
	s_wait_dscnt 0x0
	v_mov_b64_e32 v[16:17], 0
	s_barrier_signal -1
	s_barrier_wait -1
	s_and_saveexec_b32 s39, s3
	s_cbranch_execnz .LBB87_26
; %bb.20:                               ;   in Loop: Header=BB87_4 Depth=1
	s_or_b32 exec_lo, exec_lo, s39
	s_and_saveexec_b32 s39, s3
	s_cbranch_execnz .LBB87_27
.LBB87_21:                              ;   in Loop: Header=BB87_4 Depth=1
	s_or_b32 exec_lo, exec_lo, s39
                                        ; implicit-def: $vgpr14_vgpr15
	s_and_saveexec_b32 s39, s0
	s_cbranch_execnz .LBB87_28
	s_branch .LBB87_31
.LBB87_22:                              ;   in Loop: Header=BB87_4 Depth=1
	s_wait_dscnt 0x0
	v_mad_nc_u64_u32 v[16:17], s8, s6, v[8:9]
	v_mad_nc_u64_u32 v[18:19], s12, s6, v[10:11]
	v_mov_b64_e32 v[14:15], 0
	v_mov_b32_e32 v22, v0
	s_mov_b32 s40, 0
	s_delay_alu instid0(VALU_DEP_4) | instskip(NEXT) | instid1(VALU_DEP_4)
	v_mad_u32 v17, s9, s6, v17
	v_mad_u32 v19, s13, s6, v19
.LBB87_23:                              ;   Parent Loop BB87_4 Depth=1
                                        ; =>  This Inner Loop Header: Depth=2
	global_load_b64 v[24:25], v[16:17], off
	global_load_b64 v[26:27], v[18:19], off
	v_add_nc_u32_e32 v22, 0x400, v22
	s_wait_xcnt 0x1
	v_add_nc_u64_e32 v[16:17], 0x2000, v[16:17]
	s_wait_xcnt 0x0
	v_add_nc_u64_e32 v[18:19], s[20:21], v[18:19]
	v_cmp_le_i32_e32 vcc_lo, s10, v22
	s_or_b32 s40, vcc_lo, s40
	s_wait_loadcnt 0x0
	v_fmac_f64_e32 v[14:15], v[24:25], v[26:27]
	s_and_not1_b32 exec_lo, exec_lo, s40
	s_cbranch_execnz .LBB87_23
; %bb.24:                               ;   in Loop: Header=BB87_4 Depth=1
	s_or_b32 exec_lo, exec_lo, s40
	s_delay_alu instid0(SALU_CYCLE_1)
	s_or_b32 exec_lo, exec_lo, s39
	s_and_saveexec_b32 s39, s2
	s_cbranch_execz .LBB87_15
.LBB87_25:                              ;   in Loop: Header=BB87_4 Depth=1
	s_mul_u64 s[40:41], s[14:15], s[6:7]
	s_mul_u64 s[42:43], s[22:23], s[6:7]
	s_wait_dscnt 0x0
	v_lshl_add_u64 v[16:17], s[40:41], 3, v[6:7]
	s_lshl_b64 s[40:41], s[42:43], 3
	s_delay_alu instid0(SALU_CYCLE_1) | instskip(NEXT) | instid1(SALU_CYCLE_1)
	s_add_nc_u64 s[40:41], s[16:17], s[40:41]
	v_lshl_add_u64 v[18:19], v[4:5], 3, s[40:41]
	s_delay_alu instid0(VALU_DEP_2)
	v_lshl_add_u64 v[16:17], s[10:11], 3, v[16:17]
	global_load_b64 v[22:23], v[16:17], off
	global_load_b64 v[24:25], v[18:19], off
	s_wait_loadcnt 0x0
	v_fmac_f64_e32 v[14:15], v[22:23], v[24:25]
	s_wait_xcnt 0x0
	s_or_b32 exec_lo, exec_lo, s39
	s_and_saveexec_b32 s39, s3
	s_cbranch_execnz .LBB87_16
	s_branch .LBB87_17
.LBB87_26:                              ;   in Loop: Header=BB87_4 Depth=1
	ds_load_b64 v[16:17], v1
	s_or_b32 exec_lo, exec_lo, s39
	s_and_saveexec_b32 s39, s3
	s_cbranch_execz .LBB87_21
.LBB87_27:                              ;   in Loop: Header=BB87_4 Depth=1
	s_wait_dscnt 0x0
	ds_bpermute_b32 v14, v21, v16
	ds_bpermute_b32 v15, v21, v17
	s_wait_dscnt 0x0
	v_add_f64_e32 v[14:15], v[16:17], v[14:15]
	ds_bpermute_b32 v16, v18, v14
	ds_bpermute_b32 v17, v18, v15
	s_wait_dscnt 0x0
	v_add_f64_e32 v[14:15], v[14:15], v[16:17]
	;; [unrolled: 4-line block ×5, first 2 shown]
	s_or_b32 exec_lo, exec_lo, s39
                                        ; implicit-def: $vgpr14_vgpr15
	s_and_saveexec_b32 s39, s0
	s_cbranch_execz .LBB87_31
.LBB87_28:                              ;   in Loop: Header=BB87_4 Depth=1
	s_wait_dscnt 0x0
	s_delay_alu instid0(VALU_DEP_1)
	v_mul_f64_e32 v[14:15], s[34:35], v[16:17]
	s_and_not1_b32 vcc_lo, exec_lo, s29
	s_cbranch_vccnz .LBB87_30
; %bb.29:                               ;   in Loop: Header=BB87_4 Depth=1
	s_add_nc_u64 s[40:41], s[26:27], s[24:25]
	global_load_b64 v[16:17], v3, s[40:41]
	s_wait_loadcnt 0x0
	v_fmac_f64_e32 v[14:15], s[36:37], v[16:17]
.LBB87_30:                              ;   in Loop: Header=BB87_4 Depth=1
	s_or_b32 s38, s38, exec_lo
.LBB87_31:                              ;   in Loop: Header=BB87_4 Depth=1
	s_wait_xcnt 0x0
	s_or_b32 exec_lo, exec_lo, s39
.LBB87_32:                              ;   in Loop: Header=BB87_4 Depth=1
	s_and_saveexec_b32 s39, s38
	s_cbranch_execz .LBB87_2
; %bb.33:                               ;   in Loop: Header=BB87_4 Depth=1
	s_add_nc_u64 s[26:27], s[26:27], s[24:25]
	global_store_b64 v3, v[14:15], s[26:27]
	s_branch .LBB87_2
.LBB87_34:
	s_endpgm
	.section	.rodata,"a",@progbits
	.p2align	6, 0x0
	.amdhsa_kernel _ZL32rocblas_gemvt_warp_reduce_kernelILb0ELi1024EldddEviiT3_lPKT2_lT1_lS3_lS4_lS0_lPT4_lS4_li
		.amdhsa_group_segment_fixed_size 256
		.amdhsa_private_segment_fixed_size 0
		.amdhsa_kernarg_size 140
		.amdhsa_user_sgpr_count 2
		.amdhsa_user_sgpr_dispatch_ptr 0
		.amdhsa_user_sgpr_queue_ptr 0
		.amdhsa_user_sgpr_kernarg_segment_ptr 1
		.amdhsa_user_sgpr_dispatch_id 0
		.amdhsa_user_sgpr_kernarg_preload_length 0
		.amdhsa_user_sgpr_kernarg_preload_offset 0
		.amdhsa_user_sgpr_private_segment_size 0
		.amdhsa_wavefront_size32 1
		.amdhsa_uses_dynamic_stack 0
		.amdhsa_enable_private_segment 0
		.amdhsa_system_sgpr_workgroup_id_x 1
		.amdhsa_system_sgpr_workgroup_id_y 0
		.amdhsa_system_sgpr_workgroup_id_z 1
		.amdhsa_system_sgpr_workgroup_info 0
		.amdhsa_system_vgpr_workitem_id 0
		.amdhsa_next_free_vgpr 28
		.amdhsa_next_free_sgpr 44
		.amdhsa_named_barrier_count 0
		.amdhsa_reserve_vcc 1
		.amdhsa_float_round_mode_32 0
		.amdhsa_float_round_mode_16_64 0
		.amdhsa_float_denorm_mode_32 3
		.amdhsa_float_denorm_mode_16_64 3
		.amdhsa_fp16_overflow 0
		.amdhsa_memory_ordered 1
		.amdhsa_forward_progress 1
		.amdhsa_inst_pref_size 12
		.amdhsa_round_robin_scheduling 0
		.amdhsa_exception_fp_ieee_invalid_op 0
		.amdhsa_exception_fp_denorm_src 0
		.amdhsa_exception_fp_ieee_div_zero 0
		.amdhsa_exception_fp_ieee_overflow 0
		.amdhsa_exception_fp_ieee_underflow 0
		.amdhsa_exception_fp_ieee_inexact 0
		.amdhsa_exception_int_div_zero 0
	.end_amdhsa_kernel
	.section	.text._ZL32rocblas_gemvt_warp_reduce_kernelILb0ELi1024EldddEviiT3_lPKT2_lT1_lS3_lS4_lS0_lPT4_lS4_li,"axG",@progbits,_ZL32rocblas_gemvt_warp_reduce_kernelILb0ELi1024EldddEviiT3_lPKT2_lT1_lS3_lS4_lS0_lPT4_lS4_li,comdat
.Lfunc_end87:
	.size	_ZL32rocblas_gemvt_warp_reduce_kernelILb0ELi1024EldddEviiT3_lPKT2_lT1_lS3_lS4_lS0_lPT4_lS4_li, .Lfunc_end87-_ZL32rocblas_gemvt_warp_reduce_kernelILb0ELi1024EldddEviiT3_lPKT2_lT1_lS3_lS4_lS0_lPT4_lS4_li
                                        ; -- End function
	.set _ZL32rocblas_gemvt_warp_reduce_kernelILb0ELi1024EldddEviiT3_lPKT2_lT1_lS3_lS4_lS0_lPT4_lS4_li.num_vgpr, 28
	.set _ZL32rocblas_gemvt_warp_reduce_kernelILb0ELi1024EldddEviiT3_lPKT2_lT1_lS3_lS4_lS0_lPT4_lS4_li.num_agpr, 0
	.set _ZL32rocblas_gemvt_warp_reduce_kernelILb0ELi1024EldddEviiT3_lPKT2_lT1_lS3_lS4_lS0_lPT4_lS4_li.numbered_sgpr, 44
	.set _ZL32rocblas_gemvt_warp_reduce_kernelILb0ELi1024EldddEviiT3_lPKT2_lT1_lS3_lS4_lS0_lPT4_lS4_li.num_named_barrier, 0
	.set _ZL32rocblas_gemvt_warp_reduce_kernelILb0ELi1024EldddEviiT3_lPKT2_lT1_lS3_lS4_lS0_lPT4_lS4_li.private_seg_size, 0
	.set _ZL32rocblas_gemvt_warp_reduce_kernelILb0ELi1024EldddEviiT3_lPKT2_lT1_lS3_lS4_lS0_lPT4_lS4_li.uses_vcc, 1
	.set _ZL32rocblas_gemvt_warp_reduce_kernelILb0ELi1024EldddEviiT3_lPKT2_lT1_lS3_lS4_lS0_lPT4_lS4_li.uses_flat_scratch, 0
	.set _ZL32rocblas_gemvt_warp_reduce_kernelILb0ELi1024EldddEviiT3_lPKT2_lT1_lS3_lS4_lS0_lPT4_lS4_li.has_dyn_sized_stack, 0
	.set _ZL32rocblas_gemvt_warp_reduce_kernelILb0ELi1024EldddEviiT3_lPKT2_lT1_lS3_lS4_lS0_lPT4_lS4_li.has_recursion, 0
	.set _ZL32rocblas_gemvt_warp_reduce_kernelILb0ELi1024EldddEviiT3_lPKT2_lT1_lS3_lS4_lS0_lPT4_lS4_li.has_indirect_call, 0
	.section	.AMDGPU.csdata,"",@progbits
; Kernel info:
; codeLenInByte = 1444
; TotalNumSgprs: 46
; NumVgprs: 28
; ScratchSize: 0
; MemoryBound: 0
; FloatMode: 240
; IeeeMode: 1
; LDSByteSize: 256 bytes/workgroup (compile time only)
; SGPRBlocks: 0
; VGPRBlocks: 1
; NumSGPRsForWavesPerEU: 46
; NumVGPRsForWavesPerEU: 28
; NamedBarCnt: 0
; Occupancy: 16
; WaveLimiterHint : 0
; COMPUTE_PGM_RSRC2:SCRATCH_EN: 0
; COMPUTE_PGM_RSRC2:USER_SGPR: 2
; COMPUTE_PGM_RSRC2:TRAP_HANDLER: 0
; COMPUTE_PGM_RSRC2:TGID_X_EN: 1
; COMPUTE_PGM_RSRC2:TGID_Y_EN: 0
; COMPUTE_PGM_RSRC2:TGID_Z_EN: 1
; COMPUTE_PGM_RSRC2:TIDIG_COMP_CNT: 0
	.section	.text._ZL22rocblas_gemvtsm_kernelILb1ELi256EdPKddEviiT2_lPKT1_lilS5_lilS2_lPT3_lil,"axG",@progbits,_ZL22rocblas_gemvtsm_kernelILb1ELi256EdPKddEviiT2_lPKT1_lilS5_lilS2_lPT3_lil,comdat
	.globl	_ZL22rocblas_gemvtsm_kernelILb1ELi256EdPKddEviiT2_lPKT1_lilS5_lilS2_lPT3_lil ; -- Begin function _ZL22rocblas_gemvtsm_kernelILb1ELi256EdPKddEviiT2_lPKT1_lilS5_lilS2_lPT3_lil
	.p2align	8
	.type	_ZL22rocblas_gemvtsm_kernelILb1ELi256EdPKddEviiT2_lPKT1_lilS5_lilS2_lPT3_lil,@function
_ZL22rocblas_gemvtsm_kernelILb1ELi256EdPKddEviiT2_lPKT1_lilS5_lilS2_lPT3_lil: ; @_ZL22rocblas_gemvtsm_kernelILb1ELi256EdPKddEviiT2_lPKT1_lilS5_lilS2_lPT3_lil
; %bb.0:
	s_clause 0x1
	s_load_b256 s[4:11], s[0:1], 0x8
	s_load_b256 s[12:19], s[0:1], 0x50
	s_bfe_u32 s2, ttmp6, 0x4000c
	s_and_b32 s3, ttmp6, 15
	s_add_co_i32 s2, s2, 1
	s_getreg_b32 s20, hwreg(HW_REG_IB_STS2, 6, 4)
	s_mul_i32 s2, ttmp9, s2
	s_mov_b32 s25, 0
	s_add_co_i32 s3, s3, s2
	s_cmp_eq_u32 s20, 0
	s_cselect_b32 s24, ttmp9, s3
	s_wait_kmcnt 0x0
	s_mul_u64 s[2:3], s[6:7], s[24:25]
	s_mul_u64 s[6:7], s[16:17], s[24:25]
	s_lshl_b64 s[2:3], s[2:3], 3
	s_lshl_b64 s[6:7], s[6:7], 3
	s_add_nc_u64 s[2:3], s[4:5], s[2:3]
	s_add_nc_u64 s[4:5], s[14:15], s[6:7]
	s_load_b64 s[28:29], s[2:3], 0x0
	s_load_b64 s[14:15], s[4:5], 0x0
	s_wait_kmcnt 0x0
	v_cmp_eq_f64_e64 s2, s[28:29], 0
	v_cmp_eq_f64_e64 s3, s[14:15], 1.0
	s_and_b32 s2, s2, s3
	s_delay_alu instid0(SALU_CYCLE_1)
	s_and_b32 vcc_lo, exec_lo, s2
	s_cbranch_vccnz .LBB88_34
; %bb.1:
	v_cmp_neq_f64_e64 s4, s[28:29], 0
	s_clause 0x2
	s_load_b64 s[2:3], s[0:1], 0x80
	s_load_b96 s[20:22], s[0:1], 0x70
	s_load_b64 s[16:17], s[0:1], 0x0
	s_wait_kmcnt 0x0
	s_mul_u64 s[26:27], s[2:3], s[24:25]
	s_and_b32 vcc_lo, exec_lo, s4
	s_cbranch_vccnz .LBB88_9
; %bb.2:
	v_cmp_neq_f64_e64 s2, s[14:15], 0
	s_cmp_gt_i32 s17, 0
	s_cselect_b32 s4, -1, 0
	s_delay_alu instid0(SALU_CYCLE_1) | instskip(SKIP_1) | instid1(VALU_DEP_1)
	v_cndmask_b32_e64 v1, 0, 1, s4
	s_and_b32 vcc_lo, exec_lo, s2
	v_cmp_ne_u32_e64 s2, 1, v1
	s_cbranch_vccnz .LBB88_10
; %bb.3:
	s_and_b32 vcc_lo, exec_lo, s2
	s_cbranch_vccnz .LBB88_8
; %bb.4:
	v_mov_b32_e32 v1, 0
	s_ashr_i32 s3, s22, 31
	s_mov_b32 s2, s22
	s_lshl_b64 s[6:7], s[20:21], 3
	s_lshl_b64 s[30:31], s[26:27], 3
	v_mul_u64_e32 v[4:5], s[2:3], v[0:1]
	s_add_nc_u64 s[6:7], s[18:19], s[6:7]
	v_mov_b64_e32 v[2:3], 0
	s_add_nc_u64 s[6:7], s[6:7], s[30:31]
	s_lshl_b64 s[2:3], s[2:3], 11
	s_mov_b32 s5, 0
	s_delay_alu instid0(VALU_DEP_2)
	v_lshl_add_u64 v[4:5], v[4:5], 3, s[6:7]
	s_branch .LBB88_6
.LBB88_5:                               ;   in Loop: Header=BB88_6 Depth=1
	s_wait_xcnt 0x0
	s_or_b32 exec_lo, exec_lo, s6
	v_add_nc_u64_e32 v[4:5], s[2:3], v[4:5]
	s_addk_co_i32 s5, 0x100
	s_delay_alu instid0(SALU_CYCLE_1)
	s_cmp_ge_i32 s5, s17
	s_cbranch_scc1 .LBB88_8
.LBB88_6:                               ; =>This Inner Loop Header: Depth=1
	v_add_nc_u32_e32 v1, s5, v0
	s_mov_b32 s6, exec_lo
	s_delay_alu instid0(VALU_DEP_1)
	v_cmpx_gt_i32_e64 s17, v1
	s_cbranch_execz .LBB88_5
; %bb.7:                                ;   in Loop: Header=BB88_6 Depth=1
	global_store_b64 v[4:5], v[2:3], off
	s_branch .LBB88_5
.LBB88_8:
	s_cbranch_execz .LBB88_11
	s_branch .LBB88_16
.LBB88_9:
	s_branch .LBB88_17
.LBB88_10:
.LBB88_11:
	s_and_not1_b32 vcc_lo, exec_lo, s4
	s_cbranch_vccnz .LBB88_16
; %bb.12:
	v_mov_b32_e32 v1, 0
	s_ashr_i32 s3, s22, 31
	s_mov_b32 s2, s22
	s_lshl_b64 s[4:5], s[20:21], 3
	s_lshl_b64 s[6:7], s[26:27], 3
	v_mul_u64_e32 v[2:3], s[2:3], v[0:1]
	s_add_nc_u64 s[4:5], s[18:19], s[4:5]
	s_lshl_b64 s[2:3], s[2:3], 11
	s_add_nc_u64 s[4:5], s[4:5], s[6:7]
	s_delay_alu instid0(VALU_DEP_1) | instid1(SALU_CYCLE_1)
	v_lshl_add_u64 v[2:3], v[2:3], 3, s[4:5]
	s_mov_b32 s4, 0
	s_branch .LBB88_14
.LBB88_13:                              ;   in Loop: Header=BB88_14 Depth=1
	s_wait_xcnt 0x0
	s_or_b32 exec_lo, exec_lo, s5
	v_add_nc_u64_e32 v[2:3], s[2:3], v[2:3]
	s_addk_co_i32 s4, 0x100
	s_delay_alu instid0(SALU_CYCLE_1)
	s_cmp_ge_i32 s4, s17
	s_cbranch_scc1 .LBB88_16
.LBB88_14:                              ; =>This Inner Loop Header: Depth=1
	v_add_nc_u32_e32 v1, s4, v0
	s_mov_b32 s5, exec_lo
	s_delay_alu instid0(VALU_DEP_1)
	v_cmpx_gt_i32_e64 s17, v1
	s_cbranch_execz .LBB88_13
; %bb.15:                               ;   in Loop: Header=BB88_14 Depth=1
	global_load_b64 v[4:5], v[2:3], off
	s_wait_loadcnt 0x0
	v_mul_f64_e32 v[4:5], s[14:15], v[4:5]
	global_store_b64 v[2:3], v[4:5], off
	s_branch .LBB88_13
.LBB88_16:
	s_cbranch_execnz .LBB88_34
.LBB88_17:
	s_clause 0x1
	s_load_b128 s[4:7], s[0:1], 0x30
	s_load_b64 s[2:3], s[0:1], 0x40
	s_mov_b32 s23, exec_lo
	v_cmpx_gt_i32_e64 s16, v0
	s_cbranch_execz .LBB88_19
; %bb.18:
	s_load_b32 s30, s[0:1], 0x48
	v_mov_b32_e32 v1, 0
	s_mul_u64 s[12:13], s[12:13], s[24:25]
	s_wait_kmcnt 0x0
	s_lshl_b64 s[2:3], s[2:3], 3
	s_lshl_b64 s[12:13], s[12:13], 3
	s_delay_alu instid0(SALU_CYCLE_1) | instskip(NEXT) | instid1(SALU_CYCLE_1)
	s_add_nc_u64 s[6:7], s[6:7], s[12:13]
	s_add_nc_u64 s[2:3], s[6:7], s[2:3]
	s_ashr_i32 s31, s30, 31
	s_delay_alu instid0(SALU_CYCLE_1) | instskip(SKIP_1) | instid1(VALU_DEP_2)
	v_mul_u64_e32 v[2:3], s[30:31], v[0:1]
	v_lshlrev_b32_e32 v1, 3, v0
	v_lshl_add_u64 v[2:3], v[2:3], 3, s[2:3]
	global_load_b64 v[2:3], v[2:3], off
	s_wait_loadcnt 0x0
	v_mul_f64_e32 v[2:3], s[28:29], v[2:3]
	ds_store_b64 v1, v[2:3]
.LBB88_19:
	s_or_b32 exec_lo, exec_lo, s23
	s_cmp_lt_i32 s17, 1
	s_wait_storecnt_dscnt 0x0
	s_barrier_signal -1
	s_barrier_wait -1
	s_cbranch_scc1 .LBB88_34
; %bb.20:
	s_wait_kmcnt 0x0
	s_load_b32 s6, s[0:1], 0x28
	v_mov_b32_e32 v3, 0
	s_lshl_b64 s[2:3], s[26:27], 3
	s_lshl_b64 s[26:27], s[20:21], 3
	s_wait_xcnt 0x0
	s_ashr_i32 s1, s22, 31
	s_mul_u64 s[4:5], s[4:5], s[24:25]
	v_mov_b32_e32 v1, v3
	s_add_nc_u64 s[2:3], s[18:19], s[2:3]
	s_mov_b32 s0, s22
	s_add_nc_u64 s[2:3], s[2:3], s[26:27]
	s_wait_kmcnt 0x0
	s_ashr_i32 s7, s6, 31
	s_cmp_gt_i32 s16, 0
	v_mul_u64_e32 v[4:5], s[6:7], v[0:1]
	s_cselect_b32 s12, -1, 0
	s_and_b32 s13, s16, 7
	s_cmp_gt_u32 s16, 7
	s_cselect_b32 s20, -1, 0
	s_and_b32 s16, s16, 0x7ffffff8
	s_cmp_lg_u32 s13, 0
	s_cselect_b32 s21, -1, 0
	s_lshl_b64 s[10:11], s[10:11], 3
	s_lshl_b64 s[4:5], s[4:5], 3
	s_add_nc_u64 s[8:9], s[8:9], s[10:11]
	s_lshl_b64 s[6:7], s[6:7], 11
	s_add_nc_u64 s[4:5], s[8:9], s[4:5]
	v_cmp_neq_f64_e64 s8, s[14:15], 0
	s_mov_b32 s9, 0
	v_lshl_add_u64 v[4:5], v[4:5], 3, s[4:5]
	s_mov_b32 s5, 0
	s_delay_alu instid0(VALU_DEP_1)
	v_add_nc_u64_e32 v[6:7], 56, v[4:5]
	s_branch .LBB88_23
.LBB88_21:                              ;   in Loop: Header=BB88_23 Depth=1
	global_store_b64 v[8:9], v[10:11], off
.LBB88_22:                              ;   in Loop: Header=BB88_23 Depth=1
	s_wait_xcnt 0x0
	s_or_b32 exec_lo, exec_lo, s10
	v_add_nc_u64_e32 v[6:7], s[6:7], v[6:7]
	v_add_nc_u64_e32 v[4:5], s[6:7], v[4:5]
	s_addk_co_i32 s9, 0x100
	s_delay_alu instid0(SALU_CYCLE_1)
	s_cmp_ge_i32 s9, s17
	s_cbranch_scc1 .LBB88_34
.LBB88_23:                              ; =>This Loop Header: Depth=1
                                        ;     Child Loop BB88_29 Depth 2
                                        ;     Child Loop BB88_33 Depth 2
	v_add_nc_u32_e32 v2, s9, v0
	s_mov_b32 s10, exec_lo
	s_delay_alu instid0(VALU_DEP_1)
	v_cmpx_gt_i32_e64 s17, v2
	s_cbranch_execz .LBB88_22
; %bb.24:                               ;   in Loop: Header=BB88_23 Depth=1
	v_mul_u64_e32 v[8:9], s[0:1], v[2:3]
	s_and_not1_b32 vcc_lo, exec_lo, s8
	s_delay_alu instid0(VALU_DEP_1)
	v_lshl_add_u64 v[8:9], v[8:9], 3, s[2:3]
	s_cbranch_vccnz .LBB88_26
; %bb.25:                               ;   in Loop: Header=BB88_23 Depth=1
	global_load_b64 v[10:11], v[8:9], off
	s_wait_loadcnt 0x0
	v_mul_f64_e32 v[10:11], s[14:15], v[10:11]
	s_and_not1_b32 vcc_lo, exec_lo, s12
	s_cbranch_vccz .LBB88_27
	s_branch .LBB88_21
.LBB88_26:                              ;   in Loop: Header=BB88_23 Depth=1
	v_mov_b64_e32 v[10:11], 0
	s_and_not1_b32 vcc_lo, exec_lo, s12
	s_cbranch_vccnz .LBB88_21
.LBB88_27:                              ;   in Loop: Header=BB88_23 Depth=1
	s_and_not1_b32 vcc_lo, exec_lo, s20
	s_mov_b32 s4, 0
	s_cbranch_vccnz .LBB88_31
; %bb.28:                               ;   in Loop: Header=BB88_23 Depth=1
	v_mov_b64_e32 v[12:13], v[6:7]
	s_mov_b32 s11, 0
.LBB88_29:                              ;   Parent Loop BB88_23 Depth=1
                                        ; =>  This Inner Loop Header: Depth=2
	s_clause 0x3
	global_load_b128 v[14:17], v[12:13], off offset:-56
	global_load_b128 v[18:21], v[12:13], off offset:-40
	;; [unrolled: 1-line block ×4, first 2 shown]
	v_mov_b32_e32 v1, s4
	s_wait_xcnt 0x0
	v_add_nc_u64_e32 v[12:13], 64, v[12:13]
	s_add_co_i32 s11, s11, 8
	s_add_co_i32 s4, s4, 64
	ds_load_b128 v[30:33], v1
	ds_load_b128 v[34:37], v1 offset:16
	s_cmp_eq_u32 s16, s11
	s_wait_loadcnt_dscnt 0x301
	v_fmac_f64_e32 v[10:11], v[30:31], v[14:15]
	s_delay_alu instid0(VALU_DEP_1) | instskip(SKIP_1) | instid1(VALU_DEP_1)
	v_fmac_f64_e32 v[10:11], v[32:33], v[16:17]
	s_wait_loadcnt_dscnt 0x200
	v_fmac_f64_e32 v[10:11], v[34:35], v[18:19]
	s_delay_alu instid0(VALU_DEP_1) | instskip(SKIP_4) | instid1(VALU_DEP_1)
	v_fmac_f64_e32 v[10:11], v[36:37], v[20:21]
	ds_load_b128 v[14:17], v1 offset:32
	ds_load_b128 v[18:21], v1 offset:48
	s_wait_loadcnt_dscnt 0x101
	v_fmac_f64_e32 v[10:11], v[14:15], v[22:23]
	v_fmac_f64_e32 v[10:11], v[16:17], v[24:25]
	s_wait_loadcnt_dscnt 0x0
	s_delay_alu instid0(VALU_DEP_1) | instskip(NEXT) | instid1(VALU_DEP_1)
	v_fmac_f64_e32 v[10:11], v[18:19], v[26:27]
	v_fmac_f64_e32 v[10:11], v[20:21], v[28:29]
	s_cbranch_scc0 .LBB88_29
; %bb.30:                               ;   in Loop: Header=BB88_23 Depth=1
	s_mov_b32 s4, s16
.LBB88_31:                              ;   in Loop: Header=BB88_23 Depth=1
	s_and_not1_b32 vcc_lo, exec_lo, s21
	s_cbranch_vccnz .LBB88_21
; %bb.32:                               ;   in Loop: Header=BB88_23 Depth=1
	v_lshl_add_u64 v[12:13], s[4:5], 3, v[4:5]
	s_lshl_b32 s4, s4, 3
	s_mov_b32 s11, s13
.LBB88_33:                              ;   Parent Loop BB88_23 Depth=1
                                        ; =>  This Inner Loop Header: Depth=2
	global_load_b64 v[14:15], v[12:13], off
	v_mov_b32_e32 v1, s4
	s_wait_xcnt 0x0
	v_add_nc_u64_e32 v[12:13], 8, v[12:13]
	s_add_co_i32 s11, s11, -1
	s_add_co_i32 s4, s4, 8
	s_cmp_lg_u32 s11, 0
	ds_load_b64 v[16:17], v1
	s_wait_loadcnt_dscnt 0x0
	v_fmac_f64_e32 v[10:11], v[16:17], v[14:15]
	s_cbranch_scc1 .LBB88_33
	s_branch .LBB88_21
.LBB88_34:
	s_endpgm
	.section	.rodata,"a",@progbits
	.p2align	6, 0x0
	.amdhsa_kernel _ZL22rocblas_gemvtsm_kernelILb1ELi256EdPKddEviiT2_lPKT1_lilS5_lilS2_lPT3_lil
		.amdhsa_group_segment_fixed_size 512
		.amdhsa_private_segment_fixed_size 0
		.amdhsa_kernarg_size 136
		.amdhsa_user_sgpr_count 2
		.amdhsa_user_sgpr_dispatch_ptr 0
		.amdhsa_user_sgpr_queue_ptr 0
		.amdhsa_user_sgpr_kernarg_segment_ptr 1
		.amdhsa_user_sgpr_dispatch_id 0
		.amdhsa_user_sgpr_kernarg_preload_length 0
		.amdhsa_user_sgpr_kernarg_preload_offset 0
		.amdhsa_user_sgpr_private_segment_size 0
		.amdhsa_wavefront_size32 1
		.amdhsa_uses_dynamic_stack 0
		.amdhsa_enable_private_segment 0
		.amdhsa_system_sgpr_workgroup_id_x 1
		.amdhsa_system_sgpr_workgroup_id_y 0
		.amdhsa_system_sgpr_workgroup_id_z 0
		.amdhsa_system_sgpr_workgroup_info 0
		.amdhsa_system_vgpr_workitem_id 0
		.amdhsa_next_free_vgpr 38
		.amdhsa_next_free_sgpr 32
		.amdhsa_named_barrier_count 0
		.amdhsa_reserve_vcc 1
		.amdhsa_float_round_mode_32 0
		.amdhsa_float_round_mode_16_64 0
		.amdhsa_float_denorm_mode_32 3
		.amdhsa_float_denorm_mode_16_64 3
		.amdhsa_fp16_overflow 0
		.amdhsa_memory_ordered 1
		.amdhsa_forward_progress 1
		.amdhsa_inst_pref_size 10
		.amdhsa_round_robin_scheduling 0
		.amdhsa_exception_fp_ieee_invalid_op 0
		.amdhsa_exception_fp_denorm_src 0
		.amdhsa_exception_fp_ieee_div_zero 0
		.amdhsa_exception_fp_ieee_overflow 0
		.amdhsa_exception_fp_ieee_underflow 0
		.amdhsa_exception_fp_ieee_inexact 0
		.amdhsa_exception_int_div_zero 0
	.end_amdhsa_kernel
	.section	.text._ZL22rocblas_gemvtsm_kernelILb1ELi256EdPKddEviiT2_lPKT1_lilS5_lilS2_lPT3_lil,"axG",@progbits,_ZL22rocblas_gemvtsm_kernelILb1ELi256EdPKddEviiT2_lPKT1_lilS5_lilS2_lPT3_lil,comdat
.Lfunc_end88:
	.size	_ZL22rocblas_gemvtsm_kernelILb1ELi256EdPKddEviiT2_lPKT1_lilS5_lilS2_lPT3_lil, .Lfunc_end88-_ZL22rocblas_gemvtsm_kernelILb1ELi256EdPKddEviiT2_lPKT1_lilS5_lilS2_lPT3_lil
                                        ; -- End function
	.set _ZL22rocblas_gemvtsm_kernelILb1ELi256EdPKddEviiT2_lPKT1_lilS5_lilS2_lPT3_lil.num_vgpr, 38
	.set _ZL22rocblas_gemvtsm_kernelILb1ELi256EdPKddEviiT2_lPKT1_lilS5_lilS2_lPT3_lil.num_agpr, 0
	.set _ZL22rocblas_gemvtsm_kernelILb1ELi256EdPKddEviiT2_lPKT1_lilS5_lilS2_lPT3_lil.numbered_sgpr, 32
	.set _ZL22rocblas_gemvtsm_kernelILb1ELi256EdPKddEviiT2_lPKT1_lilS5_lilS2_lPT3_lil.num_named_barrier, 0
	.set _ZL22rocblas_gemvtsm_kernelILb1ELi256EdPKddEviiT2_lPKT1_lilS5_lilS2_lPT3_lil.private_seg_size, 0
	.set _ZL22rocblas_gemvtsm_kernelILb1ELi256EdPKddEviiT2_lPKT1_lilS5_lilS2_lPT3_lil.uses_vcc, 1
	.set _ZL22rocblas_gemvtsm_kernelILb1ELi256EdPKddEviiT2_lPKT1_lilS5_lilS2_lPT3_lil.uses_flat_scratch, 0
	.set _ZL22rocblas_gemvtsm_kernelILb1ELi256EdPKddEviiT2_lPKT1_lilS5_lilS2_lPT3_lil.has_dyn_sized_stack, 0
	.set _ZL22rocblas_gemvtsm_kernelILb1ELi256EdPKddEviiT2_lPKT1_lilS5_lilS2_lPT3_lil.has_recursion, 0
	.set _ZL22rocblas_gemvtsm_kernelILb1ELi256EdPKddEviiT2_lPKT1_lilS5_lilS2_lPT3_lil.has_indirect_call, 0
	.section	.AMDGPU.csdata,"",@progbits
; Kernel info:
; codeLenInByte = 1268
; TotalNumSgprs: 34
; NumVgprs: 38
; ScratchSize: 0
; MemoryBound: 0
; FloatMode: 240
; IeeeMode: 1
; LDSByteSize: 512 bytes/workgroup (compile time only)
; SGPRBlocks: 0
; VGPRBlocks: 2
; NumSGPRsForWavesPerEU: 34
; NumVGPRsForWavesPerEU: 38
; NamedBarCnt: 0
; Occupancy: 16
; WaveLimiterHint : 1
; COMPUTE_PGM_RSRC2:SCRATCH_EN: 0
; COMPUTE_PGM_RSRC2:USER_SGPR: 2
; COMPUTE_PGM_RSRC2:TRAP_HANDLER: 0
; COMPUTE_PGM_RSRC2:TGID_X_EN: 1
; COMPUTE_PGM_RSRC2:TGID_Y_EN: 0
; COMPUTE_PGM_RSRC2:TGID_Z_EN: 0
; COMPUTE_PGM_RSRC2:TIDIG_COMP_CNT: 0
	.section	.text._ZL22rocblas_gemvtsm_kernelILb1ELi256EdddEviiT2_lPKT1_lilS3_lilS0_lPT3_lil,"axG",@progbits,_ZL22rocblas_gemvtsm_kernelILb1ELi256EdddEviiT2_lPKT1_lilS3_lilS0_lPT3_lil,comdat
	.globl	_ZL22rocblas_gemvtsm_kernelILb1ELi256EdddEviiT2_lPKT1_lilS3_lilS0_lPT3_lil ; -- Begin function _ZL22rocblas_gemvtsm_kernelILb1ELi256EdddEviiT2_lPKT1_lilS3_lilS0_lPT3_lil
	.p2align	8
	.type	_ZL22rocblas_gemvtsm_kernelILb1ELi256EdddEviiT2_lPKT1_lilS3_lilS0_lPT3_lil,@function
_ZL22rocblas_gemvtsm_kernelILb1ELi256EdddEviiT2_lPKT1_lilS3_lilS0_lPT3_lil: ; @_ZL22rocblas_gemvtsm_kernelILb1ELi256EdddEviiT2_lPKT1_lilS3_lilS0_lPT3_lil
; %bb.0:
	s_clause 0x1
	s_load_b64 s[24:25], s[0:1], 0x8
	s_load_b128 s[4:7], s[0:1], 0x50
	s_wait_kmcnt 0x0
	v_cmp_eq_f64_e64 s2, s[24:25], 0
	v_cmp_eq_f64_e64 s3, s[6:7], 1.0
	s_and_b32 s2, s2, s3
	s_delay_alu instid0(SALU_CYCLE_1)
	s_and_b32 vcc_lo, exec_lo, s2
	s_cbranch_vccnz .LBB89_34
; %bb.1:
	v_cmp_neq_f64_e64 s12, s[24:25], 0
	s_clause 0x3
	s_load_b64 s[2:3], s[0:1], 0x80
	s_load_b32 s16, s[0:1], 0x78
	s_load_b64 s[18:19], s[0:1], 0x0
	s_load_b128 s[8:11], s[0:1], 0x68
	s_bfe_u32 s13, ttmp6, 0x4000c
	s_and_b32 s14, ttmp6, 15
	s_add_co_i32 s13, s13, 1
	s_getreg_b32 s15, hwreg(HW_REG_IB_STS2, 6, 4)
	s_mul_i32 s13, ttmp9, s13
	s_mov_b32 s21, 0
	s_add_co_i32 s14, s14, s13
	s_cmp_eq_u32 s15, 0
	s_cselect_b32 s20, ttmp9, s14
	s_wait_kmcnt 0x0
	s_mul_u64 s[22:23], s[2:3], s[20:21]
	s_and_b32 vcc_lo, exec_lo, s12
	s_cbranch_vccnz .LBB89_9
; %bb.2:
	v_cmp_neq_f64_e64 s2, s[6:7], 0
	s_cmp_gt_i32 s19, 0
	s_cselect_b32 s12, -1, 0
	s_delay_alu instid0(SALU_CYCLE_1) | instskip(SKIP_1) | instid1(VALU_DEP_1)
	v_cndmask_b32_e64 v1, 0, 1, s12
	s_and_b32 vcc_lo, exec_lo, s2
	v_cmp_ne_u32_e64 s2, 1, v1
	s_cbranch_vccnz .LBB89_10
; %bb.3:
	s_and_b32 vcc_lo, exec_lo, s2
	s_cbranch_vccnz .LBB89_8
; %bb.4:
	v_mov_b32_e32 v1, 0
	s_ashr_i32 s17, s16, 31
	s_lshl_b64 s[2:3], s[10:11], 3
	s_lshl_b64 s[14:15], s[22:23], 3
	s_add_nc_u64 s[2:3], s[8:9], s[2:3]
	v_mul_u64_e32 v[4:5], s[16:17], v[0:1]
	s_add_nc_u64 s[2:3], s[2:3], s[14:15]
	v_mov_b64_e32 v[2:3], 0
	s_mov_b32 s13, 0
	s_delay_alu instid0(VALU_DEP_2)
	v_lshl_add_u64 v[4:5], v[4:5], 3, s[2:3]
	s_lshl_b64 s[2:3], s[16:17], 11
	s_branch .LBB89_6
.LBB89_5:                               ;   in Loop: Header=BB89_6 Depth=1
	s_wait_xcnt 0x0
	s_or_b32 exec_lo, exec_lo, s14
	v_add_nc_u64_e32 v[4:5], s[2:3], v[4:5]
	s_addk_co_i32 s13, 0x100
	s_delay_alu instid0(SALU_CYCLE_1)
	s_cmp_ge_i32 s13, s19
	s_cbranch_scc1 .LBB89_8
.LBB89_6:                               ; =>This Inner Loop Header: Depth=1
	v_add_nc_u32_e32 v1, s13, v0
	s_mov_b32 s14, exec_lo
	s_delay_alu instid0(VALU_DEP_1)
	v_cmpx_gt_i32_e64 s19, v1
	s_cbranch_execz .LBB89_5
; %bb.7:                                ;   in Loop: Header=BB89_6 Depth=1
	global_store_b64 v[4:5], v[2:3], off
	s_branch .LBB89_5
.LBB89_8:
	s_cbranch_execz .LBB89_11
	s_branch .LBB89_16
.LBB89_9:
	s_branch .LBB89_17
.LBB89_10:
.LBB89_11:
	s_and_not1_b32 vcc_lo, exec_lo, s12
	s_cbranch_vccnz .LBB89_16
; %bb.12:
	v_mov_b32_e32 v1, 0
	s_ashr_i32 s17, s16, 31
	s_lshl_b64 s[2:3], s[10:11], 3
	s_lshl_b64 s[12:13], s[22:23], 3
	s_add_nc_u64 s[2:3], s[8:9], s[2:3]
	v_mul_u64_e32 v[2:3], s[16:17], v[0:1]
	s_add_nc_u64 s[2:3], s[2:3], s[12:13]
	s_mov_b32 s12, 0
	s_delay_alu instid0(VALU_DEP_1)
	v_lshl_add_u64 v[2:3], v[2:3], 3, s[2:3]
	s_lshl_b64 s[2:3], s[16:17], 11
	s_branch .LBB89_14
.LBB89_13:                              ;   in Loop: Header=BB89_14 Depth=1
	s_wait_xcnt 0x0
	s_or_b32 exec_lo, exec_lo, s13
	v_add_nc_u64_e32 v[2:3], s[2:3], v[2:3]
	s_addk_co_i32 s12, 0x100
	s_delay_alu instid0(SALU_CYCLE_1)
	s_cmp_ge_i32 s12, s19
	s_cbranch_scc1 .LBB89_16
.LBB89_14:                              ; =>This Inner Loop Header: Depth=1
	v_add_nc_u32_e32 v1, s12, v0
	s_mov_b32 s13, exec_lo
	s_delay_alu instid0(VALU_DEP_1)
	v_cmpx_gt_i32_e64 s19, v1
	s_cbranch_execz .LBB89_13
; %bb.15:                               ;   in Loop: Header=BB89_14 Depth=1
	global_load_b64 v[4:5], v[2:3], off
	s_wait_loadcnt 0x0
	v_mul_f64_e32 v[4:5], s[6:7], v[4:5]
	global_store_b64 v[2:3], v[4:5], off
	s_branch .LBB89_13
.LBB89_16:
	s_cbranch_execnz .LBB89_34
.LBB89_17:
	s_clause 0x1
	s_load_b128 s[12:15], s[0:1], 0x30
	s_load_b64 s[2:3], s[0:1], 0x40
	s_mov_b32 s17, exec_lo
	v_cmpx_gt_i32_e64 s18, v0
	s_cbranch_execz .LBB89_19
; %bb.18:
	s_load_b32 s26, s[0:1], 0x48
	v_mov_b32_e32 v1, 0
	s_mul_u64 s[4:5], s[4:5], s[20:21]
	s_wait_kmcnt 0x0
	s_lshl_b64 s[2:3], s[2:3], 3
	s_lshl_b64 s[4:5], s[4:5], 3
	s_delay_alu instid0(SALU_CYCLE_1) | instskip(NEXT) | instid1(SALU_CYCLE_1)
	s_add_nc_u64 s[4:5], s[14:15], s[4:5]
	s_add_nc_u64 s[2:3], s[4:5], s[2:3]
	s_ashr_i32 s27, s26, 31
	s_delay_alu instid0(SALU_CYCLE_1) | instskip(SKIP_1) | instid1(VALU_DEP_2)
	v_mul_u64_e32 v[2:3], s[26:27], v[0:1]
	v_lshlrev_b32_e32 v1, 3, v0
	v_lshl_add_u64 v[2:3], v[2:3], 3, s[2:3]
	global_load_b64 v[2:3], v[2:3], off
	s_wait_loadcnt 0x0
	v_mul_f64_e32 v[2:3], s[24:25], v[2:3]
	ds_store_b64 v1, v[2:3]
.LBB89_19:
	s_or_b32 exec_lo, exec_lo, s17
	s_cmp_lt_i32 s19, 1
	s_wait_storecnt_dscnt 0x0
	s_barrier_signal -1
	s_barrier_wait -1
	s_cbranch_scc1 .LBB89_34
; %bb.20:
	s_clause 0x1
	s_load_b32 s4, s[0:1], 0x28
	s_load_b128 s[24:27], s[0:1], 0x18
	v_mov_b32_e32 v3, 0
	s_wait_xcnt 0x0
	s_lshl_b64 s[0:1], s[22:23], 3
	s_wait_kmcnt 0x0
	s_lshl_b64 s[2:3], s[10:11], 3
	s_add_nc_u64 s[0:1], s[8:9], s[0:1]
	v_cmp_neq_f64_e64 s8, s[6:7], 0
	v_mov_b32_e32 v1, v3
	s_ashr_i32 s17, s16, 31
	s_mul_u64 s[20:21], s[12:13], s[20:21]
	s_add_nc_u64 s[0:1], s[0:1], s[2:3]
	s_mov_b32 s3, 0
	s_mov_b32 s9, 0
	s_ashr_i32 s5, s4, 31
	s_cmp_gt_i32 s18, 0
	v_mul_u64_e32 v[4:5], s[4:5], v[0:1]
	s_cselect_b32 s10, -1, 0
	s_and_b32 s11, s18, 7
	s_cmp_gt_u32 s18, 7
	s_cselect_b32 s14, -1, 0
	s_and_b32 s15, s18, 0x7ffffff8
	s_cmp_lg_u32 s11, 0
	s_cselect_b32 s12, -1, 0
	s_lshl_b64 s[22:23], s[26:27], 3
	s_lshl_b64 s[20:21], s[20:21], 3
	s_add_nc_u64 s[22:23], s[24:25], s[22:23]
	s_lshl_b64 s[4:5], s[4:5], 11
	s_add_nc_u64 s[20:21], s[22:23], s[20:21]
	s_delay_alu instid0(VALU_DEP_1) | instid1(SALU_CYCLE_1)
	v_lshl_add_u64 v[4:5], v[4:5], 3, s[20:21]
	s_delay_alu instid0(VALU_DEP_1)
	v_add_nc_u64_e32 v[6:7], 56, v[4:5]
	s_branch .LBB89_23
.LBB89_21:                              ;   in Loop: Header=BB89_23 Depth=1
	global_store_b64 v[8:9], v[10:11], off
.LBB89_22:                              ;   in Loop: Header=BB89_23 Depth=1
	s_wait_xcnt 0x0
	s_or_b32 exec_lo, exec_lo, s13
	v_add_nc_u64_e32 v[6:7], s[4:5], v[6:7]
	v_add_nc_u64_e32 v[4:5], s[4:5], v[4:5]
	s_addk_co_i32 s9, 0x100
	s_delay_alu instid0(SALU_CYCLE_1)
	s_cmp_ge_i32 s9, s19
	s_cbranch_scc1 .LBB89_34
.LBB89_23:                              ; =>This Loop Header: Depth=1
                                        ;     Child Loop BB89_29 Depth 2
                                        ;     Child Loop BB89_33 Depth 2
	v_add_nc_u32_e32 v2, s9, v0
	s_mov_b32 s13, exec_lo
	s_delay_alu instid0(VALU_DEP_1)
	v_cmpx_gt_i32_e64 s19, v2
	s_cbranch_execz .LBB89_22
; %bb.24:                               ;   in Loop: Header=BB89_23 Depth=1
	v_mul_u64_e32 v[8:9], s[16:17], v[2:3]
	s_and_not1_b32 vcc_lo, exec_lo, s8
	s_delay_alu instid0(VALU_DEP_1)
	v_lshl_add_u64 v[8:9], v[8:9], 3, s[0:1]
	s_cbranch_vccnz .LBB89_26
; %bb.25:                               ;   in Loop: Header=BB89_23 Depth=1
	global_load_b64 v[10:11], v[8:9], off
	s_wait_loadcnt 0x0
	v_mul_f64_e32 v[10:11], s[6:7], v[10:11]
	s_and_not1_b32 vcc_lo, exec_lo, s10
	s_cbranch_vccz .LBB89_27
	s_branch .LBB89_21
.LBB89_26:                              ;   in Loop: Header=BB89_23 Depth=1
	v_mov_b64_e32 v[10:11], 0
	s_and_not1_b32 vcc_lo, exec_lo, s10
	s_cbranch_vccnz .LBB89_21
.LBB89_27:                              ;   in Loop: Header=BB89_23 Depth=1
	s_and_not1_b32 vcc_lo, exec_lo, s14
	s_mov_b32 s2, 0
	s_cbranch_vccnz .LBB89_31
; %bb.28:                               ;   in Loop: Header=BB89_23 Depth=1
	v_mov_b64_e32 v[12:13], v[6:7]
	s_mov_b32 s18, 0
.LBB89_29:                              ;   Parent Loop BB89_23 Depth=1
                                        ; =>  This Inner Loop Header: Depth=2
	s_clause 0x3
	global_load_b128 v[14:17], v[12:13], off offset:-56
	global_load_b128 v[18:21], v[12:13], off offset:-40
	;; [unrolled: 1-line block ×4, first 2 shown]
	v_mov_b32_e32 v1, s2
	s_wait_xcnt 0x0
	v_add_nc_u64_e32 v[12:13], 64, v[12:13]
	s_add_co_i32 s18, s18, 8
	s_add_co_i32 s2, s2, 64
	ds_load_b128 v[30:33], v1
	ds_load_b128 v[34:37], v1 offset:16
	s_cmp_eq_u32 s15, s18
	s_wait_loadcnt_dscnt 0x301
	v_fmac_f64_e32 v[10:11], v[30:31], v[14:15]
	s_delay_alu instid0(VALU_DEP_1) | instskip(SKIP_1) | instid1(VALU_DEP_1)
	v_fmac_f64_e32 v[10:11], v[32:33], v[16:17]
	s_wait_loadcnt_dscnt 0x200
	v_fmac_f64_e32 v[10:11], v[34:35], v[18:19]
	s_delay_alu instid0(VALU_DEP_1) | instskip(SKIP_4) | instid1(VALU_DEP_1)
	v_fmac_f64_e32 v[10:11], v[36:37], v[20:21]
	ds_load_b128 v[14:17], v1 offset:32
	ds_load_b128 v[18:21], v1 offset:48
	s_wait_loadcnt_dscnt 0x101
	v_fmac_f64_e32 v[10:11], v[14:15], v[22:23]
	v_fmac_f64_e32 v[10:11], v[16:17], v[24:25]
	s_wait_loadcnt_dscnt 0x0
	s_delay_alu instid0(VALU_DEP_1) | instskip(NEXT) | instid1(VALU_DEP_1)
	v_fmac_f64_e32 v[10:11], v[18:19], v[26:27]
	v_fmac_f64_e32 v[10:11], v[20:21], v[28:29]
	s_cbranch_scc0 .LBB89_29
; %bb.30:                               ;   in Loop: Header=BB89_23 Depth=1
	s_mov_b32 s2, s15
.LBB89_31:                              ;   in Loop: Header=BB89_23 Depth=1
	s_and_not1_b32 vcc_lo, exec_lo, s12
	s_cbranch_vccnz .LBB89_21
; %bb.32:                               ;   in Loop: Header=BB89_23 Depth=1
	v_lshl_add_u64 v[12:13], s[2:3], 3, v[4:5]
	s_lshl_b32 s2, s2, 3
	s_mov_b32 s18, s11
.LBB89_33:                              ;   Parent Loop BB89_23 Depth=1
                                        ; =>  This Inner Loop Header: Depth=2
	global_load_b64 v[14:15], v[12:13], off
	v_mov_b32_e32 v1, s2
	s_wait_xcnt 0x0
	v_add_nc_u64_e32 v[12:13], 8, v[12:13]
	s_add_co_i32 s18, s18, -1
	s_add_co_i32 s2, s2, 8
	s_cmp_lg_u32 s18, 0
	ds_load_b64 v[16:17], v1
	s_wait_loadcnt_dscnt 0x0
	v_fmac_f64_e32 v[10:11], v[16:17], v[14:15]
	s_cbranch_scc1 .LBB89_33
	s_branch .LBB89_21
.LBB89_34:
	s_endpgm
	.section	.rodata,"a",@progbits
	.p2align	6, 0x0
	.amdhsa_kernel _ZL22rocblas_gemvtsm_kernelILb1ELi256EdddEviiT2_lPKT1_lilS3_lilS0_lPT3_lil
		.amdhsa_group_segment_fixed_size 512
		.amdhsa_private_segment_fixed_size 0
		.amdhsa_kernarg_size 136
		.amdhsa_user_sgpr_count 2
		.amdhsa_user_sgpr_dispatch_ptr 0
		.amdhsa_user_sgpr_queue_ptr 0
		.amdhsa_user_sgpr_kernarg_segment_ptr 1
		.amdhsa_user_sgpr_dispatch_id 0
		.amdhsa_user_sgpr_kernarg_preload_length 0
		.amdhsa_user_sgpr_kernarg_preload_offset 0
		.amdhsa_user_sgpr_private_segment_size 0
		.amdhsa_wavefront_size32 1
		.amdhsa_uses_dynamic_stack 0
		.amdhsa_enable_private_segment 0
		.amdhsa_system_sgpr_workgroup_id_x 1
		.amdhsa_system_sgpr_workgroup_id_y 0
		.amdhsa_system_sgpr_workgroup_id_z 0
		.amdhsa_system_sgpr_workgroup_info 0
		.amdhsa_system_vgpr_workitem_id 0
		.amdhsa_next_free_vgpr 38
		.amdhsa_next_free_sgpr 28
		.amdhsa_named_barrier_count 0
		.amdhsa_reserve_vcc 1
		.amdhsa_float_round_mode_32 0
		.amdhsa_float_round_mode_16_64 0
		.amdhsa_float_denorm_mode_32 3
		.amdhsa_float_denorm_mode_16_64 3
		.amdhsa_fp16_overflow 0
		.amdhsa_memory_ordered 1
		.amdhsa_forward_progress 1
		.amdhsa_inst_pref_size 10
		.amdhsa_round_robin_scheduling 0
		.amdhsa_exception_fp_ieee_invalid_op 0
		.amdhsa_exception_fp_denorm_src 0
		.amdhsa_exception_fp_ieee_div_zero 0
		.amdhsa_exception_fp_ieee_overflow 0
		.amdhsa_exception_fp_ieee_underflow 0
		.amdhsa_exception_fp_ieee_inexact 0
		.amdhsa_exception_int_div_zero 0
	.end_amdhsa_kernel
	.section	.text._ZL22rocblas_gemvtsm_kernelILb1ELi256EdddEviiT2_lPKT1_lilS3_lilS0_lPT3_lil,"axG",@progbits,_ZL22rocblas_gemvtsm_kernelILb1ELi256EdddEviiT2_lPKT1_lilS3_lilS0_lPT3_lil,comdat
.Lfunc_end89:
	.size	_ZL22rocblas_gemvtsm_kernelILb1ELi256EdddEviiT2_lPKT1_lilS3_lilS0_lPT3_lil, .Lfunc_end89-_ZL22rocblas_gemvtsm_kernelILb1ELi256EdddEviiT2_lPKT1_lilS3_lilS0_lPT3_lil
                                        ; -- End function
	.set _ZL22rocblas_gemvtsm_kernelILb1ELi256EdddEviiT2_lPKT1_lilS3_lilS0_lPT3_lil.num_vgpr, 38
	.set _ZL22rocblas_gemvtsm_kernelILb1ELi256EdddEviiT2_lPKT1_lilS3_lilS0_lPT3_lil.num_agpr, 0
	.set _ZL22rocblas_gemvtsm_kernelILb1ELi256EdddEviiT2_lPKT1_lilS3_lilS0_lPT3_lil.numbered_sgpr, 28
	.set _ZL22rocblas_gemvtsm_kernelILb1ELi256EdddEviiT2_lPKT1_lilS3_lilS0_lPT3_lil.num_named_barrier, 0
	.set _ZL22rocblas_gemvtsm_kernelILb1ELi256EdddEviiT2_lPKT1_lilS3_lilS0_lPT3_lil.private_seg_size, 0
	.set _ZL22rocblas_gemvtsm_kernelILb1ELi256EdddEviiT2_lPKT1_lilS3_lilS0_lPT3_lil.uses_vcc, 1
	.set _ZL22rocblas_gemvtsm_kernelILb1ELi256EdddEviiT2_lPKT1_lilS3_lilS0_lPT3_lil.uses_flat_scratch, 0
	.set _ZL22rocblas_gemvtsm_kernelILb1ELi256EdddEviiT2_lPKT1_lilS3_lilS0_lPT3_lil.has_dyn_sized_stack, 0
	.set _ZL22rocblas_gemvtsm_kernelILb1ELi256EdddEviiT2_lPKT1_lilS3_lilS0_lPT3_lil.has_recursion, 0
	.set _ZL22rocblas_gemvtsm_kernelILb1ELi256EdddEviiT2_lPKT1_lilS3_lilS0_lPT3_lil.has_indirect_call, 0
	.section	.AMDGPU.csdata,"",@progbits
; Kernel info:
; codeLenInByte = 1232
; TotalNumSgprs: 30
; NumVgprs: 38
; ScratchSize: 0
; MemoryBound: 0
; FloatMode: 240
; IeeeMode: 1
; LDSByteSize: 512 bytes/workgroup (compile time only)
; SGPRBlocks: 0
; VGPRBlocks: 2
; NumSGPRsForWavesPerEU: 30
; NumVGPRsForWavesPerEU: 38
; NamedBarCnt: 0
; Occupancy: 16
; WaveLimiterHint : 1
; COMPUTE_PGM_RSRC2:SCRATCH_EN: 0
; COMPUTE_PGM_RSRC2:USER_SGPR: 2
; COMPUTE_PGM_RSRC2:TRAP_HANDLER: 0
; COMPUTE_PGM_RSRC2:TGID_X_EN: 1
; COMPUTE_PGM_RSRC2:TGID_Y_EN: 0
; COMPUTE_PGM_RSRC2:TGID_Z_EN: 0
; COMPUTE_PGM_RSRC2:TIDIG_COMP_CNT: 0
	.section	.text._ZL23rocblas_gemvt_sn_kernelILb1ELi256ELi4EidPKddEviiT4_lPKT3_lilS5_lilPT5_i,"axG",@progbits,_ZL23rocblas_gemvt_sn_kernelILb1ELi256ELi4EidPKddEviiT4_lPKT3_lilS5_lilPT5_i,comdat
	.globl	_ZL23rocblas_gemvt_sn_kernelILb1ELi256ELi4EidPKddEviiT4_lPKT3_lilS5_lilPT5_i ; -- Begin function _ZL23rocblas_gemvt_sn_kernelILb1ELi256ELi4EidPKddEviiT4_lPKT3_lilS5_lilPT5_i
	.p2align	8
	.type	_ZL23rocblas_gemvt_sn_kernelILb1ELi256ELi4EidPKddEviiT4_lPKT3_lilS5_lilPT5_i,@function
_ZL23rocblas_gemvt_sn_kernelILb1ELi256ELi4EidPKddEviiT4_lPKT3_lilS5_lilPT5_i: ; @_ZL23rocblas_gemvt_sn_kernelILb1ELi256ELi4EidPKddEviiT4_lPKT3_lilS5_lilPT5_i
; %bb.0:
	s_load_b32 s11, s[0:1], 0x60
	s_bfe_u32 s2, ttmp6, 0x40014
	s_lshr_b32 s3, ttmp7, 16
	s_add_co_i32 s2, s2, 1
	s_bfe_u32 s5, ttmp6, 0x40008
	s_mul_i32 s2, s3, s2
	s_getreg_b32 s4, hwreg(HW_REG_IB_STS2, 6, 4)
	s_add_co_i32 s5, s5, s2
	s_cmp_eq_u32 s4, 0
	s_mov_b32 s31, 0
	s_cselect_b32 s28, s3, s5
	s_wait_kmcnt 0x0
	s_cmp_ge_u32 s28, s11
	s_cbranch_scc1 .LBB90_61
; %bb.1:
	s_clause 0x6
	s_load_b96 s[8:10], s[0:1], 0x40
	s_load_b256 s[12:19], s[0:1], 0x8
	s_load_b64 s[34:35], s[0:1], 0x0
	s_load_b32 s36, s[0:1], 0x28
	s_load_b128 s[20:23], s[0:1], 0x30
	s_load_b128 s[24:27], s[0:1], 0x50
	s_load_b32 s38, s[0:1], 0x68
	s_wait_xcnt 0x0
	v_cmp_eq_u32_e64 s0, 0, v0
	v_dual_lshrrev_b32 v2, 2, v0 :: v_dual_bitop2_b32 v1, 31, v0 bitop3:0x40
	v_cmp_gt_u32_e64 s1, 32, v0
	v_cmp_gt_u32_e64 s2, 8, v0
	v_mbcnt_lo_u32_b32 v52, -1, 0
	s_delay_alu instid0(VALU_DEP_4)
	v_cmp_eq_u32_e64 s3, 0, v1
	v_dual_lshlrev_b32 v50, 3, v1 :: v_dual_bitop2_b32 v51, 56, v2 bitop3:0x40
	v_mov_b64_e32 v[34:35], 0
	s_mov_b32 s39, s31
	s_mov_b32 s41, s31
	v_lshl_or_b32 v53, v52, 2, 64
	s_wait_kmcnt 0x0
	s_lshl_b64 s[6:7], s[8:9], 3
	s_lshl_b64 s[8:9], s[18:19], 3
	s_ashr_i32 s43, s35, 31
	s_cmp_gt_i32 s35, 0
	s_mov_b32 s42, s35
	s_cselect_b32 s5, -1, 0
	s_bfe_u32 s18, ttmp6, 0x4000c
	s_and_b32 s19, ttmp6, 15
	s_add_co_i32 s18, s18, 1
	s_and_b32 s33, s0, s5
	s_mul_i32 s18, ttmp9, s18
	s_mov_b32 s37, s31
	s_add_co_i32 s5, s19, s18
	s_cmp_eq_u32 s4, 0
	s_add_nc_u64 s[18:19], s[22:23], s[6:7]
	s_cselect_b32 s40, ttmp9, s5
	s_ashr_i32 s7, s34, 31
	s_lshl_b32 s6, s40, 10
	s_add_nc_u64 s[4:5], s[16:17], s[8:9]
	v_lshl_or_b32 v0, v0, 2, s6
	s_lshr_b32 s6, s7, 30
	s_lshr_b32 s7, s43, 30
	s_add_co_i32 s6, s34, s6
	s_add_co_i32 s7, s35, s7
	v_mul_lo_u32 v24, s10, v0
	s_and_b32 s6, s6, -4
	s_and_b32 s70, s7, -4
	s_sub_co_i32 s71, s34, s6
	v_dual_ashrrev_i32 v1, 31, v0 :: v_dual_add_nc_u32 v2, 4, v0
	s_cmp_gt_i32 s70, 0
	s_mul_u64 s[16:17], s[42:43], s[38:39]
	s_cselect_b32 s72, -1, 0
	s_cmp_gt_i32 s71, 0
	v_lshl_add_u64 v[30:31], v[0:1], 3, s[4:5]
	s_delay_alu instid0(VALU_DEP_3) | instskip(SKIP_3) | instid1(VALU_DEP_2)
	v_dual_add_nc_u32 v26, s10, v24 :: v_dual_ashrrev_i32 v25, 31, v24
	v_add_nc_u32_e32 v3, s71, v0
	s_cselect_b32 s73, -1, 0
	s_lshl_b32 s30, s36, 1
	v_add_nc_u32_e32 v28, s10, v26
	v_cmp_ge_i32_e64 s4, s34, v2
	v_cmp_ge_i32_e64 s5, s34, v3
	s_lshl_b64 s[22:23], s[40:41], 3
	v_dual_ashrrev_i32 v27, 31, v26 :: v_dual_add_nc_u32 v32, s10, v28
	v_dual_mov_b32 v0, 0 :: v_dual_ashrrev_i32 v29, 31, v28
	s_mov_b64 s[50:51], s[30:31]
	s_mul_i32 s30, s36, 3
	s_delay_alu instid0(VALU_DEP_2)
	v_ashrrev_i32_e32 v33, 31, v32
	s_lshl_b64 s[42:43], s[16:17], 3
	s_lshl_b64 s[44:45], s[38:39], 3
	s_add_nc_u64 s[46:47], s[26:27], s[22:23]
	s_lshl_b32 s48, s36, 2
	s_mov_b32 s49, s31
	s_mov_b64 s[52:53], s[30:31]
	s_lshl_b64 s[54:55], s[20:21], 3
	s_branch .LBB90_3
.LBB90_2:                               ;   in Loop: Header=BB90_3 Depth=1
	s_add_co_i32 s28, s28, 0x10000
	s_delay_alu instid0(SALU_CYCLE_1)
	s_cmp_lt_u32 s28, s11
	s_cbranch_scc0 .LBB90_61
.LBB90_3:                               ; =>This Loop Header: Depth=1
                                        ;     Child Loop BB90_6 Depth 2
                                        ;     Child Loop BB90_12 Depth 2
                                        ;       Child Loop BB90_18 Depth 3
                                        ;       Child Loop BB90_21 Depth 3
                                        ;       Child Loop BB90_26 Depth 3
                                        ;     Child Loop BB90_40 Depth 2
                                        ;       Child Loop BB90_53 Depth 3
                                        ;       Child Loop BB90_56 Depth 3
	s_mov_b32 s29, s31
	s_delay_alu instid0(SALU_CYCLE_1) | instskip(NEXT) | instid1(SALU_CYCLE_1)
	s_mul_u64 s[6:7], s[14:15], s[28:29]
	s_lshl_b64 s[6:7], s[6:7], 3
	s_delay_alu instid0(SALU_CYCLE_1)
	s_add_nc_u64 s[6:7], s[12:13], s[6:7]
	global_load_b64 v[36:37], v0, s[6:7]
	s_wait_xcnt 0x0
	s_mov_b32 s6, -1
	s_wait_loadcnt 0x0
	v_cmp_neq_f64_e32 vcc_lo, 0, v[36:37]
	s_cbranch_vccnz .LBB90_8
; %bb.4:                                ;   in Loop: Header=BB90_3 Depth=1
	s_and_saveexec_b32 s8, s33
	s_cbranch_execz .LBB90_7
; %bb.5:                                ;   in Loop: Header=BB90_3 Depth=1
	s_mul_u64 s[6:7], s[42:43], s[28:29]
	s_mov_b32 s9, s35
	s_add_nc_u64 s[6:7], s[46:47], s[6:7]
.LBB90_6:                               ;   Parent Loop BB90_3 Depth=1
                                        ; =>  This Inner Loop Header: Depth=2
	s_add_co_i32 s9, s9, -1
	global_store_b64 v0, v[34:35], s[6:7]
	s_cmp_eq_u32 s9, 0
	s_wait_xcnt 0x0
	s_add_nc_u64 s[6:7], s[6:7], s[44:45]
	s_cbranch_scc0 .LBB90_6
.LBB90_7:                               ;   in Loop: Header=BB90_3 Depth=1
	s_or_b32 exec_lo, exec_lo, s8
	s_mov_b32 s6, 0
.LBB90_8:                               ;   in Loop: Header=BB90_3 Depth=1
	s_delay_alu instid0(SALU_CYCLE_1)
	s_and_not1_b32 vcc_lo, exec_lo, s6
	s_cbranch_vccnz .LBB90_2
; %bb.9:                                ;   in Loop: Header=BB90_3 Depth=1
	s_mul_u64 s[6:7], s[24:25], s[28:29]
	s_mul_u64 s[8:9], s[54:55], s[28:29]
	s_lshl_b64 s[6:7], s[6:7], 3
	s_mul_u64 s[58:59], s[20:21], s[28:29]
	s_add_nc_u64 s[56:57], s[18:19], s[6:7]
	v_add_nc_u64_e32 v[48:49], s[8:9], v[30:31]
	s_mul_u64 s[60:61], s[16:17], s[28:29]
	v_lshl_add_u64 v[38:39], s[58:59], 3, v[30:31]
	v_lshl_add_u64 v[40:41], v[24:25], 3, s[56:57]
	;; [unrolled: 1-line block ×5, first 2 shown]
	v_cmp_gt_u32_e64 s9, 24, v52
	v_cmp_gt_u32_e64 s8, 28, v52
	;; [unrolled: 1-line block ×3, first 2 shown]
	v_cmp_ne_u32_e64 s6, 31, v52
	s_lshl_b64 s[58:59], s[60:61], 3
	s_and_not1_b32 vcc_lo, exec_lo, s72
	s_add_nc_u64 s[58:59], s[26:27], s[58:59]
	s_cbranch_vccnz .LBB90_36
; %bb.10:                               ;   in Loop: Header=BB90_3 Depth=1
	v_cndmask_b32_e64 v1, 0, 8, s9
	v_cndmask_b32_e64 v8, 0, 4, s8
	;; [unrolled: 1-line block ×3, first 2 shown]
	v_add_co_ci_u32_e64 v10, null, 0, v52, s6
	v_dual_mov_b32 v5, v0 :: v_dual_mov_b32 v6, v0
	s_delay_alu instid0(VALU_DEP_2)
	v_dual_mov_b32 v7, v0 :: v_dual_lshlrev_b32 v57, 2, v10
	v_add_lshl_u32 v54, v1, v52, 2
	s_wait_dscnt 0x0
	v_dual_mov_b32 v1, v0 :: v_dual_mov_b32 v2, v0
	v_dual_mov_b32 v3, v0 :: v_dual_mov_b32 v4, v0
	v_add_lshl_u32 v55, v8, v52, 2
	v_add_lshl_u32 v56, v9, v52, 2
	v_mov_b64_e32 v[14:15], v[6:7]
	s_delay_alu instid0(VALU_DEP_4)
	v_mov_b64_e32 v[10:11], v[2:3]
	v_mov_b64_e32 v[12:13], v[4:5]
	v_mov_b64_e32 v[8:9], v[0:1]
	s_mov_b32 s60, 0
	s_mov_b64 s[62:63], s[52:53]
	s_mov_b64 s[64:65], s[50:51]
	;; [unrolled: 1-line block ×3, first 2 shown]
	s_mov_b32 s30, s60
	s_branch .LBB90_12
.LBB90_11:                              ;   in Loop: Header=BB90_12 Depth=2
	s_wait_xcnt 0x0
	s_or_b32 exec_lo, exec_lo, s6
	s_add_co_i32 s30, s30, 4
	s_add_co_i32 s60, s60, s48
	s_add_nc_u64 s[66:67], s[66:67], s[48:49]
	s_add_nc_u64 s[64:65], s[64:65], s[48:49]
	s_cmp_ge_i32 s30, s70
	s_add_nc_u64 s[62:63], s[62:63], s[48:49]
	s_cbranch_scc1 .LBB90_37
.LBB90_12:                              ;   Parent Loop BB90_3 Depth=1
                                        ; =>  This Loop Header: Depth=2
                                        ;       Child Loop BB90_18 Depth 3
                                        ;       Child Loop BB90_21 Depth 3
	;; [unrolled: 1-line block ×3, first 2 shown]
                                        ; implicit-def: $vgpr16_vgpr17_vgpr18_vgpr19_vgpr20_vgpr21_vgpr22_vgpr23
	s_and_saveexec_b32 s6, s4
	s_delay_alu instid0(SALU_CYCLE_1)
	s_xor_b32 s6, exec_lo, s6
	s_cbranch_execz .LBB90_14
; %bb.13:                               ;   in Loop: Header=BB90_12 Depth=2
	s_mul_i32 s8, s30, s36
	s_delay_alu instid0(SALU_CYCLE_1)
	s_ashr_i32 s9, s8, 31
	s_add_co_i32 s68, s8, s36
	v_lshl_add_u64 v[6:7], s[8:9], 3, v[38:39]
	s_ashr_i32 s69, s68, 31
	s_add_co_i32 s8, s68, s36
	v_lshl_add_u64 v[14:15], s[68:69], 3, v[38:39]
	s_add_co_i32 s68, s8, s36
	s_ashr_i32 s9, s8, 31
	s_ashr_i32 s69, s68, 31
	v_lshl_add_u64 v[16:17], s[8:9], 3, v[38:39]
	v_lshl_add_u64 v[18:19], s[68:69], 3, v[38:39]
	global_load_b64 v[8:9], v[40:41], off
	s_clause 0x3
	global_load_b128 v[2:5], v[6:7], off
	global_load_b128 v[58:61], v[14:15], off
	;; [unrolled: 1-line block ×4, first 2 shown]
	global_load_b64 v[10:11], v[42:43], off
	global_load_b128 v[70:73], v[6:7], off offset:16
	global_load_b64 v[12:13], v[44:45], off
	s_clause 0x2
	global_load_b128 v[74:77], v[14:15], off offset:16
	global_load_b128 v[78:81], v[16:17], off offset:16
	;; [unrolled: 1-line block ×3, first 2 shown]
	global_load_b64 v[14:15], v[46:47], off
	s_wait_loadcnt 0xa
	s_wait_xcnt 0x2
	v_fma_f64 v[16:17], v[8:9], v[2:3], 0
	s_wait_loadcnt 0x9
	s_wait_xcnt 0x1
	v_fma_f64 v[18:19], v[8:9], v[58:59], 0
	s_wait_loadcnt 0x8
	v_fma_f64 v[20:21], v[8:9], v[62:63], 0
	s_wait_loadcnt 0x7
	;; [unrolled: 2-line block ×3, first 2 shown]
	s_delay_alu instid0(VALU_DEP_4) | instskip(NEXT) | instid1(VALU_DEP_4)
	v_fmac_f64_e32 v[16:17], v[10:11], v[4:5]
	v_fmac_f64_e32 v[18:19], v[10:11], v[60:61]
	s_delay_alu instid0(VALU_DEP_4) | instskip(NEXT) | instid1(VALU_DEP_4)
	v_fmac_f64_e32 v[20:21], v[10:11], v[64:65]
	v_fmac_f64_e32 v[22:23], v[10:11], v[68:69]
	s_wait_loadcnt 0x4
	s_delay_alu instid0(VALU_DEP_4) | instskip(SKIP_1) | instid1(VALU_DEP_4)
	v_fmac_f64_e32 v[16:17], v[12:13], v[70:71]
	s_wait_loadcnt 0x3
	v_fmac_f64_e32 v[18:19], v[12:13], v[74:75]
	s_wait_loadcnt 0x2
	s_delay_alu instid0(VALU_DEP_4) | instskip(SKIP_1) | instid1(VALU_DEP_4)
	v_fmac_f64_e32 v[20:21], v[12:13], v[78:79]
	s_wait_loadcnt 0x1
	v_fmac_f64_e32 v[22:23], v[12:13], v[82:83]
	s_wait_loadcnt 0x0
	s_delay_alu instid0(VALU_DEP_4) | instskip(NEXT) | instid1(VALU_DEP_4)
	v_fmac_f64_e32 v[16:17], v[14:15], v[72:73]
	v_fmac_f64_e32 v[18:19], v[14:15], v[76:77]
	s_delay_alu instid0(VALU_DEP_4) | instskip(NEXT) | instid1(VALU_DEP_4)
	v_fmac_f64_e32 v[20:21], v[14:15], v[80:81]
	v_fmac_f64_e32 v[22:23], v[14:15], v[84:85]
.LBB90_14:                              ;   in Loop: Header=BB90_12 Depth=2
	s_wait_xcnt 0x0
	s_and_not1_saveexec_b32 s29, s6
	s_cbranch_execz .LBB90_24
; %bb.15:                               ;   in Loop: Header=BB90_12 Depth=2
	v_dual_mov_b32 v5, v0 :: v_dual_mov_b32 v6, v0
	v_dual_mov_b32 v7, v0 :: v_dual_mov_b32 v1, v0
	;; [unrolled: 1-line block ×3, first 2 shown]
	v_mov_b32_e32 v4, v0
	s_delay_alu instid0(VALU_DEP_3) | instskip(NEXT) | instid1(VALU_DEP_4)
	v_mov_b64_e32 v[22:23], v[6:7]
	v_mov_b64_e32 v[16:17], v[0:1]
	s_delay_alu instid0(VALU_DEP_4) | instskip(NEXT) | instid1(VALU_DEP_4)
	v_mov_b64_e32 v[18:19], v[2:3]
	v_mov_b64_e32 v[20:21], v[4:5]
	s_and_saveexec_b32 s34, s5
	s_cbranch_execz .LBB90_23
; %bb.16:                               ;   in Loop: Header=BB90_12 Depth=2
	s_and_not1_b32 vcc_lo, exec_lo, s73
	s_cbranch_vccnz .LBB90_19
; %bb.17:                               ;   in Loop: Header=BB90_12 Depth=2
	v_mov_b32_e32 v1, v24
	s_mov_b64 s[68:69], 0
.LBB90_18:                              ;   Parent Loop BB90_3 Depth=1
                                        ;     Parent Loop BB90_12 Depth=2
                                        ; =>    This Inner Loop Header: Depth=3
	global_load_b64 v[2:3], v1, s[56:57] scale_offset
	s_cmp_eq_u32 s68, 3
	s_cselect_b32 vcc_lo, -1, 0
	s_cmp_eq_u32 s68, 2
	s_wait_xcnt 0x0
	v_add_nc_u32_e32 v1, s10, v1
	s_cselect_b32 s6, -1, 0
	s_cmp_eq_u32 s68, 1
	s_cselect_b32 s7, -1, 0
	s_cmp_eq_u32 s68, 0
	s_add_nc_u64 s[68:69], s[68:69], 1
	s_cselect_b32 s8, -1, 0
	s_cmp_eq_u32 s71, s68
	s_wait_loadcnt 0x0
	v_dual_cndmask_b32 v15, v15, v3 :: v_dual_cndmask_b32 v14, v14, v2
	v_dual_cndmask_b32 v13, v13, v3, s6 :: v_dual_cndmask_b32 v12, v12, v2, s6
	v_dual_cndmask_b32 v11, v11, v3, s7 :: v_dual_cndmask_b32 v10, v10, v2, s7
	;; [unrolled: 1-line block ×3, first 2 shown]
	s_cbranch_scc0 .LBB90_18
.LBB90_19:                              ;   in Loop: Header=BB90_12 Depth=2
	s_and_not1_b32 vcc_lo, exec_lo, s73
	s_cbranch_vccnz .LBB90_22
; %bb.20:                               ;   in Loop: Header=BB90_12 Depth=2
	s_ashr_i32 s61, s60, 31
	v_mov_b64_e32 v[16:17], 0
	v_mov_b64_e32 v[18:19], 0
	v_mov_b64_e32 v[20:21], 0
	v_mov_b64_e32 v[22:23], 0
	v_lshl_add_u64 v[2:3], s[60:61], 3, v[48:49]
	s_mov_b64 s[8:9], 0
.LBB90_21:                              ;   Parent Loop BB90_3 Depth=1
                                        ;     Parent Loop BB90_12 Depth=2
                                        ; =>    This Inner Loop Header: Depth=3
	s_delay_alu instid0(SALU_CYCLE_1)
	s_cmp_eq_u32 s8, 1
	s_cselect_b32 vcc_lo, -1, 0
	s_cmp_eq_u32 s8, 2
	v_dual_cndmask_b32 v1, v9, v11 :: v_dual_cndmask_b32 v62, v8, v10
	s_cselect_b32 s6, -1, 0
	s_cmp_eq_u32 s8, 3
	s_cselect_b32 s7, -1, 0
	s_add_co_i32 s68, s66, s8
	s_add_co_i32 s74, s64, s8
	;; [unrolled: 1-line block ×3, first 2 shown]
	s_ashr_i32 s69, s68, 31
	s_ashr_i32 s75, s74, 31
	;; [unrolled: 1-line block ×3, first 2 shown]
	s_wait_xcnt 0x2
	v_lshl_add_u64 v[4:5], s[68:69], 3, v[38:39]
	s_wait_xcnt 0x1
	v_lshl_add_u64 v[6:7], s[74:75], 3, v[38:39]
	;; [unrolled: 2-line block ×3, first 2 shown]
	global_load_b64 v[60:61], v[2:3], off
	s_clause 0x2
	global_load_b64 v[4:5], v[4:5], off
	global_load_b64 v[6:7], v[6:7], off
	;; [unrolled: 1-line block ×3, first 2 shown]
	v_dual_cndmask_b32 v1, v1, v13, s6 :: v_dual_cndmask_b32 v62, v62, v12, s6
	s_wait_xcnt 0x3
	v_add_nc_u64_e32 v[2:3], 8, v[2:3]
	s_add_nc_u64 s[8:9], s[8:9], 1
	s_delay_alu instid0(VALU_DEP_2) | instskip(SKIP_2) | instid1(VALU_DEP_1)
	v_dual_cndmask_b32 v63, v1, v15, s7 :: v_dual_cndmask_b32 v62, v62, v14, s7
	s_cmp_lg_u32 s71, s8
	s_wait_loadcnt 0x3
	v_fmac_f64_e32 v[16:17], v[62:63], v[60:61]
	s_wait_loadcnt 0x2
	v_fmac_f64_e32 v[18:19], v[62:63], v[4:5]
	;; [unrolled: 2-line block ×4, first 2 shown]
	s_cbranch_scc1 .LBB90_21
	s_branch .LBB90_23
.LBB90_22:                              ;   in Loop: Header=BB90_12 Depth=2
	v_dual_mov_b32 v5, v0 :: v_dual_mov_b32 v6, v0
	v_dual_mov_b32 v7, v0 :: v_dual_mov_b32 v1, v0
	;; [unrolled: 1-line block ×3, first 2 shown]
	v_mov_b32_e32 v4, v0
	s_delay_alu instid0(VALU_DEP_3) | instskip(NEXT) | instid1(VALU_DEP_4)
	v_mov_b64_e32 v[22:23], v[6:7]
	v_mov_b64_e32 v[16:17], v[0:1]
	s_delay_alu instid0(VALU_DEP_4) | instskip(NEXT) | instid1(VALU_DEP_4)
	v_mov_b64_e32 v[18:19], v[2:3]
	v_mov_b64_e32 v[20:21], v[4:5]
.LBB90_23:                              ;   in Loop: Header=BB90_12 Depth=2
	s_wait_xcnt 0x0
	s_or_b32 exec_lo, exec_lo, s34
.LBB90_24:                              ;   in Loop: Header=BB90_12 Depth=2
	s_delay_alu instid0(SALU_CYCLE_1)
	s_or_b32 exec_lo, exec_lo, s29
	s_mov_b64 s[6:7], 0
	s_branch .LBB90_26
.LBB90_25:                              ;   in Loop: Header=BB90_26 Depth=3
	s_or_b32 exec_lo, exec_lo, s8
	s_cmp_eq_u32 s6, 3
	s_cselect_b32 vcc_lo, -1, 0
	s_cmp_eq_u32 s6, 2
	s_wait_dscnt 0x0
	s_delay_alu instid0(VALU_DEP_1)
	v_dual_cndmask_b32 v23, v23, v3 :: v_dual_cndmask_b32 v22, v22, v2
	s_cselect_b32 vcc_lo, -1, 0
	s_cmp_eq_u32 s6, 1
	v_dual_cndmask_b32 v21, v21, v3 :: v_dual_cndmask_b32 v20, v20, v2
	s_cselect_b32 vcc_lo, -1, 0
	s_cmp_eq_u32 s6, 0
	v_dual_cndmask_b32 v19, v19, v3 :: v_dual_cndmask_b32 v18, v18, v2
	s_cselect_b32 vcc_lo, -1, 0
	s_add_nc_u64 s[6:7], s[6:7], 1
	v_dual_cndmask_b32 v17, v17, v3 :: v_dual_cndmask_b32 v16, v16, v2
	s_cmp_eq_u32 s6, 4
	s_cbranch_scc1 .LBB90_34
.LBB90_26:                              ;   Parent Loop BB90_3 Depth=1
                                        ;     Parent Loop BB90_12 Depth=2
                                        ; =>    This Inner Loop Header: Depth=3
	s_and_saveexec_b32 s8, s1
; %bb.27:                               ;   in Loop: Header=BB90_26 Depth=3
	ds_store_b64 v50, v[34:35]
; %bb.28:                               ;   in Loop: Header=BB90_26 Depth=3
	s_or_b32 exec_lo, exec_lo, s8
	s_cmp_eq_u32 s6, 1
	s_wait_storecnt_dscnt 0x0
	s_cselect_b32 vcc_lo, -1, 0
	s_cmp_eq_u32 s6, 2
	v_dual_cndmask_b32 v1, v17, v19 :: v_dual_cndmask_b32 v2, v16, v18
	s_cselect_b32 vcc_lo, -1, 0
	s_cmp_eq_u32 s6, 3
	s_barrier_signal -1
	s_delay_alu instid0(VALU_DEP_1) | instskip(SKIP_2) | instid1(VALU_DEP_1)
	v_dual_cndmask_b32 v1, v1, v21 :: v_dual_cndmask_b32 v2, v2, v20
	s_cselect_b32 vcc_lo, -1, 0
	s_barrier_wait -1
	v_dual_cndmask_b32 v3, v1, v23 :: v_dual_cndmask_b32 v2, v2, v22
	ds_bpermute_b32 v5, v53, v3
	ds_bpermute_b32 v4, v53, v2
	s_wait_dscnt 0x0
	v_add_f64_e32 v[2:3], v[2:3], v[4:5]
	ds_bpermute_b32 v4, v54, v2
	ds_bpermute_b32 v5, v54, v3
	s_wait_dscnt 0x0
	v_add_f64_e32 v[2:3], v[2:3], v[4:5]
	;; [unrolled: 4-line block ×4, first 2 shown]
	ds_bpermute_b32 v4, v57, v2
	ds_bpermute_b32 v5, v57, v3
	s_and_saveexec_b32 s8, s3
	s_cbranch_execz .LBB90_30
; %bb.29:                               ;   in Loop: Header=BB90_26 Depth=3
	s_wait_dscnt 0x0
	v_add_f64_e32 v[2:3], v[2:3], v[4:5]
	ds_store_b64 v51, v[2:3]
.LBB90_30:                              ;   in Loop: Header=BB90_26 Depth=3
	s_or_b32 exec_lo, exec_lo, s8
	v_mov_b64_e32 v[2:3], 0
	s_wait_dscnt 0x0
	s_barrier_signal -1
	s_barrier_wait -1
	s_and_saveexec_b32 s8, s2
; %bb.31:                               ;   in Loop: Header=BB90_26 Depth=3
	ds_load_b64 v[2:3], v50
; %bb.32:                               ;   in Loop: Header=BB90_26 Depth=3
	s_or_b32 exec_lo, exec_lo, s8
	s_and_saveexec_b32 s8, s1
	s_cbranch_execz .LBB90_25
; %bb.33:                               ;   in Loop: Header=BB90_26 Depth=3
	s_wait_dscnt 0x0
	ds_bpermute_b32 v4, v55, v2
	ds_bpermute_b32 v5, v55, v3
	s_wait_dscnt 0x0
	v_add_f64_e32 v[2:3], v[2:3], v[4:5]
	ds_bpermute_b32 v4, v56, v2
	ds_bpermute_b32 v5, v56, v3
	s_wait_dscnt 0x0
	v_add_f64_e32 v[2:3], v[2:3], v[4:5]
	;; [unrolled: 4-line block ×3, first 2 shown]
	s_branch .LBB90_25
.LBB90_34:                              ;   in Loop: Header=BB90_12 Depth=2
	s_and_saveexec_b32 s6, s0
	s_cbranch_execz .LBB90_11
; %bb.35:                               ;   in Loop: Header=BB90_12 Depth=2
	s_mul_i32 s7, s30, s38
	s_delay_alu instid0(SALU_CYCLE_1) | instskip(NEXT) | instid1(SALU_CYCLE_1)
	s_add_co_i32 s7, s7, s40
	v_dual_mul_f64 v[2:3], v[36:37], v[16:17] :: v_dual_mov_b32 v1, s7
	s_add_co_i32 s8, s7, s38
	s_delay_alu instid0(SALU_CYCLE_1) | instskip(SKIP_1) | instid1(SALU_CYCLE_1)
	v_dual_mul_f64 v[4:5], v[36:37], v[18:19] :: v_dual_mov_b32 v18, s8
	s_add_co_i32 s7, s8, s38
	v_dual_mul_f64 v[6:7], v[36:37], v[20:21] :: v_dual_mov_b32 v19, s7
	s_add_co_i32 s8, s7, s38
	s_delay_alu instid0(SALU_CYCLE_1)
	v_dual_mul_f64 v[16:17], v[36:37], v[22:23] :: v_dual_mov_b32 v20, s8
	s_clause 0x3
	global_store_b64 v1, v[2:3], s[58:59] scale_offset
	global_store_b64 v18, v[4:5], s[58:59] scale_offset
	;; [unrolled: 1-line block ×4, first 2 shown]
	s_branch .LBB90_11
.LBB90_36:                              ;   in Loop: Header=BB90_3 Depth=1
	v_dual_mov_b32 v5, v0 :: v_dual_mov_b32 v6, v0
	v_dual_mov_b32 v7, v0 :: v_dual_mov_b32 v1, v0
	s_wait_dscnt 0x0
	v_dual_mov_b32 v2, v0 :: v_dual_mov_b32 v3, v0
	v_mov_b32_e32 v4, v0
	s_delay_alu instid0(VALU_DEP_3)
	v_mov_b64_e32 v[14:15], v[6:7]
	v_mov_b64_e32 v[8:9], v[0:1]
	s_mov_b32 s30, 0
	v_mov_b64_e32 v[10:11], v[2:3]
	v_mov_b64_e32 v[12:13], v[4:5]
.LBB90_37:                              ;   in Loop: Header=BB90_3 Depth=1
	s_cmp_ge_i32 s30, s35
	s_cbranch_scc1 .LBB90_2
; %bb.38:                               ;   in Loop: Header=BB90_3 Depth=1
	v_cmp_gt_u32_e32 vcc_lo, 24, v52
	s_add_nc_u64 s[58:59], s[58:59], s[22:23]
	s_mul_i32 s60, s36, s30
	v_cndmask_b32_e64 v1, 0, 8, vcc_lo
	v_cmp_gt_u32_e32 vcc_lo, 28, v52
	s_delay_alu instid0(VALU_DEP_2) | instskip(SKIP_2) | instid1(VALU_DEP_2)
	v_add_lshl_u32 v1, v1, v52, 2
	v_cndmask_b32_e64 v2, 0, 4, vcc_lo
	v_cmp_gt_u32_e32 vcc_lo, 30, v52
	v_add_lshl_u32 v6, v2, v52, 2
	v_cndmask_b32_e64 v3, 0, 2, vcc_lo
	v_cmp_ne_u32_e32 vcc_lo, 31, v52
	s_delay_alu instid0(VALU_DEP_2) | instskip(SKIP_1) | instid1(VALU_DEP_1)
	v_add_lshl_u32 v7, v3, v52, 2
	v_add_co_ci_u32_e64 v4, null, 0, v52, vcc_lo
	v_lshlrev_b32_e32 v16, 2, v4
	s_branch .LBB90_40
.LBB90_39:                              ;   in Loop: Header=BB90_40 Depth=2
	s_wait_xcnt 0x0
	s_or_b32 exec_lo, exec_lo, s6
	s_add_co_i32 s30, s30, 1
	s_add_co_i32 s60, s60, s36
	s_cmp_ge_i32 s30, s35
	s_cbranch_scc1 .LBB90_2
.LBB90_40:                              ;   Parent Loop BB90_3 Depth=1
                                        ; =>  This Loop Header: Depth=2
                                        ;       Child Loop BB90_53 Depth 3
                                        ;       Child Loop BB90_56 Depth 3
	s_wait_dscnt 0x0
	v_dual_mov_b32 v2, s31 :: v_dual_mov_b32 v3, s31
	s_and_saveexec_b32 s6, s4
	s_delay_alu instid0(SALU_CYCLE_1)
	s_xor_b32 s6, exec_lo, s6
	s_cbranch_execnz .LBB90_49
; %bb.41:                               ;   in Loop: Header=BB90_40 Depth=2
	s_and_not1_saveexec_b32 s9, s6
	s_cbranch_execnz .LBB90_50
.LBB90_42:                              ;   in Loop: Header=BB90_40 Depth=2
	s_or_b32 exec_lo, exec_lo, s9
	s_and_saveexec_b32 s6, s1
.LBB90_43:                              ;   in Loop: Header=BB90_40 Depth=2
	ds_store_b64 v50, v[34:35]
.LBB90_44:                              ;   in Loop: Header=BB90_40 Depth=2
	s_or_b32 exec_lo, exec_lo, s6
	ds_bpermute_b32 v4, v53, v2
	ds_bpermute_b32 v5, v53, v3
	s_wait_storecnt_dscnt 0x0
	s_barrier_signal -1
	s_barrier_wait -1
	v_add_f64_e32 v[2:3], v[2:3], v[4:5]
	ds_bpermute_b32 v4, v1, v2
	ds_bpermute_b32 v5, v1, v3
	s_wait_dscnt 0x0
	v_add_f64_e32 v[2:3], v[2:3], v[4:5]
	ds_bpermute_b32 v4, v6, v2
	ds_bpermute_b32 v5, v6, v3
	s_wait_dscnt 0x0
	;; [unrolled: 4-line block ×3, first 2 shown]
	v_add_f64_e32 v[2:3], v[2:3], v[4:5]
	ds_bpermute_b32 v4, v16, v2
	ds_bpermute_b32 v5, v16, v3
	s_and_saveexec_b32 s6, s3
	s_cbranch_execz .LBB90_46
; %bb.45:                               ;   in Loop: Header=BB90_40 Depth=2
	s_wait_dscnt 0x0
	v_add_f64_e32 v[2:3], v[2:3], v[4:5]
	ds_store_b64 v51, v[2:3]
.LBB90_46:                              ;   in Loop: Header=BB90_40 Depth=2
	s_or_b32 exec_lo, exec_lo, s6
	v_mov_b64_e32 v[2:3], 0
	s_wait_dscnt 0x0
	s_barrier_signal -1
	s_barrier_wait -1
	s_and_saveexec_b32 s6, s2
	s_cbranch_execnz .LBB90_58
; %bb.47:                               ;   in Loop: Header=BB90_40 Depth=2
	s_or_b32 exec_lo, exec_lo, s6
	s_and_saveexec_b32 s6, s1
	s_cbranch_execnz .LBB90_59
.LBB90_48:                              ;   in Loop: Header=BB90_40 Depth=2
	s_or_b32 exec_lo, exec_lo, s6
	s_and_saveexec_b32 s6, s0
	s_cbranch_execz .LBB90_39
	s_branch .LBB90_60
.LBB90_49:                              ;   in Loop: Header=BB90_40 Depth=2
	s_mul_i32 s8, s30, s36
	s_delay_alu instid0(SALU_CYCLE_1) | instskip(NEXT) | instid1(SALU_CYCLE_1)
	s_ashr_i32 s9, s8, 31
	v_lshl_add_u64 v[12:13], s[8:9], 3, v[38:39]
	global_load_b128 v[2:5], v[12:13], off
	s_clause 0x1
	global_load_b64 v[8:9], v[40:41], off
	global_load_b64 v[10:11], v[42:43], off
	global_load_b128 v[18:21], v[12:13], off offset:16
	s_clause 0x1
	global_load_b64 v[12:13], v[44:45], off
	global_load_b64 v[14:15], v[46:47], off
	s_wait_loadcnt 0x4
	v_fma_f64 v[2:3], v[8:9], v[2:3], 0
	s_wait_loadcnt 0x3
	s_delay_alu instid0(VALU_DEP_1) | instskip(SKIP_1) | instid1(VALU_DEP_1)
	v_fmac_f64_e32 v[2:3], v[10:11], v[4:5]
	s_wait_loadcnt 0x1
	v_fmac_f64_e32 v[2:3], v[12:13], v[18:19]
	s_wait_loadcnt 0x0
	s_delay_alu instid0(VALU_DEP_1)
	v_fmac_f64_e32 v[2:3], v[14:15], v[20:21]
	s_wait_xcnt 0x0
	s_and_not1_saveexec_b32 s9, s6
	s_cbranch_execz .LBB90_42
.LBB90_50:                              ;   in Loop: Header=BB90_40 Depth=2
	s_and_saveexec_b32 s29, s5
	s_cbranch_execz .LBB90_57
; %bb.51:                               ;   in Loop: Header=BB90_40 Depth=2
	s_and_not1_b32 vcc_lo, exec_lo, s73
	s_cbranch_vccnz .LBB90_54
; %bb.52:                               ;   in Loop: Header=BB90_40 Depth=2
	v_mov_b32_e32 v4, v24
	s_mov_b64 s[62:63], 0
.LBB90_53:                              ;   Parent Loop BB90_3 Depth=1
                                        ;     Parent Loop BB90_40 Depth=2
                                        ; =>    This Inner Loop Header: Depth=3
	global_load_b64 v[18:19], v4, s[56:57] scale_offset
	s_cmp_eq_u32 s62, 3
	s_cselect_b32 vcc_lo, -1, 0
	s_cmp_eq_u32 s62, 2
	s_wait_xcnt 0x0
	v_add_nc_u32_e32 v4, s10, v4
	s_cselect_b32 s6, -1, 0
	s_cmp_eq_u32 s62, 1
	s_cselect_b32 s7, -1, 0
	s_cmp_eq_u32 s62, 0
	s_add_nc_u64 s[62:63], s[62:63], 1
	s_cselect_b32 s8, -1, 0
	s_cmp_eq_u32 s71, s62
	s_wait_loadcnt 0x0
	v_dual_cndmask_b32 v15, v15, v19 :: v_dual_cndmask_b32 v14, v14, v18
	v_dual_cndmask_b32 v13, v13, v19, s6 :: v_dual_cndmask_b32 v12, v12, v18, s6
	v_dual_cndmask_b32 v11, v11, v19, s7 :: v_dual_cndmask_b32 v10, v10, v18, s7
	;; [unrolled: 1-line block ×3, first 2 shown]
	s_cbranch_scc0 .LBB90_53
.LBB90_54:                              ;   in Loop: Header=BB90_40 Depth=2
	s_and_not1_b32 vcc_lo, exec_lo, s73
	s_cbranch_vccnz .LBB90_57
; %bb.55:                               ;   in Loop: Header=BB90_40 Depth=2
	s_ashr_i32 s61, s60, 31
	s_mov_b64 s[6:7], 0
	v_lshl_add_u64 v[4:5], s[60:61], 3, v[48:49]
.LBB90_56:                              ;   Parent Loop BB90_3 Depth=1
                                        ;     Parent Loop BB90_40 Depth=2
                                        ; =>    This Inner Loop Header: Depth=3
	global_load_b64 v[18:19], v[4:5], off
	s_cmp_eq_u32 s6, 1
	s_wait_xcnt 0x0
	v_add_nc_u64_e32 v[4:5], 8, v[4:5]
	s_cselect_b32 vcc_lo, -1, 0
	s_cmp_eq_u32 s6, 2
	v_dual_cndmask_b32 v17, v9, v11 :: v_dual_cndmask_b32 v20, v8, v10
	s_cselect_b32 vcc_lo, -1, 0
	s_cmp_eq_u32 s6, 3
	s_add_nc_u64 s[6:7], s[6:7], 1
	s_delay_alu instid0(VALU_DEP_1) | instskip(SKIP_2) | instid1(VALU_DEP_1)
	v_dual_cndmask_b32 v17, v17, v13 :: v_dual_cndmask_b32 v20, v20, v12
	s_cselect_b32 vcc_lo, -1, 0
	s_cmp_lg_u32 s71, s6
	v_dual_cndmask_b32 v21, v17, v15 :: v_dual_cndmask_b32 v20, v20, v14
	s_wait_loadcnt 0x0
	s_delay_alu instid0(VALU_DEP_1)
	v_fmac_f64_e32 v[2:3], v[20:21], v[18:19]
	s_cbranch_scc1 .LBB90_56
.LBB90_57:                              ;   in Loop: Header=BB90_40 Depth=2
	s_or_b32 exec_lo, exec_lo, s29
	s_delay_alu instid0(SALU_CYCLE_1)
	s_or_b32 exec_lo, exec_lo, s9
	s_and_saveexec_b32 s6, s1
	s_cbranch_execnz .LBB90_43
	s_branch .LBB90_44
.LBB90_58:                              ;   in Loop: Header=BB90_40 Depth=2
	ds_load_b64 v[2:3], v50
	s_or_b32 exec_lo, exec_lo, s6
	s_and_saveexec_b32 s6, s1
	s_cbranch_execz .LBB90_48
.LBB90_59:                              ;   in Loop: Header=BB90_40 Depth=2
	s_wait_dscnt 0x0
	ds_bpermute_b32 v4, v6, v2
	ds_bpermute_b32 v5, v6, v3
	s_wait_dscnt 0x0
	v_add_f64_e32 v[2:3], v[2:3], v[4:5]
	ds_bpermute_b32 v4, v7, v2
	ds_bpermute_b32 v5, v7, v3
	s_wait_dscnt 0x0
	v_add_f64_e32 v[2:3], v[2:3], v[4:5]
	;; [unrolled: 4-line block ×3, first 2 shown]
	s_or_b32 exec_lo, exec_lo, s6
	s_and_saveexec_b32 s6, s0
	s_cbranch_execz .LBB90_39
.LBB90_60:                              ;   in Loop: Header=BB90_40 Depth=2
	s_wait_dscnt 0x0
	s_delay_alu instid0(VALU_DEP_1) | instskip(SKIP_1) | instid1(SALU_CYCLE_1)
	v_mul_f64_e32 v[2:3], v[36:37], v[2:3]
	s_mul_u64 s[8:9], s[30:31], s[38:39]
	s_lshl_b64 s[8:9], s[8:9], 3
	s_delay_alu instid0(SALU_CYCLE_1)
	s_add_nc_u64 s[8:9], s[58:59], s[8:9]
	global_store_b64 v0, v[2:3], s[8:9]
	s_branch .LBB90_39
.LBB90_61:
	s_sendmsg sendmsg(MSG_DEALLOC_VGPRS)
	s_endpgm
	.section	.rodata,"a",@progbits
	.p2align	6, 0x0
	.amdhsa_kernel _ZL23rocblas_gemvt_sn_kernelILb1ELi256ELi4EidPKddEviiT4_lPKT3_lilS5_lilPT5_i
		.amdhsa_group_segment_fixed_size 256
		.amdhsa_private_segment_fixed_size 0
		.amdhsa_kernarg_size 360
		.amdhsa_user_sgpr_count 2
		.amdhsa_user_sgpr_dispatch_ptr 0
		.amdhsa_user_sgpr_queue_ptr 0
		.amdhsa_user_sgpr_kernarg_segment_ptr 1
		.amdhsa_user_sgpr_dispatch_id 0
		.amdhsa_user_sgpr_kernarg_preload_length 0
		.amdhsa_user_sgpr_kernarg_preload_offset 0
		.amdhsa_user_sgpr_private_segment_size 0
		.amdhsa_wavefront_size32 1
		.amdhsa_uses_dynamic_stack 0
		.amdhsa_enable_private_segment 0
		.amdhsa_system_sgpr_workgroup_id_x 1
		.amdhsa_system_sgpr_workgroup_id_y 0
		.amdhsa_system_sgpr_workgroup_id_z 1
		.amdhsa_system_sgpr_workgroup_info 0
		.amdhsa_system_vgpr_workitem_id 0
		.amdhsa_next_free_vgpr 86
		.amdhsa_next_free_sgpr 78
		.amdhsa_named_barrier_count 0
		.amdhsa_reserve_vcc 1
		.amdhsa_float_round_mode_32 0
		.amdhsa_float_round_mode_16_64 0
		.amdhsa_float_denorm_mode_32 3
		.amdhsa_float_denorm_mode_16_64 3
		.amdhsa_fp16_overflow 0
		.amdhsa_memory_ordered 1
		.amdhsa_forward_progress 1
		.amdhsa_inst_pref_size 28
		.amdhsa_round_robin_scheduling 0
		.amdhsa_exception_fp_ieee_invalid_op 0
		.amdhsa_exception_fp_denorm_src 0
		.amdhsa_exception_fp_ieee_div_zero 0
		.amdhsa_exception_fp_ieee_overflow 0
		.amdhsa_exception_fp_ieee_underflow 0
		.amdhsa_exception_fp_ieee_inexact 0
		.amdhsa_exception_int_div_zero 0
	.end_amdhsa_kernel
	.section	.text._ZL23rocblas_gemvt_sn_kernelILb1ELi256ELi4EidPKddEviiT4_lPKT3_lilS5_lilPT5_i,"axG",@progbits,_ZL23rocblas_gemvt_sn_kernelILb1ELi256ELi4EidPKddEviiT4_lPKT3_lilS5_lilPT5_i,comdat
.Lfunc_end90:
	.size	_ZL23rocblas_gemvt_sn_kernelILb1ELi256ELi4EidPKddEviiT4_lPKT3_lilS5_lilPT5_i, .Lfunc_end90-_ZL23rocblas_gemvt_sn_kernelILb1ELi256ELi4EidPKddEviiT4_lPKT3_lilS5_lilPT5_i
                                        ; -- End function
	.set _ZL23rocblas_gemvt_sn_kernelILb1ELi256ELi4EidPKddEviiT4_lPKT3_lilS5_lilPT5_i.num_vgpr, 86
	.set _ZL23rocblas_gemvt_sn_kernelILb1ELi256ELi4EidPKddEviiT4_lPKT3_lilS5_lilPT5_i.num_agpr, 0
	.set _ZL23rocblas_gemvt_sn_kernelILb1ELi256ELi4EidPKddEviiT4_lPKT3_lilS5_lilPT5_i.numbered_sgpr, 78
	.set _ZL23rocblas_gemvt_sn_kernelILb1ELi256ELi4EidPKddEviiT4_lPKT3_lilS5_lilPT5_i.num_named_barrier, 0
	.set _ZL23rocblas_gemvt_sn_kernelILb1ELi256ELi4EidPKddEviiT4_lPKT3_lilS5_lilPT5_i.private_seg_size, 0
	.set _ZL23rocblas_gemvt_sn_kernelILb1ELi256ELi4EidPKddEviiT4_lPKT3_lilS5_lilPT5_i.uses_vcc, 1
	.set _ZL23rocblas_gemvt_sn_kernelILb1ELi256ELi4EidPKddEviiT4_lPKT3_lilS5_lilPT5_i.uses_flat_scratch, 0
	.set _ZL23rocblas_gemvt_sn_kernelILb1ELi256ELi4EidPKddEviiT4_lPKT3_lilS5_lilPT5_i.has_dyn_sized_stack, 0
	.set _ZL23rocblas_gemvt_sn_kernelILb1ELi256ELi4EidPKddEviiT4_lPKT3_lilS5_lilPT5_i.has_recursion, 0
	.set _ZL23rocblas_gemvt_sn_kernelILb1ELi256ELi4EidPKddEviiT4_lPKT3_lilS5_lilPT5_i.has_indirect_call, 0
	.section	.AMDGPU.csdata,"",@progbits
; Kernel info:
; codeLenInByte = 3504
; TotalNumSgprs: 80
; NumVgprs: 86
; ScratchSize: 0
; MemoryBound: 1
; FloatMode: 240
; IeeeMode: 1
; LDSByteSize: 256 bytes/workgroup (compile time only)
; SGPRBlocks: 0
; VGPRBlocks: 5
; NumSGPRsForWavesPerEU: 80
; NumVGPRsForWavesPerEU: 86
; NamedBarCnt: 0
; Occupancy: 10
; WaveLimiterHint : 0
; COMPUTE_PGM_RSRC2:SCRATCH_EN: 0
; COMPUTE_PGM_RSRC2:USER_SGPR: 2
; COMPUTE_PGM_RSRC2:TRAP_HANDLER: 0
; COMPUTE_PGM_RSRC2:TGID_X_EN: 1
; COMPUTE_PGM_RSRC2:TGID_Y_EN: 0
; COMPUTE_PGM_RSRC2:TGID_Z_EN: 1
; COMPUTE_PGM_RSRC2:TIDIG_COMP_CNT: 0
	.section	.text._ZL23rocblas_gemvt_sn_kernelILb1ELi256ELi4EldPKddEviiT4_lPKT3_lilS5_lilPT5_i,"axG",@progbits,_ZL23rocblas_gemvt_sn_kernelILb1ELi256ELi4EldPKddEviiT4_lPKT3_lilS5_lilPT5_i,comdat
	.globl	_ZL23rocblas_gemvt_sn_kernelILb1ELi256ELi4EldPKddEviiT4_lPKT3_lilS5_lilPT5_i ; -- Begin function _ZL23rocblas_gemvt_sn_kernelILb1ELi256ELi4EldPKddEviiT4_lPKT3_lilS5_lilPT5_i
	.p2align	8
	.type	_ZL23rocblas_gemvt_sn_kernelILb1ELi256ELi4EldPKddEviiT4_lPKT3_lilS5_lilPT5_i,@function
_ZL23rocblas_gemvt_sn_kernelILb1ELi256ELi4EldPKddEviiT4_lPKT3_lilS5_lilPT5_i: ; @_ZL23rocblas_gemvt_sn_kernelILb1ELi256ELi4EldPKddEviiT4_lPKT3_lilS5_lilPT5_i
; %bb.0:
	s_load_b32 s33, s[0:1], 0x60
	s_bfe_u32 s2, ttmp6, 0x40014
	s_lshr_b32 s4, ttmp7, 16
	s_add_co_i32 s2, s2, 1
	s_bfe_u32 s5, ttmp6, 0x40008
	s_mul_i32 s2, s4, s2
	s_getreg_b32 s3, hwreg(HW_REG_IB_STS2, 6, 4)
	s_add_co_i32 s5, s5, s2
	s_cmp_eq_u32 s3, 0
	s_mov_b32 s29, 0
	s_cselect_b32 s10, s4, s5
	s_wait_kmcnt 0x0
	s_cmp_ge_u32 s10, s33
	s_cbranch_scc1 .LBB91_61
; %bb.1:
	s_clause 0x6
	s_load_b32 s30, s[0:1], 0x28
	s_load_b96 s[4:6], s[0:1], 0x40
	s_load_b256 s[12:19], s[0:1], 0x8
	s_load_b64 s[34:35], s[0:1], 0x0
	s_load_b128 s[20:23], s[0:1], 0x30
	s_load_b128 s[24:27], s[0:1], 0x50
	s_load_b32 s36, s[0:1], 0x68
	s_wait_xcnt 0x0
	v_cmp_eq_u32_e64 s0, 0, v0
	v_dual_lshrrev_b32 v3, 2, v0 :: v_dual_bitop2_b32 v1, 31, v0 bitop3:0x40
	v_cmp_gt_u32_e64 s1, 32, v0
	v_cmp_gt_u32_e64 s2, 8, v0
	s_delay_alu instid0(VALU_DEP_3) | instskip(SKIP_3) | instid1(VALU_DEP_2)
	v_dual_mov_b32 v2, 0 :: v_dual_lshlrev_b32 v55, 3, v1
	v_mbcnt_lo_u32_b32 v54, -1, 0
	v_mov_b64_e32 v[26:27], 0
	s_mov_b32 s37, s29
	v_lshl_or_b32 v57, v54, 2, 64
	s_wait_kmcnt 0x0
	s_ashr_i32 s31, s30, 31
	s_ashr_i32 s7, s6, 31
	s_lshl_b64 s[4:5], s[4:5], 3
	s_lshl_b64 s[8:9], s[18:19], 3
	s_ashr_i32 s39, s35, 31
	s_cmp_gt_i32 s35, 0
	s_mov_b32 s38, s35
	s_cselect_b32 s11, -1, 0
	s_bfe_u32 s18, ttmp6, 0x4000c
	s_and_b32 s19, ttmp6, 15
	s_add_co_i32 s18, s18, 1
	s_and_b32 s64, s0, s11
	s_mul_i32 s18, ttmp9, s18
	s_mul_u64 s[56:57], s[30:31], 24
	s_add_co_i32 s19, s19, s18
	s_cmp_eq_u32 s3, 0
	v_cmp_eq_u32_e64 s3, 0, v1
	s_cselect_b32 s28, ttmp9, s19
	s_add_nc_u64 s[18:19], s[22:23], s[4:5]
	s_lshl_b32 s11, s28, 10
	s_add_nc_u64 s[4:5], s[16:17], s[8:9]
	v_lshl_or_b32 v4, v0, 2, s11
	v_and_b32_e32 v56, 56, v3
	s_ashr_i32 s8, s34, 31
	s_lshr_b32 s9, s39, 30
	s_lshr_b32 s8, s8, 30
	v_dual_add_nc_u32 v3, 4, v4 :: v_dual_bitop2_b32 v10, 3, v4 bitop3:0x54
	v_dual_ashrrev_i32 v5, 31, v4 :: v_dual_bitop2_b32 v6, 1, v4 bitop3:0x54
	s_add_co_i32 s8, s34, s8
	s_delay_alu instid0(VALU_DEP_2) | instskip(NEXT) | instid1(VALU_DEP_2)
	v_dual_ashrrev_i32 v11, 31, v10 :: v_dual_bitop2_b32 v8, 2, v4 bitop3:0x54
	v_mul_u64_e32 v[0:1], s[6:7], v[4:5]
	s_delay_alu instid0(VALU_DEP_3) | instskip(SKIP_1) | instid1(VALU_DEP_3)
	v_ashrrev_i32_e32 v7, 31, v6
	s_and_b32 s8, s8, -4
	v_mul_u64_e32 v[32:33], s[6:7], v[10:11]
	v_ashrrev_i32_e32 v9, 31, v8
	s_add_co_i32 s9, s35, s9
	v_mul_u64_e32 v[28:29], s[6:7], v[6:7]
	s_sub_co_i32 s66, s34, s8
	s_and_b32 s65, s9, -4
	v_mul_u64_e32 v[30:31], s[6:7], v[8:9]
	v_add_nc_u32_e32 v6, s66, v4
	s_cmp_gt_i32 s65, 0
	v_lshl_add_u64 v[34:35], v[4:5], 3, s[4:5]
	s_cselect_b32 s67, -1, 0
	s_cmp_gt_i32 s66, 0
	v_cmp_ge_i32_e64 s4, s34, v3
	v_cmp_ge_i32_e64 s5, s34, v6
	s_mul_u64 s[16:17], s[38:39], s[36:37]
	s_cselect_b32 s68, -1, 0
	s_lshl_b64 s[22:23], s[28:29], 3
	s_lshl_b64 s[38:39], s[16:17], 3
	;; [unrolled: 1-line block ×7, first 2 shown]
	s_add_nc_u64 s[50:51], s[26:27], s[22:23]
	s_lshl_b64 s[52:53], s[30:31], 3
	s_lshl_b64 s[54:55], s[30:31], 4
	v_lshl_add_u64 v[36:37], v[0:1], 3, s[18:19]
	s_branch .LBB91_3
.LBB91_2:                               ;   in Loop: Header=BB91_3 Depth=1
	s_add_co_i32 s10, s10, 0x10000
	s_delay_alu instid0(SALU_CYCLE_1)
	s_cmp_lt_u32 s10, s33
	s_cbranch_scc0 .LBB91_61
.LBB91_3:                               ; =>This Loop Header: Depth=1
                                        ;     Child Loop BB91_6 Depth 2
                                        ;     Child Loop BB91_12 Depth 2
                                        ;       Child Loop BB91_18 Depth 3
                                        ;       Child Loop BB91_21 Depth 3
	;; [unrolled: 1-line block ×3, first 2 shown]
                                        ;     Child Loop BB91_40 Depth 2
                                        ;       Child Loop BB91_53 Depth 3
                                        ;       Child Loop BB91_56 Depth 3
	s_mov_b32 s11, s29
	s_delay_alu instid0(SALU_CYCLE_1) | instskip(NEXT) | instid1(SALU_CYCLE_1)
	s_mul_u64 s[6:7], s[14:15], s[10:11]
	s_lshl_b64 s[6:7], s[6:7], 3
	s_delay_alu instid0(SALU_CYCLE_1)
	s_add_nc_u64 s[6:7], s[12:13], s[6:7]
	global_load_b64 v[38:39], v2, s[6:7]
	s_wait_xcnt 0x0
	s_mov_b32 s6, -1
	s_wait_loadcnt 0x0
	v_cmp_neq_f64_e32 vcc_lo, 0, v[38:39]
	s_cbranch_vccnz .LBB91_8
; %bb.4:                                ;   in Loop: Header=BB91_3 Depth=1
	s_and_saveexec_b32 s8, s64
	s_cbranch_execz .LBB91_7
; %bb.5:                                ;   in Loop: Header=BB91_3 Depth=1
	s_mul_u64 s[6:7], s[38:39], s[10:11]
	s_mov_b32 s9, s35
	s_add_nc_u64 s[6:7], s[50:51], s[6:7]
.LBB91_6:                               ;   Parent Loop BB91_3 Depth=1
                                        ; =>  This Inner Loop Header: Depth=2
	s_add_co_i32 s9, s9, -1
	global_store_b64 v2, v[26:27], s[6:7]
	s_cmp_eq_u32 s9, 0
	s_wait_xcnt 0x0
	s_add_nc_u64 s[6:7], s[6:7], s[40:41]
	s_cbranch_scc0 .LBB91_6
.LBB91_7:                               ;   in Loop: Header=BB91_3 Depth=1
	s_or_b32 exec_lo, exec_lo, s8
	s_mov_b32 s6, 0
.LBB91_8:                               ;   in Loop: Header=BB91_3 Depth=1
	s_delay_alu instid0(SALU_CYCLE_1)
	s_and_not1_b32 vcc_lo, exec_lo, s6
	s_cbranch_vccnz .LBB91_2
; %bb.9:                                ;   in Loop: Header=BB91_3 Depth=1
	v_mad_nc_u64_u32 v[40:41], s42, s10, v[36:37]
	s_mul_u64 s[6:7], s[24:25], s[10:11]
	s_mul_u64 s[8:9], s[16:17], s[10:11]
	s_lshl_b64 s[6:7], s[6:7], 3
	s_mul_u64 s[58:59], s[20:21], s[10:11]
	s_add_nc_u64 s[6:7], s[18:19], s[6:7]
	s_lshl_b64 s[62:63], s[8:9], 3
	v_lshl_add_u64 v[42:43], s[58:59], 3, v[34:35]
	v_lshl_add_u64 v[44:45], v[0:1], 3, s[6:7]
	;; [unrolled: 1-line block ×4, first 2 shown]
	v_mad_u32 v41, s43, s10, v41
	v_lshl_add_u64 v[50:51], v[32:33], 3, s[6:7]
	v_cmp_gt_u32_e64 s9, 24, v54
	v_cmp_gt_u32_e64 s8, 28, v54
	;; [unrolled: 1-line block ×3, first 2 shown]
	v_cmp_ne_u32_e64 s6, 31, v54
	s_add_nc_u64 s[58:59], s[26:27], s[62:63]
	s_mul_u64 s[60:61], s[46:47], s[10:11]
	s_and_not1_b32 vcc_lo, exec_lo, s67
	s_add_nc_u64 s[58:59], s[58:59], s[22:23]
	s_cbranch_vccnz .LBB91_36
; %bb.10:                               ;   in Loop: Header=BB91_3 Depth=1
	v_cndmask_b32_e64 v10, 0, 8, s9
	v_cndmask_b32_e64 v11, 0, 4, s8
	;; [unrolled: 1-line block ×3, first 2 shown]
	v_add_co_ci_u32_e64 v13, null, 0, v54, s6
	s_wait_dscnt 0x0
	v_dual_mov_b32 v7, v2 :: v_dual_mov_b32 v8, v2
	s_delay_alu instid0(VALU_DEP_2)
	v_dual_mov_b32 v9, v2 :: v_dual_lshlrev_b32 v61, 2, v13
	v_dual_mov_b32 v3, v2 :: v_dual_mov_b32 v4, v2
	v_dual_mov_b32 v5, v2 :: v_dual_mov_b32 v6, v2
	v_add_lshl_u32 v58, v10, v54, 2
	v_add_lshl_u32 v59, v11, v54, 2
	;; [unrolled: 1-line block ×3, first 2 shown]
	v_mov_b64_e32 v[16:17], v[8:9]
	v_add_nc_u64_e32 v[52:53], s[60:61], v[34:35]
	v_mov_b64_e32 v[14:15], v[6:7]
	v_mov_b64_e32 v[12:13], v[4:5]
	;; [unrolled: 1-line block ×3, first 2 shown]
	s_mov_b32 s28, 0
	s_branch .LBB91_12
.LBB91_11:                              ;   in Loop: Header=BB91_12 Depth=2
	s_wait_xcnt 0x0
	s_or_b32 exec_lo, exec_lo, s6
	v_add_nc_u64_e32 v[52:53], s[48:49], v[52:53]
	s_add_co_i32 s28, s28, 4
	s_delay_alu instid0(SALU_CYCLE_1)
	s_cmp_ge_i32 s28, s65
	s_cbranch_scc1 .LBB91_37
.LBB91_12:                              ;   Parent Loop BB91_3 Depth=1
                                        ; =>  This Loop Header: Depth=2
                                        ;       Child Loop BB91_18 Depth 3
                                        ;       Child Loop BB91_21 Depth 3
	;; [unrolled: 1-line block ×3, first 2 shown]
                                        ; implicit-def: $vgpr18_vgpr19_vgpr20_vgpr21_vgpr22_vgpr23_vgpr24_vgpr25
	s_and_saveexec_b32 s6, s4
	s_delay_alu instid0(SALU_CYCLE_1)
	s_xor_b32 s6, exec_lo, s6
	s_cbranch_execz .LBB91_14
; %bb.13:                               ;   in Loop: Header=BB91_12 Depth=2
	s_or_b32 s8, s28, 1
	s_mov_b32 s9, s29
	s_mul_u64 s[62:63], s[28:29], s[30:31]
	s_mul_u64 s[8:9], s[8:9], s[30:31]
	v_lshl_add_u64 v[8:9], s[62:63], 3, v[42:43]
	v_lshl_add_u64 v[16:17], s[8:9], 3, v[42:43]
	s_or_b32 s8, s28, 2
	s_mov_b32 s9, s29
	s_or_b32 s62, s28, 3
	s_mov_b32 s63, s29
	s_mul_u64 s[8:9], s[8:9], s[30:31]
	s_mul_u64 s[62:63], s[62:63], s[30:31]
	v_lshl_add_u64 v[18:19], s[8:9], 3, v[42:43]
	v_lshl_add_u64 v[20:21], s[62:63], 3, v[42:43]
	global_load_b64 v[10:11], v[44:45], off
	s_clause 0x3
	global_load_b128 v[4:7], v[8:9], off
	global_load_b128 v[62:65], v[16:17], off
	;; [unrolled: 1-line block ×4, first 2 shown]
	global_load_b64 v[12:13], v[46:47], off
	global_load_b128 v[74:77], v[8:9], off offset:16
	global_load_b64 v[14:15], v[48:49], off
	s_clause 0x2
	global_load_b128 v[78:81], v[16:17], off offset:16
	global_load_b128 v[82:85], v[18:19], off offset:16
	;; [unrolled: 1-line block ×3, first 2 shown]
	global_load_b64 v[16:17], v[50:51], off
	s_wait_loadcnt 0xa
	s_wait_xcnt 0x2
	v_fma_f64 v[18:19], v[10:11], v[4:5], 0
	s_wait_loadcnt 0x9
	s_wait_xcnt 0x1
	v_fma_f64 v[20:21], v[10:11], v[62:63], 0
	s_wait_loadcnt 0x8
	v_fma_f64 v[22:23], v[10:11], v[66:67], 0
	s_wait_loadcnt 0x7
	;; [unrolled: 2-line block ×3, first 2 shown]
	s_delay_alu instid0(VALU_DEP_4) | instskip(NEXT) | instid1(VALU_DEP_4)
	v_fmac_f64_e32 v[18:19], v[12:13], v[6:7]
	v_fmac_f64_e32 v[20:21], v[12:13], v[64:65]
	s_delay_alu instid0(VALU_DEP_4) | instskip(NEXT) | instid1(VALU_DEP_4)
	v_fmac_f64_e32 v[22:23], v[12:13], v[68:69]
	v_fmac_f64_e32 v[24:25], v[12:13], v[72:73]
	s_wait_loadcnt 0x4
	s_delay_alu instid0(VALU_DEP_4) | instskip(SKIP_1) | instid1(VALU_DEP_4)
	v_fmac_f64_e32 v[18:19], v[14:15], v[74:75]
	s_wait_loadcnt 0x3
	v_fmac_f64_e32 v[20:21], v[14:15], v[78:79]
	s_wait_loadcnt 0x2
	s_delay_alu instid0(VALU_DEP_4) | instskip(SKIP_1) | instid1(VALU_DEP_4)
	v_fmac_f64_e32 v[22:23], v[14:15], v[82:83]
	s_wait_loadcnt 0x1
	v_fmac_f64_e32 v[24:25], v[14:15], v[86:87]
	s_wait_loadcnt 0x0
	s_delay_alu instid0(VALU_DEP_4) | instskip(NEXT) | instid1(VALU_DEP_4)
	v_fmac_f64_e32 v[18:19], v[16:17], v[76:77]
	v_fmac_f64_e32 v[20:21], v[16:17], v[80:81]
	s_delay_alu instid0(VALU_DEP_4) | instskip(NEXT) | instid1(VALU_DEP_4)
	v_fmac_f64_e32 v[22:23], v[16:17], v[84:85]
	v_fmac_f64_e32 v[24:25], v[16:17], v[88:89]
.LBB91_14:                              ;   in Loop: Header=BB91_12 Depth=2
	s_wait_xcnt 0x0
	s_and_not1_saveexec_b32 s11, s6
	s_cbranch_execz .LBB91_24
; %bb.15:                               ;   in Loop: Header=BB91_12 Depth=2
	v_dual_mov_b32 v7, v2 :: v_dual_mov_b32 v8, v2
	v_dual_mov_b32 v9, v2 :: v_dual_mov_b32 v3, v2
	;; [unrolled: 1-line block ×3, first 2 shown]
	v_mov_b32_e32 v6, v2
	s_delay_alu instid0(VALU_DEP_3) | instskip(NEXT) | instid1(VALU_DEP_4)
	v_mov_b64_e32 v[24:25], v[8:9]
	v_mov_b64_e32 v[18:19], v[2:3]
	s_delay_alu instid0(VALU_DEP_4) | instskip(NEXT) | instid1(VALU_DEP_4)
	v_mov_b64_e32 v[20:21], v[4:5]
	v_mov_b64_e32 v[22:23], v[6:7]
	s_and_saveexec_b32 s34, s5
	s_cbranch_execz .LBB91_23
; %bb.16:                               ;   in Loop: Header=BB91_12 Depth=2
	s_and_not1_b32 vcc_lo, exec_lo, s68
	s_cbranch_vccnz .LBB91_19
; %bb.17:                               ;   in Loop: Header=BB91_12 Depth=2
	v_mov_b64_e32 v[4:5], v[40:41]
	s_mov_b64 s[62:63], 0
.LBB91_18:                              ;   Parent Loop BB91_3 Depth=1
                                        ;     Parent Loop BB91_12 Depth=2
                                        ; =>    This Inner Loop Header: Depth=3
	global_load_b64 v[6:7], v[4:5], off
	s_cmp_eq_u32 s62, 3
	s_wait_xcnt 0x0
	v_add_nc_u64_e32 v[4:5], s[44:45], v[4:5]
	s_cselect_b32 vcc_lo, -1, 0
	s_cmp_eq_u32 s62, 2
	s_cselect_b32 s6, -1, 0
	s_cmp_eq_u32 s62, 1
	s_cselect_b32 s7, -1, 0
	s_cmp_eq_u32 s62, 0
	s_add_nc_u64 s[62:63], s[62:63], 1
	s_cselect_b32 s8, -1, 0
	s_cmp_eq_u32 s66, s62
	s_wait_loadcnt 0x0
	v_dual_cndmask_b32 v17, v17, v7 :: v_dual_cndmask_b32 v16, v16, v6
	v_dual_cndmask_b32 v15, v15, v7, s6 :: v_dual_cndmask_b32 v14, v14, v6, s6
	v_dual_cndmask_b32 v13, v13, v7, s7 :: v_dual_cndmask_b32 v12, v12, v6, s7
	;; [unrolled: 1-line block ×3, first 2 shown]
	s_cbranch_scc0 .LBB91_18
.LBB91_19:                              ;   in Loop: Header=BB91_12 Depth=2
	s_and_not1_b32 vcc_lo, exec_lo, s68
	s_cbranch_vccnz .LBB91_22
; %bb.20:                               ;   in Loop: Header=BB91_12 Depth=2
	v_mov_b64_e32 v[18:19], 0
	v_mov_b64_e32 v[20:21], 0
	;; [unrolled: 1-line block ×5, first 2 shown]
	s_mov_b64 s[8:9], 0
.LBB91_21:                              ;   Parent Loop BB91_3 Depth=1
                                        ;     Parent Loop BB91_12 Depth=2
                                        ; =>    This Inner Loop Header: Depth=3
	s_wait_xcnt 0x2
	s_delay_alu instid0(VALU_DEP_1)
	v_add_nc_u64_e32 v[6:7], s[52:53], v[4:5]
	s_wait_xcnt 0x1
	v_add_nc_u64_e32 v[8:9], s[54:55], v[4:5]
	s_wait_xcnt 0x0
	v_add_nc_u64_e32 v[62:63], s[56:57], v[4:5]
	s_cmp_eq_u32 s8, 1
	s_clause 0x3
	global_load_b64 v[64:65], v[4:5], off
	global_load_b64 v[6:7], v[6:7], off
	;; [unrolled: 1-line block ×4, first 2 shown]
	s_cselect_b32 vcc_lo, -1, 0
	s_cmp_eq_u32 s8, 2
	v_dual_cndmask_b32 v3, v11, v13 :: v_dual_cndmask_b32 v66, v10, v12
	s_cselect_b32 vcc_lo, -1, 0
	s_cmp_eq_u32 s8, 3
	s_wait_xcnt 0x3
	v_add_nc_u64_e32 v[4:5], 8, v[4:5]
	v_dual_cndmask_b32 v3, v3, v15 :: v_dual_cndmask_b32 v66, v66, v14
	s_cselect_b32 s6, -1, 0
	s_add_nc_u64 s[8:9], s[8:9], 1
	s_delay_alu instid0(VALU_DEP_1) | instskip(SKIP_2) | instid1(VALU_DEP_1)
	v_dual_cndmask_b32 v67, v3, v17, s6 :: v_dual_cndmask_b32 v66, v66, v16, s6
	s_cmp_lg_u32 s66, s8
	s_wait_loadcnt 0x3
	v_fmac_f64_e32 v[18:19], v[66:67], v[64:65]
	s_wait_loadcnt 0x2
	v_fmac_f64_e32 v[20:21], v[66:67], v[6:7]
	;; [unrolled: 2-line block ×4, first 2 shown]
	s_cbranch_scc1 .LBB91_21
	s_branch .LBB91_23
.LBB91_22:                              ;   in Loop: Header=BB91_12 Depth=2
	v_dual_mov_b32 v7, v2 :: v_dual_mov_b32 v8, v2
	v_dual_mov_b32 v9, v2 :: v_dual_mov_b32 v3, v2
	v_dual_mov_b32 v4, v2 :: v_dual_mov_b32 v5, v2
	v_mov_b32_e32 v6, v2
	s_delay_alu instid0(VALU_DEP_3) | instskip(NEXT) | instid1(VALU_DEP_4)
	v_mov_b64_e32 v[24:25], v[8:9]
	v_mov_b64_e32 v[18:19], v[2:3]
	s_delay_alu instid0(VALU_DEP_4) | instskip(NEXT) | instid1(VALU_DEP_4)
	v_mov_b64_e32 v[20:21], v[4:5]
	v_mov_b64_e32 v[22:23], v[6:7]
.LBB91_23:                              ;   in Loop: Header=BB91_12 Depth=2
	s_wait_xcnt 0x0
	s_or_b32 exec_lo, exec_lo, s34
.LBB91_24:                              ;   in Loop: Header=BB91_12 Depth=2
	s_delay_alu instid0(SALU_CYCLE_1)
	s_or_b32 exec_lo, exec_lo, s11
	s_mov_b64 s[6:7], 0
	s_branch .LBB91_26
.LBB91_25:                              ;   in Loop: Header=BB91_26 Depth=3
	s_or_b32 exec_lo, exec_lo, s8
	s_cmp_eq_u32 s6, 3
	s_cselect_b32 vcc_lo, -1, 0
	s_cmp_eq_u32 s6, 2
	s_wait_dscnt 0x0
	s_delay_alu instid0(VALU_DEP_1)
	v_dual_cndmask_b32 v25, v25, v5 :: v_dual_cndmask_b32 v24, v24, v4
	s_cselect_b32 vcc_lo, -1, 0
	s_cmp_eq_u32 s6, 1
	v_dual_cndmask_b32 v23, v23, v5 :: v_dual_cndmask_b32 v22, v22, v4
	s_cselect_b32 vcc_lo, -1, 0
	s_cmp_eq_u32 s6, 0
	v_dual_cndmask_b32 v21, v21, v5 :: v_dual_cndmask_b32 v20, v20, v4
	s_cselect_b32 vcc_lo, -1, 0
	s_add_nc_u64 s[6:7], s[6:7], 1
	v_dual_cndmask_b32 v19, v19, v5 :: v_dual_cndmask_b32 v18, v18, v4
	s_cmp_eq_u32 s6, 4
	s_cbranch_scc1 .LBB91_34
.LBB91_26:                              ;   Parent Loop BB91_3 Depth=1
                                        ;     Parent Loop BB91_12 Depth=2
                                        ; =>    This Inner Loop Header: Depth=3
	s_and_saveexec_b32 s8, s1
; %bb.27:                               ;   in Loop: Header=BB91_26 Depth=3
	ds_store_b64 v55, v[26:27]
; %bb.28:                               ;   in Loop: Header=BB91_26 Depth=3
	s_or_b32 exec_lo, exec_lo, s8
	s_cmp_eq_u32 s6, 1
	s_wait_storecnt_dscnt 0x0
	s_cselect_b32 vcc_lo, -1, 0
	s_cmp_eq_u32 s6, 2
	v_dual_cndmask_b32 v3, v19, v21 :: v_dual_cndmask_b32 v4, v18, v20
	s_cselect_b32 vcc_lo, -1, 0
	s_cmp_eq_u32 s6, 3
	s_barrier_signal -1
	s_delay_alu instid0(VALU_DEP_1) | instskip(SKIP_2) | instid1(VALU_DEP_1)
	v_dual_cndmask_b32 v3, v3, v23 :: v_dual_cndmask_b32 v4, v4, v22
	s_cselect_b32 vcc_lo, -1, 0
	s_barrier_wait -1
	v_dual_cndmask_b32 v5, v3, v25 :: v_dual_cndmask_b32 v4, v4, v24
	ds_bpermute_b32 v7, v57, v5
	ds_bpermute_b32 v6, v57, v4
	s_wait_dscnt 0x0
	v_add_f64_e32 v[4:5], v[4:5], v[6:7]
	ds_bpermute_b32 v6, v58, v4
	ds_bpermute_b32 v7, v58, v5
	s_wait_dscnt 0x0
	v_add_f64_e32 v[4:5], v[4:5], v[6:7]
	;; [unrolled: 4-line block ×4, first 2 shown]
	ds_bpermute_b32 v6, v61, v4
	ds_bpermute_b32 v7, v61, v5
	s_and_saveexec_b32 s8, s3
	s_cbranch_execz .LBB91_30
; %bb.29:                               ;   in Loop: Header=BB91_26 Depth=3
	s_wait_dscnt 0x0
	v_add_f64_e32 v[4:5], v[4:5], v[6:7]
	ds_store_b64 v56, v[4:5]
.LBB91_30:                              ;   in Loop: Header=BB91_26 Depth=3
	s_or_b32 exec_lo, exec_lo, s8
	v_mov_b64_e32 v[4:5], 0
	s_wait_dscnt 0x0
	s_barrier_signal -1
	s_barrier_wait -1
	s_and_saveexec_b32 s8, s2
; %bb.31:                               ;   in Loop: Header=BB91_26 Depth=3
	ds_load_b64 v[4:5], v55
; %bb.32:                               ;   in Loop: Header=BB91_26 Depth=3
	s_or_b32 exec_lo, exec_lo, s8
	s_and_saveexec_b32 s8, s1
	s_cbranch_execz .LBB91_25
; %bb.33:                               ;   in Loop: Header=BB91_26 Depth=3
	s_wait_dscnt 0x0
	ds_bpermute_b32 v6, v59, v4
	ds_bpermute_b32 v7, v59, v5
	s_wait_dscnt 0x0
	v_add_f64_e32 v[4:5], v[4:5], v[6:7]
	ds_bpermute_b32 v6, v60, v4
	ds_bpermute_b32 v7, v60, v5
	s_wait_dscnt 0x0
	v_add_f64_e32 v[4:5], v[4:5], v[6:7]
	;; [unrolled: 4-line block ×3, first 2 shown]
	s_branch .LBB91_25
.LBB91_34:                              ;   in Loop: Header=BB91_12 Depth=2
	s_and_saveexec_b32 s6, s0
	s_cbranch_execz .LBB91_11
; %bb.35:                               ;   in Loop: Header=BB91_12 Depth=2
	v_mul_f64_e32 v[4:5], v[38:39], v[18:19]
	v_mul_f64_e32 v[6:7], v[38:39], v[20:21]
	;; [unrolled: 1-line block ×4, first 2 shown]
	s_or_b32 s62, s28, 1
	s_mov_b32 s63, s29
	s_mul_u64 s[8:9], s[28:29], s[36:37]
	s_or_b32 s70, s28, 2
	s_mov_b32 s71, s29
	s_or_b32 s72, s28, 3
	s_mov_b32 s73, s29
	s_mul_u64 s[62:63], s[62:63], s[36:37]
	s_lshl_b64 s[8:9], s[8:9], 3
	s_mul_u64 s[70:71], s[70:71], s[36:37]
	s_mul_u64 s[72:73], s[72:73], s[36:37]
	s_lshl_b64 s[62:63], s[62:63], 3
	s_add_nc_u64 s[8:9], s[58:59], s[8:9]
	s_lshl_b64 s[70:71], s[70:71], 3
	s_lshl_b64 s[72:73], s[72:73], 3
	s_add_nc_u64 s[62:63], s[58:59], s[62:63]
	s_add_nc_u64 s[70:71], s[58:59], s[70:71]
	;; [unrolled: 1-line block ×3, first 2 shown]
	s_clause 0x3
	global_store_b64 v2, v[4:5], s[8:9]
	global_store_b64 v2, v[6:7], s[62:63]
	;; [unrolled: 1-line block ×4, first 2 shown]
	s_branch .LBB91_11
.LBB91_36:                              ;   in Loop: Header=BB91_3 Depth=1
	s_wait_dscnt 0x0
	v_dual_mov_b32 v7, v2 :: v_dual_mov_b32 v8, v2
	v_dual_mov_b32 v9, v2 :: v_dual_mov_b32 v3, v2
	;; [unrolled: 1-line block ×3, first 2 shown]
	v_mov_b32_e32 v6, v2
	s_delay_alu instid0(VALU_DEP_3) | instskip(NEXT) | instid1(VALU_DEP_4)
	v_mov_b64_e32 v[16:17], v[8:9]
	v_mov_b64_e32 v[10:11], v[2:3]
	s_mov_b32 s28, 0
	v_mov_b64_e32 v[12:13], v[4:5]
	v_mov_b64_e32 v[14:15], v[6:7]
.LBB91_37:                              ;   in Loop: Header=BB91_3 Depth=1
	s_cmp_ge_i32 s28, s35
	s_cbranch_scc1 .LBB91_2
; %bb.38:                               ;   in Loop: Header=BB91_3 Depth=1
	v_cmp_gt_u32_e32 vcc_lo, 24, v54
	s_mul_u64 s[6:7], s[52:53], s[28:29]
	s_delay_alu instid0(SALU_CYCLE_1) | instskip(SKIP_2) | instid1(VALU_DEP_2)
	s_add_nc_u64 s[6:7], s[6:7], s[60:61]
	v_cndmask_b32_e64 v3, 0, 8, vcc_lo
	v_cmp_gt_u32_e32 vcc_lo, 28, v54
	v_add_lshl_u32 v3, v3, v54, 2
	v_cndmask_b32_e64 v4, 0, 4, vcc_lo
	v_cmp_gt_u32_e32 vcc_lo, 30, v54
	s_delay_alu instid0(VALU_DEP_2) | instskip(SKIP_3) | instid1(VALU_DEP_3)
	v_add_lshl_u32 v18, v4, v54, 2
	v_cndmask_b32_e64 v6, 0, 2, vcc_lo
	v_cmp_ne_u32_e32 vcc_lo, 31, v54
	v_add_nc_u64_e32 v[4:5], s[6:7], v[34:35]
	v_add_lshl_u32 v19, v6, v54, 2
	v_add_co_ci_u32_e64 v7, null, 0, v54, vcc_lo
	s_delay_alu instid0(VALU_DEP_1)
	v_lshlrev_b32_e32 v20, 2, v7
	s_branch .LBB91_40
.LBB91_39:                              ;   in Loop: Header=BB91_40 Depth=2
	s_wait_xcnt 0x0
	s_or_b32 exec_lo, exec_lo, s6
	v_add_nc_u64_e32 v[4:5], s[52:53], v[4:5]
	s_add_co_i32 s28, s28, 1
	s_delay_alu instid0(SALU_CYCLE_1)
	s_cmp_ge_i32 s28, s35
	s_cbranch_scc1 .LBB91_2
.LBB91_40:                              ;   Parent Loop BB91_3 Depth=1
                                        ; =>  This Loop Header: Depth=2
                                        ;       Child Loop BB91_53 Depth 3
                                        ;       Child Loop BB91_56 Depth 3
	s_wait_dscnt 0x0
	v_dual_mov_b32 v6, s29 :: v_dual_mov_b32 v7, s29
	s_and_saveexec_b32 s6, s4
	s_delay_alu instid0(SALU_CYCLE_1)
	s_xor_b32 s6, exec_lo, s6
	s_cbranch_execnz .LBB91_49
; %bb.41:                               ;   in Loop: Header=BB91_40 Depth=2
	s_and_not1_saveexec_b32 s9, s6
	s_cbranch_execnz .LBB91_50
.LBB91_42:                              ;   in Loop: Header=BB91_40 Depth=2
	s_or_b32 exec_lo, exec_lo, s9
	s_and_saveexec_b32 s6, s1
.LBB91_43:                              ;   in Loop: Header=BB91_40 Depth=2
	ds_store_b64 v55, v[26:27]
.LBB91_44:                              ;   in Loop: Header=BB91_40 Depth=2
	s_or_b32 exec_lo, exec_lo, s6
	ds_bpermute_b32 v8, v57, v6
	ds_bpermute_b32 v9, v57, v7
	s_wait_storecnt_dscnt 0x0
	s_barrier_signal -1
	s_barrier_wait -1
	v_add_f64_e32 v[6:7], v[6:7], v[8:9]
	ds_bpermute_b32 v8, v3, v6
	ds_bpermute_b32 v9, v3, v7
	s_wait_dscnt 0x0
	v_add_f64_e32 v[6:7], v[6:7], v[8:9]
	ds_bpermute_b32 v8, v18, v6
	ds_bpermute_b32 v9, v18, v7
	s_wait_dscnt 0x0
	v_add_f64_e32 v[6:7], v[6:7], v[8:9]
	ds_bpermute_b32 v8, v19, v6
	ds_bpermute_b32 v9, v19, v7
	s_wait_dscnt 0x0
	v_add_f64_e32 v[6:7], v[6:7], v[8:9]
	ds_bpermute_b32 v8, v20, v6
	ds_bpermute_b32 v9, v20, v7
	s_and_saveexec_b32 s6, s3
	s_cbranch_execz .LBB91_46
; %bb.45:                               ;   in Loop: Header=BB91_40 Depth=2
	s_wait_dscnt 0x0
	v_add_f64_e32 v[6:7], v[6:7], v[8:9]
	ds_store_b64 v56, v[6:7]
.LBB91_46:                              ;   in Loop: Header=BB91_40 Depth=2
	s_or_b32 exec_lo, exec_lo, s6
	v_mov_b64_e32 v[6:7], 0
	s_wait_dscnt 0x0
	s_barrier_signal -1
	s_barrier_wait -1
	s_and_saveexec_b32 s6, s2
	s_cbranch_execnz .LBB91_58
; %bb.47:                               ;   in Loop: Header=BB91_40 Depth=2
	s_or_b32 exec_lo, exec_lo, s6
	s_and_saveexec_b32 s6, s1
	s_cbranch_execnz .LBB91_59
.LBB91_48:                              ;   in Loop: Header=BB91_40 Depth=2
	s_or_b32 exec_lo, exec_lo, s6
	s_and_saveexec_b32 s6, s0
	s_cbranch_execz .LBB91_39
	s_branch .LBB91_60
.LBB91_49:                              ;   in Loop: Header=BB91_40 Depth=2
	s_mul_u64 s[8:9], s[28:29], s[30:31]
	s_delay_alu instid0(SALU_CYCLE_1)
	v_lshl_add_u64 v[14:15], s[8:9], 3, v[42:43]
	global_load_b128 v[6:9], v[14:15], off
	s_clause 0x1
	global_load_b64 v[10:11], v[44:45], off
	global_load_b64 v[12:13], v[46:47], off
	global_load_b128 v[22:25], v[14:15], off offset:16
	s_clause 0x1
	global_load_b64 v[14:15], v[48:49], off
	global_load_b64 v[16:17], v[50:51], off
	s_wait_loadcnt 0x4
	v_fma_f64 v[6:7], v[10:11], v[6:7], 0
	s_wait_loadcnt 0x3
	s_delay_alu instid0(VALU_DEP_1) | instskip(SKIP_1) | instid1(VALU_DEP_1)
	v_fmac_f64_e32 v[6:7], v[12:13], v[8:9]
	s_wait_loadcnt 0x1
	v_fmac_f64_e32 v[6:7], v[14:15], v[22:23]
	s_wait_loadcnt 0x0
	s_delay_alu instid0(VALU_DEP_1)
	v_fmac_f64_e32 v[6:7], v[16:17], v[24:25]
	s_wait_xcnt 0x0
	s_and_not1_saveexec_b32 s9, s6
	s_cbranch_execz .LBB91_42
.LBB91_50:                              ;   in Loop: Header=BB91_40 Depth=2
	s_and_saveexec_b32 s11, s5
	s_cbranch_execz .LBB91_57
; %bb.51:                               ;   in Loop: Header=BB91_40 Depth=2
	s_and_not1_b32 vcc_lo, exec_lo, s68
	s_cbranch_vccnz .LBB91_54
; %bb.52:                               ;   in Loop: Header=BB91_40 Depth=2
	v_mov_b64_e32 v[8:9], v[40:41]
	s_mov_b64 s[60:61], 0
.LBB91_53:                              ;   Parent Loop BB91_3 Depth=1
                                        ;     Parent Loop BB91_40 Depth=2
                                        ; =>    This Inner Loop Header: Depth=3
	global_load_b64 v[22:23], v[8:9], off
	s_cmp_eq_u32 s60, 3
	s_wait_xcnt 0x0
	v_add_nc_u64_e32 v[8:9], s[44:45], v[8:9]
	s_cselect_b32 vcc_lo, -1, 0
	s_cmp_eq_u32 s60, 2
	s_cselect_b32 s6, -1, 0
	s_cmp_eq_u32 s60, 1
	s_cselect_b32 s7, -1, 0
	s_cmp_eq_u32 s60, 0
	s_add_nc_u64 s[60:61], s[60:61], 1
	s_cselect_b32 s8, -1, 0
	s_cmp_eq_u32 s66, s60
	s_wait_loadcnt 0x0
	v_dual_cndmask_b32 v17, v17, v23 :: v_dual_cndmask_b32 v16, v16, v22
	v_dual_cndmask_b32 v15, v15, v23, s6 :: v_dual_cndmask_b32 v14, v14, v22, s6
	v_dual_cndmask_b32 v13, v13, v23, s7 :: v_dual_cndmask_b32 v12, v12, v22, s7
	;; [unrolled: 1-line block ×3, first 2 shown]
	s_cbranch_scc0 .LBB91_53
.LBB91_54:                              ;   in Loop: Header=BB91_40 Depth=2
	s_and_not1_b32 vcc_lo, exec_lo, s68
	s_cbranch_vccnz .LBB91_57
; %bb.55:                               ;   in Loop: Header=BB91_40 Depth=2
	v_mov_b64_e32 v[8:9], v[4:5]
	s_mov_b64 s[6:7], 0
.LBB91_56:                              ;   Parent Loop BB91_3 Depth=1
                                        ;     Parent Loop BB91_40 Depth=2
                                        ; =>    This Inner Loop Header: Depth=3
	global_load_b64 v[22:23], v[8:9], off
	s_cmp_eq_u32 s6, 1
	s_wait_xcnt 0x0
	v_add_nc_u64_e32 v[8:9], 8, v[8:9]
	s_cselect_b32 vcc_lo, -1, 0
	s_cmp_eq_u32 s6, 2
	v_dual_cndmask_b32 v21, v11, v13 :: v_dual_cndmask_b32 v24, v10, v12
	s_cselect_b32 vcc_lo, -1, 0
	s_cmp_eq_u32 s6, 3
	s_add_nc_u64 s[6:7], s[6:7], 1
	s_delay_alu instid0(VALU_DEP_1) | instskip(SKIP_2) | instid1(VALU_DEP_1)
	v_dual_cndmask_b32 v21, v21, v15 :: v_dual_cndmask_b32 v24, v24, v14
	s_cselect_b32 vcc_lo, -1, 0
	s_cmp_lg_u32 s66, s6
	v_dual_cndmask_b32 v25, v21, v17 :: v_dual_cndmask_b32 v24, v24, v16
	s_wait_loadcnt 0x0
	s_delay_alu instid0(VALU_DEP_1)
	v_fmac_f64_e32 v[6:7], v[24:25], v[22:23]
	s_cbranch_scc1 .LBB91_56
.LBB91_57:                              ;   in Loop: Header=BB91_40 Depth=2
	s_or_b32 exec_lo, exec_lo, s11
	s_delay_alu instid0(SALU_CYCLE_1)
	s_or_b32 exec_lo, exec_lo, s9
	s_and_saveexec_b32 s6, s1
	s_cbranch_execnz .LBB91_43
	s_branch .LBB91_44
.LBB91_58:                              ;   in Loop: Header=BB91_40 Depth=2
	ds_load_b64 v[6:7], v55
	s_or_b32 exec_lo, exec_lo, s6
	s_and_saveexec_b32 s6, s1
	s_cbranch_execz .LBB91_48
.LBB91_59:                              ;   in Loop: Header=BB91_40 Depth=2
	s_wait_dscnt 0x0
	ds_bpermute_b32 v8, v18, v6
	ds_bpermute_b32 v9, v18, v7
	s_wait_dscnt 0x0
	v_add_f64_e32 v[6:7], v[6:7], v[8:9]
	ds_bpermute_b32 v8, v19, v6
	ds_bpermute_b32 v9, v19, v7
	s_wait_dscnt 0x0
	v_add_f64_e32 v[6:7], v[6:7], v[8:9]
	;; [unrolled: 4-line block ×3, first 2 shown]
	s_or_b32 exec_lo, exec_lo, s6
	s_and_saveexec_b32 s6, s0
	s_cbranch_execz .LBB91_39
.LBB91_60:                              ;   in Loop: Header=BB91_40 Depth=2
	s_wait_dscnt 0x0
	s_delay_alu instid0(VALU_DEP_1) | instskip(SKIP_1) | instid1(SALU_CYCLE_1)
	v_mul_f64_e32 v[6:7], v[38:39], v[6:7]
	s_mul_u64 s[8:9], s[28:29], s[36:37]
	s_lshl_b64 s[8:9], s[8:9], 3
	s_delay_alu instid0(SALU_CYCLE_1)
	s_add_nc_u64 s[8:9], s[58:59], s[8:9]
	global_store_b64 v2, v[6:7], s[8:9]
	s_branch .LBB91_39
.LBB91_61:
	s_sendmsg sendmsg(MSG_DEALLOC_VGPRS)
	s_endpgm
	.section	.rodata,"a",@progbits
	.p2align	6, 0x0
	.amdhsa_kernel _ZL23rocblas_gemvt_sn_kernelILb1ELi256ELi4EldPKddEviiT4_lPKT3_lilS5_lilPT5_i
		.amdhsa_group_segment_fixed_size 256
		.amdhsa_private_segment_fixed_size 0
		.amdhsa_kernarg_size 360
		.amdhsa_user_sgpr_count 2
		.amdhsa_user_sgpr_dispatch_ptr 0
		.amdhsa_user_sgpr_queue_ptr 0
		.amdhsa_user_sgpr_kernarg_segment_ptr 1
		.amdhsa_user_sgpr_dispatch_id 0
		.amdhsa_user_sgpr_kernarg_preload_length 0
		.amdhsa_user_sgpr_kernarg_preload_offset 0
		.amdhsa_user_sgpr_private_segment_size 0
		.amdhsa_wavefront_size32 1
		.amdhsa_uses_dynamic_stack 0
		.amdhsa_enable_private_segment 0
		.amdhsa_system_sgpr_workgroup_id_x 1
		.amdhsa_system_sgpr_workgroup_id_y 0
		.amdhsa_system_sgpr_workgroup_id_z 1
		.amdhsa_system_sgpr_workgroup_info 0
		.amdhsa_system_vgpr_workitem_id 0
		.amdhsa_next_free_vgpr 90
		.amdhsa_next_free_sgpr 74
		.amdhsa_named_barrier_count 0
		.amdhsa_reserve_vcc 1
		.amdhsa_float_round_mode_32 0
		.amdhsa_float_round_mode_16_64 0
		.amdhsa_float_denorm_mode_32 3
		.amdhsa_float_denorm_mode_16_64 3
		.amdhsa_fp16_overflow 0
		.amdhsa_memory_ordered 1
		.amdhsa_forward_progress 1
		.amdhsa_inst_pref_size 28
		.amdhsa_round_robin_scheduling 0
		.amdhsa_exception_fp_ieee_invalid_op 0
		.amdhsa_exception_fp_denorm_src 0
		.amdhsa_exception_fp_ieee_div_zero 0
		.amdhsa_exception_fp_ieee_overflow 0
		.amdhsa_exception_fp_ieee_underflow 0
		.amdhsa_exception_fp_ieee_inexact 0
		.amdhsa_exception_int_div_zero 0
	.end_amdhsa_kernel
	.section	.text._ZL23rocblas_gemvt_sn_kernelILb1ELi256ELi4EldPKddEviiT4_lPKT3_lilS5_lilPT5_i,"axG",@progbits,_ZL23rocblas_gemvt_sn_kernelILb1ELi256ELi4EldPKddEviiT4_lPKT3_lilS5_lilPT5_i,comdat
.Lfunc_end91:
	.size	_ZL23rocblas_gemvt_sn_kernelILb1ELi256ELi4EldPKddEviiT4_lPKT3_lilS5_lilPT5_i, .Lfunc_end91-_ZL23rocblas_gemvt_sn_kernelILb1ELi256ELi4EldPKddEviiT4_lPKT3_lilS5_lilPT5_i
                                        ; -- End function
	.set _ZL23rocblas_gemvt_sn_kernelILb1ELi256ELi4EldPKddEviiT4_lPKT3_lilS5_lilPT5_i.num_vgpr, 90
	.set _ZL23rocblas_gemvt_sn_kernelILb1ELi256ELi4EldPKddEviiT4_lPKT3_lilS5_lilPT5_i.num_agpr, 0
	.set _ZL23rocblas_gemvt_sn_kernelILb1ELi256ELi4EldPKddEviiT4_lPKT3_lilS5_lilPT5_i.numbered_sgpr, 74
	.set _ZL23rocblas_gemvt_sn_kernelILb1ELi256ELi4EldPKddEviiT4_lPKT3_lilS5_lilPT5_i.num_named_barrier, 0
	.set _ZL23rocblas_gemvt_sn_kernelILb1ELi256ELi4EldPKddEviiT4_lPKT3_lilS5_lilPT5_i.private_seg_size, 0
	.set _ZL23rocblas_gemvt_sn_kernelILb1ELi256ELi4EldPKddEviiT4_lPKT3_lilS5_lilPT5_i.uses_vcc, 1
	.set _ZL23rocblas_gemvt_sn_kernelILb1ELi256ELi4EldPKddEviiT4_lPKT3_lilS5_lilPT5_i.uses_flat_scratch, 0
	.set _ZL23rocblas_gemvt_sn_kernelILb1ELi256ELi4EldPKddEviiT4_lPKT3_lilS5_lilPT5_i.has_dyn_sized_stack, 0
	.set _ZL23rocblas_gemvt_sn_kernelILb1ELi256ELi4EldPKddEviiT4_lPKT3_lilS5_lilPT5_i.has_recursion, 0
	.set _ZL23rocblas_gemvt_sn_kernelILb1ELi256ELi4EldPKddEviiT4_lPKT3_lilS5_lilPT5_i.has_indirect_call, 0
	.section	.AMDGPU.csdata,"",@progbits
; Kernel info:
; codeLenInByte = 3468
; TotalNumSgprs: 76
; NumVgprs: 90
; ScratchSize: 0
; MemoryBound: 1
; FloatMode: 240
; IeeeMode: 1
; LDSByteSize: 256 bytes/workgroup (compile time only)
; SGPRBlocks: 0
; VGPRBlocks: 5
; NumSGPRsForWavesPerEU: 76
; NumVGPRsForWavesPerEU: 90
; NamedBarCnt: 0
; Occupancy: 10
; WaveLimiterHint : 0
; COMPUTE_PGM_RSRC2:SCRATCH_EN: 0
; COMPUTE_PGM_RSRC2:USER_SGPR: 2
; COMPUTE_PGM_RSRC2:TRAP_HANDLER: 0
; COMPUTE_PGM_RSRC2:TGID_X_EN: 1
; COMPUTE_PGM_RSRC2:TGID_Y_EN: 0
; COMPUTE_PGM_RSRC2:TGID_Z_EN: 1
; COMPUTE_PGM_RSRC2:TIDIG_COMP_CNT: 0
	.section	.text._ZL23rocblas_gemvt_sn_kernelILb1ELi256ELi4EidddEviiT4_lPKT3_lilS3_lilPT5_i,"axG",@progbits,_ZL23rocblas_gemvt_sn_kernelILb1ELi256ELi4EidddEviiT4_lPKT3_lilS3_lilPT5_i,comdat
	.globl	_ZL23rocblas_gemvt_sn_kernelILb1ELi256ELi4EidddEviiT4_lPKT3_lilS3_lilPT5_i ; -- Begin function _ZL23rocblas_gemvt_sn_kernelILb1ELi256ELi4EidddEviiT4_lPKT3_lilS3_lilPT5_i
	.p2align	8
	.type	_ZL23rocblas_gemvt_sn_kernelILb1ELi256ELi4EidddEviiT4_lPKT3_lilS3_lilPT5_i,@function
_ZL23rocblas_gemvt_sn_kernelILb1ELi256ELi4EidddEviiT4_lPKT3_lilS3_lilPT5_i: ; @_ZL23rocblas_gemvt_sn_kernelILb1ELi256ELi4EidddEviiT4_lPKT3_lilS3_lilPT5_i
; %bb.0:
	s_load_b32 s11, s[0:1], 0x60
	s_bfe_u32 s2, ttmp6, 0x40014
	s_lshr_b32 s3, ttmp7, 16
	s_add_co_i32 s2, s2, 1
	s_bfe_u32 s4, ttmp6, 0x40008
	s_mul_i32 s2, s3, s2
	s_getreg_b32 s25, hwreg(HW_REG_IB_STS2, 6, 4)
	s_add_co_i32 s4, s4, s2
	s_cmp_eq_u32 s25, 0
	s_mov_b32 s27, 0
	s_cselect_b32 s24, s3, s4
	s_wait_kmcnt 0x0
	s_cmp_ge_u32 s24, s11
	s_cbranch_scc1 .LBB92_61
; %bb.1:
	s_clause 0x6
	s_load_b96 s[8:10], s[0:1], 0x40
	s_load_b128 s[4:7], s[0:1], 0x18
	s_load_b128 s[12:15], s[0:1], 0x0
	s_load_b32 s28, s[0:1], 0x28
	s_load_b128 s[16:19], s[0:1], 0x30
	s_load_b128 s[20:23], s[0:1], 0x50
	s_load_b32 s30, s[0:1], 0x68
	s_wait_xcnt 0x0
	v_cmp_eq_u32_e64 s0, 0, v0
	v_dual_lshrrev_b32 v2, 2, v0 :: v_dual_bitop2_b32 v1, 31, v0 bitop3:0x40
	v_cmp_gt_u32_e64 s1, 32, v0
	v_cmp_gt_u32_e64 s2, 8, v0
	v_mbcnt_lo_u32_b32 v50, -1, 0
	s_delay_alu instid0(VALU_DEP_4)
	v_cmp_eq_u32_e64 s3, 0, v1
	v_dual_lshlrev_b32 v48, 3, v1 :: v_dual_bitop2_b32 v49, 56, v2 bitop3:0x40
	v_mov_b64_e32 v[34:35], 0
	s_mov_b32 s31, s27
	s_mov_b32 s35, s27
	v_lshl_or_b32 v51, v50, 2, 64
	s_wait_kmcnt 0x0
	s_lshl_b64 s[8:9], s[8:9], 3
	s_lshl_b64 s[6:7], s[6:7], 3
	s_ashr_i32 s39, s13, 31
	s_cmp_gt_i32 s13, 0
	s_add_nc_u64 s[4:5], s[4:5], s[6:7]
	s_cselect_b32 s26, -1, 0
	s_bfe_u32 s33, ttmp6, 0x4000c
	s_and_b32 s34, ttmp6, 15
	s_add_co_i32 s33, s33, 1
	s_mov_b32 s38, s13
	s_mul_i32 s36, ttmp9, s33
	s_and_b32 s33, s0, s26
	s_add_co_i32 s34, s34, s36
	s_cmp_eq_u32 s25, 0
	s_mul_u64 s[36:37], s[38:39], s[30:31]
	s_cselect_b32 s34, ttmp9, s34
	s_ashr_i32 s7, s12, 31
	s_lshl_b32 s6, s34, 10
	s_mov_b32 s29, s27
	v_lshl_or_b32 v0, v0, 2, s6
	s_lshr_b32 s6, s7, 30
	s_lshr_b32 s7, s39, 30
	s_add_co_i32 s6, s12, s6
	s_add_co_i32 s7, s13, s7
	v_mul_lo_u32 v24, s10, v0
	s_and_b32 s6, s6, -4
	v_dual_ashrrev_i32 v1, 31, v0 :: v_dual_add_nc_u32 v2, 4, v0
	s_sub_co_i32 s69, s12, s6
	s_and_b32 s68, s7, -4
	s_add_nc_u64 s[18:19], s[18:19], s[8:9]
	s_delay_alu instid0(VALU_DEP_1)
	v_lshl_add_u64 v[30:31], v[0:1], 3, s[4:5]
	v_cmp_ge_i32_e64 s4, s12, v2
	s_cmp_gt_i32 s68, 0
	s_mov_b32 s47, s27
	v_dual_add_nc_u32 v26, s10, v24 :: v_dual_ashrrev_i32 v25, 31, v24
	v_add_nc_u32_e32 v3, s69, v0
	s_cselect_b32 s70, -1, 0
	s_cmp_gt_i32 s69, 0
	s_delay_alu instid0(VALU_DEP_2)
	v_add_nc_u32_e32 v28, s10, v26
	s_cselect_b32 s71, -1, 0
	v_cmp_ge_i32_e64 s5, s12, v3
	v_cmp_eq_f64_e64 s12, s[14:15], 0
	s_lshl_b32 s26, s28, 1
	v_dual_add_nc_u32 v32, s10, v28 :: v_dual_ashrrev_i32 v27, 31, v26
	v_dual_mov_b32 v0, 0 :: v_dual_ashrrev_i32 v29, 31, v28
	s_lshl_b64 s[38:39], s[34:35], 3
	s_delay_alu instid0(VALU_DEP_2)
	v_ashrrev_i32_e32 v33, 31, v32
	s_mov_b64 s[48:49], s[26:27]
	s_mul_i32 s26, s28, 3
	s_lshl_b64 s[40:41], s[36:37], 3
	s_lshl_b64 s[42:43], s[30:31], 3
	s_add_nc_u64 s[44:45], s[22:23], s[38:39]
	s_lshl_b32 s46, s28, 2
	s_mov_b64 s[50:51], s[26:27]
	s_lshl_b64 s[52:53], s[16:17], 3
	s_branch .LBB92_3
.LBB92_2:                               ;   in Loop: Header=BB92_3 Depth=1
	s_add_co_i32 s24, s24, 0x10000
	s_delay_alu instid0(SALU_CYCLE_1)
	s_cmp_lt_u32 s24, s11
	s_cbranch_scc0 .LBB92_61
.LBB92_3:                               ; =>This Loop Header: Depth=1
                                        ;     Child Loop BB92_6 Depth 2
                                        ;     Child Loop BB92_12 Depth 2
                                        ;       Child Loop BB92_18 Depth 3
                                        ;       Child Loop BB92_21 Depth 3
	;; [unrolled: 1-line block ×3, first 2 shown]
                                        ;     Child Loop BB92_40 Depth 2
                                        ;       Child Loop BB92_53 Depth 3
                                        ;       Child Loop BB92_56 Depth 3
	s_mov_b32 s25, s27
	s_and_not1_b32 vcc_lo, exec_lo, s12
	s_mov_b32 s6, -1
	s_cbranch_vccnz .LBB92_8
; %bb.4:                                ;   in Loop: Header=BB92_3 Depth=1
	s_and_saveexec_b32 s8, s33
	s_cbranch_execz .LBB92_7
; %bb.5:                                ;   in Loop: Header=BB92_3 Depth=1
	s_mul_u64 s[6:7], s[40:41], s[24:25]
	s_mov_b32 s9, s13
	s_add_nc_u64 s[6:7], s[44:45], s[6:7]
.LBB92_6:                               ;   Parent Loop BB92_3 Depth=1
                                        ; =>  This Inner Loop Header: Depth=2
	s_add_co_i32 s9, s9, -1
	global_store_b64 v0, v[34:35], s[6:7]
	s_cmp_eq_u32 s9, 0
	s_wait_xcnt 0x0
	s_add_nc_u64 s[6:7], s[6:7], s[42:43]
	s_cbranch_scc0 .LBB92_6
.LBB92_7:                               ;   in Loop: Header=BB92_3 Depth=1
	s_or_b32 exec_lo, exec_lo, s8
	s_mov_b32 s6, 0
.LBB92_8:                               ;   in Loop: Header=BB92_3 Depth=1
	s_delay_alu instid0(SALU_CYCLE_1)
	s_and_not1_b32 vcc_lo, exec_lo, s6
	s_cbranch_vccnz .LBB92_2
; %bb.9:                                ;   in Loop: Header=BB92_3 Depth=1
	s_mul_u64 s[6:7], s[20:21], s[24:25]
	s_mul_u64 s[8:9], s[52:53], s[24:25]
	s_lshl_b64 s[6:7], s[6:7], 3
	s_mul_u64 s[56:57], s[16:17], s[24:25]
	s_add_nc_u64 s[54:55], s[18:19], s[6:7]
	v_add_nc_u64_e32 v[46:47], s[8:9], v[30:31]
	s_mul_u64 s[58:59], s[36:37], s[24:25]
	v_lshl_add_u64 v[36:37], s[56:57], 3, v[30:31]
	v_lshl_add_u64 v[38:39], v[24:25], 3, s[54:55]
	;; [unrolled: 1-line block ×5, first 2 shown]
	v_cmp_gt_u32_e64 s9, 24, v50
	v_cmp_gt_u32_e64 s8, 28, v50
	;; [unrolled: 1-line block ×3, first 2 shown]
	v_cmp_ne_u32_e64 s6, 31, v50
	s_lshl_b64 s[56:57], s[58:59], 3
	s_and_not1_b32 vcc_lo, exec_lo, s70
	s_add_nc_u64 s[56:57], s[22:23], s[56:57]
	s_cbranch_vccnz .LBB92_36
; %bb.10:                               ;   in Loop: Header=BB92_3 Depth=1
	v_cndmask_b32_e64 v1, 0, 8, s9
	v_cndmask_b32_e64 v8, 0, 4, s8
	;; [unrolled: 1-line block ×3, first 2 shown]
	v_add_co_ci_u32_e64 v10, null, 0, v50, s6
	v_dual_mov_b32 v5, v0 :: v_dual_mov_b32 v6, v0
	s_delay_alu instid0(VALU_DEP_2)
	v_dual_mov_b32 v7, v0 :: v_dual_lshlrev_b32 v55, 2, v10
	v_add_lshl_u32 v52, v1, v50, 2
	s_wait_dscnt 0x0
	v_dual_mov_b32 v1, v0 :: v_dual_mov_b32 v2, v0
	v_dual_mov_b32 v3, v0 :: v_dual_mov_b32 v4, v0
	v_add_lshl_u32 v53, v8, v50, 2
	v_add_lshl_u32 v54, v9, v50, 2
	v_mov_b64_e32 v[14:15], v[6:7]
	s_delay_alu instid0(VALU_DEP_4)
	v_mov_b64_e32 v[10:11], v[2:3]
	v_mov_b64_e32 v[12:13], v[4:5]
	;; [unrolled: 1-line block ×3, first 2 shown]
	s_mov_b32 s58, 0
	s_mov_b64 s[60:61], s[50:51]
	s_mov_b64 s[62:63], s[48:49]
	;; [unrolled: 1-line block ×3, first 2 shown]
	s_mov_b32 s26, s58
	s_branch .LBB92_12
.LBB92_11:                              ;   in Loop: Header=BB92_12 Depth=2
	s_wait_xcnt 0x0
	s_or_b32 exec_lo, exec_lo, s6
	s_add_co_i32 s26, s26, 4
	s_add_co_i32 s58, s58, s46
	s_add_nc_u64 s[64:65], s[64:65], s[46:47]
	s_add_nc_u64 s[62:63], s[62:63], s[46:47]
	s_cmp_ge_i32 s26, s68
	s_add_nc_u64 s[60:61], s[60:61], s[46:47]
	s_cbranch_scc1 .LBB92_37
.LBB92_12:                              ;   Parent Loop BB92_3 Depth=1
                                        ; =>  This Loop Header: Depth=2
                                        ;       Child Loop BB92_18 Depth 3
                                        ;       Child Loop BB92_21 Depth 3
	;; [unrolled: 1-line block ×3, first 2 shown]
                                        ; implicit-def: $vgpr16_vgpr17_vgpr18_vgpr19_vgpr20_vgpr21_vgpr22_vgpr23
	s_and_saveexec_b32 s6, s4
	s_delay_alu instid0(SALU_CYCLE_1)
	s_xor_b32 s6, exec_lo, s6
	s_cbranch_execz .LBB92_14
; %bb.13:                               ;   in Loop: Header=BB92_12 Depth=2
	s_mul_i32 s8, s26, s28
	s_delay_alu instid0(SALU_CYCLE_1)
	s_ashr_i32 s9, s8, 31
	s_add_co_i32 s66, s8, s28
	v_lshl_add_u64 v[6:7], s[8:9], 3, v[36:37]
	s_ashr_i32 s67, s66, 31
	s_add_co_i32 s8, s66, s28
	v_lshl_add_u64 v[14:15], s[66:67], 3, v[36:37]
	s_add_co_i32 s66, s8, s28
	s_ashr_i32 s9, s8, 31
	s_ashr_i32 s67, s66, 31
	v_lshl_add_u64 v[16:17], s[8:9], 3, v[36:37]
	v_lshl_add_u64 v[18:19], s[66:67], 3, v[36:37]
	global_load_b64 v[8:9], v[38:39], off
	s_clause 0x3
	global_load_b128 v[2:5], v[6:7], off
	global_load_b128 v[56:59], v[14:15], off
	;; [unrolled: 1-line block ×4, first 2 shown]
	global_load_b64 v[10:11], v[40:41], off
	global_load_b128 v[68:71], v[6:7], off offset:16
	global_load_b64 v[12:13], v[42:43], off
	s_clause 0x2
	global_load_b128 v[72:75], v[14:15], off offset:16
	global_load_b128 v[76:79], v[16:17], off offset:16
	;; [unrolled: 1-line block ×3, first 2 shown]
	global_load_b64 v[14:15], v[44:45], off
	s_wait_loadcnt 0xa
	s_wait_xcnt 0x2
	v_fma_f64 v[16:17], v[8:9], v[2:3], 0
	s_wait_loadcnt 0x9
	s_wait_xcnt 0x1
	v_fma_f64 v[18:19], v[8:9], v[56:57], 0
	s_wait_loadcnt 0x8
	v_fma_f64 v[20:21], v[8:9], v[60:61], 0
	s_wait_loadcnt 0x7
	;; [unrolled: 2-line block ×3, first 2 shown]
	s_delay_alu instid0(VALU_DEP_4) | instskip(NEXT) | instid1(VALU_DEP_4)
	v_fmac_f64_e32 v[16:17], v[10:11], v[4:5]
	v_fmac_f64_e32 v[18:19], v[10:11], v[58:59]
	s_delay_alu instid0(VALU_DEP_4) | instskip(NEXT) | instid1(VALU_DEP_4)
	v_fmac_f64_e32 v[20:21], v[10:11], v[62:63]
	v_fmac_f64_e32 v[22:23], v[10:11], v[66:67]
	s_wait_loadcnt 0x4
	s_delay_alu instid0(VALU_DEP_4) | instskip(SKIP_1) | instid1(VALU_DEP_4)
	v_fmac_f64_e32 v[16:17], v[12:13], v[68:69]
	s_wait_loadcnt 0x3
	v_fmac_f64_e32 v[18:19], v[12:13], v[72:73]
	s_wait_loadcnt 0x2
	s_delay_alu instid0(VALU_DEP_4) | instskip(SKIP_1) | instid1(VALU_DEP_4)
	v_fmac_f64_e32 v[20:21], v[12:13], v[76:77]
	s_wait_loadcnt 0x1
	v_fmac_f64_e32 v[22:23], v[12:13], v[80:81]
	s_wait_loadcnt 0x0
	s_delay_alu instid0(VALU_DEP_4) | instskip(NEXT) | instid1(VALU_DEP_4)
	v_fmac_f64_e32 v[16:17], v[14:15], v[70:71]
	v_fmac_f64_e32 v[18:19], v[14:15], v[74:75]
	s_delay_alu instid0(VALU_DEP_4) | instskip(NEXT) | instid1(VALU_DEP_4)
	v_fmac_f64_e32 v[20:21], v[14:15], v[78:79]
	v_fmac_f64_e32 v[22:23], v[14:15], v[82:83]
.LBB92_14:                              ;   in Loop: Header=BB92_12 Depth=2
	s_wait_xcnt 0x0
	s_and_not1_saveexec_b32 s25, s6
	s_cbranch_execz .LBB92_24
; %bb.15:                               ;   in Loop: Header=BB92_12 Depth=2
	v_dual_mov_b32 v5, v0 :: v_dual_mov_b32 v6, v0
	v_dual_mov_b32 v7, v0 :: v_dual_mov_b32 v1, v0
	;; [unrolled: 1-line block ×3, first 2 shown]
	v_mov_b32_e32 v4, v0
	s_delay_alu instid0(VALU_DEP_3) | instskip(NEXT) | instid1(VALU_DEP_4)
	v_mov_b64_e32 v[22:23], v[6:7]
	v_mov_b64_e32 v[16:17], v[0:1]
	s_delay_alu instid0(VALU_DEP_4) | instskip(NEXT) | instid1(VALU_DEP_4)
	v_mov_b64_e32 v[18:19], v[2:3]
	v_mov_b64_e32 v[20:21], v[4:5]
	s_and_saveexec_b32 s35, s5
	s_cbranch_execz .LBB92_23
; %bb.16:                               ;   in Loop: Header=BB92_12 Depth=2
	s_and_not1_b32 vcc_lo, exec_lo, s71
	s_cbranch_vccnz .LBB92_19
; %bb.17:                               ;   in Loop: Header=BB92_12 Depth=2
	v_mov_b32_e32 v1, v24
	s_mov_b64 s[66:67], 0
.LBB92_18:                              ;   Parent Loop BB92_3 Depth=1
                                        ;     Parent Loop BB92_12 Depth=2
                                        ; =>    This Inner Loop Header: Depth=3
	global_load_b64 v[2:3], v1, s[54:55] scale_offset
	s_cmp_eq_u32 s66, 3
	s_cselect_b32 vcc_lo, -1, 0
	s_cmp_eq_u32 s66, 2
	s_wait_xcnt 0x0
	v_add_nc_u32_e32 v1, s10, v1
	s_cselect_b32 s6, -1, 0
	s_cmp_eq_u32 s66, 1
	s_cselect_b32 s7, -1, 0
	s_cmp_eq_u32 s66, 0
	s_add_nc_u64 s[66:67], s[66:67], 1
	s_cselect_b32 s8, -1, 0
	s_cmp_eq_u32 s69, s66
	s_wait_loadcnt 0x0
	v_dual_cndmask_b32 v15, v15, v3 :: v_dual_cndmask_b32 v14, v14, v2
	v_dual_cndmask_b32 v13, v13, v3, s6 :: v_dual_cndmask_b32 v12, v12, v2, s6
	v_dual_cndmask_b32 v11, v11, v3, s7 :: v_dual_cndmask_b32 v10, v10, v2, s7
	;; [unrolled: 1-line block ×3, first 2 shown]
	s_cbranch_scc0 .LBB92_18
.LBB92_19:                              ;   in Loop: Header=BB92_12 Depth=2
	s_and_not1_b32 vcc_lo, exec_lo, s71
	s_cbranch_vccnz .LBB92_22
; %bb.20:                               ;   in Loop: Header=BB92_12 Depth=2
	s_ashr_i32 s59, s58, 31
	v_mov_b64_e32 v[16:17], 0
	v_mov_b64_e32 v[18:19], 0
	;; [unrolled: 1-line block ×4, first 2 shown]
	v_lshl_add_u64 v[2:3], s[58:59], 3, v[46:47]
	s_mov_b64 s[8:9], 0
.LBB92_21:                              ;   Parent Loop BB92_3 Depth=1
                                        ;     Parent Loop BB92_12 Depth=2
                                        ; =>    This Inner Loop Header: Depth=3
	s_delay_alu instid0(SALU_CYCLE_1)
	s_cmp_eq_u32 s8, 1
	s_cselect_b32 vcc_lo, -1, 0
	s_cmp_eq_u32 s8, 2
	v_dual_cndmask_b32 v1, v9, v11 :: v_dual_cndmask_b32 v60, v8, v10
	s_cselect_b32 s6, -1, 0
	s_cmp_eq_u32 s8, 3
	s_cselect_b32 s7, -1, 0
	s_add_co_i32 s66, s64, s8
	s_add_co_i32 s72, s62, s8
	s_add_co_i32 s74, s60, s8
	s_ashr_i32 s67, s66, 31
	s_ashr_i32 s73, s72, 31
	;; [unrolled: 1-line block ×3, first 2 shown]
	s_wait_xcnt 0x2
	v_lshl_add_u64 v[4:5], s[66:67], 3, v[36:37]
	s_wait_xcnt 0x1
	v_lshl_add_u64 v[6:7], s[72:73], 3, v[36:37]
	;; [unrolled: 2-line block ×3, first 2 shown]
	global_load_b64 v[58:59], v[2:3], off
	s_clause 0x2
	global_load_b64 v[4:5], v[4:5], off
	global_load_b64 v[6:7], v[6:7], off
	;; [unrolled: 1-line block ×3, first 2 shown]
	v_dual_cndmask_b32 v1, v1, v13, s6 :: v_dual_cndmask_b32 v60, v60, v12, s6
	s_wait_xcnt 0x3
	v_add_nc_u64_e32 v[2:3], 8, v[2:3]
	s_add_nc_u64 s[8:9], s[8:9], 1
	s_delay_alu instid0(VALU_DEP_2) | instskip(SKIP_2) | instid1(VALU_DEP_1)
	v_dual_cndmask_b32 v61, v1, v15, s7 :: v_dual_cndmask_b32 v60, v60, v14, s7
	s_cmp_lg_u32 s69, s8
	s_wait_loadcnt 0x3
	v_fmac_f64_e32 v[16:17], v[60:61], v[58:59]
	s_wait_loadcnt 0x2
	v_fmac_f64_e32 v[18:19], v[60:61], v[4:5]
	;; [unrolled: 2-line block ×4, first 2 shown]
	s_cbranch_scc1 .LBB92_21
	s_branch .LBB92_23
.LBB92_22:                              ;   in Loop: Header=BB92_12 Depth=2
	v_dual_mov_b32 v5, v0 :: v_dual_mov_b32 v6, v0
	v_dual_mov_b32 v7, v0 :: v_dual_mov_b32 v1, v0
	;; [unrolled: 1-line block ×3, first 2 shown]
	v_mov_b32_e32 v4, v0
	s_delay_alu instid0(VALU_DEP_3) | instskip(NEXT) | instid1(VALU_DEP_4)
	v_mov_b64_e32 v[22:23], v[6:7]
	v_mov_b64_e32 v[16:17], v[0:1]
	s_delay_alu instid0(VALU_DEP_4) | instskip(NEXT) | instid1(VALU_DEP_4)
	v_mov_b64_e32 v[18:19], v[2:3]
	v_mov_b64_e32 v[20:21], v[4:5]
.LBB92_23:                              ;   in Loop: Header=BB92_12 Depth=2
	s_wait_xcnt 0x0
	s_or_b32 exec_lo, exec_lo, s35
.LBB92_24:                              ;   in Loop: Header=BB92_12 Depth=2
	s_delay_alu instid0(SALU_CYCLE_1)
	s_or_b32 exec_lo, exec_lo, s25
	s_mov_b64 s[6:7], 0
	s_branch .LBB92_26
.LBB92_25:                              ;   in Loop: Header=BB92_26 Depth=3
	s_or_b32 exec_lo, exec_lo, s8
	s_cmp_eq_u32 s6, 3
	s_cselect_b32 vcc_lo, -1, 0
	s_cmp_eq_u32 s6, 2
	s_wait_dscnt 0x0
	s_delay_alu instid0(VALU_DEP_1)
	v_dual_cndmask_b32 v23, v23, v3 :: v_dual_cndmask_b32 v22, v22, v2
	s_cselect_b32 vcc_lo, -1, 0
	s_cmp_eq_u32 s6, 1
	v_dual_cndmask_b32 v21, v21, v3 :: v_dual_cndmask_b32 v20, v20, v2
	s_cselect_b32 vcc_lo, -1, 0
	s_cmp_eq_u32 s6, 0
	v_dual_cndmask_b32 v19, v19, v3 :: v_dual_cndmask_b32 v18, v18, v2
	s_cselect_b32 vcc_lo, -1, 0
	s_add_nc_u64 s[6:7], s[6:7], 1
	v_dual_cndmask_b32 v17, v17, v3 :: v_dual_cndmask_b32 v16, v16, v2
	s_cmp_eq_u32 s6, 4
	s_cbranch_scc1 .LBB92_34
.LBB92_26:                              ;   Parent Loop BB92_3 Depth=1
                                        ;     Parent Loop BB92_12 Depth=2
                                        ; =>    This Inner Loop Header: Depth=3
	s_and_saveexec_b32 s8, s1
; %bb.27:                               ;   in Loop: Header=BB92_26 Depth=3
	ds_store_b64 v48, v[34:35]
; %bb.28:                               ;   in Loop: Header=BB92_26 Depth=3
	s_or_b32 exec_lo, exec_lo, s8
	s_cmp_eq_u32 s6, 1
	s_wait_storecnt_dscnt 0x0
	s_cselect_b32 vcc_lo, -1, 0
	s_cmp_eq_u32 s6, 2
	v_dual_cndmask_b32 v1, v17, v19 :: v_dual_cndmask_b32 v2, v16, v18
	s_cselect_b32 vcc_lo, -1, 0
	s_cmp_eq_u32 s6, 3
	s_barrier_signal -1
	s_delay_alu instid0(VALU_DEP_1) | instskip(SKIP_2) | instid1(VALU_DEP_1)
	v_dual_cndmask_b32 v1, v1, v21 :: v_dual_cndmask_b32 v2, v2, v20
	s_cselect_b32 vcc_lo, -1, 0
	s_barrier_wait -1
	v_dual_cndmask_b32 v3, v1, v23 :: v_dual_cndmask_b32 v2, v2, v22
	ds_bpermute_b32 v5, v51, v3
	ds_bpermute_b32 v4, v51, v2
	s_wait_dscnt 0x0
	v_add_f64_e32 v[2:3], v[2:3], v[4:5]
	ds_bpermute_b32 v4, v52, v2
	ds_bpermute_b32 v5, v52, v3
	s_wait_dscnt 0x0
	v_add_f64_e32 v[2:3], v[2:3], v[4:5]
	;; [unrolled: 4-line block ×4, first 2 shown]
	ds_bpermute_b32 v4, v55, v2
	ds_bpermute_b32 v5, v55, v3
	s_and_saveexec_b32 s8, s3
	s_cbranch_execz .LBB92_30
; %bb.29:                               ;   in Loop: Header=BB92_26 Depth=3
	s_wait_dscnt 0x0
	v_add_f64_e32 v[2:3], v[2:3], v[4:5]
	ds_store_b64 v49, v[2:3]
.LBB92_30:                              ;   in Loop: Header=BB92_26 Depth=3
	s_or_b32 exec_lo, exec_lo, s8
	v_mov_b64_e32 v[2:3], 0
	s_wait_dscnt 0x0
	s_barrier_signal -1
	s_barrier_wait -1
	s_and_saveexec_b32 s8, s2
; %bb.31:                               ;   in Loop: Header=BB92_26 Depth=3
	ds_load_b64 v[2:3], v48
; %bb.32:                               ;   in Loop: Header=BB92_26 Depth=3
	s_or_b32 exec_lo, exec_lo, s8
	s_and_saveexec_b32 s8, s1
	s_cbranch_execz .LBB92_25
; %bb.33:                               ;   in Loop: Header=BB92_26 Depth=3
	s_wait_dscnt 0x0
	ds_bpermute_b32 v4, v53, v2
	ds_bpermute_b32 v5, v53, v3
	s_wait_dscnt 0x0
	v_add_f64_e32 v[2:3], v[2:3], v[4:5]
	ds_bpermute_b32 v4, v54, v2
	ds_bpermute_b32 v5, v54, v3
	s_wait_dscnt 0x0
	v_add_f64_e32 v[2:3], v[2:3], v[4:5]
	;; [unrolled: 4-line block ×3, first 2 shown]
	s_branch .LBB92_25
.LBB92_34:                              ;   in Loop: Header=BB92_12 Depth=2
	s_and_saveexec_b32 s6, s0
	s_cbranch_execz .LBB92_11
; %bb.35:                               ;   in Loop: Header=BB92_12 Depth=2
	s_mul_i32 s7, s26, s30
	s_delay_alu instid0(SALU_CYCLE_1) | instskip(NEXT) | instid1(SALU_CYCLE_1)
	s_add_co_i32 s7, s7, s34
	v_dual_mul_f64 v[2:3], s[14:15], v[16:17] :: v_dual_mov_b32 v1, s7
	s_add_co_i32 s8, s7, s30
	s_delay_alu instid0(SALU_CYCLE_1) | instskip(SKIP_1) | instid1(SALU_CYCLE_1)
	v_dual_mul_f64 v[4:5], s[14:15], v[18:19] :: v_dual_mov_b32 v18, s8
	s_add_co_i32 s7, s8, s30
	v_dual_mul_f64 v[6:7], s[14:15], v[20:21] :: v_dual_mov_b32 v19, s7
	s_add_co_i32 s8, s7, s30
	s_delay_alu instid0(SALU_CYCLE_1)
	v_dual_mul_f64 v[16:17], s[14:15], v[22:23] :: v_dual_mov_b32 v20, s8
	s_clause 0x3
	global_store_b64 v1, v[2:3], s[56:57] scale_offset
	global_store_b64 v18, v[4:5], s[56:57] scale_offset
	;; [unrolled: 1-line block ×4, first 2 shown]
	s_branch .LBB92_11
.LBB92_36:                              ;   in Loop: Header=BB92_3 Depth=1
	v_dual_mov_b32 v5, v0 :: v_dual_mov_b32 v6, v0
	v_dual_mov_b32 v7, v0 :: v_dual_mov_b32 v1, v0
	s_wait_dscnt 0x0
	v_dual_mov_b32 v2, v0 :: v_dual_mov_b32 v3, v0
	v_mov_b32_e32 v4, v0
	s_delay_alu instid0(VALU_DEP_3)
	v_mov_b64_e32 v[14:15], v[6:7]
	v_mov_b64_e32 v[8:9], v[0:1]
	s_mov_b32 s26, 0
	v_mov_b64_e32 v[10:11], v[2:3]
	v_mov_b64_e32 v[12:13], v[4:5]
.LBB92_37:                              ;   in Loop: Header=BB92_3 Depth=1
	s_cmp_ge_i32 s26, s13
	s_cbranch_scc1 .LBB92_2
; %bb.38:                               ;   in Loop: Header=BB92_3 Depth=1
	v_cmp_gt_u32_e32 vcc_lo, 24, v50
	s_add_nc_u64 s[56:57], s[56:57], s[38:39]
	s_mul_i32 s58, s28, s26
	v_cndmask_b32_e64 v1, 0, 8, vcc_lo
	v_cmp_gt_u32_e32 vcc_lo, 28, v50
	s_delay_alu instid0(VALU_DEP_2) | instskip(SKIP_2) | instid1(VALU_DEP_2)
	v_add_lshl_u32 v1, v1, v50, 2
	v_cndmask_b32_e64 v2, 0, 4, vcc_lo
	v_cmp_gt_u32_e32 vcc_lo, 30, v50
	v_add_lshl_u32 v6, v2, v50, 2
	v_cndmask_b32_e64 v3, 0, 2, vcc_lo
	v_cmp_ne_u32_e32 vcc_lo, 31, v50
	s_delay_alu instid0(VALU_DEP_2) | instskip(SKIP_1) | instid1(VALU_DEP_1)
	v_add_lshl_u32 v7, v3, v50, 2
	v_add_co_ci_u32_e64 v4, null, 0, v50, vcc_lo
	v_lshlrev_b32_e32 v16, 2, v4
	s_branch .LBB92_40
.LBB92_39:                              ;   in Loop: Header=BB92_40 Depth=2
	s_wait_xcnt 0x0
	s_or_b32 exec_lo, exec_lo, s6
	s_add_co_i32 s26, s26, 1
	s_add_co_i32 s58, s58, s28
	s_cmp_ge_i32 s26, s13
	s_cbranch_scc1 .LBB92_2
.LBB92_40:                              ;   Parent Loop BB92_3 Depth=1
                                        ; =>  This Loop Header: Depth=2
                                        ;       Child Loop BB92_53 Depth 3
                                        ;       Child Loop BB92_56 Depth 3
	s_wait_dscnt 0x0
	v_dual_mov_b32 v2, s27 :: v_dual_mov_b32 v3, s27
	s_and_saveexec_b32 s6, s4
	s_delay_alu instid0(SALU_CYCLE_1)
	s_xor_b32 s6, exec_lo, s6
	s_cbranch_execnz .LBB92_49
; %bb.41:                               ;   in Loop: Header=BB92_40 Depth=2
	s_and_not1_saveexec_b32 s9, s6
	s_cbranch_execnz .LBB92_50
.LBB92_42:                              ;   in Loop: Header=BB92_40 Depth=2
	s_or_b32 exec_lo, exec_lo, s9
	s_and_saveexec_b32 s6, s1
.LBB92_43:                              ;   in Loop: Header=BB92_40 Depth=2
	ds_store_b64 v48, v[34:35]
.LBB92_44:                              ;   in Loop: Header=BB92_40 Depth=2
	s_or_b32 exec_lo, exec_lo, s6
	ds_bpermute_b32 v4, v51, v2
	ds_bpermute_b32 v5, v51, v3
	s_wait_storecnt_dscnt 0x0
	s_barrier_signal -1
	s_barrier_wait -1
	v_add_f64_e32 v[2:3], v[2:3], v[4:5]
	ds_bpermute_b32 v4, v1, v2
	ds_bpermute_b32 v5, v1, v3
	s_wait_dscnt 0x0
	v_add_f64_e32 v[2:3], v[2:3], v[4:5]
	ds_bpermute_b32 v4, v6, v2
	ds_bpermute_b32 v5, v6, v3
	s_wait_dscnt 0x0
	v_add_f64_e32 v[2:3], v[2:3], v[4:5]
	ds_bpermute_b32 v4, v7, v2
	ds_bpermute_b32 v5, v7, v3
	s_wait_dscnt 0x0
	v_add_f64_e32 v[2:3], v[2:3], v[4:5]
	ds_bpermute_b32 v4, v16, v2
	ds_bpermute_b32 v5, v16, v3
	s_and_saveexec_b32 s6, s3
	s_cbranch_execz .LBB92_46
; %bb.45:                               ;   in Loop: Header=BB92_40 Depth=2
	s_wait_dscnt 0x0
	v_add_f64_e32 v[2:3], v[2:3], v[4:5]
	ds_store_b64 v49, v[2:3]
.LBB92_46:                              ;   in Loop: Header=BB92_40 Depth=2
	s_or_b32 exec_lo, exec_lo, s6
	v_mov_b64_e32 v[2:3], 0
	s_wait_dscnt 0x0
	s_barrier_signal -1
	s_barrier_wait -1
	s_and_saveexec_b32 s6, s2
	s_cbranch_execnz .LBB92_58
; %bb.47:                               ;   in Loop: Header=BB92_40 Depth=2
	s_or_b32 exec_lo, exec_lo, s6
	s_and_saveexec_b32 s6, s1
	s_cbranch_execnz .LBB92_59
.LBB92_48:                              ;   in Loop: Header=BB92_40 Depth=2
	s_or_b32 exec_lo, exec_lo, s6
	s_and_saveexec_b32 s6, s0
	s_cbranch_execz .LBB92_39
	s_branch .LBB92_60
.LBB92_49:                              ;   in Loop: Header=BB92_40 Depth=2
	s_mul_i32 s8, s26, s28
	s_delay_alu instid0(SALU_CYCLE_1) | instskip(NEXT) | instid1(SALU_CYCLE_1)
	s_ashr_i32 s9, s8, 31
	v_lshl_add_u64 v[12:13], s[8:9], 3, v[36:37]
	global_load_b128 v[2:5], v[12:13], off
	s_clause 0x1
	global_load_b64 v[8:9], v[38:39], off
	global_load_b64 v[10:11], v[40:41], off
	global_load_b128 v[18:21], v[12:13], off offset:16
	s_clause 0x1
	global_load_b64 v[12:13], v[42:43], off
	global_load_b64 v[14:15], v[44:45], off
	s_wait_loadcnt 0x4
	v_fma_f64 v[2:3], v[8:9], v[2:3], 0
	s_wait_loadcnt 0x3
	s_delay_alu instid0(VALU_DEP_1) | instskip(SKIP_1) | instid1(VALU_DEP_1)
	v_fmac_f64_e32 v[2:3], v[10:11], v[4:5]
	s_wait_loadcnt 0x1
	v_fmac_f64_e32 v[2:3], v[12:13], v[18:19]
	s_wait_loadcnt 0x0
	s_delay_alu instid0(VALU_DEP_1)
	v_fmac_f64_e32 v[2:3], v[14:15], v[20:21]
	s_wait_xcnt 0x0
	s_and_not1_saveexec_b32 s9, s6
	s_cbranch_execz .LBB92_42
.LBB92_50:                              ;   in Loop: Header=BB92_40 Depth=2
	s_and_saveexec_b32 s25, s5
	s_cbranch_execz .LBB92_57
; %bb.51:                               ;   in Loop: Header=BB92_40 Depth=2
	s_and_not1_b32 vcc_lo, exec_lo, s71
	s_cbranch_vccnz .LBB92_54
; %bb.52:                               ;   in Loop: Header=BB92_40 Depth=2
	v_mov_b32_e32 v4, v24
	s_mov_b64 s[60:61], 0
.LBB92_53:                              ;   Parent Loop BB92_3 Depth=1
                                        ;     Parent Loop BB92_40 Depth=2
                                        ; =>    This Inner Loop Header: Depth=3
	global_load_b64 v[18:19], v4, s[54:55] scale_offset
	s_cmp_eq_u32 s60, 3
	s_cselect_b32 vcc_lo, -1, 0
	s_cmp_eq_u32 s60, 2
	s_wait_xcnt 0x0
	v_add_nc_u32_e32 v4, s10, v4
	s_cselect_b32 s6, -1, 0
	s_cmp_eq_u32 s60, 1
	s_cselect_b32 s7, -1, 0
	s_cmp_eq_u32 s60, 0
	s_add_nc_u64 s[60:61], s[60:61], 1
	s_cselect_b32 s8, -1, 0
	s_cmp_eq_u32 s69, s60
	s_wait_loadcnt 0x0
	v_dual_cndmask_b32 v15, v15, v19 :: v_dual_cndmask_b32 v14, v14, v18
	v_dual_cndmask_b32 v13, v13, v19, s6 :: v_dual_cndmask_b32 v12, v12, v18, s6
	v_dual_cndmask_b32 v11, v11, v19, s7 :: v_dual_cndmask_b32 v10, v10, v18, s7
	;; [unrolled: 1-line block ×3, first 2 shown]
	s_cbranch_scc0 .LBB92_53
.LBB92_54:                              ;   in Loop: Header=BB92_40 Depth=2
	s_and_not1_b32 vcc_lo, exec_lo, s71
	s_cbranch_vccnz .LBB92_57
; %bb.55:                               ;   in Loop: Header=BB92_40 Depth=2
	s_ashr_i32 s59, s58, 31
	s_mov_b64 s[6:7], 0
	v_lshl_add_u64 v[4:5], s[58:59], 3, v[46:47]
.LBB92_56:                              ;   Parent Loop BB92_3 Depth=1
                                        ;     Parent Loop BB92_40 Depth=2
                                        ; =>    This Inner Loop Header: Depth=3
	global_load_b64 v[18:19], v[4:5], off
	s_cmp_eq_u32 s6, 1
	s_wait_xcnt 0x0
	v_add_nc_u64_e32 v[4:5], 8, v[4:5]
	s_cselect_b32 vcc_lo, -1, 0
	s_cmp_eq_u32 s6, 2
	v_dual_cndmask_b32 v17, v9, v11 :: v_dual_cndmask_b32 v20, v8, v10
	s_cselect_b32 vcc_lo, -1, 0
	s_cmp_eq_u32 s6, 3
	s_add_nc_u64 s[6:7], s[6:7], 1
	s_delay_alu instid0(VALU_DEP_1) | instskip(SKIP_2) | instid1(VALU_DEP_1)
	v_dual_cndmask_b32 v17, v17, v13 :: v_dual_cndmask_b32 v20, v20, v12
	s_cselect_b32 vcc_lo, -1, 0
	s_cmp_lg_u32 s69, s6
	v_dual_cndmask_b32 v21, v17, v15 :: v_dual_cndmask_b32 v20, v20, v14
	s_wait_loadcnt 0x0
	s_delay_alu instid0(VALU_DEP_1)
	v_fmac_f64_e32 v[2:3], v[20:21], v[18:19]
	s_cbranch_scc1 .LBB92_56
.LBB92_57:                              ;   in Loop: Header=BB92_40 Depth=2
	s_or_b32 exec_lo, exec_lo, s25
	s_delay_alu instid0(SALU_CYCLE_1)
	s_or_b32 exec_lo, exec_lo, s9
	s_and_saveexec_b32 s6, s1
	s_cbranch_execnz .LBB92_43
	s_branch .LBB92_44
.LBB92_58:                              ;   in Loop: Header=BB92_40 Depth=2
	ds_load_b64 v[2:3], v48
	s_or_b32 exec_lo, exec_lo, s6
	s_and_saveexec_b32 s6, s1
	s_cbranch_execz .LBB92_48
.LBB92_59:                              ;   in Loop: Header=BB92_40 Depth=2
	s_wait_dscnt 0x0
	ds_bpermute_b32 v4, v6, v2
	ds_bpermute_b32 v5, v6, v3
	s_wait_dscnt 0x0
	v_add_f64_e32 v[2:3], v[2:3], v[4:5]
	ds_bpermute_b32 v4, v7, v2
	ds_bpermute_b32 v5, v7, v3
	s_wait_dscnt 0x0
	v_add_f64_e32 v[2:3], v[2:3], v[4:5]
	;; [unrolled: 4-line block ×3, first 2 shown]
	s_or_b32 exec_lo, exec_lo, s6
	s_and_saveexec_b32 s6, s0
	s_cbranch_execz .LBB92_39
.LBB92_60:                              ;   in Loop: Header=BB92_40 Depth=2
	s_wait_dscnt 0x0
	s_delay_alu instid0(VALU_DEP_1) | instskip(SKIP_1) | instid1(SALU_CYCLE_1)
	v_mul_f64_e32 v[2:3], s[14:15], v[2:3]
	s_mul_u64 s[8:9], s[26:27], s[30:31]
	s_lshl_b64 s[8:9], s[8:9], 3
	s_delay_alu instid0(SALU_CYCLE_1)
	s_add_nc_u64 s[8:9], s[56:57], s[8:9]
	global_store_b64 v0, v[2:3], s[8:9]
	s_branch .LBB92_39
.LBB92_61:
	s_sendmsg sendmsg(MSG_DEALLOC_VGPRS)
	s_endpgm
	.section	.rodata,"a",@progbits
	.p2align	6, 0x0
	.amdhsa_kernel _ZL23rocblas_gemvt_sn_kernelILb1ELi256ELi4EidddEviiT4_lPKT3_lilS3_lilPT5_i
		.amdhsa_group_segment_fixed_size 256
		.amdhsa_private_segment_fixed_size 0
		.amdhsa_kernarg_size 360
		.amdhsa_user_sgpr_count 2
		.amdhsa_user_sgpr_dispatch_ptr 0
		.amdhsa_user_sgpr_queue_ptr 0
		.amdhsa_user_sgpr_kernarg_segment_ptr 1
		.amdhsa_user_sgpr_dispatch_id 0
		.amdhsa_user_sgpr_kernarg_preload_length 0
		.amdhsa_user_sgpr_kernarg_preload_offset 0
		.amdhsa_user_sgpr_private_segment_size 0
		.amdhsa_wavefront_size32 1
		.amdhsa_uses_dynamic_stack 0
		.amdhsa_enable_private_segment 0
		.amdhsa_system_sgpr_workgroup_id_x 1
		.amdhsa_system_sgpr_workgroup_id_y 0
		.amdhsa_system_sgpr_workgroup_id_z 1
		.amdhsa_system_sgpr_workgroup_info 0
		.amdhsa_system_vgpr_workitem_id 0
		.amdhsa_next_free_vgpr 84
		.amdhsa_next_free_sgpr 76
		.amdhsa_named_barrier_count 0
		.amdhsa_reserve_vcc 1
		.amdhsa_float_round_mode_32 0
		.amdhsa_float_round_mode_16_64 0
		.amdhsa_float_denorm_mode_32 3
		.amdhsa_float_denorm_mode_16_64 3
		.amdhsa_fp16_overflow 0
		.amdhsa_memory_ordered 1
		.amdhsa_forward_progress 1
		.amdhsa_inst_pref_size 28
		.amdhsa_round_robin_scheduling 0
		.amdhsa_exception_fp_ieee_invalid_op 0
		.amdhsa_exception_fp_denorm_src 0
		.amdhsa_exception_fp_ieee_div_zero 0
		.amdhsa_exception_fp_ieee_overflow 0
		.amdhsa_exception_fp_ieee_underflow 0
		.amdhsa_exception_fp_ieee_inexact 0
		.amdhsa_exception_int_div_zero 0
	.end_amdhsa_kernel
	.section	.text._ZL23rocblas_gemvt_sn_kernelILb1ELi256ELi4EidddEviiT4_lPKT3_lilS3_lilPT5_i,"axG",@progbits,_ZL23rocblas_gemvt_sn_kernelILb1ELi256ELi4EidddEviiT4_lPKT3_lilS3_lilPT5_i,comdat
.Lfunc_end92:
	.size	_ZL23rocblas_gemvt_sn_kernelILb1ELi256ELi4EidddEviiT4_lPKT3_lilS3_lilPT5_i, .Lfunc_end92-_ZL23rocblas_gemvt_sn_kernelILb1ELi256ELi4EidddEviiT4_lPKT3_lilS3_lilPT5_i
                                        ; -- End function
	.set _ZL23rocblas_gemvt_sn_kernelILb1ELi256ELi4EidddEviiT4_lPKT3_lilS3_lilPT5_i.num_vgpr, 84
	.set _ZL23rocblas_gemvt_sn_kernelILb1ELi256ELi4EidddEviiT4_lPKT3_lilS3_lilPT5_i.num_agpr, 0
	.set _ZL23rocblas_gemvt_sn_kernelILb1ELi256ELi4EidddEviiT4_lPKT3_lilS3_lilPT5_i.numbered_sgpr, 76
	.set _ZL23rocblas_gemvt_sn_kernelILb1ELi256ELi4EidddEviiT4_lPKT3_lilS3_lilPT5_i.num_named_barrier, 0
	.set _ZL23rocblas_gemvt_sn_kernelILb1ELi256ELi4EidddEviiT4_lPKT3_lilS3_lilPT5_i.private_seg_size, 0
	.set _ZL23rocblas_gemvt_sn_kernelILb1ELi256ELi4EidddEviiT4_lPKT3_lilS3_lilPT5_i.uses_vcc, 1
	.set _ZL23rocblas_gemvt_sn_kernelILb1ELi256ELi4EidddEviiT4_lPKT3_lilS3_lilPT5_i.uses_flat_scratch, 0
	.set _ZL23rocblas_gemvt_sn_kernelILb1ELi256ELi4EidddEviiT4_lPKT3_lilS3_lilPT5_i.has_dyn_sized_stack, 0
	.set _ZL23rocblas_gemvt_sn_kernelILb1ELi256ELi4EidddEviiT4_lPKT3_lilS3_lilPT5_i.has_recursion, 0
	.set _ZL23rocblas_gemvt_sn_kernelILb1ELi256ELi4EidddEviiT4_lPKT3_lilS3_lilPT5_i.has_indirect_call, 0
	.section	.AMDGPU.csdata,"",@progbits
; Kernel info:
; codeLenInByte = 3476
; TotalNumSgprs: 78
; NumVgprs: 84
; ScratchSize: 0
; MemoryBound: 1
; FloatMode: 240
; IeeeMode: 1
; LDSByteSize: 256 bytes/workgroup (compile time only)
; SGPRBlocks: 0
; VGPRBlocks: 5
; NumSGPRsForWavesPerEU: 78
; NumVGPRsForWavesPerEU: 84
; NamedBarCnt: 0
; Occupancy: 10
; WaveLimiterHint : 0
; COMPUTE_PGM_RSRC2:SCRATCH_EN: 0
; COMPUTE_PGM_RSRC2:USER_SGPR: 2
; COMPUTE_PGM_RSRC2:TRAP_HANDLER: 0
; COMPUTE_PGM_RSRC2:TGID_X_EN: 1
; COMPUTE_PGM_RSRC2:TGID_Y_EN: 0
; COMPUTE_PGM_RSRC2:TGID_Z_EN: 1
; COMPUTE_PGM_RSRC2:TIDIG_COMP_CNT: 0
	.section	.text._ZL23rocblas_gemvt_sn_kernelILb1ELi256ELi4EldddEviiT4_lPKT3_lilS3_lilPT5_i,"axG",@progbits,_ZL23rocblas_gemvt_sn_kernelILb1ELi256ELi4EldddEviiT4_lPKT3_lilS3_lilPT5_i,comdat
	.globl	_ZL23rocblas_gemvt_sn_kernelILb1ELi256ELi4EldddEviiT4_lPKT3_lilS3_lilPT5_i ; -- Begin function _ZL23rocblas_gemvt_sn_kernelILb1ELi256ELi4EldddEviiT4_lPKT3_lilS3_lilPT5_i
	.p2align	8
	.type	_ZL23rocblas_gemvt_sn_kernelILb1ELi256ELi4EldddEviiT4_lPKT3_lilS3_lilPT5_i,@function
_ZL23rocblas_gemvt_sn_kernelILb1ELi256ELi4EldddEviiT4_lPKT3_lilS3_lilPT5_i: ; @_ZL23rocblas_gemvt_sn_kernelILb1ELi256ELi4EldddEviiT4_lPKT3_lilS3_lilPT5_i
; %bb.0:
	s_load_b32 s33, s[0:1], 0x60
	s_bfe_u32 s2, ttmp6, 0x40014
	s_lshr_b32 s3, ttmp7, 16
	s_add_co_i32 s2, s2, 1
	s_bfe_u32 s4, ttmp6, 0x40008
	s_mul_i32 s2, s3, s2
	s_getreg_b32 s11, hwreg(HW_REG_IB_STS2, 6, 4)
	s_add_co_i32 s4, s4, s2
	s_cmp_eq_u32 s11, 0
	s_mov_b32 s27, 0
	s_cselect_b32 s24, s3, s4
	s_wait_kmcnt 0x0
	s_cmp_ge_u32 s24, s33
	s_cbranch_scc1 .LBB93_61
; %bb.1:
	s_clause 0x6
	s_load_b32 s28, s[0:1], 0x28
	s_load_b96 s[8:10], s[0:1], 0x40
	s_load_b128 s[4:7], s[0:1], 0x18
	s_load_b128 s[12:15], s[0:1], 0x0
	;; [unrolled: 1-line block ×4, first 2 shown]
	s_load_b32 s30, s[0:1], 0x68
	s_wait_xcnt 0x0
	v_cmp_eq_u32_e64 s0, 0, v0
	v_dual_lshrrev_b32 v3, 2, v0 :: v_dual_bitop2_b32 v1, 31, v0 bitop3:0x40
	v_cmp_gt_u32_e64 s1, 32, v0
	v_cmp_gt_u32_e64 s2, 8, v0
	s_delay_alu instid0(VALU_DEP_3) | instskip(SKIP_4) | instid1(VALU_DEP_2)
	v_dual_mov_b32 v2, 0 :: v_dual_lshlrev_b32 v53, 3, v1
	v_cmp_eq_u32_e64 s3, 0, v1
	v_mbcnt_lo_u32_b32 v52, -1, 0
	v_mov_b64_e32 v[36:37], 0
	s_mov_b32 s31, s27
	v_lshl_or_b32 v55, v52, 2, 64
	s_wait_kmcnt 0x0
	s_ashr_i32 s29, s28, 31
	s_ashr_i32 s43, s10, 31
	s_lshl_b64 s[8:9], s[8:9], 3
	s_lshl_b64 s[6:7], s[6:7], 3
	s_ashr_i32 s35, s13, 31
	s_cmp_gt_i32 s13, 0
	s_mov_b32 s42, s10
	s_cselect_b32 s25, -1, 0
	s_bfe_u32 s26, ttmp6, 0x4000c
	s_and_b32 s34, ttmp6, 15
	s_add_co_i32 s26, s26, 1
	s_and_b32 s62, s0, s25
	s_mul_i32 s26, ttmp9, s26
	v_cmp_eq_f64_e64 s63, s[14:15], 0
	s_add_co_i32 s34, s34, s26
	s_cmp_eq_u32 s11, 0
	s_add_nc_u64 s[4:5], s[4:5], s[6:7]
	s_cselect_b32 s26, ttmp9, s34
	s_ashr_i32 s6, s12, 31
	s_lshl_b32 s10, s26, 10
	s_lshr_b32 s6, s6, 30
	v_lshl_or_b32 v4, v0, 2, s10
	v_and_b32_e32 v54, 56, v3
	s_add_co_i32 s6, s12, s6
	s_lshr_b32 s7, s35, 30
	s_and_b32 s6, s6, -4
	v_dual_add_nc_u32 v3, 4, v4 :: v_dual_bitop2_b32 v10, 3, v4 bitop3:0x54
	v_dual_ashrrev_i32 v5, 31, v4 :: v_dual_bitop2_b32 v6, 1, v4 bitop3:0x54
	s_add_co_i32 s7, s13, s7
	s_delay_alu instid0(VALU_DEP_2) | instskip(NEXT) | instid1(VALU_DEP_2)
	v_dual_ashrrev_i32 v11, 31, v10 :: v_dual_bitop2_b32 v8, 2, v4 bitop3:0x54
	v_mul_u64_e32 v[0:1], s[42:43], v[4:5]
	s_delay_alu instid0(VALU_DEP_3) | instskip(SKIP_1) | instid1(VALU_DEP_3)
	v_ashrrev_i32_e32 v7, 31, v6
	s_sub_co_i32 s65, s12, s6
	v_mul_u64_e32 v[30:31], s[42:43], v[10:11]
	v_ashrrev_i32_e32 v9, 31, v8
	s_and_b32 s64, s7, -4
	v_mul_u64_e32 v[26:27], s[42:43], v[6:7]
	v_add_nc_u32_e32 v6, s65, v4
	s_cmp_gt_i32 s64, 0
	v_mul_u64_e32 v[28:29], s[42:43], v[8:9]
	s_add_nc_u64 s[10:11], s[18:19], s[8:9]
	s_mov_b32 s34, s13
	s_cselect_b32 s66, -1, 0
	s_cmp_gt_i32 s65, 0
	v_lshl_add_u64 v[32:33], v[4:5], 3, s[4:5]
	v_cmp_ge_i32_e64 s4, s12, v3
	v_cmp_ge_i32_e64 s5, s12, v6
	s_mul_u64 s[18:19], s[34:35], s[30:31]
	s_cselect_b32 s67, -1, 0
	s_lshl_b64 s[34:35], s[26:27], 3
	s_lshl_b64 s[36:37], s[18:19], 3
	;; [unrolled: 1-line block ×7, first 2 shown]
	s_add_nc_u64 s[48:49], s[22:23], s[34:35]
	s_lshl_b64 s[50:51], s[28:29], 3
	s_lshl_b64 s[52:53], s[28:29], 4
	s_mul_u64 s[54:55], s[28:29], 24
	v_lshl_add_u64 v[34:35], v[0:1], 3, s[10:11]
	s_branch .LBB93_3
.LBB93_2:                               ;   in Loop: Header=BB93_3 Depth=1
	s_add_co_i32 s24, s24, 0x10000
	s_delay_alu instid0(SALU_CYCLE_1)
	s_cmp_lt_u32 s24, s33
	s_cbranch_scc0 .LBB93_61
.LBB93_3:                               ; =>This Loop Header: Depth=1
                                        ;     Child Loop BB93_6 Depth 2
                                        ;     Child Loop BB93_12 Depth 2
                                        ;       Child Loop BB93_18 Depth 3
                                        ;       Child Loop BB93_21 Depth 3
	;; [unrolled: 1-line block ×3, first 2 shown]
                                        ;     Child Loop BB93_40 Depth 2
                                        ;       Child Loop BB93_53 Depth 3
                                        ;       Child Loop BB93_56 Depth 3
	s_mov_b32 s25, s27
	s_and_not1_b32 vcc_lo, exec_lo, s63
	s_mov_b32 s6, -1
	s_cbranch_vccnz .LBB93_8
; %bb.4:                                ;   in Loop: Header=BB93_3 Depth=1
	s_and_saveexec_b32 s8, s62
	s_cbranch_execz .LBB93_7
; %bb.5:                                ;   in Loop: Header=BB93_3 Depth=1
	s_mul_u64 s[6:7], s[36:37], s[24:25]
	s_mov_b32 s9, s13
	s_add_nc_u64 s[6:7], s[48:49], s[6:7]
.LBB93_6:                               ;   Parent Loop BB93_3 Depth=1
                                        ; =>  This Inner Loop Header: Depth=2
	s_add_co_i32 s9, s9, -1
	global_store_b64 v2, v[36:37], s[6:7]
	s_cmp_eq_u32 s9, 0
	s_wait_xcnt 0x0
	s_add_nc_u64 s[6:7], s[6:7], s[38:39]
	s_cbranch_scc0 .LBB93_6
.LBB93_7:                               ;   in Loop: Header=BB93_3 Depth=1
	s_or_b32 exec_lo, exec_lo, s8
	s_mov_b32 s6, 0
.LBB93_8:                               ;   in Loop: Header=BB93_3 Depth=1
	s_delay_alu instid0(SALU_CYCLE_1)
	s_and_not1_b32 vcc_lo, exec_lo, s6
	s_cbranch_vccnz .LBB93_2
; %bb.9:                                ;   in Loop: Header=BB93_3 Depth=1
	v_mad_nc_u64_u32 v[38:39], s40, s24, v[34:35]
	s_mul_u64 s[6:7], s[20:21], s[24:25]
	s_mul_u64 s[8:9], s[18:19], s[24:25]
	s_lshl_b64 s[6:7], s[6:7], 3
	s_mul_u64 s[56:57], s[16:17], s[24:25]
	s_add_nc_u64 s[6:7], s[10:11], s[6:7]
	s_lshl_b64 s[60:61], s[8:9], 3
	v_lshl_add_u64 v[40:41], s[56:57], 3, v[32:33]
	v_lshl_add_u64 v[42:43], v[0:1], 3, s[6:7]
	;; [unrolled: 1-line block ×4, first 2 shown]
	v_mad_u32 v39, s41, s24, v39
	v_lshl_add_u64 v[48:49], v[30:31], 3, s[6:7]
	v_cmp_gt_u32_e64 s9, 24, v52
	v_cmp_gt_u32_e64 s8, 28, v52
	;; [unrolled: 1-line block ×3, first 2 shown]
	v_cmp_ne_u32_e64 s6, 31, v52
	s_add_nc_u64 s[56:57], s[22:23], s[60:61]
	s_mul_u64 s[58:59], s[44:45], s[24:25]
	s_and_not1_b32 vcc_lo, exec_lo, s66
	s_add_nc_u64 s[56:57], s[56:57], s[34:35]
	s_cbranch_vccnz .LBB93_36
; %bb.10:                               ;   in Loop: Header=BB93_3 Depth=1
	v_cndmask_b32_e64 v10, 0, 8, s9
	v_cndmask_b32_e64 v11, 0, 4, s8
	;; [unrolled: 1-line block ×3, first 2 shown]
	v_add_co_ci_u32_e64 v13, null, 0, v52, s6
	s_wait_dscnt 0x0
	v_dual_mov_b32 v7, v2 :: v_dual_mov_b32 v8, v2
	s_delay_alu instid0(VALU_DEP_2)
	v_dual_mov_b32 v9, v2 :: v_dual_lshlrev_b32 v59, 2, v13
	v_dual_mov_b32 v3, v2 :: v_dual_mov_b32 v4, v2
	v_dual_mov_b32 v5, v2 :: v_dual_mov_b32 v6, v2
	v_add_lshl_u32 v56, v10, v52, 2
	v_add_lshl_u32 v57, v11, v52, 2
	;; [unrolled: 1-line block ×3, first 2 shown]
	v_mov_b64_e32 v[16:17], v[8:9]
	v_add_nc_u64_e32 v[50:51], s[58:59], v[32:33]
	v_mov_b64_e32 v[14:15], v[6:7]
	v_mov_b64_e32 v[12:13], v[4:5]
	;; [unrolled: 1-line block ×3, first 2 shown]
	s_mov_b32 s26, 0
	s_branch .LBB93_12
.LBB93_11:                              ;   in Loop: Header=BB93_12 Depth=2
	s_wait_xcnt 0x0
	s_or_b32 exec_lo, exec_lo, s6
	v_add_nc_u64_e32 v[50:51], s[46:47], v[50:51]
	s_add_co_i32 s26, s26, 4
	s_delay_alu instid0(SALU_CYCLE_1)
	s_cmp_ge_i32 s26, s64
	s_cbranch_scc1 .LBB93_37
.LBB93_12:                              ;   Parent Loop BB93_3 Depth=1
                                        ; =>  This Loop Header: Depth=2
                                        ;       Child Loop BB93_18 Depth 3
                                        ;       Child Loop BB93_21 Depth 3
	;; [unrolled: 1-line block ×3, first 2 shown]
                                        ; implicit-def: $vgpr18_vgpr19_vgpr20_vgpr21_vgpr22_vgpr23_vgpr24_vgpr25
	s_and_saveexec_b32 s6, s4
	s_delay_alu instid0(SALU_CYCLE_1)
	s_xor_b32 s6, exec_lo, s6
	s_cbranch_execz .LBB93_14
; %bb.13:                               ;   in Loop: Header=BB93_12 Depth=2
	s_or_b32 s8, s26, 1
	s_mov_b32 s9, s27
	s_mul_u64 s[60:61], s[26:27], s[28:29]
	s_mul_u64 s[8:9], s[8:9], s[28:29]
	v_lshl_add_u64 v[8:9], s[60:61], 3, v[40:41]
	v_lshl_add_u64 v[16:17], s[8:9], 3, v[40:41]
	s_or_b32 s8, s26, 2
	s_mov_b32 s9, s27
	s_or_b32 s60, s26, 3
	s_mov_b32 s61, s27
	s_mul_u64 s[8:9], s[8:9], s[28:29]
	s_mul_u64 s[60:61], s[60:61], s[28:29]
	v_lshl_add_u64 v[18:19], s[8:9], 3, v[40:41]
	v_lshl_add_u64 v[20:21], s[60:61], 3, v[40:41]
	global_load_b64 v[10:11], v[42:43], off
	s_clause 0x3
	global_load_b128 v[4:7], v[8:9], off
	global_load_b128 v[60:63], v[16:17], off
	;; [unrolled: 1-line block ×4, first 2 shown]
	global_load_b64 v[12:13], v[44:45], off
	global_load_b128 v[72:75], v[8:9], off offset:16
	global_load_b64 v[14:15], v[46:47], off
	s_clause 0x2
	global_load_b128 v[76:79], v[16:17], off offset:16
	global_load_b128 v[80:83], v[18:19], off offset:16
	;; [unrolled: 1-line block ×3, first 2 shown]
	global_load_b64 v[16:17], v[48:49], off
	s_wait_loadcnt 0xa
	s_wait_xcnt 0x2
	v_fma_f64 v[18:19], v[10:11], v[4:5], 0
	s_wait_loadcnt 0x9
	s_wait_xcnt 0x1
	v_fma_f64 v[20:21], v[10:11], v[60:61], 0
	s_wait_loadcnt 0x8
	v_fma_f64 v[22:23], v[10:11], v[64:65], 0
	s_wait_loadcnt 0x7
	;; [unrolled: 2-line block ×3, first 2 shown]
	s_delay_alu instid0(VALU_DEP_4) | instskip(NEXT) | instid1(VALU_DEP_4)
	v_fmac_f64_e32 v[18:19], v[12:13], v[6:7]
	v_fmac_f64_e32 v[20:21], v[12:13], v[62:63]
	s_delay_alu instid0(VALU_DEP_4) | instskip(NEXT) | instid1(VALU_DEP_4)
	v_fmac_f64_e32 v[22:23], v[12:13], v[66:67]
	v_fmac_f64_e32 v[24:25], v[12:13], v[70:71]
	s_wait_loadcnt 0x4
	s_delay_alu instid0(VALU_DEP_4) | instskip(SKIP_1) | instid1(VALU_DEP_4)
	v_fmac_f64_e32 v[18:19], v[14:15], v[72:73]
	s_wait_loadcnt 0x3
	v_fmac_f64_e32 v[20:21], v[14:15], v[76:77]
	s_wait_loadcnt 0x2
	s_delay_alu instid0(VALU_DEP_4) | instskip(SKIP_1) | instid1(VALU_DEP_4)
	v_fmac_f64_e32 v[22:23], v[14:15], v[80:81]
	s_wait_loadcnt 0x1
	v_fmac_f64_e32 v[24:25], v[14:15], v[84:85]
	s_wait_loadcnt 0x0
	s_delay_alu instid0(VALU_DEP_4) | instskip(NEXT) | instid1(VALU_DEP_4)
	v_fmac_f64_e32 v[18:19], v[16:17], v[74:75]
	v_fmac_f64_e32 v[20:21], v[16:17], v[78:79]
	s_delay_alu instid0(VALU_DEP_4) | instskip(NEXT) | instid1(VALU_DEP_4)
	v_fmac_f64_e32 v[22:23], v[16:17], v[82:83]
	v_fmac_f64_e32 v[24:25], v[16:17], v[86:87]
.LBB93_14:                              ;   in Loop: Header=BB93_12 Depth=2
	s_wait_xcnt 0x0
	s_and_not1_saveexec_b32 s12, s6
	s_cbranch_execz .LBB93_24
; %bb.15:                               ;   in Loop: Header=BB93_12 Depth=2
	v_dual_mov_b32 v7, v2 :: v_dual_mov_b32 v8, v2
	v_dual_mov_b32 v9, v2 :: v_dual_mov_b32 v3, v2
	;; [unrolled: 1-line block ×3, first 2 shown]
	v_mov_b32_e32 v6, v2
	s_delay_alu instid0(VALU_DEP_3) | instskip(NEXT) | instid1(VALU_DEP_4)
	v_mov_b64_e32 v[24:25], v[8:9]
	v_mov_b64_e32 v[18:19], v[2:3]
	s_delay_alu instid0(VALU_DEP_4) | instskip(NEXT) | instid1(VALU_DEP_4)
	v_mov_b64_e32 v[20:21], v[4:5]
	v_mov_b64_e32 v[22:23], v[6:7]
	s_and_saveexec_b32 s25, s5
	s_cbranch_execz .LBB93_23
; %bb.16:                               ;   in Loop: Header=BB93_12 Depth=2
	s_and_not1_b32 vcc_lo, exec_lo, s67
	s_cbranch_vccnz .LBB93_19
; %bb.17:                               ;   in Loop: Header=BB93_12 Depth=2
	v_mov_b64_e32 v[4:5], v[38:39]
	s_mov_b64 s[60:61], 0
.LBB93_18:                              ;   Parent Loop BB93_3 Depth=1
                                        ;     Parent Loop BB93_12 Depth=2
                                        ; =>    This Inner Loop Header: Depth=3
	global_load_b64 v[6:7], v[4:5], off
	s_cmp_eq_u32 s60, 3
	s_wait_xcnt 0x0
	v_add_nc_u64_e32 v[4:5], s[42:43], v[4:5]
	s_cselect_b32 vcc_lo, -1, 0
	s_cmp_eq_u32 s60, 2
	s_cselect_b32 s6, -1, 0
	s_cmp_eq_u32 s60, 1
	s_cselect_b32 s7, -1, 0
	s_cmp_eq_u32 s60, 0
	s_add_nc_u64 s[60:61], s[60:61], 1
	s_cselect_b32 s8, -1, 0
	s_cmp_eq_u32 s65, s60
	s_wait_loadcnt 0x0
	v_dual_cndmask_b32 v17, v17, v7 :: v_dual_cndmask_b32 v16, v16, v6
	v_dual_cndmask_b32 v15, v15, v7, s6 :: v_dual_cndmask_b32 v14, v14, v6, s6
	v_dual_cndmask_b32 v13, v13, v7, s7 :: v_dual_cndmask_b32 v12, v12, v6, s7
	;; [unrolled: 1-line block ×3, first 2 shown]
	s_cbranch_scc0 .LBB93_18
.LBB93_19:                              ;   in Loop: Header=BB93_12 Depth=2
	s_and_not1_b32 vcc_lo, exec_lo, s67
	s_cbranch_vccnz .LBB93_22
; %bb.20:                               ;   in Loop: Header=BB93_12 Depth=2
	v_mov_b64_e32 v[18:19], 0
	v_mov_b64_e32 v[20:21], 0
	v_mov_b64_e32 v[22:23], 0
	v_mov_b64_e32 v[24:25], 0
	v_mov_b64_e32 v[4:5], v[50:51]
	s_mov_b64 s[8:9], 0
.LBB93_21:                              ;   Parent Loop BB93_3 Depth=1
                                        ;     Parent Loop BB93_12 Depth=2
                                        ; =>    This Inner Loop Header: Depth=3
	s_wait_xcnt 0x2
	s_delay_alu instid0(VALU_DEP_1)
	v_add_nc_u64_e32 v[6:7], s[50:51], v[4:5]
	s_wait_xcnt 0x1
	v_add_nc_u64_e32 v[8:9], s[52:53], v[4:5]
	s_wait_xcnt 0x0
	v_add_nc_u64_e32 v[60:61], s[54:55], v[4:5]
	s_cmp_eq_u32 s8, 1
	s_clause 0x3
	global_load_b64 v[62:63], v[4:5], off
	global_load_b64 v[6:7], v[6:7], off
	;; [unrolled: 1-line block ×4, first 2 shown]
	s_cselect_b32 vcc_lo, -1, 0
	s_cmp_eq_u32 s8, 2
	v_dual_cndmask_b32 v3, v11, v13 :: v_dual_cndmask_b32 v64, v10, v12
	s_cselect_b32 vcc_lo, -1, 0
	s_cmp_eq_u32 s8, 3
	s_wait_xcnt 0x3
	v_add_nc_u64_e32 v[4:5], 8, v[4:5]
	v_dual_cndmask_b32 v3, v3, v15 :: v_dual_cndmask_b32 v64, v64, v14
	s_cselect_b32 s6, -1, 0
	s_add_nc_u64 s[8:9], s[8:9], 1
	s_delay_alu instid0(VALU_DEP_1) | instskip(SKIP_2) | instid1(VALU_DEP_1)
	v_dual_cndmask_b32 v65, v3, v17, s6 :: v_dual_cndmask_b32 v64, v64, v16, s6
	s_cmp_lg_u32 s65, s8
	s_wait_loadcnt 0x3
	v_fmac_f64_e32 v[18:19], v[64:65], v[62:63]
	s_wait_loadcnt 0x2
	v_fmac_f64_e32 v[20:21], v[64:65], v[6:7]
	;; [unrolled: 2-line block ×4, first 2 shown]
	s_cbranch_scc1 .LBB93_21
	s_branch .LBB93_23
.LBB93_22:                              ;   in Loop: Header=BB93_12 Depth=2
	v_dual_mov_b32 v7, v2 :: v_dual_mov_b32 v8, v2
	v_dual_mov_b32 v9, v2 :: v_dual_mov_b32 v3, v2
	;; [unrolled: 1-line block ×3, first 2 shown]
	v_mov_b32_e32 v6, v2
	s_delay_alu instid0(VALU_DEP_3) | instskip(NEXT) | instid1(VALU_DEP_4)
	v_mov_b64_e32 v[24:25], v[8:9]
	v_mov_b64_e32 v[18:19], v[2:3]
	s_delay_alu instid0(VALU_DEP_4) | instskip(NEXT) | instid1(VALU_DEP_4)
	v_mov_b64_e32 v[20:21], v[4:5]
	v_mov_b64_e32 v[22:23], v[6:7]
.LBB93_23:                              ;   in Loop: Header=BB93_12 Depth=2
	s_wait_xcnt 0x0
	s_or_b32 exec_lo, exec_lo, s25
.LBB93_24:                              ;   in Loop: Header=BB93_12 Depth=2
	s_delay_alu instid0(SALU_CYCLE_1)
	s_or_b32 exec_lo, exec_lo, s12
	s_mov_b64 s[6:7], 0
	s_branch .LBB93_26
.LBB93_25:                              ;   in Loop: Header=BB93_26 Depth=3
	s_or_b32 exec_lo, exec_lo, s8
	s_cmp_eq_u32 s6, 3
	s_cselect_b32 vcc_lo, -1, 0
	s_cmp_eq_u32 s6, 2
	s_wait_dscnt 0x0
	s_delay_alu instid0(VALU_DEP_1)
	v_dual_cndmask_b32 v25, v25, v5 :: v_dual_cndmask_b32 v24, v24, v4
	s_cselect_b32 vcc_lo, -1, 0
	s_cmp_eq_u32 s6, 1
	v_dual_cndmask_b32 v23, v23, v5 :: v_dual_cndmask_b32 v22, v22, v4
	s_cselect_b32 vcc_lo, -1, 0
	s_cmp_eq_u32 s6, 0
	v_dual_cndmask_b32 v21, v21, v5 :: v_dual_cndmask_b32 v20, v20, v4
	s_cselect_b32 vcc_lo, -1, 0
	s_add_nc_u64 s[6:7], s[6:7], 1
	v_dual_cndmask_b32 v19, v19, v5 :: v_dual_cndmask_b32 v18, v18, v4
	s_cmp_eq_u32 s6, 4
	s_cbranch_scc1 .LBB93_34
.LBB93_26:                              ;   Parent Loop BB93_3 Depth=1
                                        ;     Parent Loop BB93_12 Depth=2
                                        ; =>    This Inner Loop Header: Depth=3
	s_and_saveexec_b32 s8, s1
; %bb.27:                               ;   in Loop: Header=BB93_26 Depth=3
	ds_store_b64 v53, v[36:37]
; %bb.28:                               ;   in Loop: Header=BB93_26 Depth=3
	s_or_b32 exec_lo, exec_lo, s8
	s_cmp_eq_u32 s6, 1
	s_wait_storecnt_dscnt 0x0
	s_cselect_b32 vcc_lo, -1, 0
	s_cmp_eq_u32 s6, 2
	v_dual_cndmask_b32 v3, v19, v21 :: v_dual_cndmask_b32 v4, v18, v20
	s_cselect_b32 vcc_lo, -1, 0
	s_cmp_eq_u32 s6, 3
	s_barrier_signal -1
	s_delay_alu instid0(VALU_DEP_1) | instskip(SKIP_2) | instid1(VALU_DEP_1)
	v_dual_cndmask_b32 v3, v3, v23 :: v_dual_cndmask_b32 v4, v4, v22
	s_cselect_b32 vcc_lo, -1, 0
	s_barrier_wait -1
	v_dual_cndmask_b32 v5, v3, v25 :: v_dual_cndmask_b32 v4, v4, v24
	ds_bpermute_b32 v7, v55, v5
	ds_bpermute_b32 v6, v55, v4
	s_wait_dscnt 0x0
	v_add_f64_e32 v[4:5], v[4:5], v[6:7]
	ds_bpermute_b32 v6, v56, v4
	ds_bpermute_b32 v7, v56, v5
	s_wait_dscnt 0x0
	v_add_f64_e32 v[4:5], v[4:5], v[6:7]
	;; [unrolled: 4-line block ×4, first 2 shown]
	ds_bpermute_b32 v6, v59, v4
	ds_bpermute_b32 v7, v59, v5
	s_and_saveexec_b32 s8, s3
	s_cbranch_execz .LBB93_30
; %bb.29:                               ;   in Loop: Header=BB93_26 Depth=3
	s_wait_dscnt 0x0
	v_add_f64_e32 v[4:5], v[4:5], v[6:7]
	ds_store_b64 v54, v[4:5]
.LBB93_30:                              ;   in Loop: Header=BB93_26 Depth=3
	s_or_b32 exec_lo, exec_lo, s8
	v_mov_b64_e32 v[4:5], 0
	s_wait_dscnt 0x0
	s_barrier_signal -1
	s_barrier_wait -1
	s_and_saveexec_b32 s8, s2
; %bb.31:                               ;   in Loop: Header=BB93_26 Depth=3
	ds_load_b64 v[4:5], v53
; %bb.32:                               ;   in Loop: Header=BB93_26 Depth=3
	s_or_b32 exec_lo, exec_lo, s8
	s_and_saveexec_b32 s8, s1
	s_cbranch_execz .LBB93_25
; %bb.33:                               ;   in Loop: Header=BB93_26 Depth=3
	s_wait_dscnt 0x0
	ds_bpermute_b32 v6, v57, v4
	ds_bpermute_b32 v7, v57, v5
	s_wait_dscnt 0x0
	v_add_f64_e32 v[4:5], v[4:5], v[6:7]
	ds_bpermute_b32 v6, v58, v4
	ds_bpermute_b32 v7, v58, v5
	s_wait_dscnt 0x0
	v_add_f64_e32 v[4:5], v[4:5], v[6:7]
	;; [unrolled: 4-line block ×3, first 2 shown]
	s_branch .LBB93_25
.LBB93_34:                              ;   in Loop: Header=BB93_12 Depth=2
	s_and_saveexec_b32 s6, s0
	s_cbranch_execz .LBB93_11
; %bb.35:                               ;   in Loop: Header=BB93_12 Depth=2
	v_mul_f64_e32 v[4:5], s[14:15], v[18:19]
	v_mul_f64_e32 v[6:7], s[14:15], v[20:21]
	;; [unrolled: 1-line block ×4, first 2 shown]
	s_or_b32 s60, s26, 1
	s_mov_b32 s61, s27
	s_mul_u64 s[8:9], s[26:27], s[30:31]
	s_or_b32 s68, s26, 2
	s_mov_b32 s69, s27
	s_or_b32 s70, s26, 3
	s_mov_b32 s71, s27
	s_mul_u64 s[60:61], s[60:61], s[30:31]
	s_lshl_b64 s[8:9], s[8:9], 3
	s_mul_u64 s[68:69], s[68:69], s[30:31]
	s_mul_u64 s[70:71], s[70:71], s[30:31]
	s_lshl_b64 s[60:61], s[60:61], 3
	s_add_nc_u64 s[8:9], s[56:57], s[8:9]
	s_lshl_b64 s[68:69], s[68:69], 3
	s_lshl_b64 s[70:71], s[70:71], 3
	s_add_nc_u64 s[60:61], s[56:57], s[60:61]
	s_add_nc_u64 s[68:69], s[56:57], s[68:69]
	;; [unrolled: 1-line block ×3, first 2 shown]
	s_clause 0x3
	global_store_b64 v2, v[4:5], s[8:9]
	global_store_b64 v2, v[6:7], s[60:61]
	;; [unrolled: 1-line block ×4, first 2 shown]
	s_branch .LBB93_11
.LBB93_36:                              ;   in Loop: Header=BB93_3 Depth=1
	s_wait_dscnt 0x0
	v_dual_mov_b32 v7, v2 :: v_dual_mov_b32 v8, v2
	v_dual_mov_b32 v9, v2 :: v_dual_mov_b32 v3, v2
	v_dual_mov_b32 v4, v2 :: v_dual_mov_b32 v5, v2
	v_mov_b32_e32 v6, v2
	s_delay_alu instid0(VALU_DEP_3) | instskip(NEXT) | instid1(VALU_DEP_4)
	v_mov_b64_e32 v[16:17], v[8:9]
	v_mov_b64_e32 v[10:11], v[2:3]
	s_mov_b32 s26, 0
	v_mov_b64_e32 v[12:13], v[4:5]
	v_mov_b64_e32 v[14:15], v[6:7]
.LBB93_37:                              ;   in Loop: Header=BB93_3 Depth=1
	s_cmp_ge_i32 s26, s13
	s_cbranch_scc1 .LBB93_2
; %bb.38:                               ;   in Loop: Header=BB93_3 Depth=1
	v_cmp_gt_u32_e32 vcc_lo, 24, v52
	s_mul_u64 s[6:7], s[50:51], s[26:27]
	s_delay_alu instid0(SALU_CYCLE_1) | instskip(SKIP_2) | instid1(VALU_DEP_2)
	s_add_nc_u64 s[6:7], s[6:7], s[58:59]
	v_cndmask_b32_e64 v3, 0, 8, vcc_lo
	v_cmp_gt_u32_e32 vcc_lo, 28, v52
	v_add_lshl_u32 v3, v3, v52, 2
	v_cndmask_b32_e64 v4, 0, 4, vcc_lo
	v_cmp_gt_u32_e32 vcc_lo, 30, v52
	s_delay_alu instid0(VALU_DEP_2) | instskip(SKIP_3) | instid1(VALU_DEP_3)
	v_add_lshl_u32 v18, v4, v52, 2
	v_cndmask_b32_e64 v6, 0, 2, vcc_lo
	v_cmp_ne_u32_e32 vcc_lo, 31, v52
	v_add_nc_u64_e32 v[4:5], s[6:7], v[32:33]
	v_add_lshl_u32 v19, v6, v52, 2
	v_add_co_ci_u32_e64 v7, null, 0, v52, vcc_lo
	s_delay_alu instid0(VALU_DEP_1)
	v_lshlrev_b32_e32 v20, 2, v7
	s_branch .LBB93_40
.LBB93_39:                              ;   in Loop: Header=BB93_40 Depth=2
	s_wait_xcnt 0x0
	s_or_b32 exec_lo, exec_lo, s6
	v_add_nc_u64_e32 v[4:5], s[50:51], v[4:5]
	s_add_co_i32 s26, s26, 1
	s_delay_alu instid0(SALU_CYCLE_1)
	s_cmp_ge_i32 s26, s13
	s_cbranch_scc1 .LBB93_2
.LBB93_40:                              ;   Parent Loop BB93_3 Depth=1
                                        ; =>  This Loop Header: Depth=2
                                        ;       Child Loop BB93_53 Depth 3
                                        ;       Child Loop BB93_56 Depth 3
	s_wait_dscnt 0x0
	v_dual_mov_b32 v6, s27 :: v_dual_mov_b32 v7, s27
	s_and_saveexec_b32 s6, s4
	s_delay_alu instid0(SALU_CYCLE_1)
	s_xor_b32 s6, exec_lo, s6
	s_cbranch_execnz .LBB93_49
; %bb.41:                               ;   in Loop: Header=BB93_40 Depth=2
	s_and_not1_saveexec_b32 s9, s6
	s_cbranch_execnz .LBB93_50
.LBB93_42:                              ;   in Loop: Header=BB93_40 Depth=2
	s_or_b32 exec_lo, exec_lo, s9
	s_and_saveexec_b32 s6, s1
.LBB93_43:                              ;   in Loop: Header=BB93_40 Depth=2
	ds_store_b64 v53, v[36:37]
.LBB93_44:                              ;   in Loop: Header=BB93_40 Depth=2
	s_or_b32 exec_lo, exec_lo, s6
	ds_bpermute_b32 v8, v55, v6
	ds_bpermute_b32 v9, v55, v7
	s_wait_storecnt_dscnt 0x0
	s_barrier_signal -1
	s_barrier_wait -1
	v_add_f64_e32 v[6:7], v[6:7], v[8:9]
	ds_bpermute_b32 v8, v3, v6
	ds_bpermute_b32 v9, v3, v7
	s_wait_dscnt 0x0
	v_add_f64_e32 v[6:7], v[6:7], v[8:9]
	ds_bpermute_b32 v8, v18, v6
	ds_bpermute_b32 v9, v18, v7
	s_wait_dscnt 0x0
	;; [unrolled: 4-line block ×3, first 2 shown]
	v_add_f64_e32 v[6:7], v[6:7], v[8:9]
	ds_bpermute_b32 v8, v20, v6
	ds_bpermute_b32 v9, v20, v7
	s_and_saveexec_b32 s6, s3
	s_cbranch_execz .LBB93_46
; %bb.45:                               ;   in Loop: Header=BB93_40 Depth=2
	s_wait_dscnt 0x0
	v_add_f64_e32 v[6:7], v[6:7], v[8:9]
	ds_store_b64 v54, v[6:7]
.LBB93_46:                              ;   in Loop: Header=BB93_40 Depth=2
	s_or_b32 exec_lo, exec_lo, s6
	v_mov_b64_e32 v[6:7], 0
	s_wait_dscnt 0x0
	s_barrier_signal -1
	s_barrier_wait -1
	s_and_saveexec_b32 s6, s2
	s_cbranch_execnz .LBB93_58
; %bb.47:                               ;   in Loop: Header=BB93_40 Depth=2
	s_or_b32 exec_lo, exec_lo, s6
	s_and_saveexec_b32 s6, s1
	s_cbranch_execnz .LBB93_59
.LBB93_48:                              ;   in Loop: Header=BB93_40 Depth=2
	s_or_b32 exec_lo, exec_lo, s6
	s_and_saveexec_b32 s6, s0
	s_cbranch_execz .LBB93_39
	s_branch .LBB93_60
.LBB93_49:                              ;   in Loop: Header=BB93_40 Depth=2
	s_mul_u64 s[8:9], s[26:27], s[28:29]
	s_delay_alu instid0(SALU_CYCLE_1)
	v_lshl_add_u64 v[14:15], s[8:9], 3, v[40:41]
	global_load_b128 v[6:9], v[14:15], off
	s_clause 0x1
	global_load_b64 v[10:11], v[42:43], off
	global_load_b64 v[12:13], v[44:45], off
	global_load_b128 v[22:25], v[14:15], off offset:16
	s_clause 0x1
	global_load_b64 v[14:15], v[46:47], off
	global_load_b64 v[16:17], v[48:49], off
	s_wait_loadcnt 0x4
	v_fma_f64 v[6:7], v[10:11], v[6:7], 0
	s_wait_loadcnt 0x3
	s_delay_alu instid0(VALU_DEP_1) | instskip(SKIP_1) | instid1(VALU_DEP_1)
	v_fmac_f64_e32 v[6:7], v[12:13], v[8:9]
	s_wait_loadcnt 0x1
	v_fmac_f64_e32 v[6:7], v[14:15], v[22:23]
	s_wait_loadcnt 0x0
	s_delay_alu instid0(VALU_DEP_1)
	v_fmac_f64_e32 v[6:7], v[16:17], v[24:25]
	s_wait_xcnt 0x0
	s_and_not1_saveexec_b32 s9, s6
	s_cbranch_execz .LBB93_42
.LBB93_50:                              ;   in Loop: Header=BB93_40 Depth=2
	s_and_saveexec_b32 s12, s5
	s_cbranch_execz .LBB93_57
; %bb.51:                               ;   in Loop: Header=BB93_40 Depth=2
	s_and_not1_b32 vcc_lo, exec_lo, s67
	s_cbranch_vccnz .LBB93_54
; %bb.52:                               ;   in Loop: Header=BB93_40 Depth=2
	v_mov_b64_e32 v[8:9], v[38:39]
	s_mov_b64 s[58:59], 0
.LBB93_53:                              ;   Parent Loop BB93_3 Depth=1
                                        ;     Parent Loop BB93_40 Depth=2
                                        ; =>    This Inner Loop Header: Depth=3
	global_load_b64 v[22:23], v[8:9], off
	s_cmp_eq_u32 s58, 3
	s_wait_xcnt 0x0
	v_add_nc_u64_e32 v[8:9], s[42:43], v[8:9]
	s_cselect_b32 vcc_lo, -1, 0
	s_cmp_eq_u32 s58, 2
	s_cselect_b32 s6, -1, 0
	s_cmp_eq_u32 s58, 1
	s_cselect_b32 s7, -1, 0
	s_cmp_eq_u32 s58, 0
	s_add_nc_u64 s[58:59], s[58:59], 1
	s_cselect_b32 s8, -1, 0
	s_cmp_eq_u32 s65, s58
	s_wait_loadcnt 0x0
	v_dual_cndmask_b32 v17, v17, v23 :: v_dual_cndmask_b32 v16, v16, v22
	v_dual_cndmask_b32 v15, v15, v23, s6 :: v_dual_cndmask_b32 v14, v14, v22, s6
	v_dual_cndmask_b32 v13, v13, v23, s7 :: v_dual_cndmask_b32 v12, v12, v22, s7
	;; [unrolled: 1-line block ×3, first 2 shown]
	s_cbranch_scc0 .LBB93_53
.LBB93_54:                              ;   in Loop: Header=BB93_40 Depth=2
	s_and_not1_b32 vcc_lo, exec_lo, s67
	s_cbranch_vccnz .LBB93_57
; %bb.55:                               ;   in Loop: Header=BB93_40 Depth=2
	v_mov_b64_e32 v[8:9], v[4:5]
	s_mov_b64 s[6:7], 0
.LBB93_56:                              ;   Parent Loop BB93_3 Depth=1
                                        ;     Parent Loop BB93_40 Depth=2
                                        ; =>    This Inner Loop Header: Depth=3
	global_load_b64 v[22:23], v[8:9], off
	s_cmp_eq_u32 s6, 1
	s_wait_xcnt 0x0
	v_add_nc_u64_e32 v[8:9], 8, v[8:9]
	s_cselect_b32 vcc_lo, -1, 0
	s_cmp_eq_u32 s6, 2
	v_dual_cndmask_b32 v21, v11, v13 :: v_dual_cndmask_b32 v24, v10, v12
	s_cselect_b32 vcc_lo, -1, 0
	s_cmp_eq_u32 s6, 3
	s_add_nc_u64 s[6:7], s[6:7], 1
	s_delay_alu instid0(VALU_DEP_1) | instskip(SKIP_2) | instid1(VALU_DEP_1)
	v_dual_cndmask_b32 v21, v21, v15 :: v_dual_cndmask_b32 v24, v24, v14
	s_cselect_b32 vcc_lo, -1, 0
	s_cmp_lg_u32 s65, s6
	v_dual_cndmask_b32 v25, v21, v17 :: v_dual_cndmask_b32 v24, v24, v16
	s_wait_loadcnt 0x0
	s_delay_alu instid0(VALU_DEP_1)
	v_fmac_f64_e32 v[6:7], v[24:25], v[22:23]
	s_cbranch_scc1 .LBB93_56
.LBB93_57:                              ;   in Loop: Header=BB93_40 Depth=2
	s_or_b32 exec_lo, exec_lo, s12
	s_delay_alu instid0(SALU_CYCLE_1)
	s_or_b32 exec_lo, exec_lo, s9
	s_and_saveexec_b32 s6, s1
	s_cbranch_execnz .LBB93_43
	s_branch .LBB93_44
.LBB93_58:                              ;   in Loop: Header=BB93_40 Depth=2
	ds_load_b64 v[6:7], v53
	s_or_b32 exec_lo, exec_lo, s6
	s_and_saveexec_b32 s6, s1
	s_cbranch_execz .LBB93_48
.LBB93_59:                              ;   in Loop: Header=BB93_40 Depth=2
	s_wait_dscnt 0x0
	ds_bpermute_b32 v8, v18, v6
	ds_bpermute_b32 v9, v18, v7
	s_wait_dscnt 0x0
	v_add_f64_e32 v[6:7], v[6:7], v[8:9]
	ds_bpermute_b32 v8, v19, v6
	ds_bpermute_b32 v9, v19, v7
	s_wait_dscnt 0x0
	v_add_f64_e32 v[6:7], v[6:7], v[8:9]
	;; [unrolled: 4-line block ×3, first 2 shown]
	s_or_b32 exec_lo, exec_lo, s6
	s_and_saveexec_b32 s6, s0
	s_cbranch_execz .LBB93_39
.LBB93_60:                              ;   in Loop: Header=BB93_40 Depth=2
	s_wait_dscnt 0x0
	s_delay_alu instid0(VALU_DEP_1) | instskip(SKIP_1) | instid1(SALU_CYCLE_1)
	v_mul_f64_e32 v[6:7], s[14:15], v[6:7]
	s_mul_u64 s[8:9], s[26:27], s[30:31]
	s_lshl_b64 s[8:9], s[8:9], 3
	s_delay_alu instid0(SALU_CYCLE_1)
	s_add_nc_u64 s[8:9], s[56:57], s[8:9]
	global_store_b64 v2, v[6:7], s[8:9]
	s_branch .LBB93_39
.LBB93_61:
	s_sendmsg sendmsg(MSG_DEALLOC_VGPRS)
	s_endpgm
	.section	.rodata,"a",@progbits
	.p2align	6, 0x0
	.amdhsa_kernel _ZL23rocblas_gemvt_sn_kernelILb1ELi256ELi4EldddEviiT4_lPKT3_lilS3_lilPT5_i
		.amdhsa_group_segment_fixed_size 256
		.amdhsa_private_segment_fixed_size 0
		.amdhsa_kernarg_size 360
		.amdhsa_user_sgpr_count 2
		.amdhsa_user_sgpr_dispatch_ptr 0
		.amdhsa_user_sgpr_queue_ptr 0
		.amdhsa_user_sgpr_kernarg_segment_ptr 1
		.amdhsa_user_sgpr_dispatch_id 0
		.amdhsa_user_sgpr_kernarg_preload_length 0
		.amdhsa_user_sgpr_kernarg_preload_offset 0
		.amdhsa_user_sgpr_private_segment_size 0
		.amdhsa_wavefront_size32 1
		.amdhsa_uses_dynamic_stack 0
		.amdhsa_enable_private_segment 0
		.amdhsa_system_sgpr_workgroup_id_x 1
		.amdhsa_system_sgpr_workgroup_id_y 0
		.amdhsa_system_sgpr_workgroup_id_z 1
		.amdhsa_system_sgpr_workgroup_info 0
		.amdhsa_system_vgpr_workitem_id 0
		.amdhsa_next_free_vgpr 88
		.amdhsa_next_free_sgpr 72
		.amdhsa_named_barrier_count 0
		.amdhsa_reserve_vcc 1
		.amdhsa_float_round_mode_32 0
		.amdhsa_float_round_mode_16_64 0
		.amdhsa_float_denorm_mode_32 3
		.amdhsa_float_denorm_mode_16_64 3
		.amdhsa_fp16_overflow 0
		.amdhsa_memory_ordered 1
		.amdhsa_forward_progress 1
		.amdhsa_inst_pref_size 27
		.amdhsa_round_robin_scheduling 0
		.amdhsa_exception_fp_ieee_invalid_op 0
		.amdhsa_exception_fp_denorm_src 0
		.amdhsa_exception_fp_ieee_div_zero 0
		.amdhsa_exception_fp_ieee_overflow 0
		.amdhsa_exception_fp_ieee_underflow 0
		.amdhsa_exception_fp_ieee_inexact 0
		.amdhsa_exception_int_div_zero 0
	.end_amdhsa_kernel
	.section	.text._ZL23rocblas_gemvt_sn_kernelILb1ELi256ELi4EldddEviiT4_lPKT3_lilS3_lilPT5_i,"axG",@progbits,_ZL23rocblas_gemvt_sn_kernelILb1ELi256ELi4EldddEviiT4_lPKT3_lilS3_lilPT5_i,comdat
.Lfunc_end93:
	.size	_ZL23rocblas_gemvt_sn_kernelILb1ELi256ELi4EldddEviiT4_lPKT3_lilS3_lilPT5_i, .Lfunc_end93-_ZL23rocblas_gemvt_sn_kernelILb1ELi256ELi4EldddEviiT4_lPKT3_lilS3_lilPT5_i
                                        ; -- End function
	.set _ZL23rocblas_gemvt_sn_kernelILb1ELi256ELi4EldddEviiT4_lPKT3_lilS3_lilPT5_i.num_vgpr, 88
	.set _ZL23rocblas_gemvt_sn_kernelILb1ELi256ELi4EldddEviiT4_lPKT3_lilS3_lilPT5_i.num_agpr, 0
	.set _ZL23rocblas_gemvt_sn_kernelILb1ELi256ELi4EldddEviiT4_lPKT3_lilS3_lilPT5_i.numbered_sgpr, 72
	.set _ZL23rocblas_gemvt_sn_kernelILb1ELi256ELi4EldddEviiT4_lPKT3_lilS3_lilPT5_i.num_named_barrier, 0
	.set _ZL23rocblas_gemvt_sn_kernelILb1ELi256ELi4EldddEviiT4_lPKT3_lilS3_lilPT5_i.private_seg_size, 0
	.set _ZL23rocblas_gemvt_sn_kernelILb1ELi256ELi4EldddEviiT4_lPKT3_lilS3_lilPT5_i.uses_vcc, 1
	.set _ZL23rocblas_gemvt_sn_kernelILb1ELi256ELi4EldddEviiT4_lPKT3_lilS3_lilPT5_i.uses_flat_scratch, 0
	.set _ZL23rocblas_gemvt_sn_kernelILb1ELi256ELi4EldddEviiT4_lPKT3_lilS3_lilPT5_i.has_dyn_sized_stack, 0
	.set _ZL23rocblas_gemvt_sn_kernelILb1ELi256ELi4EldddEviiT4_lPKT3_lilS3_lilPT5_i.has_recursion, 0
	.set _ZL23rocblas_gemvt_sn_kernelILb1ELi256ELi4EldddEviiT4_lPKT3_lilS3_lilPT5_i.has_indirect_call, 0
	.section	.AMDGPU.csdata,"",@progbits
; Kernel info:
; codeLenInByte = 3440
; TotalNumSgprs: 74
; NumVgprs: 88
; ScratchSize: 0
; MemoryBound: 1
; FloatMode: 240
; IeeeMode: 1
; LDSByteSize: 256 bytes/workgroup (compile time only)
; SGPRBlocks: 0
; VGPRBlocks: 5
; NumSGPRsForWavesPerEU: 74
; NumVGPRsForWavesPerEU: 88
; NamedBarCnt: 0
; Occupancy: 10
; WaveLimiterHint : 0
; COMPUTE_PGM_RSRC2:SCRATCH_EN: 0
; COMPUTE_PGM_RSRC2:USER_SGPR: 2
; COMPUTE_PGM_RSRC2:TRAP_HANDLER: 0
; COMPUTE_PGM_RSRC2:TGID_X_EN: 1
; COMPUTE_PGM_RSRC2:TGID_Y_EN: 0
; COMPUTE_PGM_RSRC2:TGID_Z_EN: 1
; COMPUTE_PGM_RSRC2:TIDIG_COMP_CNT: 0
	.section	.text._ZL36rocblas_gemvt_double_buffered_kernelILb1ELi128ELi4ELi16EdPKddEviiT4_lPKT3_lilS5_lilPT5_lili,"axG",@progbits,_ZL36rocblas_gemvt_double_buffered_kernelILb1ELi128ELi4ELi16EdPKddEviiT4_lPKT3_lilS5_lilPT5_lili,comdat
	.globl	_ZL36rocblas_gemvt_double_buffered_kernelILb1ELi128ELi4ELi16EdPKddEviiT4_lPKT3_lilS5_lilPT5_lili ; -- Begin function _ZL36rocblas_gemvt_double_buffered_kernelILb1ELi128ELi4ELi16EdPKddEviiT4_lPKT3_lilS5_lilPT5_lili
	.p2align	8
	.type	_ZL36rocblas_gemvt_double_buffered_kernelILb1ELi128ELi4ELi16EdPKddEviiT4_lPKT3_lilS5_lilPT5_lili,@function
_ZL36rocblas_gemvt_double_buffered_kernelILb1ELi128ELi4ELi16EdPKddEviiT4_lPKT3_lilS5_lilPT5_lili: ; @_ZL36rocblas_gemvt_double_buffered_kernelILb1ELi128ELi4ELi16EdPKddEviiT4_lPKT3_lilS5_lilPT5_lili
; %bb.0:
	s_load_b32 s33, s[0:1], 0x78
	s_bfe_u32 s2, ttmp6, 0x40014
	s_lshr_b32 s3, ttmp7, 16
	s_add_co_i32 s2, s2, 1
	s_bfe_u32 s4, ttmp6, 0x40008
	s_mul_i32 s2, s3, s2
	s_getreg_b32 s26, hwreg(HW_REG_IB_STS2, 6, 4)
	s_add_co_i32 s4, s4, s2
	s_cmp_eq_u32 s26, 0
	s_cselect_b32 s2, s3, s4
	s_mov_b32 s3, 0
	s_wait_kmcnt 0x0
	s_cmp_ge_u32 s2, s33
	s_cbranch_scc1 .LBB94_15
; %bb.1:
	s_clause 0x7
	s_load_b32 s30, s[0:1], 0x28
	s_load_b96 s[20:22], s[0:1], 0x40
	s_load_b96 s[36:38], s[0:1], 0x60
	s_load_b32 s27, s[0:1], 0x0
	s_load_b256 s[4:11], s[0:1], 0x8
	s_load_b128 s[16:19], s[0:1], 0x50
	s_load_b128 s[12:15], s[0:1], 0x30
	s_load_b64 s[24:25], s[0:1], 0x70
	v_and_b32_e32 v8, 0x3ff, v0
	v_bfe_u32 v1, v0, 10, 10
	s_bfe_u32 s28, ttmp6, 0x40010
	s_bfe_u32 s23, ttmp6, 0x4000c
	s_add_co_i32 s43, s28, 1
	s_and_b32 s41, ttmp7, 0xffff
	v_lshl_add_u32 v4, v1, 7, v8
	s_add_co_i32 s42, s23, 1
	s_and_b32 s40, ttmp6, 15
	v_dual_mov_b32 v3, 0 :: v_dual_lshlrev_b32 v42, 9, v8
	s_delay_alu instid0(VALU_DEP_2)
	v_lshrrev_b32_e32 v5, 2, v4
	s_wait_kmcnt 0x0
	s_ashr_i32 s31, s30, 31
	s_ashr_i32 s23, s22, 31
	s_lshl_b64 s[28:29], s[36:37], 3
	s_ashr_i32 s36, s27, 31
	s_lshl_b64 s[10:11], s[10:11], 3
	s_lshr_b32 s36, s36, 25
	s_ashr_i32 s35, s38, 31
	s_mov_b32 s34, s38
	s_add_co_i32 s27, s27, s36
	s_add_nc_u64 s[38:39], s[8:9], s[10:11]
	s_mul_i32 s9, ttmp9, s42
	s_mul_i32 s10, s41, s43
	s_bfe_u32 s11, ttmp6, 0x40004
	s_ashr_i32 s8, s27, 7
	s_add_co_i32 s40, s40, s9
	s_add_co_i32 s9, s11, s10
	v_and_b32_e32 v6, 0x7ff0, v5
	v_and_b32_e32 v2, 63, v0
	s_cmp_eq_u32 s26, 0
	s_add_nc_u64 s[10:11], s[0:1], 0x80
	s_cselect_b32 s0, ttmp9, s40
	s_cselect_b32 s1, s41, s9
	s_lshl_b32 s40, s0, 7
	v_lshlrev_b32_e32 v40, 9, v6
	v_mad_nc_i64_i32 v[10:11], s30, v6, v[2:3]
	v_lshlrev_b32_e32 v2, 3, v2
	v_cmp_eq_u32_e64 s0, 0, v1
	v_add_nc_u32_e32 v1, 1, v8
	v_lshl_or_b32 v41, v5, 9, 0x1e00
	v_dual_add_nc_u32 v5, 2, v8 :: v_dual_add_nc_u32 v9, 5, v8
	s_delay_alu instid0(VALU_DEP_3) | instskip(SKIP_1) | instid1(VALU_DEP_3)
	v_dual_lshlrev_b32 v4, 1, v4 :: v_dual_bitop2_b32 v1, 63, v1 bitop3:0x40
	v_dual_add_nc_u32 v6, 3, v8 :: v_dual_add_nc_u32 v7, 4, v8
	v_and_b32_e32 v5, 63, v5
	s_delay_alu instid0(VALU_DEP_3) | instskip(NEXT) | instid1(VALU_DEP_4)
	v_and_b32_e32 v4, 0x3ff80, v4
	v_lshl_or_b32 v1, v1, 3, v42
	scratch_store_b64 off, v[10:11], off    ; 8-byte Folded Spill
	v_and_b32_e32 v6, 63, v6
	v_lshl_or_b32 v5, v5, 3, v42
	v_and_b32_e32 v7, 63, v7
	scratch_store_b32 off, v1, off offset:8 ; 4-byte Folded Spill
	s_wait_xcnt 0x0
	v_dual_add_nc_u32 v14, 10, v8 :: v_dual_bitop2_b32 v1, 63, v9 bitop3:0x40
	v_add_nc_u32_e32 v15, 11, v8
	s_ashr_i32 s41, s40, 31
	v_bitop3_b32 v0, v0, 32, 63 bitop3:0x6c
	s_delay_alu instid0(VALU_DEP_3)
	v_lshl_or_b32 v1, v1, 3, v42
	scratch_store_b32 off, v5, off offset:12 ; 4-byte Folded Spill
	v_dual_add_nc_u32 v45, 12, v8 :: v_dual_bitop2_b32 v43, 63, v14 bitop3:0x40
	v_lshl_or_b32 v241, v0, 3, v42
	scratch_store_b32 off, v1, off offset:24 ; 4-byte Folded Spill
	s_wait_xcnt 0x0
	v_add_nc_u32_e32 v1, 6, v8
	v_lshl_or_b32 v5, v6, 3, v42
	v_dual_add_nc_u32 v6, 7, v8 :: v_dual_add_nc_u32 v9, 9, v8
	s_mul_u64 s[26:27], s[34:35], s[40:41]
	s_delay_alu instid0(VALU_DEP_3) | instskip(SKIP_1) | instid1(VALU_DEP_2)
	v_and_b32_e32 v1, 63, v1
	s_add_nc_u64 s[28:29], s[18:19], s[28:29]
	v_and_b32_e32 v6, 63, v6
	s_lshl_b64 s[26:27], s[26:27], 3
	s_mul_u64 s[18:19], s[30:31], s[40:41]
	v_lshl_or_b32 v1, v1, 3, v42
	scratch_store_b32 off, v5, off offset:16 ; 4-byte Folded Spill
	s_wait_xcnt 0x0
	v_lshl_or_b32 v5, v7, 3, v42
	v_add_nc_u32_e32 v7, 8, v8
	s_add_nc_u64 s[36:37], s[28:29], s[26:27]
	scratch_store_b32 off, v1, off offset:28 ; 4-byte Folded Spill
	s_wait_xcnt 0x0
	v_lshl_or_b32 v1, v6, 3, v42
	scratch_store_b32 off, v5, off offset:20 ; 4-byte Folded Spill
	s_wait_xcnt 0x0
	v_dual_mov_b32 v5, v3 :: v_dual_bitop2_b32 v225, v42, v2 bitop3:0x54
	s_lshl_b64 s[18:19], s[18:19], 3
	s_mul_u64 s[26:27], s[30:31], 15
	s_add_nc_u64 s[18:19], s[38:39], s[18:19]
	s_delay_alu instid0(VALU_DEP_1)
	v_lshl_add_u64 v[4:5], s[40:41], 3, v[4:5]
	s_lshl_b64 s[28:29], s[22:23], 10
	s_mov_b32 s9, s3
	s_lshl_b64 s[16:17], s[16:17], 3
	v_add_nc_u32_e32 v227, v2, v41
	v_mul_lo_u32 v5, v5, s30
	v_or_b32_e32 v26, 40, v4
	v_and_b32_e32 v44, 63, v15
	v_and_b32_e32 v9, 63, v9
	v_or_b32_e32 v35, 0x48, v4
	v_or_b32_e32 v37, 0x58, v4
	v_mad_nc_u64_u32 v[18:19], v26, s30, s[38:39]
	v_or_b32_e32 v25, 32, v4
	v_lshl_or_b32 v6, v9, 3, v42
	v_or_b32_e32 v38, 0x60, v4
	v_mad_nc_u64_u32 v[30:31], v37, s30, s[38:39]
	scratch_store_b32 off, v1, off offset:32 ; 4-byte Folded Spill
	v_or_b32_e32 v36, 0x50, v4
	v_or_b32_e32 v46, 0x68, v4
	v_mad_nc_u64_u32 v[32:33], v38, s30, s[38:39]
	v_or_b32_e32 v47, 0x70, v4
	v_dual_add_nc_u32 v0, 35, v8 :: v_dual_add_nc_u32 v19, v5, v19
	v_mad_nc_u64_u32 v[16:17], v25, s30, s[38:39]
	v_or_b32_e32 v24, 24, v4
	v_mad_nc_u64_u32 v[28:29], v36, s30, s[38:39]
	s_delay_alu instid0(VALU_DEP_4)
	v_and_b32_e32 v0, 63, v0
	v_mad_u32 v19, v26, s31, v19
	v_mad_nc_u64_u32 v[26:27], v35, s30, s[38:39]
	v_or_b32_e32 v34, 64, v4
	v_add_nc_u32_e32 v226, v2, v40
	v_lshl_or_b32 v244, v0, 3, v42
	v_dual_add_nc_u32 v0, 40, v8 :: v_dual_add_nc_u32 v17, v5, v17
	v_mad_nc_u64_u32 v[14:15], v24, s30, s[38:39]
	v_or_b32_e32 v9, 16, v4
	s_delay_alu instid0(VALU_DEP_3) | instskip(SKIP_2) | instid1(VALU_DEP_3)
	v_and_b32_e32 v0, 63, v0
	v_add_nc_u64_e32 v[18:19], 0x400, v[18:19]
	v_mad_u32 v17, v25, s31, v17
	v_lshl_or_b32 v249, v0, 3, v42
	v_dual_add_nc_u32 v0, 45, v8 :: v_dual_add_nc_u32 v15, v5, v15
	v_mad_nc_u64_u32 v[12:13], v9, s30, s[38:39]
	v_and_b32_e32 v7, 63, v7
	s_delay_alu instid0(VALU_DEP_3) | instskip(SKIP_2) | instid1(VALU_DEP_3)
	v_and_b32_e32 v0, 63, v0
	v_add_nc_u64_e32 v[16:17], 0x400, v[16:17]
	v_mad_u32 v15, v24, s31, v15
	v_lshl_or_b32 v254, v0, 3, v42
	v_dual_add_nc_u32 v0, 50, v8 :: v_dual_add_nc_u32 v13, v5, v13
	s_wait_xcnt 0x0
	v_lshl_or_b32 v1, v7, 3, v42
	s_delay_alu instid0(VALU_DEP_4) | instskip(NEXT) | instid1(VALU_DEP_3)
	v_add_nc_u64_e32 v[14:15], 0x400, v[14:15]
	v_mad_u32 v13, v9, s31, v13
	v_or_b32_e32 v9, 56, v4
	s_delay_alu instid0(VALU_DEP_1) | instskip(NEXT) | instid1(VALU_DEP_3)
	v_mad_nc_u64_u32 v[22:23], v9, s30, s[38:39]
	v_add_nc_u64_e32 v[12:13], 0x400, v[12:13]
	s_delay_alu instid0(VALU_DEP_2) | instskip(NEXT) | instid1(VALU_DEP_1)
	v_add_nc_u32_e32 v23, v5, v23
	v_mad_u32 v23, v9, s31, v23
	v_add_nc_u32_e32 v9, v5, v27
	v_mad_nc_u64_u32 v[24:25], v34, s30, s[38:39]
	s_delay_alu instid0(VALU_DEP_2) | instskip(SKIP_2) | instid1(VALU_DEP_2)
	v_mad_u32 v27, v35, s31, v9
	v_add_nc_u32_e32 v9, v5, v31
	v_add_nc_u64_e32 v[22:23], 0x400, v[22:23]
	v_mad_u32 v31, v37, s31, v9
	v_add_nc_u32_e32 v9, 13, v8
	v_add_nc_u64_e32 v[26:27], 0x400, v[26:27]
	s_delay_alu instid0(VALU_DEP_2) | instskip(NEXT) | instid1(VALU_DEP_1)
	v_and_b32_e32 v9, 63, v9
	v_lshl_or_b32 v9, v9, 3, v42
	scratch_store_b32 off, v1, off offset:36 ; 4-byte Folded Spill
	s_wait_xcnt 0x0
	v_or_b32_e32 v1, 8, v4
	v_add_nc_u64_e32 v[30:31], 0x400, v[30:31]
	s_delay_alu instid0(VALU_DEP_2) | instskip(NEXT) | instid1(VALU_DEP_1)
	v_mad_nc_u64_u32 v[10:11], v1, s30, s[38:39]
	v_add_nc_u32_e32 v11, v5, v11
	s_delay_alu instid0(VALU_DEP_1) | instskip(SKIP_1) | instid1(VALU_DEP_1)
	v_mad_u32 v11, v1, s31, v11
	v_or_b32_e32 v1, 48, v4
	v_mad_nc_u64_u32 v[20:21], v1, s30, s[38:39]
	s_delay_alu instid0(VALU_DEP_3) | instskip(NEXT) | instid1(VALU_DEP_2)
	v_add_nc_u64_e32 v[10:11], 0x400, v[10:11]
	v_add_nc_u32_e32 v21, v5, v21
	s_delay_alu instid0(VALU_DEP_1) | instskip(SKIP_1) | instid1(VALU_DEP_1)
	v_mad_u32 v21, v1, s31, v21
	v_add_nc_u32_e32 v1, v5, v25
	v_mad_u32 v25, v34, s31, v1
	v_mad_nc_u64_u32 v[34:35], v46, s30, s[38:39]
	v_add_nc_u32_e32 v1, v5, v29
	v_add_nc_u64_e32 v[20:21], 0x400, v[20:21]
	s_delay_alu instid0(VALU_DEP_2) | instskip(SKIP_3) | instid1(VALU_DEP_3)
	v_mad_u32 v29, v36, s31, v1
	v_add_nc_u32_e32 v1, v5, v33
	v_mad_nc_u64_u32 v[36:37], v47, s30, s[38:39]
	v_add_nc_u64_e32 v[24:25], 0x400, v[24:25]
	v_mad_u32 v33, v38, s31, v1
	v_add_nc_u32_e32 v1, v5, v35
	v_lshl_or_b32 v35, v43, 3, v42
	scratch_store_b32 off, v6, off offset:40 ; 4-byte Folded Spill
	s_wait_xcnt 0x0
	v_mad_nc_u64_u32 v[6:7], v4, s30, s[38:39]
	v_dual_add_nc_u32 v45, 54, v8 :: v_dual_bitop2_b32 v43, 63, v45 bitop3:0x40
	v_add_nc_u32_e32 v37, v5, v37
	v_add_nc_u64_e32 v[28:29], 0x400, v[28:29]
	s_delay_alu instid0(VALU_DEP_3)
	v_lshl_or_b32 v43, v43, 3, v42
	scratch_store_b32 off, v35, off offset:44 ; 4-byte Folded Spill
	s_wait_xcnt 0x0
	v_lshl_or_b32 v35, v44, 3, v42
	v_mad_u32 v37, v47, s31, v37
	v_dual_add_nc_u32 v47, 62, v8 :: v_dual_add_nc_u32 v7, v5, v7
	v_add_nc_u64_e32 v[32:33], 0x400, v[32:33]
	s_delay_alu instid0(VALU_DEP_2) | instskip(SKIP_2) | instid1(VALU_DEP_2)
	v_mad_u32 v7, v4, s31, v7
	v_or_b32_e32 v4, 0x78, v4
	v_add_nc_u64_e32 v[36:37], 0x400, v[36:37]
	v_mad_nc_u64_u32 v[38:39], v4, s30, s[38:39]
	s_delay_alu instid0(VALU_DEP_1) | instskip(NEXT) | instid1(VALU_DEP_1)
	v_add_nc_u32_e32 v5, v5, v39
	v_mad_u32 v39, v4, s31, v5
	v_dual_add_nc_u32 v4, 17, v8 :: v_dual_add_nc_u32 v5, 18, v8
	s_delay_alu instid0(VALU_DEP_1) | instskip(NEXT) | instid1(VALU_DEP_2)
	v_and_b32_e32 v4, 63, v4
	v_and_b32_e32 v5, 63, v5
	s_delay_alu instid0(VALU_DEP_2)
	v_lshl_or_b32 v4, v4, 3, v42
	scratch_store_b32 off, v9, off offset:56 ; 4-byte Folded Spill
	s_wait_xcnt 0x0
	v_add_nc_u32_e32 v9, 15, v8
	v_add_nc_u64_e32 v[38:39], 0x400, v[38:39]
	scratch_store_b32 off, v4, off offset:72 ; 4-byte Folded Spill
	s_wait_xcnt 0x0
	v_lshl_or_b32 v4, v5, 3, v42
	v_dual_add_nc_u32 v5, 22, v8 :: v_dual_bitop2_b32 v9, 63, v9 bitop3:0x40
	s_delay_alu instid0(VALU_DEP_1)
	v_lshl_or_b32 v9, v9, 3, v42
	scratch_store_b32 off, v35, off offset:48 ; 4-byte Folded Spill
	s_wait_xcnt 0x0
	v_mad_u32 v35, v46, s31, v1
	v_dual_add_nc_u32 v1, 14, v8 :: v_dual_bitop2_b32 v5, 63, v5 bitop3:0x40
	scratch_store_b32 off, v9, off offset:64 ; 4-byte Folded Spill
	v_and_b32_e32 v46, 63, v45
	s_lshl_b64 s[30:31], s[30:31], 3
	v_and_b32_e32 v1, 63, v1
	s_delay_alu instid0(VALU_DEP_1) | instskip(SKIP_4) | instid1(VALU_DEP_2)
	v_lshl_or_b32 v1, v1, 3, v42
	scratch_store_b32 off, v43, off offset:52 ; 4-byte Folded Spill
	s_wait_xcnt 0x0
	v_add_nc_u32_e32 v43, 16, v8
	v_add_nc_u64_e32 v[34:35], 0x400, v[34:35]
	v_and_b32_e32 v43, 63, v43
	s_delay_alu instid0(VALU_DEP_1) | instskip(SKIP_3) | instid1(VALU_DEP_1)
	v_lshl_or_b32 v9, v43, 3, v42
	scratch_store_b32 off, v1, off offset:60 ; 4-byte Folded Spill
	s_wait_xcnt 0x0
	v_dual_add_nc_u32 v1, 19, v8 :: v_dual_add_nc_u32 v43, 24, v8
	v_and_b32_e32 v1, 63, v1
	s_delay_alu instid0(VALU_DEP_2) | instskip(NEXT) | instid1(VALU_DEP_2)
	v_and_b32_e32 v43, 63, v43
	v_lshl_or_b32 v1, v1, 3, v42
	scratch_store_b32 off, v9, off offset:68 ; 4-byte Folded Spill
	s_wait_xcnt 0x0
	v_add_nc_u32_e32 v9, 23, v8
	scratch_store_b32 off, v1, off offset:80 ; 4-byte Folded Spill
	s_wait_xcnt 0x0
	v_dual_add_nc_u32 v1, 20, v8 :: v_dual_bitop2_b32 v9, 63, v9 bitop3:0x40
	s_delay_alu instid0(VALU_DEP_1) | instskip(NEXT) | instid1(VALU_DEP_1)
	v_and_b32_e32 v1, 63, v1
	v_lshl_or_b32 v1, v1, 3, v42
	scratch_store_b32 off, v4, off offset:76 ; 4-byte Folded Spill
	s_wait_xcnt 0x0
	v_add_nc_u32_e32 v4, 21, v8
	scratch_store_b32 off, v1, off offset:84 ; 4-byte Folded Spill
	v_and_b32_e32 v4, 63, v4
	s_wait_xcnt 0x0
	s_delay_alu instid0(VALU_DEP_1)
	v_lshl_or_b32 v1, v4, 3, v42
	v_add_nc_u32_e32 v4, 26, v8
	scratch_store_b32 off, v1, off offset:88 ; 4-byte Folded Spill
	s_wait_xcnt 0x0
	v_lshl_or_b32 v1, v5, 3, v42
	v_add_nc_u32_e32 v5, 27, v8
	v_and_b32_e32 v4, 63, v4
	scratch_store_b32 off, v1, off offset:92 ; 4-byte Folded Spill
	s_wait_xcnt 0x0
	v_lshl_or_b32 v1, v9, 3, v42
	v_dual_add_nc_u32 v9, 28, v8 :: v_dual_bitop2_b32 v5, 63, v5 bitop3:0x40
	scratch_store_b32 off, v1, off offset:96 ; 4-byte Folded Spill
	s_wait_xcnt 0x0
	v_lshl_or_b32 v1, v43, 3, v42
	v_and_b32_e32 v9, 63, v9
	scratch_store_b32 off, v1, off offset:100 ; 4-byte Folded Spill
	s_wait_xcnt 0x0
	v_dual_add_nc_u32 v1, 25, v8 :: v_dual_add_nc_u32 v43, 29, v8
	s_delay_alu instid0(VALU_DEP_1) | instskip(NEXT) | instid1(VALU_DEP_2)
	v_and_b32_e32 v1, 63, v1
	v_and_b32_e32 v43, 63, v43
	s_delay_alu instid0(VALU_DEP_2)
	v_lshl_or_b32 v1, v1, 3, v42
	scratch_store_b32 off, v1, off offset:104 ; 4-byte Folded Spill
	s_wait_xcnt 0x0
	v_lshl_or_b32 v1, v4, 3, v42
	v_add_nc_u32_e32 v4, 31, v8
	scratch_store_b32 off, v1, off offset:108 ; 4-byte Folded Spill
	s_wait_xcnt 0x0
	v_lshl_or_b32 v1, v5, 3, v42
	v_lshl_or_b32 v5, v43, 3, v42
	v_and_b32_e32 v4, 63, v4
	v_and_b32_e32 v43, 63, v0
	scratch_store_b32 off, v1, off offset:112 ; 4-byte Folded Spill
	s_wait_xcnt 0x0
	v_lshl_or_b32 v1, v9, 3, v42
	v_lshl_or_b32 v240, v4, 3, v42
	v_add_nc_u32_e32 v4, 37, v8
	v_lshl_or_b32 v213, v43, 3, v42
	v_add_nc_u32_e32 v43, 58, v8
	scratch_store_b32 off, v1, off offset:116 ; 4-byte Folded Spill
	s_wait_xcnt 0x0
	v_dual_add_nc_u32 v1, 30, v8 :: v_dual_add_nc_u32 v9, 34, v8
	v_and_b32_e32 v43, 63, v43
	s_delay_alu instid0(VALU_DEP_2) | instskip(NEXT) | instid1(VALU_DEP_3)
	v_and_b32_e32 v1, 63, v1
	v_and_b32_e32 v9, 63, v9
	s_delay_alu instid0(VALU_DEP_3) | instskip(SKIP_1) | instid1(VALU_DEP_4)
	v_lshl_or_b32 v219, v43, 3, v42
	v_add_nc_u32_e32 v43, 61, v8
	v_lshl_or_b32 v1, v1, 3, v42
	scratch_store_b32 off, v5, off offset:120 ; 4-byte Folded Spill
	s_wait_xcnt 0x0
	v_add_nc_u32_e32 v5, 33, v8
	scratch_store_b32 off, v1, off offset:124 ; 4-byte Folded Spill
	s_wait_xcnt 0x0
	v_dual_add_nc_u32 v1, 36, v8 :: v_dual_bitop2_b32 v5, 63, v5 bitop3:0x40
	v_lshl_or_b32 v243, v9, 3, v42
	s_delay_alu instid0(VALU_DEP_2) | instskip(NEXT) | instid1(VALU_DEP_3)
	v_dual_add_nc_u32 v9, 39, v8 :: v_dual_bitop2_b32 v1, 63, v1 bitop3:0x40
	v_lshl_or_b32 v242, v5, 3, v42
	v_add_nc_u32_e32 v5, 38, v8
	v_and_b32_e32 v4, 63, v4
	s_delay_alu instid0(VALU_DEP_4) | instskip(SKIP_1) | instid1(VALU_DEP_4)
	v_and_b32_e32 v9, 63, v9
	v_lshl_or_b32 v245, v1, 3, v42
	v_dual_add_nc_u32 v1, 41, v8 :: v_dual_bitop2_b32 v5, 63, v5 bitop3:0x40
	s_delay_alu instid0(VALU_DEP_4) | instskip(NEXT) | instid1(VALU_DEP_4)
	v_lshl_or_b32 v246, v4, 3, v42
	v_lshl_or_b32 v248, v9, 3, v42
	v_dual_add_nc_u32 v4, 42, v8 :: v_dual_add_nc_u32 v9, 44, v8
	s_delay_alu instid0(VALU_DEP_4) | instskip(SKIP_2) | instid1(VALU_DEP_4)
	v_and_b32_e32 v1, 63, v1
	v_lshl_or_b32 v247, v5, 3, v42
	v_add_nc_u32_e32 v5, 43, v8
	v_and_b32_e32 v4, 63, v4
	v_and_b32_e32 v9, 63, v9
	v_lshl_or_b32 v250, v1, 3, v42
	s_delay_alu instid0(VALU_DEP_4) | instskip(NEXT) | instid1(VALU_DEP_4)
	v_dual_add_nc_u32 v1, 46, v8 :: v_dual_bitop2_b32 v5, 63, v5 bitop3:0x40
	v_lshl_or_b32 v251, v4, 3, v42
	s_delay_alu instid0(VALU_DEP_4) | instskip(SKIP_1) | instid1(VALU_DEP_4)
	v_lshl_or_b32 v253, v9, 3, v42
	v_dual_add_nc_u32 v4, 47, v8 :: v_dual_add_nc_u32 v9, 49, v8
	v_and_b32_e32 v1, 63, v1
	v_lshl_or_b32 v252, v5, 3, v42
	v_add_nc_u32_e32 v5, 48, v8
	s_delay_alu instid0(VALU_DEP_4) | instskip(SKIP_2) | instid1(VALU_DEP_4)
	v_and_b32_e32 v4, 63, v4
	v_and_b32_e32 v9, 63, v9
	v_lshl_or_b32 v255, v1, 3, v42
	v_dual_add_nc_u32 v1, 51, v8 :: v_dual_bitop2_b32 v5, 63, v5 bitop3:0x40
	s_delay_alu instid0(VALU_DEP_4) | instskip(NEXT) | instid1(VALU_DEP_4)
	v_lshl_or_b32 v210, v4, 3, v42
	v_lshl_or_b32 v212, v9, 3, v42
	s_delay_alu instid0(VALU_DEP_3) | instskip(SKIP_3) | instid1(VALU_DEP_4)
	v_dual_mov_b32 v9, v3 :: v_dual_bitop2_b32 v44, 63, v1 bitop3:0x40
	v_cvt_f64_i32_e32 v[0:1], s1
	v_lshl_or_b32 v211, v5, 3, v42
	v_dual_add_nc_u32 v4, 52, v8 :: v_dual_add_nc_u32 v5, 53, v8
	v_lshl_or_b32 v214, v44, 3, v42
	v_mul_u64_e32 v[44:45], s[34:35], v[8:9]
	v_dual_add_nc_u32 v9, 57, v8 :: v_dual_bitop2_b32 v43, 63, v43 bitop3:0x40
	s_delay_alu instid0(VALU_DEP_4) | instskip(SKIP_2) | instid1(VALU_DEP_3)
	v_and_b32_e32 v4, 63, v4
	v_and_b32_e32 v5, 63, v5
	s_sub_nc_u64 s[34:35], 0, s[30:31]
	v_and_b32_e32 v9, 63, v9
	s_delay_alu instid0(VALU_DEP_3)
	v_lshl_or_b32 v215, v4, 3, v42
	v_add_nc_u32_e32 v4, 55, v8
	v_lshl_or_b32 v216, v5, 3, v42
	v_add_nc_u32_e32 v5, 56, v8
	;; [unrolled: 2-line block ×3, first 2 shown]
	v_and_b32_e32 v4, 63, v4
	s_delay_alu instid0(VALU_DEP_4) | instskip(NEXT) | instid1(VALU_DEP_3)
	v_and_b32_e32 v5, 63, v5
	v_and_b32_e32 v46, 63, v46
	s_delay_alu instid0(VALU_DEP_3) | instskip(NEXT) | instid1(VALU_DEP_3)
	v_lshl_or_b32 v218, v4, 3, v42
	v_lshl_or_b32 v4, v5, 3, v42
	v_lshl_or_b32 v5, v9, 3, v42
	v_dual_add_nc_u32 v9, 60, v8 :: v_dual_add_nc_u32 v8, -1, v8
	v_lshl_or_b32 v220, v46, 3, v42
	v_dual_max_num_f64 v[0:1], v[0:1], v[0:1] :: v_dual_bitop2_b32 v46, 63, v47 bitop3:0x40
	s_delay_alu instid0(VALU_DEP_3) | instskip(NEXT) | instid1(VALU_DEP_4)
	v_and_b32_e32 v9, 63, v9
	v_and_b32_e32 v8, 63, v8
	v_lshl_or_b32 v222, v43, 3, v42
	s_delay_alu instid0(VALU_DEP_4) | instskip(NEXT) | instid1(VALU_DEP_4)
	v_lshl_or_b32 v223, v46, 3, v42
	v_lshl_or_b32 v221, v9, 3, v42
	s_delay_alu instid0(VALU_DEP_4)
	v_lshl_or_b32 v224, v8, 3, v42
	v_lshl_add_u64 v[8:9], v[44:45], 3, s[36:37]
	s_lshl_b64 s[36:37], s[20:21], 3
	s_lshl_b64 s[20:21], s[12:13], 3
	s_add_nc_u64 s[14:15], s[14:15], s[36:37]
	s_branch .LBB94_4
.LBB94_2:                               ;   in Loop: Header=BB94_4 Depth=1
	s_wait_xcnt 0x0
	s_or_b32 exec_lo, exec_lo, s36
.LBB94_3:                               ;   in Loop: Header=BB94_4 Depth=1
	s_add_co_i32 s2, s2, 0x10000
	s_delay_alu instid0(SALU_CYCLE_1)
	s_cmp_lt_u32 s2, s33
	s_cbranch_scc0 .LBB94_15
.LBB94_4:                               ; =>This Loop Header: Depth=1
                                        ;     Child Loop BB94_8 Depth 2
	s_wait_xcnt 0x0
	s_mul_u64 s[36:37], s[6:7], s[2:3]
	s_delay_alu instid0(SALU_CYCLE_1) | instskip(NEXT) | instid1(SALU_CYCLE_1)
	s_lshl_b64 s[36:37], s[36:37], 3
	s_add_nc_u64 s[36:37], s[4:5], s[36:37]
	global_load_b64 v[40:41], v3, s[36:37]
	s_wait_loadcnt 0x0
	v_cmp_eq_f64_e32 vcc_lo, 0, v[40:41]
	s_cbranch_vccnz .LBB94_3
; %bb.5:                                ;   in Loop: Header=BB94_4 Depth=1
	s_load_b32 s38, s[10:11], 0x4
	s_wait_kmcnt 0x0
	s_cvt_f32_u32 s36, s38
	s_sub_co_i32 s37, 0, s38
	s_delay_alu instid0(SALU_CYCLE_2) | instskip(SKIP_1) | instid1(TRANS32_DEP_1)
	v_rcp_iflag_f32_e32 v42, s36
	v_nop
	v_readfirstlane_b32 s36, v42
	s_mul_f32 s36, s36, 0x4f7ffffe
	s_delay_alu instid0(SALU_CYCLE_3) | instskip(NEXT) | instid1(SALU_CYCLE_3)
	s_cvt_u32_f32 s36, s36
	s_mul_i32 s37, s37, s36
	s_delay_alu instid0(SALU_CYCLE_1) | instskip(NEXT) | instid1(SALU_CYCLE_1)
	s_mul_hi_u32 s37, s36, s37
	s_add_co_i32 s36, s36, s37
	s_mov_b32 s37, s3
	s_delay_alu instid0(SALU_CYCLE_1) | instskip(NEXT) | instid1(SALU_CYCLE_1)
	s_mul_u64 s[36:37], s[8:9], s[36:37]
	s_mul_i32 s36, s37, s38
	s_add_co_i32 s39, s37, 1
	s_sub_co_i32 s36, s8, s36
	s_delay_alu instid0(SALU_CYCLE_1)
	s_sub_co_i32 s40, s36, s38
	s_cmp_ge_u32 s36, s38
	s_cselect_b32 s37, s39, s37
	s_cselect_b32 s36, s40, s36
	s_add_co_i32 s39, s37, 1
	s_cmp_ge_u32 s36, s38
	s_cselect_b32 s36, s39, s37
	s_delay_alu instid0(SALU_CYCLE_1) | instskip(NEXT) | instid1(SALU_CYCLE_1)
	s_mul_i32 s37, s36, s38
	s_sub_co_i32 s37, s8, s37
	s_delay_alu instid0(SALU_CYCLE_1) | instskip(SKIP_1) | instid1(SALU_CYCLE_1)
	s_cmp_lt_u32 s1, s37
	s_cselect_b32 s38, -1, 0
	s_cmp_lg_u32 s38, 0
	s_add_co_ci_u32 s40, s36, 0
	s_delay_alu instid0(SALU_CYCLE_1)
	s_cmp_eq_u32 s40, 0
	s_cbranch_scc1 .LBB94_3
; %bb.6:                                ;   in Loop: Header=BB94_4 Depth=1
	s_cmp_lt_i32 s40, 1
	s_cbranch_scc1 .LBB94_12
; %bb.7:                                ;   in Loop: Header=BB94_4 Depth=1
	v_cvt_f64_u32_e32 v[42:43], s37
	s_mul_i32 s36, s36, s1
	v_or_b32_e32 v74, 0x200, v2
	v_cvt_f64_u32_e32 v[44:45], s36
	s_mul_u64 s[36:37], s[12:13], s[2:3]
	v_mov_b64_e32 v[72:73], 0
	s_lshl_b64 s[36:37], s[36:37], 3
	s_add_co_i32 s41, s40, -1
	s_add_nc_u64 s[42:43], s[18:19], s[36:37]
	s_delay_alu instid0(VALU_DEP_4) | instskip(NEXT) | instid1(VALU_DEP_1)
	v_min_num_f64_e32 v[42:43], v[0:1], v[42:43]
	v_add_f64_e32 v[42:43], v[42:43], v[44:45]
	s_delay_alu instid0(VALU_DEP_1) | instskip(NEXT) | instid1(VALU_DEP_1)
	v_cvt_i32_f64_e32 v42, v[42:43]
	v_readfirstlane_b32 s38, v42
	scratch_load_b64 v[42:43], off, off     ; 8-byte Folded Reload
	s_lshl_b32 s38, s38, 7
	s_delay_alu instid0(SALU_CYCLE_1) | instskip(NEXT) | instid1(SALU_CYCLE_1)
	s_ashr_i32 s39, s38, 31
	s_lshl_b64 s[36:37], s[38:39], 3
	s_delay_alu instid0(SALU_CYCLE_1) | instskip(SKIP_3) | instid1(VALU_DEP_2)
	s_add_nc_u64 s[38:39], s[42:43], s[36:37]
	v_dual_mov_b32 v85, s37 :: v_dual_bitop2_b32 v84, s36, v2 bitop3:0x54
	v_dual_mov_b32 v87, s37 :: v_dual_bitop2_b32 v86, s36, v74 bitop3:0x54
	s_mul_u64 s[42:43], s[20:21], s[2:3]
	v_mul_u64_e32 v[84:85], s[22:23], v[84:85]
	s_add_nc_u64 s[42:43], s[42:43], s[36:37]
	s_delay_alu instid0(VALU_DEP_2)
	v_mul_u64_e32 v[86:87], s[22:23], v[86:87]
	v_add_nc_u64_e32 v[74:75], s[42:43], v[6:7]
	v_add_nc_u64_e32 v[76:77], s[42:43], v[10:11]
	;; [unrolled: 1-line block ×16, first 2 shown]
	s_mov_b32 s42, 0
	s_wait_loadcnt 0x0
	v_lshl_add_u64 v[42:43], v[42:43], 3, s[38:39]
	s_mul_u64 s[38:39], s[16:17], s[2:3]
	s_delay_alu instid0(SALU_CYCLE_1) | instskip(NEXT) | instid1(VALU_DEP_1)
	s_add_nc_u64 s[36:37], s[14:15], s[38:39]
	v_lshl_add_u64 v[44:45], s[26:27], 3, v[42:43]
	s_delay_alu instid0(VALU_DEP_1) | instskip(NEXT) | instid1(VALU_DEP_1)
	v_add_nc_u64_e32 v[46:47], s[34:35], v[44:45]
	v_add_nc_u64_e32 v[48:49], s[34:35], v[46:47]
	s_delay_alu instid0(VALU_DEP_1) | instskip(NEXT) | instid1(VALU_DEP_1)
	v_add_nc_u64_e32 v[50:51], s[34:35], v[48:49]
	v_add_nc_u64_e32 v[52:53], s[34:35], v[50:51]
	;; [unrolled: 3-line block ×3, first 2 shown]
	s_delay_alu instid0(VALU_DEP_1)
	v_add_nc_u64_e32 v[58:59], s[34:35], v[56:57]
	s_clause 0x4
	global_load_b64 v[142:143], v[42:43], off
	global_load_b64 v[144:145], v[46:47], off
	;; [unrolled: 1-line block ×8, first 2 shown]
	s_wait_xcnt 0x1
	v_mov_b64_e32 v[56:57], 0
	v_mov_b64_e32 v[52:53], 0
	;; [unrolled: 1-line block ×5, first 2 shown]
	v_add_nc_u64_e32 v[60:61], s[34:35], v[58:59]
	s_wait_xcnt 0x0
	v_mov_b64_e32 v[58:59], 0
	v_mov_b64_e32 v[46:47], 0
	s_delay_alu instid0(VALU_DEP_3) | instskip(NEXT) | instid1(VALU_DEP_1)
	v_add_nc_u64_e32 v[62:63], s[34:35], v[60:61]
	v_add_nc_u64_e32 v[64:65], s[34:35], v[62:63]
	s_delay_alu instid0(VALU_DEP_1) | instskip(NEXT) | instid1(VALU_DEP_1)
	v_add_nc_u64_e32 v[66:67], s[34:35], v[64:65]
	v_add_nc_u64_e32 v[68:69], s[34:35], v[66:67]
	s_delay_alu instid0(VALU_DEP_1) | instskip(NEXT) | instid1(VALU_DEP_1)
	v_add_nc_u64_e32 v[70:71], s[34:35], v[68:69]
	v_add_nc_u64_e32 v[42:43], s[34:35], v[70:71]
	global_load_b64 v[158:159], v[60:61], off
	global_load_b64 v[160:161], v[62:63], off
	;; [unrolled: 1-line block ×8, first 2 shown]
	s_wait_xcnt 0x1
	v_mov_b64_e32 v[42:43], 0
	v_mov_b64_e32 v[68:69], 0
	;; [unrolled: 1-line block ×7, first 2 shown]
	s_wait_xcnt 0x0
	v_mov_b64_e32 v[44:45], 0
	s_wait_loadcnt 0xf
	v_mov_b64_e32 v[110:111], v[142:143]
	s_wait_loadcnt 0xe
	;; [unrolled: 2-line block ×16, first 2 shown]
	v_mov_b64_e32 v[140:141], v[172:173]
.LBB94_8:                               ;   Parent Loop BB94_4 Depth=1
                                        ; =>  This Inner Loop Header: Depth=2
	v_add_nc_u64_e32 v[208:209], v[74:75], v[2:3]
	v_add_nc_u64_e32 v[236:237], s[36:37], v[84:85]
	s_cmp_lg_u32 s41, s42
	s_delay_alu instid0(VALU_DEP_2) | instskip(NEXT) | instid1(VALU_DEP_1)
	v_add_nc_u64_e32 v[174:175], 0x200, v[208:209]
	v_add_nc_u64_e32 v[174:175], s[30:31], v[174:175]
	s_delay_alu instid0(VALU_DEP_1) | instskip(NEXT) | instid1(VALU_DEP_1)
	v_add_nc_u64_e32 v[176:177], s[30:31], v[174:175]
	v_add_nc_u64_e32 v[178:179], s[30:31], v[176:177]
	s_delay_alu instid0(VALU_DEP_1) | instskip(NEXT) | instid1(VALU_DEP_1)
	;; [unrolled: 3-line block ×3, first 2 shown]
	v_add_nc_u64_e32 v[184:185], s[30:31], v[182:183]
	v_add_nc_u64_e32 v[186:187], s[30:31], v[184:185]
	s_delay_alu instid0(VALU_DEP_1)
	v_add_nc_u64_e32 v[188:189], s[30:31], v[186:187]
	s_clause 0x8
	global_load_b64 v[204:205], v[208:209], off offset:512
	global_load_b64 v[202:203], v[174:175], off
	global_load_b64 v[198:199], v[176:177], off
	;; [unrolled: 1-line block ×8, first 2 shown]
	v_add_nc_u64_e32 v[206:207], s[30:31], v[188:189]
	s_delay_alu instid0(VALU_DEP_1) | instskip(NEXT) | instid1(VALU_DEP_1)
	v_add_nc_u64_e32 v[228:229], s[30:31], v[206:207]
	v_add_nc_u64_e32 v[230:231], s[30:31], v[228:229]
	s_delay_alu instid0(VALU_DEP_1) | instskip(NEXT) | instid1(VALU_DEP_1)
	v_add_nc_u64_e32 v[232:233], s[30:31], v[230:231]
	;; [unrolled: 3-line block ×3, first 2 shown]
	v_add_nc_u64_e32 v[174:175], s[30:31], v[238:239]
	global_load_b64 v[188:189], v[206:207], off
	global_load_b64 v[184:185], v[228:229], off
	;; [unrolled: 1-line block ×8, first 2 shown]
	s_cbranch_scc0 .LBB94_10
; %bb.9:                                ;   in Loop: Header=BB94_8 Depth=2
	v_add_nc_u64_e32 v[112:113], v[76:77], v[2:3]
	v_add_nc_u64_e32 v[114:115], v[78:79], v[2:3]
	;; [unrolled: 1-line block ×15, first 2 shown]
	global_load_b64 v[110:111], v[208:209], off offset:1024
	global_load_b64 v[112:113], v[112:113], off
	global_load_b64 v[114:115], v[114:115], off
	;; [unrolled: 1-line block ×15, first 2 shown]
.LBB94_10:                              ;   in Loop: Header=BB94_8 Depth=2
	s_wait_loadcnt 0x0
	v_fmac_f64_e32 v[42:43], v[142:143], v[206:207]
	v_add_nc_u64_e32 v[142:143], s[36:37], v[86:87]
	v_fmac_f64_e32 v[72:73], v[170:171], v[206:207]
	v_fmac_f64_e32 v[68:69], v[168:169], v[206:207]
	;; [unrolled: 1-line block ×6, first 2 shown]
	global_load_b64 v[142:143], v[142:143], off
	v_fmac_f64_e32 v[62:63], v[158:159], v[206:207]
	v_fmac_f64_e32 v[56:57], v[156:157], v[206:207]
	;; [unrolled: 1-line block ×9, first 2 shown]
	v_add_nc_u64_e32 v[74:75], 0x400, v[74:75]
	v_add_nc_u64_e32 v[76:77], 0x400, v[76:77]
	v_add_nc_u64_e32 v[78:79], 0x400, v[78:79]
	v_add_nc_u64_e32 v[80:81], 0x400, v[80:81]
	v_add_nc_u64_e32 v[82:83], 0x400, v[82:83]
	v_add_nc_u64_e32 v[88:89], 0x400, v[88:89]
	v_add_nc_u64_e32 v[90:91], 0x400, v[90:91]
	v_add_nc_u64_e32 v[92:93], 0x400, v[92:93]
	v_add_nc_u64_e32 v[94:95], 0x400, v[94:95]
	v_add_nc_u64_e32 v[96:97], 0x400, v[96:97]
	v_add_nc_u64_e32 v[98:99], 0x400, v[98:99]
	v_add_nc_u64_e32 v[100:101], 0x400, v[100:101]
	v_add_nc_u64_e32 v[102:103], 0x400, v[102:103]
	v_add_nc_u64_e32 v[104:105], 0x400, v[104:105]
	v_add_nc_u64_e32 v[106:107], 0x400, v[106:107]
	v_add_nc_u64_e32 v[108:109], 0x400, v[108:109]
	s_add_co_i32 s42, s42, 1
	s_add_nc_u64 s[36:37], s[36:37], s[28:29]
	s_cmp_ge_i32 s42, s40
	s_wait_loadcnt 0x0
	v_fmac_f64_e32 v[42:43], v[204:205], v[142:143]
	v_fmac_f64_e32 v[72:73], v[202:203], v[142:143]
	;; [unrolled: 1-line block ×16, first 2 shown]
	s_cbranch_scc1 .LBB94_13
; %bb.11:                               ;   in Loop: Header=BB94_8 Depth=2
	s_wait_xcnt 0x0
	v_mov_b64_e32 v[142:143], v[110:111]
	v_mov_b64_e32 v[170:171], v[112:113]
	;; [unrolled: 1-line block ×16, first 2 shown]
	s_branch .LBB94_8
.LBB94_12:                              ;   in Loop: Header=BB94_4 Depth=1
	v_mov_b64_e32 v[44:45], 0
	v_mov_b64_e32 v[46:47], 0
	;; [unrolled: 1-line block ×16, first 2 shown]
.LBB94_13:                              ;   in Loop: Header=BB94_4 Depth=1
	ds_store_2addr_stride64_b64 v226, v[42:43], v[72:73] offset1:1
	ds_store_2addr_stride64_b64 v226, v[68:69], v[70:71] offset0:2 offset1:3
	ds_store_2addr_stride64_b64 v226, v[64:65], v[66:67] offset0:4 offset1:5
	;; [unrolled: 1-line block ×6, first 2 shown]
	ds_store_b64 v226, v[46:47] offset:7168
	ds_store_b64 v227, v[44:45]
	s_wait_storecnt_dscnt 0x0
	s_barrier_signal -1
	s_barrier_wait -1
	s_wait_xcnt 0x0
	s_and_saveexec_b32 s36, s0
	s_cbranch_execz .LBB94_2
; %bb.14:                               ;   in Loop: Header=BB94_4 Depth=1
	s_clause 0x3
	scratch_load_b32 v44, off, off offset:8
	scratch_load_b32 v46, off, off offset:12
	;; [unrolled: 1-line block ×4, first 2 shown]
	ds_load_b64 v[42:43], v225
	s_mul_u64 s[38:39], s[24:25], s[2:3]
	s_wait_dscnt 0x0
	v_add_f64_e32 v[42:43], 0, v[42:43]
	s_wait_loadcnt 0x3
	ds_load_b64 v[44:45], v44
	s_wait_loadcnt 0x2
	ds_load_b64 v[46:47], v46
	;; [unrolled: 2-line block ×4, first 2 shown]
	s_wait_dscnt 0x3
	v_add_f64_e32 v[42:43], v[42:43], v[44:45]
	scratch_load_b32 v44, off, off offset:20 ; 4-byte Folded Reload
	s_wait_dscnt 0x2
	v_add_f64_e32 v[42:43], v[42:43], v[46:47]
	scratch_load_b32 v46, off, off offset:24 ; 4-byte Folded Reload
	;; [unrolled: 3-line block ×3, first 2 shown]
	s_wait_loadcnt 0x2
	ds_load_b64 v[44:45], v44
	s_wait_loadcnt 0x1
	ds_load_b64 v[46:47], v46
	;; [unrolled: 2-line block ×3, first 2 shown]
	s_wait_dscnt 0x2
	v_add_f64_e32 v[42:43], v[42:43], v[44:45]
	scratch_load_b32 v44, off, off offset:36 ; 4-byte Folded Reload
	s_wait_dscnt 0x1
	v_add_f64_e32 v[42:43], v[42:43], v[46:47]
	scratch_load_b32 v46, off, off offset:40 ; 4-byte Folded Reload
	;; [unrolled: 3-line block ×3, first 2 shown]
	v_add_f64_e32 v[42:43], v[42:43], v[50:51]
	scratch_load_b32 v50, off, off offset:48 ; 4-byte Folded Reload
	s_wait_loadcnt 0x3
	ds_load_b64 v[44:45], v44
	s_wait_loadcnt 0x2
	ds_load_b64 v[46:47], v46
	s_wait_loadcnt 0x1
	ds_load_b64 v[48:49], v48
	s_wait_loadcnt 0x0
	ds_load_b64 v[50:51], v50
	s_wait_dscnt 0x3
	v_add_f64_e32 v[42:43], v[42:43], v[44:45]
	scratch_load_b32 v44, off, off offset:52 ; 4-byte Folded Reload
	s_wait_dscnt 0x2
	v_add_f64_e32 v[42:43], v[42:43], v[46:47]
	scratch_load_b32 v46, off, off offset:56 ; 4-byte Folded Reload
	s_wait_dscnt 0x1
	v_add_f64_e32 v[42:43], v[42:43], v[48:49]
	scratch_load_b32 v48, off, off offset:60 ; 4-byte Folded Reload
	s_wait_dscnt 0x0
	v_add_f64_e32 v[42:43], v[42:43], v[50:51]
	scratch_load_b32 v50, off, off offset:64 ; 4-byte Folded Reload
	s_wait_loadcnt 0x3
	ds_load_b64 v[44:45], v44
	s_wait_loadcnt 0x2
	ds_load_b64 v[46:47], v46
	s_wait_loadcnt 0x1
	ds_load_b64 v[48:49], v48
	s_wait_loadcnt 0x0
	ds_load_b64 v[50:51], v50
	s_wait_dscnt 0x3
	v_add_f64_e32 v[42:43], v[42:43], v[44:45]
	scratch_load_b32 v44, off, off offset:68 ; 4-byte Folded Reload
	s_wait_dscnt 0x2
	v_add_f64_e32 v[42:43], v[42:43], v[46:47]
	scratch_load_b32 v46, off, off offset:72 ; 4-byte Folded Reload
	s_wait_dscnt 0x1
	v_add_f64_e32 v[42:43], v[42:43], v[48:49]
	scratch_load_b32 v48, off, off offset:76 ; 4-byte Folded Reload
	s_wait_dscnt 0x0
	;; [unrolled: 20-line block ×4, first 2 shown]
	v_add_f64_e32 v[42:43], v[42:43], v[50:51]
	scratch_load_b32 v50, off, off offset:112 ; 4-byte Folded Reload
	s_wait_loadcnt 0x3
	ds_load_b64 v[44:45], v44
	s_wait_loadcnt 0x2
	ds_load_b64 v[46:47], v46
	;; [unrolled: 2-line block ×3, first 2 shown]
	s_wait_dscnt 0x2
	v_add_f64_e32 v[42:43], v[42:43], v[44:45]
	scratch_load_b32 v44, off, off offset:116 ; 4-byte Folded Reload
	s_wait_loadcnt 0x1
	ds_load_b64 v[50:51], v50
	s_wait_dscnt 0x2
	v_add_f64_e32 v[42:43], v[42:43], v[46:47]
	scratch_load_b32 v46, off, off offset:120 ; 4-byte Folded Reload
	s_wait_dscnt 0x1
	v_add_f64_e32 v[42:43], v[42:43], v[48:49]
	scratch_load_b32 v48, off, off offset:124 ; 4-byte Folded Reload
	s_wait_loadcnt 0x2
	ds_load_b64 v[44:45], v44
	s_wait_loadcnt 0x1
	ds_load_b64 v[46:47], v46
	s_wait_dscnt 0x2
	v_add_f64_e32 v[42:43], v[42:43], v[50:51]
	s_wait_loadcnt 0x0
	ds_load_b64 v[48:49], v48
	ds_load_b64 v[50:51], v240
	s_wait_dscnt 0x3
	v_add_f64_e32 v[42:43], v[42:43], v[44:45]
	s_wait_dscnt 0x2
	s_delay_alu instid0(VALU_DEP_1) | instskip(SKIP_1) | instid1(VALU_DEP_1)
	v_add_f64_e32 v[42:43], v[42:43], v[46:47]
	s_wait_dscnt 0x1
	v_add_f64_e32 v[42:43], v[42:43], v[48:49]
	s_wait_dscnt 0x0
	s_delay_alu instid0(VALU_DEP_1)
	v_add_f64_e32 v[42:43], v[42:43], v[50:51]
	ds_load_b64 v[44:45], v241
	ds_load_b64 v[46:47], v242
	ds_load_b64 v[48:49], v243
	ds_load_b64 v[50:51], v244
	s_wait_dscnt 0x3
	v_add_f64_e32 v[42:43], v[42:43], v[44:45]
	s_wait_dscnt 0x2
	s_delay_alu instid0(VALU_DEP_1) | instskip(SKIP_1) | instid1(VALU_DEP_1)
	v_add_f64_e32 v[42:43], v[42:43], v[46:47]
	s_wait_dscnt 0x1
	v_add_f64_e32 v[42:43], v[42:43], v[48:49]
	s_wait_dscnt 0x0
	s_delay_alu instid0(VALU_DEP_1)
	v_add_f64_e32 v[42:43], v[42:43], v[50:51]
	ds_load_b64 v[44:45], v245
	ds_load_b64 v[46:47], v246
	;; [unrolled: 14-line block ×8, first 2 shown]
	ds_load_b64 v[48:49], v223
	ds_load_b64 v[50:51], v224
	s_wait_dscnt 0x3
	v_add_f64_e32 v[42:43], v[42:43], v[44:45]
	s_wait_dscnt 0x2
	s_delay_alu instid0(VALU_DEP_1) | instskip(SKIP_1) | instid1(VALU_DEP_1)
	v_add_f64_e32 v[42:43], v[42:43], v[46:47]
	s_wait_dscnt 0x1
	v_add_f64_e32 v[42:43], v[42:43], v[48:49]
	s_wait_dscnt 0x0
	s_delay_alu instid0(VALU_DEP_1) | instskip(NEXT) | instid1(VALU_DEP_1)
	v_add_f64_e32 v[42:43], v[42:43], v[50:51]
	v_mul_f64_e32 v[40:41], v[40:41], v[42:43]
	v_lshl_add_u64 v[42:43], s[38:39], 3, v[8:9]
	global_atomic_add_f64 v[42:43], v[40:41], off scope:SCOPE_DEV
	s_branch .LBB94_2
.LBB94_15:
	s_sendmsg sendmsg(MSG_DEALLOC_VGPRS)
	s_endpgm
	.section	.rodata,"a",@progbits
	.p2align	6, 0x0
	.amdhsa_kernel _ZL36rocblas_gemvt_double_buffered_kernelILb1ELi128ELi4ELi16EdPKddEviiT4_lPKT3_lilS5_lilPT5_lili
		.amdhsa_group_segment_fixed_size 65536
		.amdhsa_private_segment_fixed_size 132
		.amdhsa_kernarg_size 384
		.amdhsa_user_sgpr_count 2
		.amdhsa_user_sgpr_dispatch_ptr 0
		.amdhsa_user_sgpr_queue_ptr 0
		.amdhsa_user_sgpr_kernarg_segment_ptr 1
		.amdhsa_user_sgpr_dispatch_id 0
		.amdhsa_user_sgpr_kernarg_preload_length 0
		.amdhsa_user_sgpr_kernarg_preload_offset 0
		.amdhsa_user_sgpr_private_segment_size 0
		.amdhsa_wavefront_size32 1
		.amdhsa_uses_dynamic_stack 0
		.amdhsa_enable_private_segment 1
		.amdhsa_system_sgpr_workgroup_id_x 1
		.amdhsa_system_sgpr_workgroup_id_y 1
		.amdhsa_system_sgpr_workgroup_id_z 1
		.amdhsa_system_sgpr_workgroup_info 0
		.amdhsa_system_vgpr_workitem_id 1
		.amdhsa_next_free_vgpr 256
		.amdhsa_next_free_sgpr 44
		.amdhsa_named_barrier_count 0
		.amdhsa_reserve_vcc 1
		.amdhsa_float_round_mode_32 0
		.amdhsa_float_round_mode_16_64 0
		.amdhsa_float_denorm_mode_32 3
		.amdhsa_float_denorm_mode_16_64 3
		.amdhsa_fp16_overflow 0
		.amdhsa_memory_ordered 1
		.amdhsa_forward_progress 1
		.amdhsa_inst_pref_size 52
		.amdhsa_round_robin_scheduling 0
		.amdhsa_exception_fp_ieee_invalid_op 0
		.amdhsa_exception_fp_denorm_src 0
		.amdhsa_exception_fp_ieee_div_zero 0
		.amdhsa_exception_fp_ieee_overflow 0
		.amdhsa_exception_fp_ieee_underflow 0
		.amdhsa_exception_fp_ieee_inexact 0
		.amdhsa_exception_int_div_zero 0
	.end_amdhsa_kernel
	.section	.text._ZL36rocblas_gemvt_double_buffered_kernelILb1ELi128ELi4ELi16EdPKddEviiT4_lPKT3_lilS5_lilPT5_lili,"axG",@progbits,_ZL36rocblas_gemvt_double_buffered_kernelILb1ELi128ELi4ELi16EdPKddEviiT4_lPKT3_lilS5_lilPT5_lili,comdat
.Lfunc_end94:
	.size	_ZL36rocblas_gemvt_double_buffered_kernelILb1ELi128ELi4ELi16EdPKddEviiT4_lPKT3_lilS5_lilPT5_lili, .Lfunc_end94-_ZL36rocblas_gemvt_double_buffered_kernelILb1ELi128ELi4ELi16EdPKddEviiT4_lPKT3_lilS5_lilPT5_lili
                                        ; -- End function
	.set _ZL36rocblas_gemvt_double_buffered_kernelILb1ELi128ELi4ELi16EdPKddEviiT4_lPKT3_lilS5_lilPT5_lili.num_vgpr, 256
	.set _ZL36rocblas_gemvt_double_buffered_kernelILb1ELi128ELi4ELi16EdPKddEviiT4_lPKT3_lilS5_lilPT5_lili.num_agpr, 0
	.set _ZL36rocblas_gemvt_double_buffered_kernelILb1ELi128ELi4ELi16EdPKddEviiT4_lPKT3_lilS5_lilPT5_lili.numbered_sgpr, 44
	.set _ZL36rocblas_gemvt_double_buffered_kernelILb1ELi128ELi4ELi16EdPKddEviiT4_lPKT3_lilS5_lilPT5_lili.num_named_barrier, 0
	.set _ZL36rocblas_gemvt_double_buffered_kernelILb1ELi128ELi4ELi16EdPKddEviiT4_lPKT3_lilS5_lilPT5_lili.private_seg_size, 132
	.set _ZL36rocblas_gemvt_double_buffered_kernelILb1ELi128ELi4ELi16EdPKddEviiT4_lPKT3_lilS5_lilPT5_lili.uses_vcc, 1
	.set _ZL36rocblas_gemvt_double_buffered_kernelILb1ELi128ELi4ELi16EdPKddEviiT4_lPKT3_lilS5_lilPT5_lili.uses_flat_scratch, 1
	.set _ZL36rocblas_gemvt_double_buffered_kernelILb1ELi128ELi4ELi16EdPKddEviiT4_lPKT3_lilS5_lilPT5_lili.has_dyn_sized_stack, 0
	.set _ZL36rocblas_gemvt_double_buffered_kernelILb1ELi128ELi4ELi16EdPKddEviiT4_lPKT3_lilS5_lilPT5_lili.has_recursion, 0
	.set _ZL36rocblas_gemvt_double_buffered_kernelILb1ELi128ELi4ELi16EdPKddEviiT4_lPKT3_lilS5_lilPT5_lili.has_indirect_call, 0
	.section	.AMDGPU.csdata,"",@progbits
; Kernel info:
; codeLenInByte = 6540
; TotalNumSgprs: 46
; NumVgprs: 256
; ScratchSize: 132
; MemoryBound: 0
; FloatMode: 240
; IeeeMode: 1
; LDSByteSize: 65536 bytes/workgroup (compile time only)
; SGPRBlocks: 0
; VGPRBlocks: 15
; NumSGPRsForWavesPerEU: 46
; NumVGPRsForWavesPerEU: 256
; NamedBarCnt: 0
; Occupancy: 4
; WaveLimiterHint : 0
; COMPUTE_PGM_RSRC2:SCRATCH_EN: 1
; COMPUTE_PGM_RSRC2:USER_SGPR: 2
; COMPUTE_PGM_RSRC2:TRAP_HANDLER: 0
; COMPUTE_PGM_RSRC2:TGID_X_EN: 1
; COMPUTE_PGM_RSRC2:TGID_Y_EN: 1
; COMPUTE_PGM_RSRC2:TGID_Z_EN: 1
; COMPUTE_PGM_RSRC2:TIDIG_COMP_CNT: 1
	.section	.text._ZL36rocblas_gemvt_double_buffered_kernelILb1ELi128ELi4ELi16EdddEviiT4_lPKT3_lilS3_lilPT5_lili,"axG",@progbits,_ZL36rocblas_gemvt_double_buffered_kernelILb1ELi128ELi4ELi16EdddEviiT4_lPKT3_lilS3_lilPT5_lili,comdat
	.globl	_ZL36rocblas_gemvt_double_buffered_kernelILb1ELi128ELi4ELi16EdddEviiT4_lPKT3_lilS3_lilPT5_lili ; -- Begin function _ZL36rocblas_gemvt_double_buffered_kernelILb1ELi128ELi4ELi16EdddEviiT4_lPKT3_lilS3_lilPT5_lili
	.p2align	8
	.type	_ZL36rocblas_gemvt_double_buffered_kernelILb1ELi128ELi4ELi16EdddEviiT4_lPKT3_lilS3_lilPT5_lili,@function
_ZL36rocblas_gemvt_double_buffered_kernelILb1ELi128ELi4ELi16EdddEviiT4_lPKT3_lilS3_lilPT5_lili: ; @_ZL36rocblas_gemvt_double_buffered_kernelILb1ELi128ELi4ELi16EdddEviiT4_lPKT3_lilS3_lilPT5_lili
; %bb.0:
	s_load_b32 s33, s[0:1], 0x78
	s_bfe_u32 s2, ttmp6, 0x40014
	s_lshr_b32 s3, ttmp7, 16
	s_add_co_i32 s2, s2, 1
	s_bfe_u32 s4, ttmp6, 0x40008
	s_mul_i32 s2, s3, s2
	s_getreg_b32 s20, hwreg(HW_REG_IB_STS2, 6, 4)
	s_add_co_i32 s4, s4, s2
	s_cmp_eq_u32 s20, 0
	s_cselect_b32 s2, s3, s4
	s_mov_b32 s3, 0
	s_wait_kmcnt 0x0
	s_cmp_ge_u32 s2, s33
	s_cbranch_scc1 .LBB95_15
; %bb.1:
	s_clause 0x8
	s_load_b32 s28, s[0:1], 0x28
	s_load_b96 s[12:14], s[0:1], 0x40
	s_load_b96 s[36:38], s[0:1], 0x60
	s_load_b32 s21, s[0:1], 0x0
	s_load_b128 s[24:27], s[0:1], 0x18
	s_load_b128 s[8:11], s[0:1], 0x50
	;; [unrolled: 1-line block ×3, first 2 shown]
	s_load_b64 s[16:17], s[0:1], 0x8
	s_load_b64 s[18:19], s[0:1], 0x70
	v_and_b32_e32 v8, 0x3ff, v0
	v_bfe_u32 v1, v0, 10, 10
	s_bfe_u32 s15, ttmp6, 0x4000c
	s_bfe_u32 s41, ttmp6, 0x40010
	s_and_b32 s40, ttmp7, 0xffff
	s_add_co_i32 s42, s15, 1
	v_lshl_add_u32 v4, v1, 7, v8
	s_add_co_i32 s41, s41, 1
	s_and_b32 s39, ttmp6, 15
	v_dual_mov_b32 v3, 0 :: v_dual_lshlrev_b32 v42, 9, v8
	s_delay_alu instid0(VALU_DEP_2)
	v_lshrrev_b32_e32 v5, 2, v4
	s_wait_kmcnt 0x0
	s_ashr_i32 s29, s28, 31
	s_lshl_b64 s[22:23], s[36:37], 3
	s_ashr_i32 s34, s21, 31
	s_ashr_i32 s15, s14, 31
	s_lshr_b32 s36, s34, 25
	v_and_b32_e32 v6, 0x7ff0, v5
	v_and_b32_e32 v2, 63, v0
	s_add_co_i32 s21, s21, s36
	s_add_nc_u64 s[34:35], s[10:11], s[22:23]
	s_ashr_i32 s10, s21, 7
	s_mul_i32 s11, ttmp9, s42
	s_mul_i32 s21, s40, s41
	s_bfe_u32 s22, ttmp6, 0x40004
	s_ashr_i32 s31, s38, 31
	s_lshl_b64 s[26:27], s[26:27], 3
	s_add_co_i32 s39, s39, s11
	s_add_co_i32 s22, s22, s21
	v_lshlrev_b32_e32 v40, 9, v6
	v_mad_nc_i64_i32 v[10:11], s28, v6, v[2:3]
	v_lshlrev_b32_e32 v2, 3, v2
	v_lshl_or_b32 v41, v5, 9, 0x1e00
	v_dual_add_nc_u32 v5, 1, v8 :: v_dual_add_nc_u32 v6, 2, v8
	s_cmp_eq_u32 s20, 0
	s_add_nc_u64 s[20:21], s[0:1], 0x80
	s_cselect_b32 s0, ttmp9, s39
	s_mov_b32 s30, s38
	s_cselect_b32 s1, s40, s22
	s_lshl_b32 s38, s0, 7
	v_dual_add_nc_u32 v7, 3, v8 :: v_dual_add_nc_u32 v9, 4, v8
	v_and_b32_e32 v5, 63, v5
	v_cmp_eq_u32_e64 s0, 0, v1
	v_dual_add_nc_u32 v16, 10, v8 :: v_dual_bitop2_b32 v1, 63, v6 bitop3:0x40
	s_delay_alu instid0(VALU_DEP_4) | instskip(NEXT) | instid1(VALU_DEP_4)
	v_dual_add_nc_u32 v44, 11, v8 :: v_dual_bitop2_b32 v6, 63, v7 bitop3:0x40
	v_lshl_or_b32 v5, v5, 3, v42
	s_delay_alu instid0(VALU_DEP_3) | instskip(NEXT) | instid1(VALU_DEP_4)
	v_lshl_or_b32 v1, v1, 3, v42
	v_and_b32_e32 v43, 63, v16
	scratch_store_b64 off, v[10:11], off    ; 8-byte Folded Spill
	v_dual_add_nc_u32 v9, 7, v8 :: v_dual_bitop2_b32 v7, 63, v9 bitop3:0x40
	scratch_store_b32 off, v5, off offset:8 ; 4-byte Folded Spill
	v_and_b32_e32 v44, 63, v44
	v_lshl_or_b32 v43, v43, 3, v42
	scratch_store_b32 off, v1, off offset:12 ; 4-byte Folded Spill
	s_wait_xcnt 0x0
	v_lshl_or_b32 v1, v6, 3, v42
	v_add_nc_u32_e32 v5, 5, v8
	v_lshl_or_b32 v44, v44, 3, v42
	v_add_nc_u32_e32 v10, 8, v8
	s_ashr_i32 s39, s38, 31
	scratch_store_b32 off, v1, off offset:16 ; 4-byte Folded Spill
	s_wait_xcnt 0x0
	v_lshl_or_b32 v1, v7, 3, v42
	v_dual_add_nc_u32 v7, 6, v8 :: v_dual_bitop2_b32 v6, 63, v5 bitop3:0x40
	v_dual_mov_b32 v5, v3 :: v_dual_add_nc_u32 v45, 12, v8
	scratch_store_b32 off, v1, off offset:20 ; 4-byte Folded Spill
	s_wait_xcnt 0x0
	v_lshlrev_b32_e32 v1, 1, v4
	s_add_nc_u64 s[36:37], s[24:25], s[26:27]
	scratch_store_b32 off, v43, off offset:44 ; 4-byte Folded Spill
	v_bitop3_b32 v0, v0, 32, 63 bitop3:0x6c
	v_dual_add_nc_u32 v47, 55, v8 :: v_dual_add_nc_u32 v48, 56, v8
	v_and_b32_e32 v4, 0x3ff80, v1
	v_lshl_or_b32 v1, v6, 3, v42
	v_dual_add_nc_u32 v9, 9, v8 :: v_dual_bitop2_b32 v6, 63, v9 bitop3:0x40
	v_lshl_or_b32 v239, v0, 3, v42
	v_dual_add_nc_u32 v49, 57, v8 :: v_dual_add_nc_u32 v50, 58, v8
	v_dual_add_nc_u32 v51, 59, v8 :: v_dual_add_nc_u32 v52, 60, v8
	s_delay_alu instid0(VALU_DEP_4) | instskip(SKIP_3) | instid1(VALU_DEP_2)
	v_dual_add_nc_u32 v53, 61, v8 :: v_dual_bitop2_b32 v9, 63, v9 bitop3:0x40
	v_add_nc_u32_e32 v54, 62, v8
	s_mul_u64 s[22:23], s[28:29], s[38:39]
	s_mul_u64 s[24:25], s[30:31], s[38:39]
	v_lshl_or_b32 v9, v9, 3, v42
	scratch_store_b32 off, v1, off offset:24 ; 4-byte Folded Spill
	s_wait_xcnt 0x0
	v_and_b32_e32 v1, 63, v7
	v_lshl_add_u64 v[4:5], s[38:39], 3, v[4:5]
	v_cmp_neq_f64_e64 s38, s[16:17], 0
	scratch_store_b32 off, v9, off offset:40 ; 4-byte Folded Spill
	s_lshl_b64 s[24:25], s[24:25], 3
	v_lshl_or_b32 v1, v1, 3, v42
	v_mul_lo_u32 v5, v5, s28
	s_wait_xcnt 0x0
	v_or_b32_e32 v9, 32, v4
	v_or_b32_e32 v37, 0x58, v4
	v_and_b32_e32 v7, 63, v10
	v_or_b32_e32 v21, 24, v4
	v_or_b32_e32 v20, 16, v4
	v_mad_nc_u64_u32 v[16:17], v9, s28, s[36:37]
	v_mad_nc_u64_u32 v[30:31], v37, s28, s[36:37]
	v_or_b32_e32 v36, 0x50, v4
	v_mad_nc_u64_u32 v[14:15], v21, s28, s[36:37]
	v_mad_nc_u64_u32 v[12:13], v20, s28, s[36:37]
	v_or_b32_e32 v38, 0x60, v4
	v_or_b32_e32 v46, 0x70, v4
	s_add_nc_u64 s[34:35], s[34:35], s[24:25]
	v_or_b32_e32 v221, v42, v2
	v_dual_add_nc_u32 v45, 53, v8 :: v_dual_bitop2_b32 v43, 63, v45 bitop3:0x40
	v_add_nc_u32_e32 v17, v5, v17
	s_lshl_b64 s[22:23], s[22:23], 3
	s_mul_u64 s[24:25], s[28:29], 15
	s_add_nc_u64 s[22:23], s[36:37], s[22:23]
	v_add_nc_u32_e32 v13, v5, v13
	v_mad_u32 v17, v9, s29, v17
	v_or_b32_e32 v9, 0x48, v4
	s_lshl_b64 s[26:27], s[14:15], 10
	s_mov_b32 s11, s3
	v_mad_u32 v13, v20, s29, v13
	s_lshl_b64 s[8:9], s[8:9], 3
	v_mad_nc_u64_u32 v[26:27], v9, s28, s[36:37]
	v_or_b32_e32 v34, 64, v4
	v_dual_add_nc_u32 v222, v2, v40 :: v_dual_add_nc_u32 v223, v2, v41
	v_add_nc_u32_e32 v0, 34, v8
	v_add_nc_u64_e32 v[16:17], 0x400, v[16:17]
	v_add_nc_u64_e32 v[12:13], 0x400, v[12:13]
	s_delay_alu instid0(VALU_DEP_3) | instskip(SKIP_1) | instid1(VALU_DEP_2)
	v_dual_add_nc_u32 v27, v5, v27 :: v_dual_bitop2_b32 v0, 63, v0 bitop3:0x40
	v_mad_nc_u64_u32 v[24:25], v34, s28, s[36:37]
	v_lshl_or_b32 v241, v0, 3, v42
	s_delay_alu instid0(VALU_DEP_3) | instskip(SKIP_1) | instid1(VALU_DEP_1)
	v_mad_u32 v27, v9, s29, v27
	v_dual_add_nc_u32 v9, v5, v31 :: v_dual_add_nc_u32 v0, 39, v8
	v_mad_u32 v31, v37, s29, v9
	v_dual_add_nc_u32 v9, 13, v8 :: v_dual_add_nc_u32 v25, v5, v25
	s_delay_alu instid0(VALU_DEP_3) | instskip(SKIP_1) | instid1(VALU_DEP_3)
	v_and_b32_e32 v0, 63, v0
	v_add_nc_u64_e32 v[26:27], 0x400, v[26:27]
	v_and_b32_e32 v9, 63, v9
	s_delay_alu instid0(VALU_DEP_4) | instskip(NEXT) | instid1(VALU_DEP_4)
	v_mad_u32 v25, v34, s29, v25
	v_lshl_or_b32 v246, v0, 3, v42
	v_add_nc_u32_e32 v0, 44, v8
	s_delay_alu instid0(VALU_DEP_4)
	v_lshl_or_b32 v9, v9, 3, v42
	scratch_store_b32 off, v1, off offset:28 ; 4-byte Folded Spill
	s_wait_xcnt 0x0
	v_lshl_or_b32 v1, v6, 3, v42
	v_add_nc_u64_e32 v[30:31], 0x400, v[30:31]
	v_and_b32_e32 v0, 63, v0
	scratch_store_b32 off, v9, off offset:56 ; 4-byte Folded Spill
	s_wait_xcnt 0x0
	v_add_nc_u32_e32 v9, 14, v8
	v_add_nc_u64_e32 v[24:25], 0x400, v[24:25]
	v_lshl_or_b32 v251, v0, 3, v42
	s_delay_alu instid0(VALU_DEP_3) | instskip(NEXT) | instid1(VALU_DEP_1)
	v_and_b32_e32 v9, 63, v9
	v_lshl_or_b32 v9, v9, 3, v42
	scratch_store_b32 off, v1, off offset:32 ; 4-byte Folded Spill
	s_wait_xcnt 0x0
	v_lshl_or_b32 v1, v7, 3, v42
	v_mad_nc_u64_u32 v[6:7], v4, s28, s[36:37]
	scratch_store_b32 off, v1, off offset:36 ; 4-byte Folded Spill
	s_wait_xcnt 0x0
	v_dual_add_nc_u32 v7, v5, v7 :: v_dual_bitop2_b32 v1, 8, v4 bitop3:0x54
	s_delay_alu instid0(VALU_DEP_1) | instskip(NEXT) | instid1(VALU_DEP_2)
	v_mad_nc_u64_u32 v[10:11], v1, s28, s[36:37]
	v_mad_u32 v7, v4, s29, v7
	s_delay_alu instid0(VALU_DEP_2) | instskip(NEXT) | instid1(VALU_DEP_1)
	v_add_nc_u32_e32 v11, v5, v11
	v_mad_u32 v11, v1, s29, v11
	v_add_nc_u32_e32 v1, v5, v15
	s_delay_alu instid0(VALU_DEP_1) | instskip(SKIP_1) | instid1(VALU_DEP_4)
	v_mad_u32 v15, v21, s29, v1
	v_or_b32_e32 v1, 56, v4
	v_add_nc_u64_e32 v[10:11], 0x400, v[10:11]
	s_delay_alu instid0(VALU_DEP_2) | instskip(SKIP_2) | instid1(VALU_DEP_3)
	v_mad_nc_u64_u32 v[22:23], v1, s28, s[36:37]
	v_or_b32_e32 v32, 48, v4
	v_add_nc_u64_e32 v[14:15], 0x400, v[14:15]
	v_add_nc_u32_e32 v23, v5, v23
	s_delay_alu instid0(VALU_DEP_3) | instskip(SKIP_1) | instid1(VALU_DEP_3)
	v_mad_nc_u64_u32 v[20:21], v32, s28, s[36:37]
	v_or_b32_e32 v28, 40, v4
	v_mad_u32 v23, v1, s29, v23
	v_or_b32_e32 v1, 0x68, v4
	v_or_b32_e32 v4, 0x78, v4
	s_delay_alu instid0(VALU_DEP_2) | instskip(SKIP_3) | instid1(VALU_DEP_3)
	v_mad_nc_u64_u32 v[34:35], v1, s28, s[36:37]
	v_add_nc_u32_e32 v21, v5, v21
	v_mad_nc_u64_u32 v[18:19], v28, s28, s[36:37]
	v_add_nc_u64_e32 v[22:23], 0x400, v[22:23]
	v_mad_u32 v21, v32, s29, v21
	v_mad_nc_u64_u32 v[32:33], v38, s28, s[36:37]
	v_add_nc_u32_e32 v35, v5, v35
	v_add_nc_u32_e32 v19, v5, v19
	s_delay_alu instid0(VALU_DEP_2) | instskip(SKIP_1) | instid1(VALU_DEP_3)
	v_mad_u32 v35, v1, s29, v35
	v_add_nc_u64_e32 v[20:21], 0x400, v[20:21]
	v_mad_u32 v19, v28, s29, v19
	v_mad_nc_u64_u32 v[28:29], v36, s28, s[36:37]
	v_add_nc_u32_e32 v33, v5, v33
	s_delay_alu instid0(VALU_DEP_1) | instskip(SKIP_4) | instid1(VALU_DEP_1)
	v_mad_u32 v33, v38, s29, v33
	v_mad_nc_u64_u32 v[38:39], v4, s28, s[36:37]
	v_add_nc_u64_e32 v[34:35], 0x400, v[34:35]
	v_add_nc_u64_e32 v[18:19], 0x400, v[18:19]
	v_add_nc_u32_e32 v29, v5, v29
	v_mad_u32 v29, v36, s29, v29
	v_mad_nc_u64_u32 v[36:37], v46, s28, s[36:37]
	v_add_nc_u64_e32 v[32:33], 0x400, v[32:33]
	s_delay_alu instid0(VALU_DEP_3) | instskip(NEXT) | instid1(VALU_DEP_3)
	v_add_nc_u64_e32 v[28:29], 0x400, v[28:29]
	v_add_nc_u32_e32 v1, v5, v37
	v_lshl_or_b32 v37, v43, 3, v42
	scratch_store_b32 off, v44, off offset:48 ; 4-byte Folded Spill
	v_dual_add_nc_u32 v5, v5, v39 :: v_dual_add_nc_u32 v43, 16, v8
	s_wait_xcnt 0x0
	v_add_nc_u32_e32 v44, 52, v8
	scratch_store_b32 off, v37, off offset:52 ; 4-byte Folded Spill
	s_wait_xcnt 0x0
	v_mad_u32 v37, v46, s29, v1
	v_add_nc_u32_e32 v1, 15, v8
	v_mad_u32 v39, v4, s29, v5
	v_dual_add_nc_u32 v5, 18, v8 :: v_dual_add_nc_u32 v4, 17, v8
	v_and_b32_e32 v43, 63, v43
	s_delay_alu instid0(VALU_DEP_4) | instskip(NEXT) | instid1(VALU_DEP_3)
	v_dual_add_nc_u32 v46, 54, v8 :: v_dual_bitop2_b32 v1, 63, v1 bitop3:0x40
	v_and_b32_e32 v5, 63, v5
	s_delay_alu instid0(VALU_DEP_4) | instskip(SKIP_1) | instid1(VALU_DEP_4)
	v_and_b32_e32 v4, 63, v4
	v_and_b32_e32 v44, 63, v44
	v_lshl_or_b32 v1, v1, 3, v42
	scratch_store_b32 off, v9, off offset:60 ; 4-byte Folded Spill
	s_wait_xcnt 0x0
	v_dual_add_nc_u32 v9, 22, v8 :: v_dual_bitop2_b32 v45, 63, v45 bitop3:0x40
	v_lshl_or_b32 v211, v44, 3, v42
	scratch_store_b32 off, v1, off offset:64 ; 4-byte Folded Spill
	s_wait_xcnt 0x0
	v_lshl_or_b32 v1, v43, 3, v42
	v_dual_add_nc_u32 v43, 23, v8 :: v_dual_bitop2_b32 v9, 63, v9 bitop3:0x40
	v_lshl_or_b32 v212, v45, 3, v42
	v_and_b32_e32 v44, 63, v49
	scratch_store_b32 off, v1, off offset:68 ; 4-byte Folded Spill
	s_wait_xcnt 0x0
	v_lshl_or_b32 v1, v4, 3, v42
	v_dual_add_nc_u32 v4, 20, v8 :: v_dual_bitop2_b32 v43, 63, v43 bitop3:0x40
	v_and_b32_e32 v45, 63, v50
	v_lshl_or_b32 v216, v44, 3, v42
	scratch_store_b32 off, v1, off offset:72 ; 4-byte Folded Spill
	s_wait_xcnt 0x0
	v_lshl_or_b32 v1, v5, 3, v42
	v_add_nc_u32_e32 v5, 21, v8
	v_and_b32_e32 v4, 63, v4
	v_and_b32_e32 v44, 63, v53
	v_add_nc_u64_e32 v[36:37], 0x400, v[36:37]
	scratch_store_b32 off, v1, off offset:76 ; 4-byte Folded Spill
	s_wait_xcnt 0x0
	v_dual_add_nc_u32 v1, 19, v8 :: v_dual_bitop2_b32 v5, 63, v5 bitop3:0x40
	v_add_nc_u64_e32 v[38:39], 0x400, v[38:39]
	v_lshl_or_b32 v218, v44, 3, v42
	s_lshl_b64 s[28:29], s[28:29], 3
	s_delay_alu instid0(VALU_DEP_3) | instskip(NEXT) | instid1(VALU_DEP_1)
	v_and_b32_e32 v1, 63, v1
	v_lshl_or_b32 v1, v1, 3, v42
	scratch_store_b32 off, v1, off offset:80 ; 4-byte Folded Spill
	s_wait_xcnt 0x0
	v_lshl_or_b32 v1, v4, 3, v42
	v_add_nc_u32_e32 v4, 25, v8
	scratch_store_b32 off, v1, off offset:84 ; 4-byte Folded Spill
	s_wait_xcnt 0x0
	v_lshl_or_b32 v1, v5, 3, v42
	v_add_nc_u32_e32 v5, 26, v8
	v_and_b32_e32 v4, 63, v4
	scratch_store_b32 off, v1, off offset:88 ; 4-byte Folded Spill
	s_wait_xcnt 0x0
	v_lshl_or_b32 v1, v9, 3, v42
	v_dual_add_nc_u32 v9, 27, v8 :: v_dual_bitop2_b32 v5, 63, v5 bitop3:0x40
	scratch_store_b32 off, v1, off offset:92 ; 4-byte Folded Spill
	s_wait_xcnt 0x0
	v_lshl_or_b32 v1, v43, 3, v42
	v_and_b32_e32 v9, 63, v9
	scratch_store_b32 off, v1, off offset:96 ; 4-byte Folded Spill
	s_wait_xcnt 0x0
	v_dual_add_nc_u32 v1, 24, v8 :: v_dual_add_nc_u32 v43, 28, v8
	s_delay_alu instid0(VALU_DEP_1) | instskip(NEXT) | instid1(VALU_DEP_2)
	v_and_b32_e32 v1, 63, v1
	v_and_b32_e32 v43, 63, v43
	s_delay_alu instid0(VALU_DEP_2)
	v_lshl_or_b32 v1, v1, 3, v42
	scratch_store_b32 off, v1, off offset:100 ; 4-byte Folded Spill
	s_wait_xcnt 0x0
	v_lshl_or_b32 v1, v4, 3, v42
	v_add_nc_u32_e32 v4, 30, v8
	scratch_store_b32 off, v1, off offset:104 ; 4-byte Folded Spill
	s_wait_xcnt 0x0
	v_lshl_or_b32 v1, v5, 3, v42
	v_add_nc_u32_e32 v5, 31, v8
	v_and_b32_e32 v4, 63, v4
	scratch_store_b32 off, v1, off offset:108 ; 4-byte Folded Spill
	s_wait_xcnt 0x0
	v_lshl_or_b32 v1, v9, 3, v42
	v_lshl_or_b32 v9, v43, 3, v42
	v_and_b32_e32 v5, 63, v5
	v_lshl_or_b32 v237, v4, 3, v42
	v_add_nc_u32_e32 v4, 36, v8
	s_clause 0x1
	scratch_store_b32 off, v1, off offset:112
	scratch_store_b32 off, v9, off offset:116
	s_wait_xcnt 0x0
	v_dual_add_nc_u32 v1, 29, v8 :: v_dual_add_nc_u32 v9, 33, v8
	v_lshl_or_b32 v238, v5, 3, v42
	v_add_nc_u32_e32 v5, 37, v8
	v_and_b32_e32 v4, 63, v4
	s_delay_alu instid0(VALU_DEP_4) | instskip(SKIP_1) | instid1(VALU_DEP_4)
	v_and_b32_e32 v1, 63, v1
	v_dual_add_nc_u32 v43, 51, v8 :: v_dual_bitop2_b32 v9, 63, v9 bitop3:0x40
	v_and_b32_e32 v5, 63, v5
	s_delay_alu instid0(VALU_DEP_4) | instskip(NEXT) | instid1(VALU_DEP_4)
	v_lshl_or_b32 v243, v4, 3, v42
	v_lshl_or_b32 v236, v1, 3, v42
	v_add_nc_u32_e32 v1, 35, v8
	v_lshl_or_b32 v240, v9, 3, v42
	v_add_nc_u32_e32 v9, 38, v8
	v_lshl_or_b32 v244, v5, 3, v42
	v_dual_add_nc_u32 v4, 41, v8 :: v_dual_add_nc_u32 v5, 42, v8
	v_and_b32_e32 v1, 63, v1
	s_delay_alu instid0(VALU_DEP_4) | instskip(NEXT) | instid1(VALU_DEP_3)
	v_and_b32_e32 v9, 63, v9
	v_and_b32_e32 v4, 63, v4
	s_delay_alu instid0(VALU_DEP_4) | instskip(NEXT) | instid1(VALU_DEP_4)
	v_and_b32_e32 v5, 63, v5
	v_lshl_or_b32 v242, v1, 3, v42
	v_add_nc_u32_e32 v1, 40, v8
	v_lshl_or_b32 v245, v9, 3, v42
	v_add_nc_u32_e32 v9, 43, v8
	v_lshl_or_b32 v248, v4, 3, v42
	v_lshl_or_b32 v249, v5, 3, v42
	v_dual_add_nc_u32 v4, 46, v8 :: v_dual_bitop2_b32 v1, 63, v1 bitop3:0x40
	s_delay_alu instid0(VALU_DEP_4) | instskip(NEXT) | instid1(VALU_DEP_2)
	v_dual_add_nc_u32 v5, 47, v8 :: v_dual_bitop2_b32 v9, 63, v9 bitop3:0x40
	v_lshl_or_b32 v247, v1, 3, v42
	v_add_nc_u32_e32 v1, 45, v8
	s_delay_alu instid0(VALU_DEP_4) | instskip(NEXT) | instid1(VALU_DEP_4)
	v_and_b32_e32 v4, 63, v4
	v_lshl_or_b32 v250, v9, 3, v42
	v_dual_add_nc_u32 v9, 48, v8 :: v_dual_bitop2_b32 v5, 63, v5 bitop3:0x40
	s_delay_alu instid0(VALU_DEP_4) | instskip(NEXT) | instid1(VALU_DEP_4)
	v_and_b32_e32 v1, 63, v1
	v_lshl_or_b32 v253, v4, 3, v42
	s_delay_alu instid0(VALU_DEP_3) | instskip(NEXT) | instid1(VALU_DEP_4)
	v_dual_add_nc_u32 v4, 49, v8 :: v_dual_bitop2_b32 v9, 63, v9 bitop3:0x40
	v_lshl_or_b32 v254, v5, 3, v42
	s_delay_alu instid0(VALU_DEP_4)
	v_lshl_or_b32 v252, v1, 3, v42
	v_cvt_f64_i32_e32 v[0:1], s1
	v_add_nc_u32_e32 v5, 50, v8
	v_lshl_or_b32 v255, v9, 3, v42
	v_dual_mov_b32 v9, v3 :: v_dual_add_nc_u32 v55, -1, v8
	v_and_b32_e32 v43, 63, v43
	v_and_b32_e32 v4, 63, v4
	v_and_b32_e32 v5, 63, v5
	s_delay_alu instid0(VALU_DEP_4) | instskip(SKIP_1) | instid1(VALU_DEP_3)
	v_mul_u64_e32 v[8:9], s[30:31], v[8:9]
	s_sub_nc_u64 s[30:31], 0, s[28:29]
	v_lshl_or_b32 v208, v4, 3, v42
	s_delay_alu instid0(VALU_DEP_3) | instskip(SKIP_3) | instid1(VALU_DEP_3)
	v_lshl_or_b32 v209, v5, 3, v42
	v_and_b32_e32 v4, 63, v46
	v_and_b32_e32 v5, 63, v47
	;; [unrolled: 1-line block ×3, first 2 shown]
	v_lshl_or_b32 v213, v4, 3, v42
	s_delay_alu instid0(VALU_DEP_3) | instskip(SKIP_4) | instid1(VALU_DEP_3)
	v_lshl_or_b32 v214, v5, 3, v42
	v_lshl_or_b32 v4, v45, 3, v42
	v_and_b32_e32 v5, 63, v51
	v_and_b32_e32 v45, 63, v54
	v_lshl_or_b32 v220, v46, 3, v42
	v_lshl_or_b32 v5, v5, 3, v42
	s_delay_alu instid0(VALU_DEP_3) | instskip(SKIP_3) | instid1(VALU_DEP_1)
	v_lshl_or_b32 v219, v45, 3, v42
	v_max_num_f64_e32 v[0:1], v[0:1], v[0:1]
	v_lshl_or_b32 v210, v43, 3, v42
	v_and_b32_e32 v43, 63, v48
	v_lshl_or_b32 v215, v43, 3, v42
	v_and_b32_e32 v43, 63, v52
	v_lshl_add_u64 v[8:9], v[8:9], 3, s[34:35]
	s_lshl_b64 s[34:35], s[12:13], 3
	s_lshl_b64 s[12:13], s[4:5], 3
	s_add_nc_u64 s[6:7], s[6:7], s[34:35]
	v_lshl_or_b32 v217, v43, 3, v42
	s_branch .LBB95_4
.LBB95_2:                               ;   in Loop: Header=BB95_4 Depth=1
	s_wait_xcnt 0x0
	s_or_b32 exec_lo, exec_lo, s34
.LBB95_3:                               ;   in Loop: Header=BB95_4 Depth=1
	s_add_co_i32 s2, s2, 0x10000
	s_delay_alu instid0(SALU_CYCLE_1)
	s_cmp_lt_u32 s2, s33
	s_cbranch_scc0 .LBB95_15
.LBB95_4:                               ; =>This Loop Header: Depth=1
                                        ;     Child Loop BB95_8 Depth 2
	s_and_not1_b32 vcc_lo, exec_lo, s38
	s_cbranch_vccnz .LBB95_3
; %bb.5:                                ;   in Loop: Header=BB95_4 Depth=1
	s_load_b32 s36, s[20:21], 0x4
	s_wait_kmcnt 0x0
	s_cvt_f32_u32 s34, s36
	s_sub_co_i32 s35, 0, s36
	s_delay_alu instid0(SALU_CYCLE_2) | instskip(SKIP_1) | instid1(TRANS32_DEP_1)
	v_rcp_iflag_f32_e32 v40, s34
	v_nop
	v_readfirstlane_b32 s34, v40
	s_mul_f32 s34, s34, 0x4f7ffffe
	s_delay_alu instid0(SALU_CYCLE_3) | instskip(NEXT) | instid1(SALU_CYCLE_3)
	s_cvt_u32_f32 s34, s34
	s_mul_i32 s35, s35, s34
	s_delay_alu instid0(SALU_CYCLE_1) | instskip(NEXT) | instid1(SALU_CYCLE_1)
	s_mul_hi_u32 s35, s34, s35
	s_add_co_i32 s34, s34, s35
	s_mov_b32 s35, s3
	s_delay_alu instid0(SALU_CYCLE_1) | instskip(NEXT) | instid1(SALU_CYCLE_1)
	s_mul_u64 s[34:35], s[10:11], s[34:35]
	s_mul_i32 s34, s35, s36
	s_add_co_i32 s37, s35, 1
	s_sub_co_i32 s34, s10, s34
	s_delay_alu instid0(SALU_CYCLE_1)
	s_sub_co_i32 s39, s34, s36
	s_cmp_ge_u32 s34, s36
	s_cselect_b32 s35, s37, s35
	s_cselect_b32 s34, s39, s34
	s_add_co_i32 s37, s35, 1
	s_cmp_ge_u32 s34, s36
	s_cselect_b32 s34, s37, s35
	s_delay_alu instid0(SALU_CYCLE_1) | instskip(NEXT) | instid1(SALU_CYCLE_1)
	s_mul_i32 s35, s34, s36
	s_sub_co_i32 s35, s10, s35
	s_delay_alu instid0(SALU_CYCLE_1) | instskip(SKIP_1) | instid1(SALU_CYCLE_1)
	s_cmp_lt_u32 s1, s35
	s_cselect_b32 s36, -1, 0
	s_cmp_lg_u32 s36, 0
	s_add_co_ci_u32 s39, s34, 0
	s_delay_alu instid0(SALU_CYCLE_1)
	s_cmp_eq_u32 s39, 0
	s_cbranch_scc1 .LBB95_3
; %bb.6:                                ;   in Loop: Header=BB95_4 Depth=1
	s_cmp_lt_i32 s39, 1
	s_cbranch_scc1 .LBB95_12
; %bb.7:                                ;   in Loop: Header=BB95_4 Depth=1
	v_cvt_f64_u32_e32 v[40:41], s35
	s_mul_i32 s34, s34, s1
	v_or_b32_e32 v72, 0x200, v2
	v_cvt_f64_u32_e32 v[42:43], s34
	s_mul_u64 s[34:35], s[4:5], s[2:3]
	v_mov_b64_e32 v[70:71], 0
	s_lshl_b64 s[34:35], s[34:35], 3
	s_delay_alu instid0(SALU_CYCLE_1) | instskip(NEXT) | instid1(VALU_DEP_4)
	s_add_nc_u64 s[40:41], s[22:23], s[34:35]
	v_min_num_f64_e32 v[40:41], v[0:1], v[40:41]
	s_delay_alu instid0(VALU_DEP_1) | instskip(NEXT) | instid1(VALU_DEP_1)
	v_add_f64_e32 v[40:41], v[40:41], v[42:43]
	v_cvt_i32_f64_e32 v40, v[40:41]
	s_delay_alu instid0(VALU_DEP_1) | instskip(SKIP_2) | instid1(SALU_CYCLE_1)
	v_readfirstlane_b32 s36, v40
	scratch_load_b64 v[40:41], off, off     ; 8-byte Folded Reload
	s_lshl_b32 s36, s36, 7
	s_ashr_i32 s37, s36, 31
	s_delay_alu instid0(SALU_CYCLE_1) | instskip(NEXT) | instid1(SALU_CYCLE_1)
	s_lshl_b64 s[34:35], s[36:37], 3
	s_add_nc_u64 s[36:37], s[40:41], s[34:35]
	v_dual_mov_b32 v83, s35 :: v_dual_bitop2_b32 v82, s34, v2 bitop3:0x54
	v_dual_mov_b32 v85, s35 :: v_dual_bitop2_b32 v84, s34, v72 bitop3:0x54
	s_mul_u64 s[40:41], s[12:13], s[2:3]
	s_delay_alu instid0(VALU_DEP_2) | instskip(SKIP_1) | instid1(VALU_DEP_2)
	v_mul_u64_e32 v[82:83], s[14:15], v[82:83]
	s_add_nc_u64 s[40:41], s[40:41], s[34:35]
	v_mul_u64_e32 v[84:85], s[14:15], v[84:85]
	v_add_nc_u64_e32 v[72:73], s[40:41], v[6:7]
	v_add_nc_u64_e32 v[74:75], s[40:41], v[10:11]
	;; [unrolled: 1-line block ×16, first 2 shown]
	s_add_co_i32 s40, s39, -1
	s_mov_b32 s41, 0
	s_wait_loadcnt 0x0
	v_lshl_add_u64 v[40:41], v[40:41], 3, s[36:37]
	s_mul_u64 s[36:37], s[8:9], s[2:3]
	s_delay_alu instid0(SALU_CYCLE_1) | instskip(NEXT) | instid1(VALU_DEP_1)
	s_add_nc_u64 s[34:35], s[6:7], s[36:37]
	v_lshl_add_u64 v[42:43], s[24:25], 3, v[40:41]
	s_delay_alu instid0(VALU_DEP_1) | instskip(NEXT) | instid1(VALU_DEP_1)
	v_add_nc_u64_e32 v[44:45], s[30:31], v[42:43]
	v_add_nc_u64_e32 v[46:47], s[30:31], v[44:45]
	s_delay_alu instid0(VALU_DEP_1) | instskip(NEXT) | instid1(VALU_DEP_1)
	v_add_nc_u64_e32 v[48:49], s[30:31], v[46:47]
	v_add_nc_u64_e32 v[50:51], s[30:31], v[48:49]
	;; [unrolled: 3-line block ×3, first 2 shown]
	s_delay_alu instid0(VALU_DEP_1)
	v_add_nc_u64_e32 v[56:57], s[30:31], v[54:55]
	s_clause 0x4
	global_load_b64 v[140:141], v[40:41], off
	global_load_b64 v[142:143], v[44:45], off
	;; [unrolled: 1-line block ×8, first 2 shown]
	s_wait_xcnt 0x1
	v_mov_b64_e32 v[54:55], 0
	v_mov_b64_e32 v[50:51], 0
	;; [unrolled: 1-line block ×5, first 2 shown]
	v_add_nc_u64_e32 v[58:59], s[30:31], v[56:57]
	s_wait_xcnt 0x0
	v_mov_b64_e32 v[56:57], 0
	v_mov_b64_e32 v[44:45], 0
	s_delay_alu instid0(VALU_DEP_3) | instskip(NEXT) | instid1(VALU_DEP_1)
	v_add_nc_u64_e32 v[60:61], s[30:31], v[58:59]
	v_add_nc_u64_e32 v[62:63], s[30:31], v[60:61]
	s_delay_alu instid0(VALU_DEP_1) | instskip(NEXT) | instid1(VALU_DEP_1)
	v_add_nc_u64_e32 v[64:65], s[30:31], v[62:63]
	v_add_nc_u64_e32 v[66:67], s[30:31], v[64:65]
	s_delay_alu instid0(VALU_DEP_1) | instskip(NEXT) | instid1(VALU_DEP_1)
	v_add_nc_u64_e32 v[68:69], s[30:31], v[66:67]
	v_add_nc_u64_e32 v[40:41], s[30:31], v[68:69]
	global_load_b64 v[156:157], v[58:59], off
	global_load_b64 v[158:159], v[60:61], off
	;; [unrolled: 1-line block ×8, first 2 shown]
	s_wait_xcnt 0x1
	v_mov_b64_e32 v[40:41], 0
	v_mov_b64_e32 v[66:67], 0
	;; [unrolled: 1-line block ×7, first 2 shown]
	s_wait_xcnt 0x0
	v_mov_b64_e32 v[42:43], 0
	s_wait_loadcnt 0xf
	v_mov_b64_e32 v[108:109], v[140:141]
	s_wait_loadcnt 0xe
	;; [unrolled: 2-line block ×16, first 2 shown]
	v_mov_b64_e32 v[138:139], v[170:171]
.LBB95_8:                               ;   Parent Loop BB95_4 Depth=1
                                        ; =>  This Inner Loop Header: Depth=2
	v_add_nc_u64_e32 v[206:207], v[72:73], v[2:3]
	v_add_nc_u64_e32 v[232:233], s[34:35], v[82:83]
	s_cmp_lg_u32 s40, s41
	s_delay_alu instid0(VALU_DEP_2) | instskip(NEXT) | instid1(VALU_DEP_1)
	v_add_nc_u64_e32 v[172:173], 0x200, v[206:207]
	v_add_nc_u64_e32 v[172:173], s[28:29], v[172:173]
	s_delay_alu instid0(VALU_DEP_1) | instskip(NEXT) | instid1(VALU_DEP_1)
	v_add_nc_u64_e32 v[174:175], s[28:29], v[172:173]
	v_add_nc_u64_e32 v[176:177], s[28:29], v[174:175]
	s_delay_alu instid0(VALU_DEP_1) | instskip(NEXT) | instid1(VALU_DEP_1)
	v_add_nc_u64_e32 v[178:179], s[28:29], v[176:177]
	v_add_nc_u64_e32 v[180:181], s[28:29], v[178:179]
	s_delay_alu instid0(VALU_DEP_1) | instskip(NEXT) | instid1(VALU_DEP_1)
	v_add_nc_u64_e32 v[182:183], s[28:29], v[180:181]
	v_add_nc_u64_e32 v[184:185], s[28:29], v[182:183]
	s_delay_alu instid0(VALU_DEP_1)
	v_add_nc_u64_e32 v[186:187], s[28:29], v[184:185]
	s_clause 0x8
	global_load_b64 v[202:203], v[206:207], off offset:512
	global_load_b64 v[200:201], v[172:173], off
	global_load_b64 v[196:197], v[174:175], off
	;; [unrolled: 1-line block ×8, first 2 shown]
	v_add_nc_u64_e32 v[204:205], s[28:29], v[186:187]
	s_delay_alu instid0(VALU_DEP_1) | instskip(NEXT) | instid1(VALU_DEP_1)
	v_add_nc_u64_e32 v[224:225], s[28:29], v[204:205]
	v_add_nc_u64_e32 v[226:227], s[28:29], v[224:225]
	s_delay_alu instid0(VALU_DEP_1) | instskip(NEXT) | instid1(VALU_DEP_1)
	v_add_nc_u64_e32 v[228:229], s[28:29], v[226:227]
	;; [unrolled: 3-line block ×3, first 2 shown]
	v_add_nc_u64_e32 v[172:173], s[28:29], v[234:235]
	global_load_b64 v[186:187], v[204:205], off
	global_load_b64 v[182:183], v[224:225], off
	;; [unrolled: 1-line block ×8, first 2 shown]
	s_cbranch_scc0 .LBB95_10
; %bb.9:                                ;   in Loop: Header=BB95_8 Depth=2
	v_add_nc_u64_e32 v[110:111], v[74:75], v[2:3]
	v_add_nc_u64_e32 v[112:113], v[76:77], v[2:3]
	v_add_nc_u64_e32 v[126:127], v[94:95], v[2:3]
	v_add_nc_u64_e32 v[114:115], v[78:79], v[2:3]
	v_add_nc_u64_e32 v[128:129], v[96:97], v[2:3]
	v_add_nc_u64_e32 v[116:117], v[80:81], v[2:3]
	v_add_nc_u64_e32 v[130:131], v[98:99], v[2:3]
	v_add_nc_u64_e32 v[118:119], v[86:87], v[2:3]
	v_add_nc_u64_e32 v[132:133], v[100:101], v[2:3]
	v_add_nc_u64_e32 v[120:121], v[88:89], v[2:3]
	v_add_nc_u64_e32 v[134:135], v[102:103], v[2:3]
	v_add_nc_u64_e32 v[122:123], v[90:91], v[2:3]
	v_add_nc_u64_e32 v[136:137], v[104:105], v[2:3]
	v_add_nc_u64_e32 v[124:125], v[92:93], v[2:3]
	v_add_nc_u64_e32 v[138:139], v[106:107], v[2:3]
	global_load_b64 v[108:109], v[206:207], off offset:1024
	global_load_b64 v[110:111], v[110:111], off
	global_load_b64 v[112:113], v[112:113], off
	global_load_b64 v[114:115], v[114:115], off
	global_load_b64 v[116:117], v[116:117], off
	global_load_b64 v[118:119], v[118:119], off
	global_load_b64 v[120:121], v[120:121], off
	global_load_b64 v[122:123], v[122:123], off
	global_load_b64 v[124:125], v[124:125], off
	global_load_b64 v[126:127], v[126:127], off
	global_load_b64 v[128:129], v[128:129], off
	global_load_b64 v[130:131], v[130:131], off
	global_load_b64 v[132:133], v[132:133], off
	global_load_b64 v[134:135], v[134:135], off
	global_load_b64 v[136:137], v[136:137], off
	global_load_b64 v[138:139], v[138:139], off
.LBB95_10:                              ;   in Loop: Header=BB95_8 Depth=2
	s_wait_loadcnt 0x0
	v_fmac_f64_e32 v[40:41], v[140:141], v[204:205]
	v_add_nc_u64_e32 v[140:141], s[34:35], v[84:85]
	v_fmac_f64_e32 v[70:71], v[168:169], v[204:205]
	v_fmac_f64_e32 v[66:67], v[166:167], v[204:205]
	;; [unrolled: 1-line block ×6, first 2 shown]
	global_load_b64 v[140:141], v[140:141], off
	v_fmac_f64_e32 v[60:61], v[156:157], v[204:205]
	v_fmac_f64_e32 v[54:55], v[154:155], v[204:205]
	;; [unrolled: 1-line block ×9, first 2 shown]
	v_add_nc_u64_e32 v[72:73], 0x400, v[72:73]
	v_add_nc_u64_e32 v[74:75], 0x400, v[74:75]
	;; [unrolled: 1-line block ×16, first 2 shown]
	s_add_co_i32 s41, s41, 1
	s_add_nc_u64 s[34:35], s[34:35], s[26:27]
	s_cmp_ge_i32 s41, s39
	s_wait_loadcnt 0x0
	v_fmac_f64_e32 v[40:41], v[202:203], v[140:141]
	v_fmac_f64_e32 v[70:71], v[200:201], v[140:141]
	;; [unrolled: 1-line block ×16, first 2 shown]
	s_cbranch_scc1 .LBB95_13
; %bb.11:                               ;   in Loop: Header=BB95_8 Depth=2
	s_wait_xcnt 0x0
	v_mov_b64_e32 v[140:141], v[108:109]
	v_mov_b64_e32 v[168:169], v[110:111]
	;; [unrolled: 1-line block ×16, first 2 shown]
	s_branch .LBB95_8
.LBB95_12:                              ;   in Loop: Header=BB95_4 Depth=1
	v_mov_b64_e32 v[42:43], 0
	v_mov_b64_e32 v[44:45], 0
	;; [unrolled: 1-line block ×16, first 2 shown]
.LBB95_13:                              ;   in Loop: Header=BB95_4 Depth=1
	ds_store_2addr_stride64_b64 v222, v[40:41], v[70:71] offset1:1
	ds_store_2addr_stride64_b64 v222, v[66:67], v[68:69] offset0:2 offset1:3
	ds_store_2addr_stride64_b64 v222, v[62:63], v[64:65] offset0:4 offset1:5
	ds_store_2addr_stride64_b64 v222, v[58:59], v[60:61] offset0:6 offset1:7
	ds_store_2addr_stride64_b64 v222, v[54:55], v[56:57] offset0:8 offset1:9
	ds_store_2addr_stride64_b64 v222, v[50:51], v[52:53] offset0:10 offset1:11
	ds_store_2addr_stride64_b64 v222, v[46:47], v[48:49] offset0:12 offset1:13
	ds_store_b64 v222, v[44:45] offset:7168
	ds_store_b64 v223, v[42:43]
	s_wait_storecnt_dscnt 0x0
	s_barrier_signal -1
	s_barrier_wait -1
	s_wait_xcnt 0x0
	s_and_saveexec_b32 s34, s0
	s_cbranch_execz .LBB95_2
; %bb.14:                               ;   in Loop: Header=BB95_4 Depth=1
	s_clause 0x3
	scratch_load_b32 v42, off, off offset:8
	scratch_load_b32 v44, off, off offset:12
	;; [unrolled: 1-line block ×4, first 2 shown]
	ds_load_b64 v[40:41], v221
	s_mul_u64 s[36:37], s[18:19], s[2:3]
	s_wait_dscnt 0x0
	v_add_f64_e32 v[40:41], 0, v[40:41]
	s_wait_loadcnt 0x3
	ds_load_b64 v[42:43], v42
	s_wait_loadcnt 0x2
	ds_load_b64 v[44:45], v44
	;; [unrolled: 2-line block ×4, first 2 shown]
	s_wait_dscnt 0x3
	v_add_f64_e32 v[40:41], v[40:41], v[42:43]
	scratch_load_b32 v42, off, off offset:20 ; 4-byte Folded Reload
	s_wait_dscnt 0x2
	v_add_f64_e32 v[40:41], v[40:41], v[44:45]
	scratch_load_b32 v44, off, off offset:24 ; 4-byte Folded Reload
	;; [unrolled: 3-line block ×3, first 2 shown]
	s_wait_loadcnt 0x2
	ds_load_b64 v[42:43], v42
	s_wait_loadcnt 0x1
	ds_load_b64 v[44:45], v44
	;; [unrolled: 2-line block ×3, first 2 shown]
	s_wait_dscnt 0x2
	v_add_f64_e32 v[40:41], v[40:41], v[42:43]
	scratch_load_b32 v42, off, off offset:36 ; 4-byte Folded Reload
	s_wait_dscnt 0x1
	v_add_f64_e32 v[40:41], v[40:41], v[44:45]
	scratch_load_b32 v44, off, off offset:40 ; 4-byte Folded Reload
	;; [unrolled: 3-line block ×3, first 2 shown]
	v_add_f64_e32 v[40:41], v[40:41], v[48:49]
	scratch_load_b32 v48, off, off offset:48 ; 4-byte Folded Reload
	s_wait_loadcnt 0x3
	ds_load_b64 v[42:43], v42
	s_wait_loadcnt 0x2
	ds_load_b64 v[44:45], v44
	s_wait_loadcnt 0x1
	ds_load_b64 v[46:47], v46
	s_wait_loadcnt 0x0
	ds_load_b64 v[48:49], v48
	s_wait_dscnt 0x3
	v_add_f64_e32 v[40:41], v[40:41], v[42:43]
	scratch_load_b32 v42, off, off offset:52 ; 4-byte Folded Reload
	s_wait_dscnt 0x2
	v_add_f64_e32 v[40:41], v[40:41], v[44:45]
	scratch_load_b32 v44, off, off offset:56 ; 4-byte Folded Reload
	s_wait_dscnt 0x1
	v_add_f64_e32 v[40:41], v[40:41], v[46:47]
	scratch_load_b32 v46, off, off offset:60 ; 4-byte Folded Reload
	s_wait_dscnt 0x0
	v_add_f64_e32 v[40:41], v[40:41], v[48:49]
	scratch_load_b32 v48, off, off offset:64 ; 4-byte Folded Reload
	s_wait_loadcnt 0x3
	ds_load_b64 v[42:43], v42
	s_wait_loadcnt 0x2
	ds_load_b64 v[44:45], v44
	s_wait_loadcnt 0x1
	ds_load_b64 v[46:47], v46
	s_wait_loadcnt 0x0
	ds_load_b64 v[48:49], v48
	s_wait_dscnt 0x3
	v_add_f64_e32 v[40:41], v[40:41], v[42:43]
	scratch_load_b32 v42, off, off offset:68 ; 4-byte Folded Reload
	s_wait_dscnt 0x2
	v_add_f64_e32 v[40:41], v[40:41], v[44:45]
	scratch_load_b32 v44, off, off offset:72 ; 4-byte Folded Reload
	s_wait_dscnt 0x1
	v_add_f64_e32 v[40:41], v[40:41], v[46:47]
	scratch_load_b32 v46, off, off offset:76 ; 4-byte Folded Reload
	s_wait_dscnt 0x0
	;; [unrolled: 20-line block ×4, first 2 shown]
	v_add_f64_e32 v[40:41], v[40:41], v[48:49]
	scratch_load_b32 v48, off, off offset:112 ; 4-byte Folded Reload
	s_wait_loadcnt 0x3
	ds_load_b64 v[42:43], v42
	s_wait_loadcnt 0x2
	ds_load_b64 v[44:45], v44
	;; [unrolled: 2-line block ×4, first 2 shown]
	s_wait_dscnt 0x3
	v_add_f64_e32 v[40:41], v[40:41], v[42:43]
	scratch_load_b32 v42, off, off offset:116 ; 4-byte Folded Reload
	s_wait_dscnt 0x2
	v_add_f64_e32 v[40:41], v[40:41], v[44:45]
	s_wait_dscnt 0x1
	s_delay_alu instid0(VALU_DEP_1) | instskip(SKIP_1) | instid1(VALU_DEP_1)
	v_add_f64_e32 v[40:41], v[40:41], v[46:47]
	s_wait_dscnt 0x0
	v_add_f64_e32 v[40:41], v[40:41], v[48:49]
	s_wait_loadcnt 0x0
	ds_load_b64 v[42:43], v42
	ds_load_b64 v[44:45], v236
	ds_load_b64 v[46:47], v237
	ds_load_b64 v[48:49], v238
	s_wait_dscnt 0x3
	v_add_f64_e32 v[40:41], v[40:41], v[42:43]
	s_wait_dscnt 0x2
	s_delay_alu instid0(VALU_DEP_1) | instskip(SKIP_1) | instid1(VALU_DEP_1)
	v_add_f64_e32 v[40:41], v[40:41], v[44:45]
	s_wait_dscnt 0x1
	v_add_f64_e32 v[40:41], v[40:41], v[46:47]
	s_wait_dscnt 0x0
	s_delay_alu instid0(VALU_DEP_1)
	v_add_f64_e32 v[40:41], v[40:41], v[48:49]
	ds_load_b64 v[42:43], v239
	ds_load_b64 v[44:45], v240
	ds_load_b64 v[46:47], v241
	ds_load_b64 v[48:49], v242
	s_wait_dscnt 0x3
	v_add_f64_e32 v[40:41], v[40:41], v[42:43]
	s_wait_dscnt 0x2
	s_delay_alu instid0(VALU_DEP_1) | instskip(SKIP_1) | instid1(VALU_DEP_1)
	v_add_f64_e32 v[40:41], v[40:41], v[44:45]
	s_wait_dscnt 0x1
	v_add_f64_e32 v[40:41], v[40:41], v[46:47]
	s_wait_dscnt 0x0
	s_delay_alu instid0(VALU_DEP_1)
	v_add_f64_e32 v[40:41], v[40:41], v[48:49]
	;; [unrolled: 14-line block ×8, first 2 shown]
	ds_load_b64 v[42:43], v217
	ds_load_b64 v[44:45], v218
	;; [unrolled: 1-line block ×4, first 2 shown]
	s_wait_dscnt 0x3
	v_add_f64_e32 v[40:41], v[40:41], v[42:43]
	v_lshl_add_u64 v[42:43], s[36:37], 3, v[8:9]
	s_wait_dscnt 0x2
	s_delay_alu instid0(VALU_DEP_2) | instskip(SKIP_1) | instid1(VALU_DEP_1)
	v_add_f64_e32 v[40:41], v[40:41], v[44:45]
	s_wait_dscnt 0x1
	v_add_f64_e32 v[40:41], v[40:41], v[46:47]
	s_wait_dscnt 0x0
	s_delay_alu instid0(VALU_DEP_1) | instskip(NEXT) | instid1(VALU_DEP_1)
	v_add_f64_e32 v[40:41], v[40:41], v[48:49]
	v_mul_f64_e32 v[40:41], s[16:17], v[40:41]
	global_atomic_add_f64 v[42:43], v[40:41], off scope:SCOPE_DEV
	s_branch .LBB95_2
.LBB95_15:
	s_sendmsg sendmsg(MSG_DEALLOC_VGPRS)
	s_endpgm
	.section	.rodata,"a",@progbits
	.p2align	6, 0x0
	.amdhsa_kernel _ZL36rocblas_gemvt_double_buffered_kernelILb1ELi128ELi4ELi16EdddEviiT4_lPKT3_lilS3_lilPT5_lili
		.amdhsa_group_segment_fixed_size 65536
		.amdhsa_private_segment_fixed_size 124
		.amdhsa_kernarg_size 384
		.amdhsa_user_sgpr_count 2
		.amdhsa_user_sgpr_dispatch_ptr 0
		.amdhsa_user_sgpr_queue_ptr 0
		.amdhsa_user_sgpr_kernarg_segment_ptr 1
		.amdhsa_user_sgpr_dispatch_id 0
		.amdhsa_user_sgpr_kernarg_preload_length 0
		.amdhsa_user_sgpr_kernarg_preload_offset 0
		.amdhsa_user_sgpr_private_segment_size 0
		.amdhsa_wavefront_size32 1
		.amdhsa_uses_dynamic_stack 0
		.amdhsa_enable_private_segment 1
		.amdhsa_system_sgpr_workgroup_id_x 1
		.amdhsa_system_sgpr_workgroup_id_y 1
		.amdhsa_system_sgpr_workgroup_id_z 1
		.amdhsa_system_sgpr_workgroup_info 0
		.amdhsa_system_vgpr_workitem_id 1
		.amdhsa_next_free_vgpr 256
		.amdhsa_next_free_sgpr 43
		.amdhsa_named_barrier_count 0
		.amdhsa_reserve_vcc 1
		.amdhsa_float_round_mode_32 0
		.amdhsa_float_round_mode_16_64 0
		.amdhsa_float_denorm_mode_32 3
		.amdhsa_float_denorm_mode_16_64 3
		.amdhsa_fp16_overflow 0
		.amdhsa_memory_ordered 1
		.amdhsa_forward_progress 1
		.amdhsa_inst_pref_size 51
		.amdhsa_round_robin_scheduling 0
		.amdhsa_exception_fp_ieee_invalid_op 0
		.amdhsa_exception_fp_denorm_src 0
		.amdhsa_exception_fp_ieee_div_zero 0
		.amdhsa_exception_fp_ieee_overflow 0
		.amdhsa_exception_fp_ieee_underflow 0
		.amdhsa_exception_fp_ieee_inexact 0
		.amdhsa_exception_int_div_zero 0
	.end_amdhsa_kernel
	.section	.text._ZL36rocblas_gemvt_double_buffered_kernelILb1ELi128ELi4ELi16EdddEviiT4_lPKT3_lilS3_lilPT5_lili,"axG",@progbits,_ZL36rocblas_gemvt_double_buffered_kernelILb1ELi128ELi4ELi16EdddEviiT4_lPKT3_lilS3_lilPT5_lili,comdat
.Lfunc_end95:
	.size	_ZL36rocblas_gemvt_double_buffered_kernelILb1ELi128ELi4ELi16EdddEviiT4_lPKT3_lilS3_lilPT5_lili, .Lfunc_end95-_ZL36rocblas_gemvt_double_buffered_kernelILb1ELi128ELi4ELi16EdddEviiT4_lPKT3_lilS3_lilPT5_lili
                                        ; -- End function
	.set _ZL36rocblas_gemvt_double_buffered_kernelILb1ELi128ELi4ELi16EdddEviiT4_lPKT3_lilS3_lilPT5_lili.num_vgpr, 256
	.set _ZL36rocblas_gemvt_double_buffered_kernelILb1ELi128ELi4ELi16EdddEviiT4_lPKT3_lilS3_lilPT5_lili.num_agpr, 0
	.set _ZL36rocblas_gemvt_double_buffered_kernelILb1ELi128ELi4ELi16EdddEviiT4_lPKT3_lilS3_lilPT5_lili.numbered_sgpr, 43
	.set _ZL36rocblas_gemvt_double_buffered_kernelILb1ELi128ELi4ELi16EdddEviiT4_lPKT3_lilS3_lilPT5_lili.num_named_barrier, 0
	.set _ZL36rocblas_gemvt_double_buffered_kernelILb1ELi128ELi4ELi16EdddEviiT4_lPKT3_lilS3_lilPT5_lili.private_seg_size, 124
	.set _ZL36rocblas_gemvt_double_buffered_kernelILb1ELi128ELi4ELi16EdddEviiT4_lPKT3_lilS3_lilPT5_lili.uses_vcc, 1
	.set _ZL36rocblas_gemvt_double_buffered_kernelILb1ELi128ELi4ELi16EdddEviiT4_lPKT3_lilS3_lilPT5_lili.uses_flat_scratch, 1
	.set _ZL36rocblas_gemvt_double_buffered_kernelILb1ELi128ELi4ELi16EdddEviiT4_lPKT3_lilS3_lilPT5_lili.has_dyn_sized_stack, 0
	.set _ZL36rocblas_gemvt_double_buffered_kernelILb1ELi128ELi4ELi16EdddEviiT4_lPKT3_lilS3_lilPT5_lili.has_recursion, 0
	.set _ZL36rocblas_gemvt_double_buffered_kernelILb1ELi128ELi4ELi16EdddEviiT4_lPKT3_lilS3_lilPT5_lili.has_indirect_call, 0
	.section	.AMDGPU.csdata,"",@progbits
; Kernel info:
; codeLenInByte = 6416
; TotalNumSgprs: 45
; NumVgprs: 256
; ScratchSize: 124
; MemoryBound: 0
; FloatMode: 240
; IeeeMode: 1
; LDSByteSize: 65536 bytes/workgroup (compile time only)
; SGPRBlocks: 0
; VGPRBlocks: 15
; NumSGPRsForWavesPerEU: 45
; NumVGPRsForWavesPerEU: 256
; NamedBarCnt: 0
; Occupancy: 4
; WaveLimiterHint : 0
; COMPUTE_PGM_RSRC2:SCRATCH_EN: 1
; COMPUTE_PGM_RSRC2:USER_SGPR: 2
; COMPUTE_PGM_RSRC2:TRAP_HANDLER: 0
; COMPUTE_PGM_RSRC2:TGID_X_EN: 1
; COMPUTE_PGM_RSRC2:TGID_Y_EN: 1
; COMPUTE_PGM_RSRC2:TGID_Z_EN: 1
; COMPUTE_PGM_RSRC2:TIDIG_COMP_CNT: 1
	.section	.text._ZL20rocblas_gemvt_kernelILb1ELi256EdPKddEviiT2_lPKT1_lilS5_lilS2_lPT3_lili,"axG",@progbits,_ZL20rocblas_gemvt_kernelILb1ELi256EdPKddEviiT2_lPKT1_lilS5_lilS2_lPT3_lili,comdat
	.globl	_ZL20rocblas_gemvt_kernelILb1ELi256EdPKddEviiT2_lPKT1_lilS5_lilS2_lPT3_lili ; -- Begin function _ZL20rocblas_gemvt_kernelILb1ELi256EdPKddEviiT2_lPKT1_lilS5_lilS2_lPT3_lili
	.p2align	8
	.type	_ZL20rocblas_gemvt_kernelILb1ELi256EdPKddEviiT2_lPKT1_lilS5_lilS2_lPT3_lili,@function
_ZL20rocblas_gemvt_kernelILb1ELi256EdPKddEviiT2_lPKT1_lilS5_lilS2_lPT3_lili: ; @_ZL20rocblas_gemvt_kernelILb1ELi256EdPKddEviiT2_lPKT1_lilS5_lilS2_lPT3_lili
; %bb.0:
	s_load_b32 s33, s[0:1], 0x88
	s_bfe_u32 s2, ttmp6, 0x40014
	s_lshr_b32 s3, ttmp7, 16
	s_add_co_i32 s2, s2, 1
	s_bfe_u32 s4, ttmp6, 0x40008
	s_mul_i32 s2, s3, s2
	s_getreg_b32 s7, hwreg(HW_REG_IB_STS2, 6, 4)
	s_add_co_i32 s4, s4, s2
	s_cmp_eq_u32 s7, 0
	s_mov_b32 s35, 0
	s_cselect_b32 s34, s3, s4
	s_wait_kmcnt 0x0
	s_cmp_ge_u32 s34, s33
	s_cbranch_scc1 .LBB96_41
; %bb.1:
	s_clause 0x4
	s_load_b32 s2, s[0:1], 0x28
	s_load_b96 s[4:6], s[0:1], 0x40
	s_load_b96 s[8:10], s[0:1], 0x70
	s_load_b256 s[12:19], s[0:1], 0x8
	s_load_b32 s46, s[0:1], 0x0
	s_bfe_u32 s3, ttmp6, 0x4000c
	s_and_b32 s11, ttmp6, 15
	s_add_co_i32 s3, s3, 1
	s_load_b128 s[28:31], s[0:1], 0x30
	s_mul_i32 s3, ttmp9, s3
	s_load_b64 s[36:37], s[0:1], 0x80
	s_add_co_i32 s11, s11, s3
	s_load_b256 s[20:27], s[0:1], 0x50
	v_lshlrev_b32_e32 v20, 3, v0
	s_wait_kmcnt 0x0
	s_ashr_i32 s3, s2, 31
	s_ashr_i32 s39, s6, 31
	;; [unrolled: 1-line block ×3, first 2 shown]
	s_lshl_b64 s[4:5], s[4:5], 3
	s_lshl_b64 s[8:9], s[8:9], 3
	;; [unrolled: 1-line block ×3, first 2 shown]
	s_cmp_eq_u32 s7, 0
	s_mov_b32 s38, s6
	s_cselect_b32 s44, ttmp9, s11
	s_ashr_i32 s7, s46, 31
	v_cmp_gt_i32_e32 vcc_lo, s46, v0
	s_lshr_b32 s0, s7, 24
	s_ashr_i32 s45, s44, 31
	s_add_co_i32 s0, s46, s0
	s_mul_u64 s[2:3], s[2:3], s[44:45]
	s_and_b32 s18, s0, 0xffffff00
	s_delay_alu instid0(SALU_CYCLE_1) | instskip(SKIP_3) | instid1(VALU_DEP_1)
	v_dual_mov_b32 v3, 0 :: v_dual_bitop2_b32 v8, s18, v0 bitop3:0x54
	s_add_nc_u64 s[0:1], s[16:17], s[42:43]
	s_add_nc_u64 s[26:27], s[26:27], s[8:9]
	s_lshl_b64 s[8:9], s[2:3], 3
	v_dual_mov_b32 v1, v3 :: v_dual_ashrrev_i32 v9, 31, v8
	s_mov_b32 s40, s10
	s_add_nc_u64 s[10:11], s[30:31], s[4:5]
	s_add_nc_u64 s[30:31], s[8:9], s[42:43]
	s_delay_alu instid0(VALU_DEP_1)
	v_mul_u64_e32 v[10:11], s[38:39], v[0:1]
	v_mul_u64_e32 v[4:5], s[38:39], v[8:9]
	v_cndmask_b32_e32 v1, 0, v0, vcc_lo
	s_add_nc_u64 s[16:17], s[16:17], s[30:31]
	v_cmp_gt_u32_e64 s2, 0x80, v0
	v_cmp_gt_u32_e64 s3, 64, v0
	;; [unrolled: 1-line block ×3, first 2 shown]
	v_lshlrev_b32_e32 v2, 3, v1
	v_cmp_gt_u32_e64 s5, 16, v0
	v_cmp_gt_u32_e64 s6, 8, v0
	;; [unrolled: 1-line block ×3, first 2 shown]
	s_mul_u64 s[40:41], s[40:41], s[44:45]
	v_add_nc_u64_e32 v[6:7], s[0:1], v[2:3]
	v_cmp_gt_i32_e64 s1, s46, v8
	v_add_nc_u64_e32 v[8:9], s[16:17], v[2:3]
	v_cmp_eq_u32_e64 s0, 0, v0
	s_cmp_gt_i32 s46, 0xff
	s_cselect_b32 s44, -1, 0
	v_add_nc_u64_e32 v[6:7], s[8:9], v[6:7]
	v_cmp_gt_u32_e64 s8, 2, v0
	s_ashr_i32 s19, s18, 31
	s_lshl_b64 s[16:17], s[20:21], 3
	s_lshl_b64 s[30:31], s[38:39], 11
	;; [unrolled: 1-line block ×4, first 2 shown]
	v_lshl_add_u64 v[0:1], v[10:11], 3, s[10:11]
	s_branch .LBB96_4
.LBB96_2:                               ;   in Loop: Header=BB96_4 Depth=1
	s_wait_xcnt 0x0
	s_or_b32 exec_lo, exec_lo, s45
.LBB96_3:                               ;   in Loop: Header=BB96_4 Depth=1
	s_add_co_i32 s34, s34, 0x10000
	s_delay_alu instid0(SALU_CYCLE_1)
	s_cmp_lt_u32 s34, s33
	s_cbranch_scc0 .LBB96_41
.LBB96_4:                               ; =>This Loop Header: Depth=1
                                        ;     Child Loop BB96_15 Depth 2
	s_wait_xcnt 0x1
	s_mul_u64 s[42:43], s[14:15], s[34:35]
	s_wait_xcnt 0x0
	s_mul_u64 s[46:47], s[24:25], s[34:35]
	s_lshl_b64 s[42:43], s[42:43], 3
	s_lshl_b64 s[46:47], s[46:47], 3
	s_add_nc_u64 s[42:43], s[12:13], s[42:43]
	s_add_nc_u64 s[46:47], s[22:23], s[46:47]
	s_clause 0x1
	global_load_b64 v[12:13], v3, s[42:43]
	global_load_b64 v[10:11], v3, s[46:47]
	s_wait_loadcnt 0x1
	v_cmp_eq_f64_e32 vcc_lo, 0, v[12:13]
	s_wait_loadcnt 0x0
	v_cmp_eq_f64_e64 s9, 1.0, v[10:11]
	s_and_b32 s9, vcc_lo, s9
	s_delay_alu instid0(SALU_CYCLE_1)
	s_and_b32 vcc_lo, exec_lo, s9
	s_cbranch_vccnz .LBB96_3
; %bb.5:                                ;   in Loop: Header=BB96_4 Depth=1
	v_cmp_neq_f64_e32 vcc_lo, 0, v[12:13]
	s_wait_xcnt 0x1
	s_mul_u64 s[42:43], s[36:37], s[34:35]
	s_delay_alu instid0(SALU_CYCLE_1) | instskip(NEXT) | instid1(SALU_CYCLE_1)
	s_lshl_b64 s[42:43], s[42:43], 3
	s_add_nc_u64 s[42:43], s[26:27], s[42:43]
	s_cbranch_vccnz .LBB96_9
; %bb.6:                                ;   in Loop: Header=BB96_4 Depth=1
	s_mov_b32 s45, 0
	s_mov_b32 s9, 0
                                        ; implicit-def: $vgpr14_vgpr15
	s_wait_xcnt 0x0
	s_and_saveexec_b32 s46, s0
	s_cbranch_execz .LBB96_10
; %bb.7:                                ;   in Loop: Header=BB96_4 Depth=1
	v_cmp_eq_f64_e32 vcc_lo, 0, v[10:11]
	s_cbranch_vccnz .LBB96_11
; %bb.8:                                ;   in Loop: Header=BB96_4 Depth=1
	s_add_nc_u64 s[48:49], s[42:43], s[40:41]
	global_load_b64 v[14:15], v3, s[48:49]
	s_wait_loadcnt 0x0
	v_mul_f64_e32 v[14:15], v[10:11], v[14:15]
	s_branch .LBB96_12
.LBB96_9:                               ;   in Loop: Header=BB96_4 Depth=1
	s_mov_b32 s9, 0
                                        ; implicit-def: $vgpr14_vgpr15
	s_cbranch_execnz .LBB96_13
	s_branch .LBB96_39
.LBB96_10:                              ;   in Loop: Header=BB96_4 Depth=1
	s_or_b32 exec_lo, exec_lo, s46
	s_delay_alu instid0(SALU_CYCLE_1)
	s_and_b32 vcc_lo, exec_lo, s45
	s_cbranch_vccnz .LBB96_13
	s_branch .LBB96_39
.LBB96_11:                              ;   in Loop: Header=BB96_4 Depth=1
	v_mov_b64_e32 v[14:15], 0
.LBB96_12:                              ;   in Loop: Header=BB96_4 Depth=1
	s_mov_b32 s9, exec_lo
	s_wait_xcnt 0x0
	s_or_b32 exec_lo, exec_lo, s46
	s_delay_alu instid0(SALU_CYCLE_1)
	s_and_b32 vcc_lo, exec_lo, s45
	s_cbranch_vccz .LBB96_39
.LBB96_13:                              ;   in Loop: Header=BB96_4 Depth=1
	v_mov_b64_e32 v[14:15], 0
	s_and_not1_b32 vcc_lo, exec_lo, s44
	s_cbranch_vccnz .LBB96_16
; %bb.14:                               ;   in Loop: Header=BB96_4 Depth=1
	v_mad_nc_u64_u32 v[16:17], s16, s34, v[0:1]
	v_mad_nc_u64_u32 v[18:19], s38, s34, v[8:9]
	v_mov_b64_e32 v[14:15], 0
	s_mov_b32 s45, 0
	s_delay_alu instid0(VALU_DEP_3) | instskip(NEXT) | instid1(VALU_DEP_3)
	v_mad_u32 v17, s17, s34, v17
	v_mad_u32 v19, s39, s34, v19
.LBB96_15:                              ;   Parent Loop BB96_4 Depth=1
                                        ; =>  This Inner Loop Header: Depth=2
	global_load_b64 v[22:23], v[18:19], off
	global_load_b64 v[24:25], v[16:17], off
	s_wait_xcnt 0x0
	v_add_nc_u64_e32 v[16:17], s[30:31], v[16:17]
	v_add_nc_u64_e32 v[18:19], 0x800, v[18:19]
	s_addk_co_i32 s45, 0x100
	s_delay_alu instid0(SALU_CYCLE_1)
	s_cmp_ge_i32 s45, s18
	s_wait_loadcnt 0x0
	v_fmac_f64_e32 v[14:15], v[22:23], v[24:25]
	s_cbranch_scc0 .LBB96_15
.LBB96_16:                              ;   in Loop: Header=BB96_4 Depth=1
	s_wait_xcnt 0x0
	s_and_saveexec_b32 s45, s1
	s_cbranch_execz .LBB96_18
; %bb.17:                               ;   in Loop: Header=BB96_4 Depth=1
	s_mul_u64 s[46:47], s[28:29], s[34:35]
	s_mul_u64 s[48:49], s[20:21], s[34:35]
	v_lshl_add_u64 v[16:17], s[46:47], 3, v[6:7]
	s_lshl_b64 s[46:47], s[48:49], 3
	s_delay_alu instid0(SALU_CYCLE_1) | instskip(NEXT) | instid1(SALU_CYCLE_1)
	s_add_nc_u64 s[46:47], s[10:11], s[46:47]
	v_lshl_add_u64 v[18:19], v[4:5], 3, s[46:47]
	s_delay_alu instid0(VALU_DEP_2)
	v_lshl_add_u64 v[16:17], s[18:19], 3, v[16:17]
	global_load_b64 v[22:23], v[16:17], off
	global_load_b64 v[24:25], v[18:19], off
	s_wait_loadcnt 0x0
	v_fmac_f64_e32 v[14:15], v[22:23], v[24:25]
.LBB96_18:                              ;   in Loop: Header=BB96_4 Depth=1
	s_wait_xcnt 0x0
	s_or_b32 exec_lo, exec_lo, s45
	ds_store_b64 v20, v[14:15]
	s_wait_dscnt 0x0
	s_barrier_signal -1
	s_barrier_wait -1
	s_and_saveexec_b32 s45, s2
	s_cbranch_execz .LBB96_20
; %bb.19:                               ;   in Loop: Header=BB96_4 Depth=1
	ds_load_2addr_stride64_b64 v[14:17], v20 offset1:2
	s_wait_dscnt 0x0
	v_add_f64_e32 v[14:15], v[16:17], v[14:15]
	ds_store_b64 v20, v[14:15]
.LBB96_20:                              ;   in Loop: Header=BB96_4 Depth=1
	s_or_b32 exec_lo, exec_lo, s45
	s_wait_dscnt 0x0
	s_barrier_signal -1
	s_barrier_wait -1
	s_and_saveexec_b32 s45, s3
	s_cbranch_execz .LBB96_22
; %bb.21:                               ;   in Loop: Header=BB96_4 Depth=1
	ds_load_2addr_stride64_b64 v[14:17], v20 offset1:1
	s_wait_dscnt 0x0
	v_add_f64_e32 v[14:15], v[16:17], v[14:15]
	ds_store_b64 v20, v[14:15]
.LBB96_22:                              ;   in Loop: Header=BB96_4 Depth=1
	s_or_b32 exec_lo, exec_lo, s45
	s_wait_dscnt 0x0
	s_barrier_signal -1
	s_barrier_wait -1
	s_and_saveexec_b32 s45, s4
	s_cbranch_execz .LBB96_24
; %bb.23:                               ;   in Loop: Header=BB96_4 Depth=1
	ds_load_2addr_b64 v[14:17], v20 offset1:32
	s_wait_dscnt 0x0
	v_add_f64_e32 v[14:15], v[16:17], v[14:15]
	ds_store_b64 v20, v[14:15]
.LBB96_24:                              ;   in Loop: Header=BB96_4 Depth=1
	s_or_b32 exec_lo, exec_lo, s45
	s_wait_dscnt 0x0
	s_barrier_signal -1
	s_barrier_wait -1
	s_and_saveexec_b32 s45, s5
	s_cbranch_execz .LBB96_26
; %bb.25:                               ;   in Loop: Header=BB96_4 Depth=1
	ds_load_2addr_b64 v[14:17], v20 offset1:16
	s_wait_dscnt 0x0
	v_add_f64_e32 v[14:15], v[16:17], v[14:15]
	ds_store_b64 v20, v[14:15]
.LBB96_26:                              ;   in Loop: Header=BB96_4 Depth=1
	;; [unrolled: 12-line block ×5, first 2 shown]
	s_or_b32 exec_lo, exec_lo, s45
	s_wait_dscnt 0x0
	s_barrier_signal -1
	s_barrier_wait -1
	s_and_saveexec_b32 s45, s0
	s_cbranch_execz .LBB96_34
; %bb.33:                               ;   in Loop: Header=BB96_4 Depth=1
	ds_load_b128 v[14:17], v3
	s_wait_dscnt 0x0
	v_add_f64_e32 v[14:15], v[16:17], v[14:15]
	ds_store_b64 v3, v[14:15]
.LBB96_34:                              ;   in Loop: Header=BB96_4 Depth=1
	s_or_b32 exec_lo, exec_lo, s45
	s_wait_dscnt 0x0
	s_barrier_signal -1
	s_barrier_wait -1
                                        ; implicit-def: $vgpr14_vgpr15
	s_and_saveexec_b32 s45, s0
	s_cbranch_execz .LBB96_38
; %bb.35:                               ;   in Loop: Header=BB96_4 Depth=1
	ds_load_b64 v[14:15], v3
	v_cmp_eq_f64_e32 vcc_lo, 0, v[10:11]
	s_wait_dscnt 0x0
	v_mul_f64_e32 v[14:15], v[12:13], v[14:15]
	s_cbranch_vccnz .LBB96_37
; %bb.36:                               ;   in Loop: Header=BB96_4 Depth=1
	s_add_nc_u64 s[46:47], s[42:43], s[40:41]
	global_load_b64 v[12:13], v3, s[46:47]
	s_wait_loadcnt 0x0
	v_fmac_f64_e32 v[14:15], v[10:11], v[12:13]
.LBB96_37:                              ;   in Loop: Header=BB96_4 Depth=1
	s_or_b32 s9, s9, exec_lo
.LBB96_38:                              ;   in Loop: Header=BB96_4 Depth=1
	s_wait_xcnt 0x0
	s_or_b32 exec_lo, exec_lo, s45
.LBB96_39:                              ;   in Loop: Header=BB96_4 Depth=1
	s_wait_xcnt 0x0
	s_and_saveexec_b32 s45, s9
	s_cbranch_execz .LBB96_2
; %bb.40:                               ;   in Loop: Header=BB96_4 Depth=1
	s_add_nc_u64 s[42:43], s[42:43], s[40:41]
	global_store_b64 v3, v[14:15], s[42:43]
	s_branch .LBB96_2
.LBB96_41:
	s_endpgm
	.section	.rodata,"a",@progbits
	.p2align	6, 0x0
	.amdhsa_kernel _ZL20rocblas_gemvt_kernelILb1ELi256EdPKddEviiT2_lPKT1_lilS5_lilS2_lPT3_lili
		.amdhsa_group_segment_fixed_size 2048
		.amdhsa_private_segment_fixed_size 0
		.amdhsa_kernarg_size 140
		.amdhsa_user_sgpr_count 2
		.amdhsa_user_sgpr_dispatch_ptr 0
		.amdhsa_user_sgpr_queue_ptr 0
		.amdhsa_user_sgpr_kernarg_segment_ptr 1
		.amdhsa_user_sgpr_dispatch_id 0
		.amdhsa_user_sgpr_kernarg_preload_length 0
		.amdhsa_user_sgpr_kernarg_preload_offset 0
		.amdhsa_user_sgpr_private_segment_size 0
		.amdhsa_wavefront_size32 1
		.amdhsa_uses_dynamic_stack 0
		.amdhsa_enable_private_segment 0
		.amdhsa_system_sgpr_workgroup_id_x 1
		.amdhsa_system_sgpr_workgroup_id_y 0
		.amdhsa_system_sgpr_workgroup_id_z 1
		.amdhsa_system_sgpr_workgroup_info 0
		.amdhsa_system_vgpr_workitem_id 0
		.amdhsa_next_free_vgpr 26
		.amdhsa_next_free_sgpr 50
		.amdhsa_named_barrier_count 0
		.amdhsa_reserve_vcc 1
		.amdhsa_float_round_mode_32 0
		.amdhsa_float_round_mode_16_64 0
		.amdhsa_float_denorm_mode_32 3
		.amdhsa_float_denorm_mode_16_64 3
		.amdhsa_fp16_overflow 0
		.amdhsa_memory_ordered 1
		.amdhsa_forward_progress 1
		.amdhsa_inst_pref_size 12
		.amdhsa_round_robin_scheduling 0
		.amdhsa_exception_fp_ieee_invalid_op 0
		.amdhsa_exception_fp_denorm_src 0
		.amdhsa_exception_fp_ieee_div_zero 0
		.amdhsa_exception_fp_ieee_overflow 0
		.amdhsa_exception_fp_ieee_underflow 0
		.amdhsa_exception_fp_ieee_inexact 0
		.amdhsa_exception_int_div_zero 0
	.end_amdhsa_kernel
	.section	.text._ZL20rocblas_gemvt_kernelILb1ELi256EdPKddEviiT2_lPKT1_lilS5_lilS2_lPT3_lili,"axG",@progbits,_ZL20rocblas_gemvt_kernelILb1ELi256EdPKddEviiT2_lPKT1_lilS5_lilS2_lPT3_lili,comdat
.Lfunc_end96:
	.size	_ZL20rocblas_gemvt_kernelILb1ELi256EdPKddEviiT2_lPKT1_lilS5_lilS2_lPT3_lili, .Lfunc_end96-_ZL20rocblas_gemvt_kernelILb1ELi256EdPKddEviiT2_lPKT1_lilS5_lilS2_lPT3_lili
                                        ; -- End function
	.set _ZL20rocblas_gemvt_kernelILb1ELi256EdPKddEviiT2_lPKT1_lilS5_lilS2_lPT3_lili.num_vgpr, 26
	.set _ZL20rocblas_gemvt_kernelILb1ELi256EdPKddEviiT2_lPKT1_lilS5_lilS2_lPT3_lili.num_agpr, 0
	.set _ZL20rocblas_gemvt_kernelILb1ELi256EdPKddEviiT2_lPKT1_lilS5_lilS2_lPT3_lili.numbered_sgpr, 50
	.set _ZL20rocblas_gemvt_kernelILb1ELi256EdPKddEviiT2_lPKT1_lilS5_lilS2_lPT3_lili.num_named_barrier, 0
	.set _ZL20rocblas_gemvt_kernelILb1ELi256EdPKddEviiT2_lPKT1_lilS5_lilS2_lPT3_lili.private_seg_size, 0
	.set _ZL20rocblas_gemvt_kernelILb1ELi256EdPKddEviiT2_lPKT1_lilS5_lilS2_lPT3_lili.uses_vcc, 1
	.set _ZL20rocblas_gemvt_kernelILb1ELi256EdPKddEviiT2_lPKT1_lilS5_lilS2_lPT3_lili.uses_flat_scratch, 0
	.set _ZL20rocblas_gemvt_kernelILb1ELi256EdPKddEviiT2_lPKT1_lilS5_lilS2_lPT3_lili.has_dyn_sized_stack, 0
	.set _ZL20rocblas_gemvt_kernelILb1ELi256EdPKddEviiT2_lPKT1_lilS5_lilS2_lPT3_lili.has_recursion, 0
	.set _ZL20rocblas_gemvt_kernelILb1ELi256EdPKddEviiT2_lPKT1_lilS5_lilS2_lPT3_lili.has_indirect_call, 0
	.section	.AMDGPU.csdata,"",@progbits
; Kernel info:
; codeLenInByte = 1444
; TotalNumSgprs: 52
; NumVgprs: 26
; ScratchSize: 0
; MemoryBound: 0
; FloatMode: 240
; IeeeMode: 1
; LDSByteSize: 2048 bytes/workgroup (compile time only)
; SGPRBlocks: 0
; VGPRBlocks: 1
; NumSGPRsForWavesPerEU: 52
; NumVGPRsForWavesPerEU: 26
; NamedBarCnt: 0
; Occupancy: 16
; WaveLimiterHint : 0
; COMPUTE_PGM_RSRC2:SCRATCH_EN: 0
; COMPUTE_PGM_RSRC2:USER_SGPR: 2
; COMPUTE_PGM_RSRC2:TRAP_HANDLER: 0
; COMPUTE_PGM_RSRC2:TGID_X_EN: 1
; COMPUTE_PGM_RSRC2:TGID_Y_EN: 0
; COMPUTE_PGM_RSRC2:TGID_Z_EN: 1
; COMPUTE_PGM_RSRC2:TIDIG_COMP_CNT: 0
	.section	.text._ZL20rocblas_gemvt_kernelILb1ELi256EdddEviiT2_lPKT1_lilS3_lilS0_lPT3_lili,"axG",@progbits,_ZL20rocblas_gemvt_kernelILb1ELi256EdddEviiT2_lPKT1_lilS3_lilS0_lPT3_lili,comdat
	.globl	_ZL20rocblas_gemvt_kernelILb1ELi256EdddEviiT2_lPKT1_lilS3_lilS0_lPT3_lili ; -- Begin function _ZL20rocblas_gemvt_kernelILb1ELi256EdddEviiT2_lPKT1_lilS3_lilS0_lPT3_lili
	.p2align	8
	.type	_ZL20rocblas_gemvt_kernelILb1ELi256EdddEviiT2_lPKT1_lilS3_lilS0_lPT3_lili,@function
_ZL20rocblas_gemvt_kernelILb1ELi256EdddEviiT2_lPKT1_lilS3_lilS0_lPT3_lili: ; @_ZL20rocblas_gemvt_kernelILb1ELi256EdddEviiT2_lPKT1_lilS3_lilS0_lPT3_lili
; %bb.0:
	s_load_b32 s33, s[0:1], 0x88
	s_bfe_u32 s2, ttmp6, 0x40014
	s_lshr_b32 s3, ttmp7, 16
	s_add_co_i32 s2, s2, 1
	s_bfe_u32 s5, ttmp6, 0x40008
	s_mul_i32 s4, s3, s2
	s_getreg_b32 s2, hwreg(HW_REG_IB_STS2, 6, 4)
	s_add_co_i32 s5, s5, s4
	s_cmp_eq_u32 s2, 0
	s_mov_b32 s25, 0
	s_cselect_b32 s24, s3, s5
	s_wait_kmcnt 0x0
	s_cmp_ge_u32 s24, s33
	s_cbranch_scc1 .LBB97_41
; %bb.1:
	s_clause 0x8
	s_load_b64 s[26:27], s[0:1], 0x8
	s_load_b128 s[12:15], s[0:1], 0x50
	s_load_b128 s[4:7], s[0:1], 0x68
	s_load_b32 s30, s[0:1], 0x28
	s_load_b96 s[8:10], s[0:1], 0x40
	s_load_b32 s34, s[0:1], 0x78
	s_load_b128 s[20:23], s[0:1], 0x18
	s_load_b32 s41, s[0:1], 0x0
	s_load_b128 s[16:19], s[0:1], 0x30
	s_bfe_u32 s31, ttmp6, 0x4000c
	s_load_b64 s[28:29], s[0:1], 0x80
	s_add_co_i32 s31, s31, 1
	s_wait_xcnt 0x0
	s_and_b32 s0, ttmp6, 15
	s_mul_i32 s1, ttmp9, s31
	v_lshlrev_b32_e32 v16, 3, v0
	s_add_co_i32 s36, s0, s1
	s_wait_kmcnt 0x0
	s_ashr_i32 s31, s30, 31
	s_ashr_i32 s37, s10, 31
	v_cmp_neq_f64_e64 s3, s[26:27], 0
	v_cmp_neq_f64_e64 s11, s[14:15], 1.0
	s_ashr_i32 s35, s34, 31
	s_lshl_b64 s[0:1], s[8:9], 3
	s_lshl_b64 s[6:7], s[6:7], 3
	;; [unrolled: 1-line block ×3, first 2 shown]
	v_cmp_gt_i32_e32 vcc_lo, s41, v0
	v_mov_b32_e32 v3, 0
	s_add_nc_u64 s[22:23], s[4:5], s[6:7]
	s_add_nc_u64 s[4:5], s[20:21], s[38:39]
	;; [unrolled: 1-line block ×3, first 2 shown]
	v_cmp_neq_f64_e64 s42, s[14:15], 0
	v_cmp_eq_u32_e64 s0, 0, v0
	v_cmp_gt_u32_e64 s6, 8, v0
	v_cmp_gt_u32_e64 s7, 4, v0
	;; [unrolled: 1-line block ×3, first 2 shown]
	s_or_b32 s9, s3, s11
	s_cmp_eq_u32 s2, 0
	s_cselect_b32 s2, ttmp9, s36
	s_ashr_i32 s3, s41, 31
	s_mov_b32 s36, s10
	s_lshr_b32 s3, s3, 24
	s_delay_alu instid0(SALU_CYCLE_1) | instskip(NEXT) | instid1(SALU_CYCLE_1)
	s_add_co_i32 s3, s41, s3
	s_and_b32 s10, s3, 0xffffff00
	s_delay_alu instid0(SALU_CYCLE_1) | instskip(SKIP_1) | instid1(SALU_CYCLE_1)
	v_dual_mov_b32 v1, v3 :: v_dual_bitop2_b32 v10, s10, v0 bitop3:0x54
	s_ashr_i32 s3, s2, 31
	s_mul_u64 s[44:45], s[34:35], s[2:3]
	s_delay_alu instid0(VALU_DEP_1) | instskip(SKIP_2) | instid1(VALU_DEP_2)
	v_mul_u64_e32 v[8:9], s[36:37], v[0:1]
	v_cndmask_b32_e32 v1, 0, v0, vcc_lo
	v_cmp_gt_i32_e64 s1, s41, v10
	v_dual_ashrrev_i32 v11, 31, v10 :: v_dual_lshlrev_b32 v2, 3, v1
	s_delay_alu instid0(VALU_DEP_1) | instskip(NEXT) | instid1(VALU_DEP_2)
	v_mul_u64_e32 v[4:5], s[36:37], v[10:11]
	v_add_nc_u64_e32 v[6:7], s[4:5], v[2:3]
	s_mul_u64 s[4:5], s[30:31], s[2:3]
	v_cmp_gt_u32_e64 s2, 0x80, v0
	s_lshl_b64 s[30:31], s[4:5], 3
	s_cmp_gt_i32 s41, 0xff
	v_cmp_eq_f64_e64 s41, s[26:27], 0
	v_cmp_gt_u32_e64 s3, 64, v0
	v_add_nc_u64_e32 v[6:7], s[30:31], v[6:7]
	s_add_nc_u64 s[30:31], s[30:31], s[38:39]
	v_cmp_gt_u32_e64 s4, 32, v0
	s_add_nc_u64 s[30:31], s[20:21], s[30:31]
	v_cmp_gt_u32_e64 s5, 16, v0
	s_cselect_b32 s40, -1, 0
	s_ashr_i32 s11, s10, 31
	s_lshl_b64 s[20:21], s[12:13], 3
	s_lshl_b64 s[34:35], s[16:17], 3
	v_lshl_add_u64 v[0:1], v[8:9], 3, s[18:19]
	v_add_nc_u64_e32 v[8:9], s[30:31], v[2:3]
	s_lshl_b64 s[30:31], s[36:37], 11
	s_lshl_b64 s[36:37], s[44:45], 3
	s_branch .LBB97_4
.LBB97_2:                               ;   in Loop: Header=BB97_4 Depth=1
	s_wait_xcnt 0x0
	s_or_b32 exec_lo, exec_lo, s44
.LBB97_3:                               ;   in Loop: Header=BB97_4 Depth=1
	s_add_co_i32 s24, s24, 0x10000
	s_delay_alu instid0(SALU_CYCLE_1)
	s_cmp_lt_u32 s24, s33
	s_cbranch_scc0 .LBB97_41
.LBB97_4:                               ; =>This Loop Header: Depth=1
                                        ;     Child Loop BB97_15 Depth 2
	s_and_not1_b32 vcc_lo, exec_lo, s9
	s_cbranch_vccnz .LBB97_3
; %bb.5:                                ;   in Loop: Header=BB97_4 Depth=1
	s_mul_u64 s[38:39], s[28:29], s[24:25]
	s_and_not1_b32 vcc_lo, exec_lo, s41
	s_lshl_b64 s[38:39], s[38:39], 3
	s_delay_alu instid0(SALU_CYCLE_1)
	s_add_nc_u64 s[38:39], s[22:23], s[38:39]
	s_cbranch_vccnz .LBB97_9
; %bb.6:                                ;   in Loop: Header=BB97_4 Depth=1
	s_mov_b32 s44, 0
	s_mov_b32 s43, 0
                                        ; implicit-def: $vgpr10_vgpr11
	s_and_saveexec_b32 s45, s0
	s_cbranch_execz .LBB97_10
; %bb.7:                                ;   in Loop: Header=BB97_4 Depth=1
	s_and_not1_b32 vcc_lo, exec_lo, s42
	s_cbranch_vccnz .LBB97_11
; %bb.8:                                ;   in Loop: Header=BB97_4 Depth=1
	s_add_nc_u64 s[46:47], s[38:39], s[36:37]
	global_load_b64 v[10:11], v3, s[46:47]
	s_wait_loadcnt 0x0
	v_mul_f64_e32 v[10:11], s[14:15], v[10:11]
	s_branch .LBB97_12
.LBB97_9:                               ;   in Loop: Header=BB97_4 Depth=1
	s_mov_b32 s43, 0
                                        ; implicit-def: $vgpr10_vgpr11
	s_cbranch_execnz .LBB97_13
	s_branch .LBB97_39
.LBB97_10:                              ;   in Loop: Header=BB97_4 Depth=1
	s_or_b32 exec_lo, exec_lo, s45
	s_delay_alu instid0(SALU_CYCLE_1)
	s_and_b32 vcc_lo, exec_lo, s44
	s_cbranch_vccnz .LBB97_13
	s_branch .LBB97_39
.LBB97_11:                              ;   in Loop: Header=BB97_4 Depth=1
	v_mov_b64_e32 v[10:11], 0
.LBB97_12:                              ;   in Loop: Header=BB97_4 Depth=1
	s_mov_b32 s43, exec_lo
	s_wait_xcnt 0x0
	s_or_b32 exec_lo, exec_lo, s45
	s_delay_alu instid0(SALU_CYCLE_1)
	s_and_b32 vcc_lo, exec_lo, s44
	s_cbranch_vccz .LBB97_39
.LBB97_13:                              ;   in Loop: Header=BB97_4 Depth=1
	v_mov_b64_e32 v[10:11], 0
	s_and_not1_b32 vcc_lo, exec_lo, s40
	s_cbranch_vccnz .LBB97_16
; %bb.14:                               ;   in Loop: Header=BB97_4 Depth=1
	v_mad_nc_u64_u32 v[12:13], s20, s24, v[0:1]
	v_mad_nc_u64_u32 v[14:15], s34, s24, v[8:9]
	v_mov_b64_e32 v[10:11], 0
	s_mov_b32 s44, 0
	s_delay_alu instid0(VALU_DEP_3) | instskip(NEXT) | instid1(VALU_DEP_3)
	v_mad_u32 v13, s21, s24, v13
	v_mad_u32 v15, s35, s24, v15
.LBB97_15:                              ;   Parent Loop BB97_4 Depth=1
                                        ; =>  This Inner Loop Header: Depth=2
	global_load_b64 v[18:19], v[14:15], off
	global_load_b64 v[20:21], v[12:13], off
	s_wait_xcnt 0x0
	v_add_nc_u64_e32 v[12:13], s[30:31], v[12:13]
	v_add_nc_u64_e32 v[14:15], 0x800, v[14:15]
	s_addk_co_i32 s44, 0x100
	s_delay_alu instid0(SALU_CYCLE_1)
	s_cmp_ge_i32 s44, s10
	s_wait_loadcnt 0x0
	v_fmac_f64_e32 v[10:11], v[18:19], v[20:21]
	s_cbranch_scc0 .LBB97_15
.LBB97_16:                              ;   in Loop: Header=BB97_4 Depth=1
	s_and_saveexec_b32 s44, s1
	s_cbranch_execz .LBB97_18
; %bb.17:                               ;   in Loop: Header=BB97_4 Depth=1
	s_mul_u64 s[46:47], s[16:17], s[24:25]
	s_mul_u64 s[48:49], s[12:13], s[24:25]
	v_lshl_add_u64 v[12:13], s[46:47], 3, v[6:7]
	s_lshl_b64 s[46:47], s[48:49], 3
	s_delay_alu instid0(SALU_CYCLE_1) | instskip(NEXT) | instid1(SALU_CYCLE_1)
	s_add_nc_u64 s[46:47], s[18:19], s[46:47]
	v_lshl_add_u64 v[14:15], v[4:5], 3, s[46:47]
	s_delay_alu instid0(VALU_DEP_2)
	v_lshl_add_u64 v[12:13], s[10:11], 3, v[12:13]
	global_load_b64 v[18:19], v[12:13], off
	global_load_b64 v[20:21], v[14:15], off
	s_wait_loadcnt 0x0
	v_fmac_f64_e32 v[10:11], v[18:19], v[20:21]
.LBB97_18:                              ;   in Loop: Header=BB97_4 Depth=1
	s_wait_xcnt 0x0
	s_or_b32 exec_lo, exec_lo, s44
	ds_store_b64 v16, v[10:11]
	s_wait_dscnt 0x0
	s_barrier_signal -1
	s_barrier_wait -1
	s_and_saveexec_b32 s44, s2
	s_cbranch_execz .LBB97_20
; %bb.19:                               ;   in Loop: Header=BB97_4 Depth=1
	ds_load_2addr_stride64_b64 v[10:13], v16 offset1:2
	s_wait_dscnt 0x0
	v_add_f64_e32 v[10:11], v[12:13], v[10:11]
	ds_store_b64 v16, v[10:11]
.LBB97_20:                              ;   in Loop: Header=BB97_4 Depth=1
	s_or_b32 exec_lo, exec_lo, s44
	s_wait_dscnt 0x0
	s_barrier_signal -1
	s_barrier_wait -1
	s_and_saveexec_b32 s44, s3
	s_cbranch_execz .LBB97_22
; %bb.21:                               ;   in Loop: Header=BB97_4 Depth=1
	ds_load_2addr_stride64_b64 v[10:13], v16 offset1:1
	s_wait_dscnt 0x0
	v_add_f64_e32 v[10:11], v[12:13], v[10:11]
	ds_store_b64 v16, v[10:11]
.LBB97_22:                              ;   in Loop: Header=BB97_4 Depth=1
	s_or_b32 exec_lo, exec_lo, s44
	s_wait_dscnt 0x0
	s_barrier_signal -1
	s_barrier_wait -1
	s_and_saveexec_b32 s44, s4
	s_cbranch_execz .LBB97_24
; %bb.23:                               ;   in Loop: Header=BB97_4 Depth=1
	ds_load_2addr_b64 v[10:13], v16 offset1:32
	s_wait_dscnt 0x0
	v_add_f64_e32 v[10:11], v[12:13], v[10:11]
	ds_store_b64 v16, v[10:11]
.LBB97_24:                              ;   in Loop: Header=BB97_4 Depth=1
	s_or_b32 exec_lo, exec_lo, s44
	s_wait_dscnt 0x0
	s_barrier_signal -1
	s_barrier_wait -1
	s_and_saveexec_b32 s44, s5
	s_cbranch_execz .LBB97_26
; %bb.25:                               ;   in Loop: Header=BB97_4 Depth=1
	ds_load_2addr_b64 v[10:13], v16 offset1:16
	s_wait_dscnt 0x0
	v_add_f64_e32 v[10:11], v[12:13], v[10:11]
	ds_store_b64 v16, v[10:11]
.LBB97_26:                              ;   in Loop: Header=BB97_4 Depth=1
	;; [unrolled: 12-line block ×5, first 2 shown]
	s_or_b32 exec_lo, exec_lo, s44
	s_wait_dscnt 0x0
	s_barrier_signal -1
	s_barrier_wait -1
	s_and_saveexec_b32 s44, s0
	s_cbranch_execz .LBB97_34
; %bb.33:                               ;   in Loop: Header=BB97_4 Depth=1
	ds_load_b128 v[10:13], v3
	s_wait_dscnt 0x0
	v_add_f64_e32 v[10:11], v[12:13], v[10:11]
	ds_store_b64 v3, v[10:11]
.LBB97_34:                              ;   in Loop: Header=BB97_4 Depth=1
	s_or_b32 exec_lo, exec_lo, s44
	s_wait_dscnt 0x0
	s_barrier_signal -1
	s_barrier_wait -1
                                        ; implicit-def: $vgpr10_vgpr11
	s_and_saveexec_b32 s44, s0
	s_cbranch_execz .LBB97_38
; %bb.35:                               ;   in Loop: Header=BB97_4 Depth=1
	ds_load_b64 v[10:11], v3
	s_and_not1_b32 vcc_lo, exec_lo, s42
	s_wait_dscnt 0x0
	v_mul_f64_e32 v[10:11], s[26:27], v[10:11]
	s_cbranch_vccnz .LBB97_37
; %bb.36:                               ;   in Loop: Header=BB97_4 Depth=1
	s_add_nc_u64 s[46:47], s[38:39], s[36:37]
	global_load_b64 v[12:13], v3, s[46:47]
	s_wait_loadcnt 0x0
	v_fmac_f64_e32 v[10:11], s[14:15], v[12:13]
.LBB97_37:                              ;   in Loop: Header=BB97_4 Depth=1
	s_or_b32 s43, s43, exec_lo
.LBB97_38:                              ;   in Loop: Header=BB97_4 Depth=1
	s_wait_xcnt 0x0
	s_or_b32 exec_lo, exec_lo, s44
.LBB97_39:                              ;   in Loop: Header=BB97_4 Depth=1
	s_and_saveexec_b32 s44, s43
	s_cbranch_execz .LBB97_2
; %bb.40:                               ;   in Loop: Header=BB97_4 Depth=1
	s_add_nc_u64 s[38:39], s[38:39], s[36:37]
	global_store_b64 v3, v[10:11], s[38:39]
	s_branch .LBB97_2
.LBB97_41:
	s_endpgm
	.section	.rodata,"a",@progbits
	.p2align	6, 0x0
	.amdhsa_kernel _ZL20rocblas_gemvt_kernelILb1ELi256EdddEviiT2_lPKT1_lilS3_lilS0_lPT3_lili
		.amdhsa_group_segment_fixed_size 2048
		.amdhsa_private_segment_fixed_size 0
		.amdhsa_kernarg_size 140
		.amdhsa_user_sgpr_count 2
		.amdhsa_user_sgpr_dispatch_ptr 0
		.amdhsa_user_sgpr_queue_ptr 0
		.amdhsa_user_sgpr_kernarg_segment_ptr 1
		.amdhsa_user_sgpr_dispatch_id 0
		.amdhsa_user_sgpr_kernarg_preload_length 0
		.amdhsa_user_sgpr_kernarg_preload_offset 0
		.amdhsa_user_sgpr_private_segment_size 0
		.amdhsa_wavefront_size32 1
		.amdhsa_uses_dynamic_stack 0
		.amdhsa_enable_private_segment 0
		.amdhsa_system_sgpr_workgroup_id_x 1
		.amdhsa_system_sgpr_workgroup_id_y 0
		.amdhsa_system_sgpr_workgroup_id_z 1
		.amdhsa_system_sgpr_workgroup_info 0
		.amdhsa_system_vgpr_workitem_id 0
		.amdhsa_next_free_vgpr 22
		.amdhsa_next_free_sgpr 50
		.amdhsa_named_barrier_count 0
		.amdhsa_reserve_vcc 1
		.amdhsa_float_round_mode_32 0
		.amdhsa_float_round_mode_16_64 0
		.amdhsa_float_denorm_mode_32 3
		.amdhsa_float_denorm_mode_16_64 3
		.amdhsa_fp16_overflow 0
		.amdhsa_memory_ordered 1
		.amdhsa_forward_progress 1
		.amdhsa_inst_pref_size 11
		.amdhsa_round_robin_scheduling 0
		.amdhsa_exception_fp_ieee_invalid_op 0
		.amdhsa_exception_fp_denorm_src 0
		.amdhsa_exception_fp_ieee_div_zero 0
		.amdhsa_exception_fp_ieee_overflow 0
		.amdhsa_exception_fp_ieee_underflow 0
		.amdhsa_exception_fp_ieee_inexact 0
		.amdhsa_exception_int_div_zero 0
	.end_amdhsa_kernel
	.section	.text._ZL20rocblas_gemvt_kernelILb1ELi256EdddEviiT2_lPKT1_lilS3_lilS0_lPT3_lili,"axG",@progbits,_ZL20rocblas_gemvt_kernelILb1ELi256EdddEviiT2_lPKT1_lilS3_lilS0_lPT3_lili,comdat
.Lfunc_end97:
	.size	_ZL20rocblas_gemvt_kernelILb1ELi256EdddEviiT2_lPKT1_lilS3_lilS0_lPT3_lili, .Lfunc_end97-_ZL20rocblas_gemvt_kernelILb1ELi256EdddEviiT2_lPKT1_lilS3_lilS0_lPT3_lili
                                        ; -- End function
	.set _ZL20rocblas_gemvt_kernelILb1ELi256EdddEviiT2_lPKT1_lilS3_lilS0_lPT3_lili.num_vgpr, 22
	.set _ZL20rocblas_gemvt_kernelILb1ELi256EdddEviiT2_lPKT1_lilS3_lilS0_lPT3_lili.num_agpr, 0
	.set _ZL20rocblas_gemvt_kernelILb1ELi256EdddEviiT2_lPKT1_lilS3_lilS0_lPT3_lili.numbered_sgpr, 50
	.set _ZL20rocblas_gemvt_kernelILb1ELi256EdddEviiT2_lPKT1_lilS3_lilS0_lPT3_lili.num_named_barrier, 0
	.set _ZL20rocblas_gemvt_kernelILb1ELi256EdddEviiT2_lPKT1_lilS3_lilS0_lPT3_lili.private_seg_size, 0
	.set _ZL20rocblas_gemvt_kernelILb1ELi256EdddEviiT2_lPKT1_lilS3_lilS0_lPT3_lili.uses_vcc, 1
	.set _ZL20rocblas_gemvt_kernelILb1ELi256EdddEviiT2_lPKT1_lilS3_lilS0_lPT3_lili.uses_flat_scratch, 0
	.set _ZL20rocblas_gemvt_kernelILb1ELi256EdddEviiT2_lPKT1_lilS3_lilS0_lPT3_lili.has_dyn_sized_stack, 0
	.set _ZL20rocblas_gemvt_kernelILb1ELi256EdddEviiT2_lPKT1_lilS3_lilS0_lPT3_lili.has_recursion, 0
	.set _ZL20rocblas_gemvt_kernelILb1ELi256EdddEviiT2_lPKT1_lilS3_lilS0_lPT3_lili.has_indirect_call, 0
	.section	.AMDGPU.csdata,"",@progbits
; Kernel info:
; codeLenInByte = 1400
; TotalNumSgprs: 52
; NumVgprs: 22
; ScratchSize: 0
; MemoryBound: 0
; FloatMode: 240
; IeeeMode: 1
; LDSByteSize: 2048 bytes/workgroup (compile time only)
; SGPRBlocks: 0
; VGPRBlocks: 1
; NumSGPRsForWavesPerEU: 52
; NumVGPRsForWavesPerEU: 22
; NamedBarCnt: 0
; Occupancy: 16
; WaveLimiterHint : 0
; COMPUTE_PGM_RSRC2:SCRATCH_EN: 0
; COMPUTE_PGM_RSRC2:USER_SGPR: 2
; COMPUTE_PGM_RSRC2:TRAP_HANDLER: 0
; COMPUTE_PGM_RSRC2:TGID_X_EN: 1
; COMPUTE_PGM_RSRC2:TGID_Y_EN: 0
; COMPUTE_PGM_RSRC2:TGID_Z_EN: 1
; COMPUTE_PGM_RSRC2:TIDIG_COMP_CNT: 0
	.section	.text._ZL32rocblas_gemvt_warp_reduce_kernelILb1ELi1024EidPKddEviiT3_lPKT2_lT1_lS5_lS6_lS2_lPT4_lS6_li,"axG",@progbits,_ZL32rocblas_gemvt_warp_reduce_kernelILb1ELi1024EidPKddEviiT3_lPKT2_lT1_lS5_lS6_lS2_lPT4_lS6_li,comdat
	.globl	_ZL32rocblas_gemvt_warp_reduce_kernelILb1ELi1024EidPKddEviiT3_lPKT2_lT1_lS5_lS6_lS2_lPT4_lS6_li ; -- Begin function _ZL32rocblas_gemvt_warp_reduce_kernelILb1ELi1024EidPKddEviiT3_lPKT2_lT1_lS5_lS6_lS2_lPT4_lS6_li
	.p2align	8
	.type	_ZL32rocblas_gemvt_warp_reduce_kernelILb1ELi1024EidPKddEviiT3_lPKT2_lT1_lS5_lS6_lS2_lPT4_lS6_li,@function
_ZL32rocblas_gemvt_warp_reduce_kernelILb1ELi1024EidPKddEviiT3_lPKT2_lT1_lS5_lS6_lS2_lPT4_lS6_li: ; @_ZL32rocblas_gemvt_warp_reduce_kernelILb1ELi1024EidPKddEviiT3_lPKT2_lT1_lS5_lS6_lS2_lPT4_lS6_li
; %bb.0:
	s_load_b32 s33, s[0:1], 0x88
	s_bfe_u32 s2, ttmp6, 0x40014
	s_lshr_b32 s3, ttmp7, 16
	s_add_co_i32 s2, s2, 1
	s_bfe_u32 s5, ttmp6, 0x40008
	s_mul_i32 s4, s3, s2
	s_getreg_b32 s2, hwreg(HW_REG_IB_STS2, 6, 4)
	s_add_co_i32 s5, s5, s4
	s_cmp_eq_u32 s2, 0
	s_mov_b32 s35, 0
	s_cselect_b32 s34, s3, s5
	s_wait_kmcnt 0x0
	s_cmp_ge_u32 s34, s33
	s_cbranch_scc1 .LBB98_34
; %bb.1:
	s_clause 0x7
	s_load_b96 s[4:6], s[0:1], 0x40
	s_load_b96 s[28:30], s[0:1], 0x70
	s_load_b256 s[8:15], s[0:1], 0x8
	s_load_b32 s7, s[0:1], 0x0
	s_load_b32 s31, s[0:1], 0x28
	s_load_b128 s[24:27], s[0:1], 0x30
	s_load_b256 s[16:23], s[0:1], 0x50
	s_load_b64 s[36:37], s[0:1], 0x80
	s_wait_xcnt 0x0
	s_bfe_u32 s1, ttmp6, 0x4000c
	s_and_b32 s3, ttmp6, 15
	s_add_co_i32 s1, s1, 1
	v_dual_mov_b32 v3, 0 :: v_dual_bitop2_b32 v8, 31, v0 bitop3:0x40
	s_mul_i32 s1, ttmp9, s1
	v_mbcnt_lo_u32_b32 v21, -1, 0
	s_add_co_i32 s3, s3, s1
	v_mov_b64_e32 v[10:11], 0
	v_cmp_eq_u32_e64 s0, 0, v0
	v_cmp_gt_u32_e64 s1, 32, v0
	v_lshl_or_b32 v22, v21, 2, 64
	s_wait_kmcnt 0x0
	s_lshl_b64 s[4:5], s[4:5], 3
	s_lshl_b64 s[28:29], s[28:29], 3
	;; [unrolled: 1-line block ×3, first 2 shown]
	s_cmp_eq_u32 s2, 0
	v_cmp_gt_i32_e32 vcc_lo, s7, v0
	s_cselect_b32 s15, ttmp9, s3
	s_ashr_i32 s2, s7, 31
	v_lshrrev_b32_e32 v12, 2, v0
	s_lshr_b32 s2, s2, 22
	v_cndmask_b32_e32 v2, 0, v0, vcc_lo
	s_add_co_i32 s2, s7, s2
	v_lshlrev_b32_e32 v1, 3, v8
	s_and_b32 s14, s2, 0xfffffc00
	s_add_nc_u64 s[26:27], s[26:27], s[4:5]
	v_dual_lshlrev_b32 v2, 3, v2 :: v_dual_bitop2_b32 v5, s14, v0 bitop3:0x54
	s_mul_i32 s4, s31, s15
	s_add_nc_u64 s[2:3], s[12:13], s[38:39]
	s_ashr_i32 s5, s4, 31
	s_delay_alu instid0(VALU_DEP_1)
	v_mul_lo_u32 v4, s6, v5
	v_add_nc_u64_e32 v[6:7], s[2:3], v[2:3]
	s_lshl_b64 s[4:5], s[4:5], 3
	s_add_nc_u64 s[22:23], s[22:23], s[28:29]
	s_mul_i32 s28, s30, s15
	s_add_nc_u64 s[30:31], s[38:39], s[4:5]
	v_mul_lo_u32 v20, v0, s6
	s_add_nc_u64 s[12:13], s[12:13], s[30:31]
	v_add_nc_u64_e32 v[6:7], s[4:5], v[6:7]
	v_cmp_eq_u32_e64 s4, 0, v8
	v_add_nc_u64_e32 v[8:9], s[12:13], v[2:3]
	v_cmp_gt_i32_e64 s2, s14, v0
	v_cmp_gt_i32_e64 s3, s7, v5
	v_ashrrev_i32_e32 v5, 31, v4
	v_and_b32_e32 v2, 0xf8, v12
	s_ashr_i32 s29, s28, 31
	s_ashr_i32 s15, s14, 31
	s_lshl_b32 s38, s6, 10
	s_lshl_b64 s[6:7], s[24:25], 3
	s_lshl_b64 s[12:13], s[28:29], 3
	s_branch .LBB98_4
.LBB98_2:                               ;   in Loop: Header=BB98_4 Depth=1
	s_wait_xcnt 0x0
	s_or_b32 exec_lo, exec_lo, s30
.LBB98_3:                               ;   in Loop: Header=BB98_4 Depth=1
	s_add_co_i32 s34, s34, 0x10000
	s_delay_alu instid0(SALU_CYCLE_1)
	s_cmp_lt_u32 s34, s33
	s_cbranch_scc0 .LBB98_34
.LBB98_4:                               ; =>This Loop Header: Depth=1
                                        ;     Child Loop BB98_23 Depth 2
	s_wait_xcnt 0x1
	s_mul_u64 s[28:29], s[10:11], s[34:35]
	s_wait_xcnt 0x0
	s_mul_u64 s[30:31], s[20:21], s[34:35]
	s_lshl_b64 s[28:29], s[28:29], 3
	s_lshl_b64 s[30:31], s[30:31], 3
	s_add_nc_u64 s[28:29], s[8:9], s[28:29]
	s_add_nc_u64 s[30:31], s[18:19], s[30:31]
	s_clause 0x1
	global_load_b64 v[14:15], v3, s[28:29]
	global_load_b64 v[12:13], v3, s[30:31]
	s_wait_loadcnt 0x1
	v_cmp_eq_f64_e32 vcc_lo, 0, v[14:15]
	s_wait_loadcnt 0x0
	v_cmp_eq_f64_e64 s5, 1.0, v[12:13]
	s_and_b32 s5, vcc_lo, s5
	s_delay_alu instid0(SALU_CYCLE_1)
	s_and_b32 vcc_lo, exec_lo, s5
	s_cbranch_vccnz .LBB98_3
; %bb.5:                                ;   in Loop: Header=BB98_4 Depth=1
	v_cmp_neq_f64_e32 vcc_lo, 0, v[14:15]
	s_wait_xcnt 0x1
	s_mul_u64 s[28:29], s[36:37], s[34:35]
	s_delay_alu instid0(SALU_CYCLE_1) | instskip(NEXT) | instid1(SALU_CYCLE_1)
	s_lshl_b64 s[28:29], s[28:29], 3
	s_add_nc_u64 s[28:29], s[22:23], s[28:29]
	s_cbranch_vccnz .LBB98_9
; %bb.6:                                ;   in Loop: Header=BB98_4 Depth=1
	s_wait_xcnt 0x0
	s_mov_b32 s30, 0
	s_mov_b32 s5, 0
                                        ; implicit-def: $vgpr16_vgpr17
	s_and_saveexec_b32 s31, s0
	s_cbranch_execz .LBB98_10
; %bb.7:                                ;   in Loop: Header=BB98_4 Depth=1
	v_cmp_eq_f64_e32 vcc_lo, 0, v[12:13]
	s_cbranch_vccnz .LBB98_11
; %bb.8:                                ;   in Loop: Header=BB98_4 Depth=1
	s_add_nc_u64 s[40:41], s[28:29], s[12:13]
	global_load_b64 v[16:17], v3, s[40:41]
	s_wait_loadcnt 0x0
	v_mul_f64_e32 v[16:17], v[12:13], v[16:17]
	s_branch .LBB98_12
.LBB98_9:                               ;   in Loop: Header=BB98_4 Depth=1
	s_wait_xcnt 0x0
	s_mov_b32 s5, 0
                                        ; implicit-def: $vgpr16_vgpr17
	s_cbranch_execnz .LBB98_13
	s_branch .LBB98_32
.LBB98_10:                              ;   in Loop: Header=BB98_4 Depth=1
	s_or_b32 exec_lo, exec_lo, s31
	s_delay_alu instid0(SALU_CYCLE_1)
	s_and_b32 vcc_lo, exec_lo, s30
	s_cbranch_vccnz .LBB98_13
	s_branch .LBB98_32
.LBB98_11:                              ;   in Loop: Header=BB98_4 Depth=1
	v_mov_b64_e32 v[16:17], 0
.LBB98_12:                              ;   in Loop: Header=BB98_4 Depth=1
	s_mov_b32 s5, exec_lo
	s_wait_xcnt 0x0
	s_or_b32 exec_lo, exec_lo, s31
	s_delay_alu instid0(SALU_CYCLE_1)
	s_and_b32 vcc_lo, exec_lo, s30
	s_cbranch_vccz .LBB98_32
.LBB98_13:                              ;   in Loop: Header=BB98_4 Depth=1
	v_mov_b64_e32 v[16:17], 0
	s_mul_u64 s[30:31], s[16:17], s[34:35]
	s_delay_alu instid0(SALU_CYCLE_1) | instskip(NEXT) | instid1(SALU_CYCLE_1)
	s_lshl_b64 s[30:31], s[30:31], 3
	s_add_nc_u64 s[30:31], s[26:27], s[30:31]
	s_and_saveexec_b32 s39, s2
	s_cbranch_execnz .LBB98_22
; %bb.14:                               ;   in Loop: Header=BB98_4 Depth=1
	s_or_b32 exec_lo, exec_lo, s39
	s_and_saveexec_b32 s39, s3
	s_cbranch_execnz .LBB98_25
.LBB98_15:                              ;   in Loop: Header=BB98_4 Depth=1
	s_or_b32 exec_lo, exec_lo, s39
	s_and_saveexec_b32 s30, s1
.LBB98_16:                              ;   in Loop: Header=BB98_4 Depth=1
	ds_store_b64 v1, v[10:11]
.LBB98_17:                              ;   in Loop: Header=BB98_4 Depth=1
	s_or_b32 exec_lo, exec_lo, s30
	s_wait_dscnt 0x0
	ds_bpermute_b32 v18, v22, v16
	ds_bpermute_b32 v19, v22, v17
	v_cmp_gt_u32_e32 vcc_lo, 24, v21
	s_wait_dscnt 0x0
	s_barrier_signal -1
	s_barrier_wait -1
	v_add_f64_e32 v[16:17], v[16:17], v[18:19]
	v_cndmask_b32_e64 v18, 0, 8, vcc_lo
	v_cmp_gt_u32_e32 vcc_lo, 28, v21
	s_delay_alu instid0(VALU_DEP_2)
	v_add_lshl_u32 v23, v18, v21, 2
	ds_bpermute_b32 v18, v23, v16
	ds_bpermute_b32 v19, v23, v17
	s_wait_dscnt 0x0
	v_add_f64_e32 v[16:17], v[16:17], v[18:19]
	v_cndmask_b32_e64 v18, 0, 4, vcc_lo
	v_cmp_gt_u32_e32 vcc_lo, 30, v21
	s_delay_alu instid0(VALU_DEP_2)
	v_add_lshl_u32 v24, v18, v21, 2
	ds_bpermute_b32 v18, v24, v16
	ds_bpermute_b32 v19, v24, v17
	s_wait_dscnt 0x0
	v_add_f64_e32 v[16:17], v[16:17], v[18:19]
	v_cndmask_b32_e64 v18, 0, 2, vcc_lo
	v_cmp_ne_u32_e32 vcc_lo, 31, v21
	s_delay_alu instid0(VALU_DEP_2)
	v_add_lshl_u32 v25, v18, v21, 2
	ds_bpermute_b32 v18, v25, v16
	ds_bpermute_b32 v19, v25, v17
	s_wait_dscnt 0x0
	v_add_f64_e32 v[16:17], v[16:17], v[18:19]
	v_add_co_ci_u32_e64 v18, null, 0, v21, vcc_lo
	s_delay_alu instid0(VALU_DEP_1)
	v_lshlrev_b32_e32 v26, 2, v18
	ds_bpermute_b32 v18, v26, v16
	ds_bpermute_b32 v19, v26, v17
	s_and_saveexec_b32 s30, s4
	s_cbranch_execz .LBB98_19
; %bb.18:                               ;   in Loop: Header=BB98_4 Depth=1
	s_wait_dscnt 0x0
	v_add_f64_e32 v[16:17], v[16:17], v[18:19]
	ds_store_b64 v2, v[16:17]
.LBB98_19:                              ;   in Loop: Header=BB98_4 Depth=1
	s_or_b32 exec_lo, exec_lo, s30
	s_wait_dscnt 0x0
	v_mov_b64_e32 v[18:19], 0
	s_barrier_signal -1
	s_barrier_wait -1
	s_and_saveexec_b32 s30, s1
	s_cbranch_execnz .LBB98_26
; %bb.20:                               ;   in Loop: Header=BB98_4 Depth=1
	s_or_b32 exec_lo, exec_lo, s30
	s_and_saveexec_b32 s30, s1
	s_cbranch_execnz .LBB98_27
.LBB98_21:                              ;   in Loop: Header=BB98_4 Depth=1
	s_or_b32 exec_lo, exec_lo, s30
                                        ; implicit-def: $vgpr16_vgpr17
	s_and_saveexec_b32 s30, s0
	s_cbranch_execnz .LBB98_28
	s_branch .LBB98_31
.LBB98_22:                              ;   in Loop: Header=BB98_4 Depth=1
	s_wait_dscnt 0x0
	v_mad_nc_u64_u32 v[18:19], s6, s34, v[8:9]
	v_mov_b64_e32 v[16:17], 0
	v_dual_mov_b32 v23, v0 :: v_dual_mov_b32 v24, v20
	s_mov_b32 s40, 0
	s_delay_alu instid0(VALU_DEP_3)
	v_mad_u32 v19, s7, s34, v19
.LBB98_23:                              ;   Parent Loop BB98_4 Depth=1
                                        ; =>  This Inner Loop Header: Depth=2
	global_load_b64 v[26:27], v[18:19], off
	global_load_b64 v[28:29], v24, s[30:31] scale_offset
	v_add_nc_u32_e32 v23, 0x400, v23
	s_wait_xcnt 0x1
	v_add_nc_u64_e32 v[18:19], 0x2000, v[18:19]
	s_wait_xcnt 0x0
	v_add_nc_u32_e32 v24, s38, v24
	v_cmp_le_i32_e32 vcc_lo, s14, v23
	s_or_b32 s40, vcc_lo, s40
	s_wait_loadcnt 0x0
	v_fmac_f64_e32 v[16:17], v[26:27], v[28:29]
	s_and_not1_b32 exec_lo, exec_lo, s40
	s_cbranch_execnz .LBB98_23
; %bb.24:                               ;   in Loop: Header=BB98_4 Depth=1
	s_or_b32 exec_lo, exec_lo, s40
	s_delay_alu instid0(SALU_CYCLE_1)
	s_or_b32 exec_lo, exec_lo, s39
	s_and_saveexec_b32 s39, s3
	s_cbranch_execz .LBB98_15
.LBB98_25:                              ;   in Loop: Header=BB98_4 Depth=1
	s_mul_u64 s[40:41], s[24:25], s[34:35]
	v_lshl_add_u64 v[24:25], v[4:5], 3, s[30:31]
	s_wait_dscnt 0x0
	v_lshl_add_u64 v[18:19], s[40:41], 3, v[6:7]
	s_delay_alu instid0(VALU_DEP_1)
	v_lshl_add_u64 v[18:19], s[14:15], 3, v[18:19]
	global_load_b64 v[26:27], v[18:19], off
	global_load_b64 v[28:29], v[24:25], off
	s_wait_loadcnt 0x0
	v_fmac_f64_e32 v[16:17], v[26:27], v[28:29]
	s_wait_xcnt 0x0
	s_or_b32 exec_lo, exec_lo, s39
	s_and_saveexec_b32 s30, s1
	s_cbranch_execnz .LBB98_16
	s_branch .LBB98_17
.LBB98_26:                              ;   in Loop: Header=BB98_4 Depth=1
	ds_load_b64 v[18:19], v1
	s_or_b32 exec_lo, exec_lo, s30
	s_and_saveexec_b32 s30, s1
	s_cbranch_execz .LBB98_21
.LBB98_27:                              ;   in Loop: Header=BB98_4 Depth=1
	s_wait_dscnt 0x0
	ds_bpermute_b32 v16, v22, v18
	ds_bpermute_b32 v17, v22, v19
	s_wait_dscnt 0x0
	v_add_f64_e32 v[16:17], v[18:19], v[16:17]
	ds_bpermute_b32 v18, v23, v16
	ds_bpermute_b32 v19, v23, v17
	s_wait_dscnt 0x0
	v_add_f64_e32 v[16:17], v[16:17], v[18:19]
	;; [unrolled: 4-line block ×5, first 2 shown]
	s_or_b32 exec_lo, exec_lo, s30
                                        ; implicit-def: $vgpr16_vgpr17
	s_and_saveexec_b32 s30, s0
	s_cbranch_execz .LBB98_31
.LBB98_28:                              ;   in Loop: Header=BB98_4 Depth=1
	v_cmp_eq_f64_e32 vcc_lo, 0, v[12:13]
	s_wait_dscnt 0x0
	s_delay_alu instid0(VALU_DEP_2)
	v_mul_f64_e32 v[16:17], v[14:15], v[18:19]
	s_cbranch_vccnz .LBB98_30
; %bb.29:                               ;   in Loop: Header=BB98_4 Depth=1
	s_add_nc_u64 s[40:41], s[28:29], s[12:13]
	global_load_b64 v[14:15], v3, s[40:41]
	s_wait_loadcnt 0x0
	v_fmac_f64_e32 v[16:17], v[12:13], v[14:15]
.LBB98_30:                              ;   in Loop: Header=BB98_4 Depth=1
	s_or_b32 s5, s5, exec_lo
.LBB98_31:                              ;   in Loop: Header=BB98_4 Depth=1
	s_wait_xcnt 0x0
	s_or_b32 exec_lo, exec_lo, s30
.LBB98_32:                              ;   in Loop: Header=BB98_4 Depth=1
	s_and_saveexec_b32 s30, s5
	s_cbranch_execz .LBB98_2
; %bb.33:                               ;   in Loop: Header=BB98_4 Depth=1
	s_add_nc_u64 s[28:29], s[28:29], s[12:13]
	global_store_b64 v3, v[16:17], s[28:29]
	s_branch .LBB98_2
.LBB98_34:
	s_endpgm
	.section	.rodata,"a",@progbits
	.p2align	6, 0x0
	.amdhsa_kernel _ZL32rocblas_gemvt_warp_reduce_kernelILb1ELi1024EidPKddEviiT3_lPKT2_lT1_lS5_lS6_lS2_lPT4_lS6_li
		.amdhsa_group_segment_fixed_size 256
		.amdhsa_private_segment_fixed_size 0
		.amdhsa_kernarg_size 140
		.amdhsa_user_sgpr_count 2
		.amdhsa_user_sgpr_dispatch_ptr 0
		.amdhsa_user_sgpr_queue_ptr 0
		.amdhsa_user_sgpr_kernarg_segment_ptr 1
		.amdhsa_user_sgpr_dispatch_id 0
		.amdhsa_user_sgpr_kernarg_preload_length 0
		.amdhsa_user_sgpr_kernarg_preload_offset 0
		.amdhsa_user_sgpr_private_segment_size 0
		.amdhsa_wavefront_size32 1
		.amdhsa_uses_dynamic_stack 0
		.amdhsa_enable_private_segment 0
		.amdhsa_system_sgpr_workgroup_id_x 1
		.amdhsa_system_sgpr_workgroup_id_y 0
		.amdhsa_system_sgpr_workgroup_id_z 1
		.amdhsa_system_sgpr_workgroup_info 0
		.amdhsa_system_vgpr_workitem_id 0
		.amdhsa_next_free_vgpr 30
		.amdhsa_next_free_sgpr 42
		.amdhsa_named_barrier_count 0
		.amdhsa_reserve_vcc 1
		.amdhsa_float_round_mode_32 0
		.amdhsa_float_round_mode_16_64 0
		.amdhsa_float_denorm_mode_32 3
		.amdhsa_float_denorm_mode_16_64 3
		.amdhsa_fp16_overflow 0
		.amdhsa_memory_ordered 1
		.amdhsa_forward_progress 1
		.amdhsa_inst_pref_size 12
		.amdhsa_round_robin_scheduling 0
		.amdhsa_exception_fp_ieee_invalid_op 0
		.amdhsa_exception_fp_denorm_src 0
		.amdhsa_exception_fp_ieee_div_zero 0
		.amdhsa_exception_fp_ieee_overflow 0
		.amdhsa_exception_fp_ieee_underflow 0
		.amdhsa_exception_fp_ieee_inexact 0
		.amdhsa_exception_int_div_zero 0
	.end_amdhsa_kernel
	.section	.text._ZL32rocblas_gemvt_warp_reduce_kernelILb1ELi1024EidPKddEviiT3_lPKT2_lT1_lS5_lS6_lS2_lPT4_lS6_li,"axG",@progbits,_ZL32rocblas_gemvt_warp_reduce_kernelILb1ELi1024EidPKddEviiT3_lPKT2_lT1_lS5_lS6_lS2_lPT4_lS6_li,comdat
.Lfunc_end98:
	.size	_ZL32rocblas_gemvt_warp_reduce_kernelILb1ELi1024EidPKddEviiT3_lPKT2_lT1_lS5_lS6_lS2_lPT4_lS6_li, .Lfunc_end98-_ZL32rocblas_gemvt_warp_reduce_kernelILb1ELi1024EidPKddEviiT3_lPKT2_lT1_lS5_lS6_lS2_lPT4_lS6_li
                                        ; -- End function
	.set _ZL32rocblas_gemvt_warp_reduce_kernelILb1ELi1024EidPKddEviiT3_lPKT2_lT1_lS5_lS6_lS2_lPT4_lS6_li.num_vgpr, 30
	.set _ZL32rocblas_gemvt_warp_reduce_kernelILb1ELi1024EidPKddEviiT3_lPKT2_lT1_lS5_lS6_lS2_lPT4_lS6_li.num_agpr, 0
	.set _ZL32rocblas_gemvt_warp_reduce_kernelILb1ELi1024EidPKddEviiT3_lPKT2_lT1_lS5_lS6_lS2_lPT4_lS6_li.numbered_sgpr, 42
	.set _ZL32rocblas_gemvt_warp_reduce_kernelILb1ELi1024EidPKddEviiT3_lPKT2_lT1_lS5_lS6_lS2_lPT4_lS6_li.num_named_barrier, 0
	.set _ZL32rocblas_gemvt_warp_reduce_kernelILb1ELi1024EidPKddEviiT3_lPKT2_lT1_lS5_lS6_lS2_lPT4_lS6_li.private_seg_size, 0
	.set _ZL32rocblas_gemvt_warp_reduce_kernelILb1ELi1024EidPKddEviiT3_lPKT2_lT1_lS5_lS6_lS2_lPT4_lS6_li.uses_vcc, 1
	.set _ZL32rocblas_gemvt_warp_reduce_kernelILb1ELi1024EidPKddEviiT3_lPKT2_lT1_lS5_lS6_lS2_lPT4_lS6_li.uses_flat_scratch, 0
	.set _ZL32rocblas_gemvt_warp_reduce_kernelILb1ELi1024EidPKddEviiT3_lPKT2_lT1_lS5_lS6_lS2_lPT4_lS6_li.has_dyn_sized_stack, 0
	.set _ZL32rocblas_gemvt_warp_reduce_kernelILb1ELi1024EidPKddEviiT3_lPKT2_lT1_lS5_lS6_lS2_lPT4_lS6_li.has_recursion, 0
	.set _ZL32rocblas_gemvt_warp_reduce_kernelILb1ELi1024EidPKddEviiT3_lPKT2_lT1_lS5_lS6_lS2_lPT4_lS6_li.has_indirect_call, 0
	.section	.AMDGPU.csdata,"",@progbits
; Kernel info:
; codeLenInByte = 1508
; TotalNumSgprs: 44
; NumVgprs: 30
; ScratchSize: 0
; MemoryBound: 0
; FloatMode: 240
; IeeeMode: 1
; LDSByteSize: 256 bytes/workgroup (compile time only)
; SGPRBlocks: 0
; VGPRBlocks: 1
; NumSGPRsForWavesPerEU: 44
; NumVGPRsForWavesPerEU: 30
; NamedBarCnt: 0
; Occupancy: 16
; WaveLimiterHint : 0
; COMPUTE_PGM_RSRC2:SCRATCH_EN: 0
; COMPUTE_PGM_RSRC2:USER_SGPR: 2
; COMPUTE_PGM_RSRC2:TRAP_HANDLER: 0
; COMPUTE_PGM_RSRC2:TGID_X_EN: 1
; COMPUTE_PGM_RSRC2:TGID_Y_EN: 0
; COMPUTE_PGM_RSRC2:TGID_Z_EN: 1
; COMPUTE_PGM_RSRC2:TIDIG_COMP_CNT: 0
	.section	.text._ZL32rocblas_gemvt_warp_reduce_kernelILb1ELi1024EldPKddEviiT3_lPKT2_lT1_lS5_lS6_lS2_lPT4_lS6_li,"axG",@progbits,_ZL32rocblas_gemvt_warp_reduce_kernelILb1ELi1024EldPKddEviiT3_lPKT2_lT1_lS5_lS6_lS2_lPT4_lS6_li,comdat
	.globl	_ZL32rocblas_gemvt_warp_reduce_kernelILb1ELi1024EldPKddEviiT3_lPKT2_lT1_lS5_lS6_lS2_lPT4_lS6_li ; -- Begin function _ZL32rocblas_gemvt_warp_reduce_kernelILb1ELi1024EldPKddEviiT3_lPKT2_lT1_lS5_lS6_lS2_lPT4_lS6_li
	.p2align	8
	.type	_ZL32rocblas_gemvt_warp_reduce_kernelILb1ELi1024EldPKddEviiT3_lPKT2_lT1_lS5_lS6_lS2_lPT4_lS6_li,@function
_ZL32rocblas_gemvt_warp_reduce_kernelILb1ELi1024EldPKddEviiT3_lPKT2_lT1_lS5_lS6_lS2_lPT4_lS6_li: ; @_ZL32rocblas_gemvt_warp_reduce_kernelILb1ELi1024EldPKddEviiT3_lPKT2_lT1_lS5_lS6_lS2_lPT4_lS6_li
; %bb.0:
	s_load_b32 s30, s[0:1], 0x88
	s_bfe_u32 s2, ttmp6, 0x40014
	s_lshr_b32 s3, ttmp7, 16
	s_add_co_i32 s2, s2, 1
	s_bfe_u32 s5, ttmp6, 0x40008
	s_mul_i32 s4, s3, s2
	s_getreg_b32 s2, hwreg(HW_REG_IB_STS2, 6, 4)
	s_add_co_i32 s5, s5, s4
	s_cmp_eq_u32 s2, 0
	s_mov_b32 s7, 0
	s_cselect_b32 s6, s3, s5
	s_wait_kmcnt 0x0
	s_cmp_ge_u32 s6, s30
	s_cbranch_scc1 .LBB99_34
; %bb.1:
	s_clause 0x2
	s_load_b512 s[8:23], s[0:1], 0x8
	s_load_b512 s[36:51], s[0:1], 0x48
	s_load_b32 s28, s[0:1], 0x0
	s_wait_xcnt 0x0
	s_bfe_u32 s0, ttmp6, 0x4000c
	s_and_b32 s1, ttmp6, 15
	s_add_co_i32 s0, s0, 1
	v_mbcnt_lo_u32_b32 v25, -1, 0
	s_mul_i32 s0, ttmp9, s0
	v_mov_b64_e32 v[10:11], 0
	s_add_co_i32 s3, s1, s0
	s_wait_kmcnt 0x0
	s_lshl_b64 s[0:1], s[22:23], 3
	s_lshl_b64 s[4:5], s[46:47], 3
	;; [unrolled: 1-line block ×3, first 2 shown]
	s_cmp_eq_u32 s2, 0
	v_cmp_gt_i32_e32 vcc_lo, s28, v0
	s_cselect_b32 s2, ttmp9, s3
	s_ashr_i32 s3, s28, 31
	s_add_nc_u64 s[22:23], s[12:13], s[24:25]
	s_lshr_b32 s3, s3, 22
	s_add_nc_u64 s[20:21], s[20:21], s[0:1]
	s_add_co_i32 s3, s28, s3
	v_cmp_eq_u32_e64 s0, 0, v0
	s_and_b32 s14, s3, 0xfffffc00
	s_delay_alu instid0(SALU_CYCLE_1) | instskip(SKIP_3) | instid1(VALU_DEP_3)
	v_dual_mov_b32 v3, 0 :: v_dual_bitop2_b32 v8, s14, v0 bitop3:0x54
	v_cndmask_b32_e32 v2, 0, v0, vcc_lo
	s_ashr_i32 s3, s2, 31
	v_cmp_gt_i32_e64 s1, s14, v0
	v_dual_mov_b32 v1, v3 :: v_dual_ashrrev_i32 v9, 31, v8
	s_delay_alu instid0(VALU_DEP_3) | instskip(SKIP_2) | instid1(VALU_DEP_2)
	v_lshlrev_b32_e32 v2, 3, v2
	s_mul_u64 s[26:27], s[48:49], s[2:3]
	s_ashr_i32 s15, s14, 31
	v_mul_u64_e32 v[12:13], s[36:37], v[0:1]
	v_mul_u64_e32 v[4:5], s[36:37], v[8:9]
	v_add_nc_u64_e32 v[6:7], s[22:23], v[2:3]
	s_add_nc_u64 s[22:23], s[44:45], s[4:5]
	s_mul_u64 s[4:5], s[16:17], s[2:3]
	v_and_b32_e32 v9, 31, v0
	s_lshl_b64 s[16:17], s[4:5], 3
	v_cmp_gt_i32_e64 s2, s28, v8
	v_lshrrev_b32_e32 v8, 2, v0
	v_add_nc_u64_e32 v[6:7], s[16:17], v[6:7]
	s_add_nc_u64 s[16:17], s[16:17], s[24:25]
	v_lshlrev_b32_e32 v1, 3, v9
	s_add_nc_u64 s[12:13], s[12:13], s[16:17]
	v_cmp_eq_u32_e64 s4, 0, v9
	v_and_b32_e32 v24, 0xf8, v8
	v_add_nc_u64_e32 v[8:9], s[12:13], v[2:3]
	v_cmp_gt_u32_e64 s3, 32, v0
	v_lshl_or_b32 v2, v25, 2, 64
	s_lshl_b64 s[12:13], s[18:19], 3
	s_lshl_b64 s[16:17], s[38:39], 3
	;; [unrolled: 1-line block ×4, first 2 shown]
	v_lshl_add_u64 v[12:13], v[12:13], 3, s[20:21]
	s_branch .LBB99_4
.LBB99_2:                               ;   in Loop: Header=BB99_4 Depth=1
	s_wait_xcnt 0x0
	s_or_b32 exec_lo, exec_lo, s31
.LBB99_3:                               ;   in Loop: Header=BB99_4 Depth=1
	s_add_co_i32 s6, s6, 0x10000
	s_delay_alu instid0(SALU_CYCLE_1)
	s_cmp_lt_u32 s6, s30
	s_cbranch_scc0 .LBB99_34
.LBB99_4:                               ; =>This Loop Header: Depth=1
                                        ;     Child Loop BB99_23 Depth 2
	s_wait_xcnt 0x1
	s_mul_u64 s[28:29], s[10:11], s[6:7]
	s_wait_xcnt 0x0
	s_mul_u64 s[34:35], s[42:43], s[6:7]
	s_lshl_b64 s[28:29], s[28:29], 3
	s_lshl_b64 s[34:35], s[34:35], 3
	s_add_nc_u64 s[28:29], s[8:9], s[28:29]
	s_add_nc_u64 s[34:35], s[40:41], s[34:35]
	s_clause 0x1
	global_load_b64 v[16:17], v3, s[28:29]
	global_load_b64 v[14:15], v3, s[34:35]
	s_wait_loadcnt 0x1
	v_cmp_eq_f64_e32 vcc_lo, 0, v[16:17]
	s_wait_loadcnt 0x0
	v_cmp_eq_f64_e64 s5, 1.0, v[14:15]
	s_and_b32 s5, vcc_lo, s5
	s_delay_alu instid0(SALU_CYCLE_1)
	s_and_b32 vcc_lo, exec_lo, s5
	s_cbranch_vccnz .LBB99_3
; %bb.5:                                ;   in Loop: Header=BB99_4 Depth=1
	v_cmp_neq_f64_e32 vcc_lo, 0, v[16:17]
	s_wait_xcnt 0x1
	s_mul_u64 s[28:29], s[50:51], s[6:7]
	s_delay_alu instid0(SALU_CYCLE_1) | instskip(NEXT) | instid1(SALU_CYCLE_1)
	s_lshl_b64 s[28:29], s[28:29], 3
	s_add_nc_u64 s[28:29], s[22:23], s[28:29]
	s_cbranch_vccnz .LBB99_9
; %bb.6:                                ;   in Loop: Header=BB99_4 Depth=1
	s_mov_b32 s31, 0
	s_mov_b32 s5, 0
                                        ; implicit-def: $vgpr18_vgpr19
	s_wait_xcnt 0x0
	s_and_saveexec_b32 s33, s0
	s_cbranch_execz .LBB99_10
; %bb.7:                                ;   in Loop: Header=BB99_4 Depth=1
	v_cmp_eq_f64_e32 vcc_lo, 0, v[14:15]
	s_cbranch_vccnz .LBB99_11
; %bb.8:                                ;   in Loop: Header=BB99_4 Depth=1
	s_add_nc_u64 s[34:35], s[28:29], s[26:27]
	global_load_b64 v[18:19], v3, s[34:35]
	s_wait_loadcnt 0x0
	v_mul_f64_e32 v[18:19], v[14:15], v[18:19]
	s_branch .LBB99_12
.LBB99_9:                               ;   in Loop: Header=BB99_4 Depth=1
	s_mov_b32 s5, 0
                                        ; implicit-def: $vgpr18_vgpr19
	s_cbranch_execnz .LBB99_13
	s_branch .LBB99_32
.LBB99_10:                              ;   in Loop: Header=BB99_4 Depth=1
	s_or_b32 exec_lo, exec_lo, s33
	s_delay_alu instid0(SALU_CYCLE_1)
	s_and_b32 vcc_lo, exec_lo, s31
	s_cbranch_vccnz .LBB99_13
	s_branch .LBB99_32
.LBB99_11:                              ;   in Loop: Header=BB99_4 Depth=1
	v_mov_b64_e32 v[18:19], 0
.LBB99_12:                              ;   in Loop: Header=BB99_4 Depth=1
	s_mov_b32 s5, exec_lo
	s_wait_xcnt 0x0
	s_or_b32 exec_lo, exec_lo, s33
	s_delay_alu instid0(SALU_CYCLE_1)
	s_and_b32 vcc_lo, exec_lo, s31
	s_cbranch_vccz .LBB99_32
.LBB99_13:                              ;   in Loop: Header=BB99_4 Depth=1
	v_mov_b64_e32 v[18:19], 0
	s_wait_xcnt 0x0
	s_and_saveexec_b32 s31, s1
	s_cbranch_execnz .LBB99_22
; %bb.14:                               ;   in Loop: Header=BB99_4 Depth=1
	s_or_b32 exec_lo, exec_lo, s31
	s_and_saveexec_b32 s31, s2
	s_cbranch_execnz .LBB99_25
.LBB99_15:                              ;   in Loop: Header=BB99_4 Depth=1
	s_or_b32 exec_lo, exec_lo, s31
	s_and_saveexec_b32 s31, s3
.LBB99_16:                              ;   in Loop: Header=BB99_4 Depth=1
	ds_store_b64 v1, v[10:11]
.LBB99_17:                              ;   in Loop: Header=BB99_4 Depth=1
	s_or_b32 exec_lo, exec_lo, s31
	s_wait_dscnt 0x0
	ds_bpermute_b32 v20, v2, v18
	ds_bpermute_b32 v21, v2, v19
	v_cmp_gt_u32_e32 vcc_lo, 24, v25
	s_wait_dscnt 0x0
	s_barrier_signal -1
	s_barrier_wait -1
	v_add_f64_e32 v[18:19], v[18:19], v[20:21]
	v_cndmask_b32_e64 v20, 0, 8, vcc_lo
	v_cmp_gt_u32_e32 vcc_lo, 28, v25
	s_delay_alu instid0(VALU_DEP_2)
	v_add_lshl_u32 v22, v20, v25, 2
	ds_bpermute_b32 v20, v22, v18
	ds_bpermute_b32 v21, v22, v19
	s_wait_dscnt 0x0
	v_add_f64_e32 v[18:19], v[18:19], v[20:21]
	v_cndmask_b32_e64 v20, 0, 4, vcc_lo
	v_cmp_gt_u32_e32 vcc_lo, 30, v25
	s_delay_alu instid0(VALU_DEP_2)
	v_add_lshl_u32 v23, v20, v25, 2
	ds_bpermute_b32 v20, v23, v18
	ds_bpermute_b32 v21, v23, v19
	s_wait_dscnt 0x0
	v_add_f64_e32 v[18:19], v[18:19], v[20:21]
	v_cndmask_b32_e64 v20, 0, 2, vcc_lo
	v_cmp_ne_u32_e32 vcc_lo, 31, v25
	s_delay_alu instid0(VALU_DEP_2)
	v_add_lshl_u32 v26, v20, v25, 2
	ds_bpermute_b32 v20, v26, v18
	ds_bpermute_b32 v21, v26, v19
	s_wait_dscnt 0x0
	v_add_f64_e32 v[18:19], v[18:19], v[20:21]
	v_add_co_ci_u32_e64 v20, null, 0, v25, vcc_lo
	s_delay_alu instid0(VALU_DEP_1)
	v_lshlrev_b32_e32 v27, 2, v20
	ds_bpermute_b32 v20, v27, v18
	ds_bpermute_b32 v21, v27, v19
	s_and_saveexec_b32 s31, s4
	s_cbranch_execz .LBB99_19
; %bb.18:                               ;   in Loop: Header=BB99_4 Depth=1
	s_wait_dscnt 0x0
	v_add_f64_e32 v[18:19], v[18:19], v[20:21]
	ds_store_b64 v24, v[18:19]
.LBB99_19:                              ;   in Loop: Header=BB99_4 Depth=1
	s_or_b32 exec_lo, exec_lo, s31
	s_wait_dscnt 0x0
	v_mov_b64_e32 v[20:21], 0
	s_barrier_signal -1
	s_barrier_wait -1
	s_and_saveexec_b32 s31, s3
	s_cbranch_execnz .LBB99_26
; %bb.20:                               ;   in Loop: Header=BB99_4 Depth=1
	s_or_b32 exec_lo, exec_lo, s31
	s_and_saveexec_b32 s31, s3
	s_cbranch_execnz .LBB99_27
.LBB99_21:                              ;   in Loop: Header=BB99_4 Depth=1
	s_or_b32 exec_lo, exec_lo, s31
                                        ; implicit-def: $vgpr18_vgpr19
	s_and_saveexec_b32 s31, s0
	s_cbranch_execnz .LBB99_28
	s_branch .LBB99_31
.LBB99_22:                              ;   in Loop: Header=BB99_4 Depth=1
	s_wait_dscnt 0x0
	v_mad_nc_u64_u32 v[20:21], s12, s6, v[8:9]
	v_mad_nc_u64_u32 v[22:23], s16, s6, v[12:13]
	v_mov_b64_e32 v[18:19], 0
	v_mov_b32_e32 v26, v0
	s_mov_b32 s33, 0
	s_delay_alu instid0(VALU_DEP_4) | instskip(NEXT) | instid1(VALU_DEP_4)
	v_mad_u32 v21, s13, s6, v21
	v_mad_u32 v23, s17, s6, v23
.LBB99_23:                              ;   Parent Loop BB99_4 Depth=1
                                        ; =>  This Inner Loop Header: Depth=2
	global_load_b64 v[28:29], v[20:21], off
	global_load_b64 v[30:31], v[22:23], off
	v_add_nc_u32_e32 v26, 0x400, v26
	s_wait_xcnt 0x1
	v_add_nc_u64_e32 v[20:21], 0x2000, v[20:21]
	s_wait_xcnt 0x0
	v_add_nc_u64_e32 v[22:23], s[24:25], v[22:23]
	v_cmp_le_i32_e32 vcc_lo, s14, v26
	s_or_b32 s33, vcc_lo, s33
	s_wait_loadcnt 0x0
	v_fmac_f64_e32 v[18:19], v[28:29], v[30:31]
	s_and_not1_b32 exec_lo, exec_lo, s33
	s_cbranch_execnz .LBB99_23
; %bb.24:                               ;   in Loop: Header=BB99_4 Depth=1
	s_or_b32 exec_lo, exec_lo, s33
	s_delay_alu instid0(SALU_CYCLE_1)
	s_or_b32 exec_lo, exec_lo, s31
	s_and_saveexec_b32 s31, s2
	s_cbranch_execz .LBB99_15
.LBB99_25:                              ;   in Loop: Header=BB99_4 Depth=1
	s_mul_u64 s[34:35], s[18:19], s[6:7]
	s_mul_u64 s[36:37], s[38:39], s[6:7]
	s_wait_dscnt 0x0
	v_lshl_add_u64 v[20:21], s[34:35], 3, v[6:7]
	s_lshl_b64 s[34:35], s[36:37], 3
	s_delay_alu instid0(SALU_CYCLE_1) | instskip(NEXT) | instid1(SALU_CYCLE_1)
	s_add_nc_u64 s[34:35], s[20:21], s[34:35]
	v_lshl_add_u64 v[22:23], v[4:5], 3, s[34:35]
	s_delay_alu instid0(VALU_DEP_2)
	v_lshl_add_u64 v[20:21], s[14:15], 3, v[20:21]
	global_load_b64 v[26:27], v[20:21], off
	global_load_b64 v[28:29], v[22:23], off
	s_wait_loadcnt 0x0
	v_fmac_f64_e32 v[18:19], v[26:27], v[28:29]
	s_wait_xcnt 0x0
	s_or_b32 exec_lo, exec_lo, s31
	s_and_saveexec_b32 s31, s3
	s_cbranch_execnz .LBB99_16
	s_branch .LBB99_17
.LBB99_26:                              ;   in Loop: Header=BB99_4 Depth=1
	ds_load_b64 v[20:21], v1
	s_or_b32 exec_lo, exec_lo, s31
	s_and_saveexec_b32 s31, s3
	s_cbranch_execz .LBB99_21
.LBB99_27:                              ;   in Loop: Header=BB99_4 Depth=1
	s_wait_dscnt 0x0
	ds_bpermute_b32 v18, v2, v20
	ds_bpermute_b32 v19, v2, v21
	s_wait_dscnt 0x0
	v_add_f64_e32 v[18:19], v[20:21], v[18:19]
	ds_bpermute_b32 v20, v22, v18
	ds_bpermute_b32 v21, v22, v19
	s_wait_dscnt 0x0
	v_add_f64_e32 v[18:19], v[18:19], v[20:21]
	;; [unrolled: 4-line block ×5, first 2 shown]
	s_or_b32 exec_lo, exec_lo, s31
                                        ; implicit-def: $vgpr18_vgpr19
	s_and_saveexec_b32 s31, s0
	s_cbranch_execz .LBB99_31
.LBB99_28:                              ;   in Loop: Header=BB99_4 Depth=1
	v_cmp_eq_f64_e32 vcc_lo, 0, v[14:15]
	s_wait_dscnt 0x0
	s_delay_alu instid0(VALU_DEP_2)
	v_mul_f64_e32 v[18:19], v[16:17], v[20:21]
	s_cbranch_vccnz .LBB99_30
; %bb.29:                               ;   in Loop: Header=BB99_4 Depth=1
	s_add_nc_u64 s[34:35], s[28:29], s[26:27]
	global_load_b64 v[16:17], v3, s[34:35]
	s_wait_loadcnt 0x0
	v_fmac_f64_e32 v[18:19], v[14:15], v[16:17]
.LBB99_30:                              ;   in Loop: Header=BB99_4 Depth=1
	s_or_b32 s5, s5, exec_lo
.LBB99_31:                              ;   in Loop: Header=BB99_4 Depth=1
	s_wait_xcnt 0x0
	s_or_b32 exec_lo, exec_lo, s31
.LBB99_32:                              ;   in Loop: Header=BB99_4 Depth=1
	s_wait_xcnt 0x0
	s_and_saveexec_b32 s31, s5
	s_cbranch_execz .LBB99_2
; %bb.33:                               ;   in Loop: Header=BB99_4 Depth=1
	s_add_nc_u64 s[28:29], s[28:29], s[26:27]
	global_store_b64 v3, v[18:19], s[28:29]
	s_branch .LBB99_2
.LBB99_34:
	s_endpgm
	.section	.rodata,"a",@progbits
	.p2align	6, 0x0
	.amdhsa_kernel _ZL32rocblas_gemvt_warp_reduce_kernelILb1ELi1024EldPKddEviiT3_lPKT2_lT1_lS5_lS6_lS2_lPT4_lS6_li
		.amdhsa_group_segment_fixed_size 256
		.amdhsa_private_segment_fixed_size 0
		.amdhsa_kernarg_size 140
		.amdhsa_user_sgpr_count 2
		.amdhsa_user_sgpr_dispatch_ptr 0
		.amdhsa_user_sgpr_queue_ptr 0
		.amdhsa_user_sgpr_kernarg_segment_ptr 1
		.amdhsa_user_sgpr_dispatch_id 0
		.amdhsa_user_sgpr_kernarg_preload_length 0
		.amdhsa_user_sgpr_kernarg_preload_offset 0
		.amdhsa_user_sgpr_private_segment_size 0
		.amdhsa_wavefront_size32 1
		.amdhsa_uses_dynamic_stack 0
		.amdhsa_enable_private_segment 0
		.amdhsa_system_sgpr_workgroup_id_x 1
		.amdhsa_system_sgpr_workgroup_id_y 0
		.amdhsa_system_sgpr_workgroup_id_z 1
		.amdhsa_system_sgpr_workgroup_info 0
		.amdhsa_system_vgpr_workitem_id 0
		.amdhsa_next_free_vgpr 32
		.amdhsa_next_free_sgpr 52
		.amdhsa_named_barrier_count 0
		.amdhsa_reserve_vcc 1
		.amdhsa_float_round_mode_32 0
		.amdhsa_float_round_mode_16_64 0
		.amdhsa_float_denorm_mode_32 3
		.amdhsa_float_denorm_mode_16_64 3
		.amdhsa_fp16_overflow 0
		.amdhsa_memory_ordered 1
		.amdhsa_forward_progress 1
		.amdhsa_inst_pref_size 12
		.amdhsa_round_robin_scheduling 0
		.amdhsa_exception_fp_ieee_invalid_op 0
		.amdhsa_exception_fp_denorm_src 0
		.amdhsa_exception_fp_ieee_div_zero 0
		.amdhsa_exception_fp_ieee_overflow 0
		.amdhsa_exception_fp_ieee_underflow 0
		.amdhsa_exception_fp_ieee_inexact 0
		.amdhsa_exception_int_div_zero 0
	.end_amdhsa_kernel
	.section	.text._ZL32rocblas_gemvt_warp_reduce_kernelILb1ELi1024EldPKddEviiT3_lPKT2_lT1_lS5_lS6_lS2_lPT4_lS6_li,"axG",@progbits,_ZL32rocblas_gemvt_warp_reduce_kernelILb1ELi1024EldPKddEviiT3_lPKT2_lT1_lS5_lS6_lS2_lPT4_lS6_li,comdat
.Lfunc_end99:
	.size	_ZL32rocblas_gemvt_warp_reduce_kernelILb1ELi1024EldPKddEviiT3_lPKT2_lT1_lS5_lS6_lS2_lPT4_lS6_li, .Lfunc_end99-_ZL32rocblas_gemvt_warp_reduce_kernelILb1ELi1024EldPKddEviiT3_lPKT2_lT1_lS5_lS6_lS2_lPT4_lS6_li
                                        ; -- End function
	.set _ZL32rocblas_gemvt_warp_reduce_kernelILb1ELi1024EldPKddEviiT3_lPKT2_lT1_lS5_lS6_lS2_lPT4_lS6_li.num_vgpr, 32
	.set _ZL32rocblas_gemvt_warp_reduce_kernelILb1ELi1024EldPKddEviiT3_lPKT2_lT1_lS5_lS6_lS2_lPT4_lS6_li.num_agpr, 0
	.set _ZL32rocblas_gemvt_warp_reduce_kernelILb1ELi1024EldPKddEviiT3_lPKT2_lT1_lS5_lS6_lS2_lPT4_lS6_li.numbered_sgpr, 52
	.set _ZL32rocblas_gemvt_warp_reduce_kernelILb1ELi1024EldPKddEviiT3_lPKT2_lT1_lS5_lS6_lS2_lPT4_lS6_li.num_named_barrier, 0
	.set _ZL32rocblas_gemvt_warp_reduce_kernelILb1ELi1024EldPKddEviiT3_lPKT2_lT1_lS5_lS6_lS2_lPT4_lS6_li.private_seg_size, 0
	.set _ZL32rocblas_gemvt_warp_reduce_kernelILb1ELi1024EldPKddEviiT3_lPKT2_lT1_lS5_lS6_lS2_lPT4_lS6_li.uses_vcc, 1
	.set _ZL32rocblas_gemvt_warp_reduce_kernelILb1ELi1024EldPKddEviiT3_lPKT2_lT1_lS5_lS6_lS2_lPT4_lS6_li.uses_flat_scratch, 0
	.set _ZL32rocblas_gemvt_warp_reduce_kernelILb1ELi1024EldPKddEviiT3_lPKT2_lT1_lS5_lS6_lS2_lPT4_lS6_li.has_dyn_sized_stack, 0
	.set _ZL32rocblas_gemvt_warp_reduce_kernelILb1ELi1024EldPKddEviiT3_lPKT2_lT1_lS5_lS6_lS2_lPT4_lS6_li.has_recursion, 0
	.set _ZL32rocblas_gemvt_warp_reduce_kernelILb1ELi1024EldPKddEviiT3_lPKT2_lT1_lS5_lS6_lS2_lPT4_lS6_li.has_indirect_call, 0
	.section	.AMDGPU.csdata,"",@progbits
; Kernel info:
; codeLenInByte = 1492
; TotalNumSgprs: 54
; NumVgprs: 32
; ScratchSize: 0
; MemoryBound: 0
; FloatMode: 240
; IeeeMode: 1
; LDSByteSize: 256 bytes/workgroup (compile time only)
; SGPRBlocks: 0
; VGPRBlocks: 1
; NumSGPRsForWavesPerEU: 54
; NumVGPRsForWavesPerEU: 32
; NamedBarCnt: 0
; Occupancy: 16
; WaveLimiterHint : 0
; COMPUTE_PGM_RSRC2:SCRATCH_EN: 0
; COMPUTE_PGM_RSRC2:USER_SGPR: 2
; COMPUTE_PGM_RSRC2:TRAP_HANDLER: 0
; COMPUTE_PGM_RSRC2:TGID_X_EN: 1
; COMPUTE_PGM_RSRC2:TGID_Y_EN: 0
; COMPUTE_PGM_RSRC2:TGID_Z_EN: 1
; COMPUTE_PGM_RSRC2:TIDIG_COMP_CNT: 0
	.section	.text._ZL32rocblas_gemvt_warp_reduce_kernelILb1ELi1024EidddEviiT3_lPKT2_lT1_lS3_lS4_lS0_lPT4_lS4_li,"axG",@progbits,_ZL32rocblas_gemvt_warp_reduce_kernelILb1ELi1024EidddEviiT3_lPKT2_lT1_lS3_lS4_lS0_lPT4_lS4_li,comdat
	.globl	_ZL32rocblas_gemvt_warp_reduce_kernelILb1ELi1024EidddEviiT3_lPKT2_lT1_lS3_lS4_lS0_lPT4_lS4_li ; -- Begin function _ZL32rocblas_gemvt_warp_reduce_kernelILb1ELi1024EidddEviiT3_lPKT2_lT1_lS3_lS4_lS0_lPT4_lS4_li
	.p2align	8
	.type	_ZL32rocblas_gemvt_warp_reduce_kernelILb1ELi1024EidddEviiT3_lPKT2_lT1_lS3_lS4_lS0_lPT4_lS4_li,@function
_ZL32rocblas_gemvt_warp_reduce_kernelILb1ELi1024EidddEviiT3_lPKT2_lT1_lS3_lS4_lS0_lPT4_lS4_li: ; @_ZL32rocblas_gemvt_warp_reduce_kernelILb1ELi1024EidddEviiT3_lPKT2_lT1_lS3_lS4_lS0_lPT4_lS4_li
; %bb.0:
	s_load_b32 s33, s[0:1], 0x88
	s_bfe_u32 s2, ttmp6, 0x40014
	s_lshr_b32 s4, ttmp7, 16
	s_add_co_i32 s2, s2, 1
	s_bfe_u32 s5, ttmp6, 0x40008
	s_mul_i32 s2, s4, s2
	s_getreg_b32 s3, hwreg(HW_REG_IB_STS2, 6, 4)
	s_add_co_i32 s5, s5, s2
	s_cmp_eq_u32 s3, 0
	s_mov_b32 s25, 0
	s_cselect_b32 s24, s4, s5
	s_wait_kmcnt 0x0
	s_cmp_ge_u32 s24, s33
	s_cbranch_scc1 .LBB100_34
; %bb.1:
	s_clause 0x9
	s_load_b64 s[26:27], s[0:1], 0x8
	s_load_b128 s[8:11], s[0:1], 0x50
	s_load_b128 s[4:7], s[0:1], 0x68
	s_load_b32 s37, s[0:1], 0x0
	s_load_b128 s[12:15], s[0:1], 0x30
	s_load_b96 s[20:22], s[0:1], 0x40
	s_load_b128 s[16:19], s[0:1], 0x18
	s_load_b32 s40, s[0:1], 0x28
	s_load_b32 s41, s[0:1], 0x78
	s_load_b64 s[28:29], s[0:1], 0x80
	s_bfe_u32 s2, ttmp6, 0x4000c
	s_and_b32 s30, ttmp6, 15
	s_add_co_i32 s2, s2, 1
	v_dual_mov_b32 v3, 0 :: v_dual_bitop2_b32 v2, 31, v0 bitop3:0x40
	s_mul_i32 s31, ttmp9, s2
	v_lshrrev_b32_e32 v6, 2, v0
	s_add_co_i32 s42, s30, s31
	v_mbcnt_lo_u32_b32 v1, -1, 0
	v_lshlrev_b32_e32 v16, 3, v2
	v_cmp_eq_u32_e64 s2, 0, v2
	v_and_b32_e32 v17, 0xf8, v6
	v_mov_b64_e32 v[4:5], 0
	s_wait_kmcnt 0x0
	v_cmp_gt_i32_e32 vcc_lo, s37, v0
	v_cmp_eq_u32_e64 s0, 0, v0
	s_lshl_b64 s[20:21], s[20:21], 3
	v_cmp_neq_f64_e64 s23, s[26:27], 0
	v_cmp_neq_f64_e64 s35, s[10:11], 1.0
	s_lshl_b64 s[30:31], s[6:7], 3
	s_lshl_b64 s[38:39], s[18:19], 3
	v_cmp_eq_f64_e64 s34, s[26:27], 0
	v_cmp_neq_f64_e64 s36, s[10:11], 0
	s_add_nc_u64 s[6:7], s[14:15], s[20:21]
	v_mul_lo_u32 v18, v0, s22
	v_cmp_gt_u32_e64 s1, 32, v0
	s_or_b32 s35, s23, s35
	s_cmp_eq_u32 s3, 0
	s_cselect_b32 s3, ttmp9, s42
	s_ashr_i32 s18, s37, 31
	s_mul_i32 s20, s41, s3
	s_lshr_b32 s14, s18, 22
	s_ashr_i32 s21, s20, 31
	s_add_co_i32 s18, s37, s14
	s_add_nc_u64 s[14:15], s[4:5], s[30:31]
	s_and_b32 s18, s18, 0xfffffc00
	s_delay_alu instid0(SALU_CYCLE_1) | instskip(SKIP_3) | instid1(VALU_DEP_1)
	v_dual_cndmask_b32 v2, 0, v0, vcc_lo :: v_dual_bitop2_b32 v7, s18, v0 bitop3:0x54
	s_add_nc_u64 s[4:5], s[16:17], s[38:39]
	s_ashr_i32 s19, s18, 31
	s_lshl_b64 s[20:21], s[20:21], 3
	v_lshlrev_b32_e32 v2, 3, v2
	v_mul_lo_u32 v6, s22, v7
	s_delay_alu instid0(VALU_DEP_2) | instskip(SKIP_3) | instid1(SALU_CYCLE_1)
	v_add_nc_u64_e32 v[8:9], s[4:5], v[2:3]
	s_mul_i32 s4, s40, s3
	v_cmp_gt_i32_e64 s3, s18, v0
	s_ashr_i32 s5, s4, 31
	s_lshl_b64 s[4:5], s[4:5], 3
	s_delay_alu instid0(SALU_CYCLE_1) | instskip(SKIP_1) | instid1(SALU_CYCLE_1)
	v_add_nc_u64_e32 v[8:9], s[4:5], v[8:9]
	s_add_nc_u64 s[4:5], s[38:39], s[4:5]
	s_add_nc_u64 s[4:5], s[16:17], s[4:5]
	s_lshl_b64 s[16:17], s[12:13], 3
	v_add_nc_u64_e32 v[10:11], s[4:5], v[2:3]
	v_cmp_gt_i32_e64 s4, s37, v7
	v_ashrrev_i32_e32 v7, 31, v6
	v_lshl_or_b32 v2, v1, 2, 64
	s_lshl_b32 s5, s22, 10
	s_branch .LBB100_4
.LBB100_2:                              ;   in Loop: Header=BB100_4 Depth=1
	s_wait_xcnt 0x0
	s_or_b32 exec_lo, exec_lo, s30
.LBB100_3:                              ;   in Loop: Header=BB100_4 Depth=1
	s_add_co_i32 s24, s24, 0x10000
	s_delay_alu instid0(SALU_CYCLE_1)
	s_cmp_lt_u32 s24, s33
	s_cbranch_scc0 .LBB100_34
.LBB100_4:                              ; =>This Loop Header: Depth=1
                                        ;     Child Loop BB100_23 Depth 2
	s_and_not1_b32 vcc_lo, exec_lo, s35
	s_cbranch_vccnz .LBB100_3
; %bb.5:                                ;   in Loop: Header=BB100_4 Depth=1
	s_mul_u64 s[22:23], s[28:29], s[24:25]
	s_and_not1_b32 vcc_lo, exec_lo, s34
	s_lshl_b64 s[22:23], s[22:23], 3
	s_delay_alu instid0(SALU_CYCLE_1)
	s_add_nc_u64 s[22:23], s[14:15], s[22:23]
	s_cbranch_vccnz .LBB100_9
; %bb.6:                                ;   in Loop: Header=BB100_4 Depth=1
	s_mov_b32 s30, 0
	s_mov_b32 s37, 0
                                        ; implicit-def: $vgpr12_vgpr13
	s_and_saveexec_b32 s31, s0
	s_cbranch_execz .LBB100_10
; %bb.7:                                ;   in Loop: Header=BB100_4 Depth=1
	s_and_not1_b32 vcc_lo, exec_lo, s36
	s_cbranch_vccnz .LBB100_11
; %bb.8:                                ;   in Loop: Header=BB100_4 Depth=1
	s_add_nc_u64 s[38:39], s[22:23], s[20:21]
	global_load_b64 v[12:13], v3, s[38:39]
	s_wait_loadcnt 0x0
	v_mul_f64_e32 v[12:13], s[10:11], v[12:13]
	s_branch .LBB100_12
.LBB100_9:                              ;   in Loop: Header=BB100_4 Depth=1
	s_mov_b32 s37, 0
                                        ; implicit-def: $vgpr12_vgpr13
	s_cbranch_execnz .LBB100_13
	s_branch .LBB100_32
.LBB100_10:                             ;   in Loop: Header=BB100_4 Depth=1
	s_or_b32 exec_lo, exec_lo, s31
	s_delay_alu instid0(SALU_CYCLE_1)
	s_and_b32 vcc_lo, exec_lo, s30
	s_cbranch_vccnz .LBB100_13
	s_branch .LBB100_32
.LBB100_11:                             ;   in Loop: Header=BB100_4 Depth=1
	v_mov_b64_e32 v[12:13], 0
.LBB100_12:                             ;   in Loop: Header=BB100_4 Depth=1
	s_mov_b32 s37, exec_lo
	s_wait_xcnt 0x0
	s_or_b32 exec_lo, exec_lo, s31
	s_delay_alu instid0(SALU_CYCLE_1)
	s_and_b32 vcc_lo, exec_lo, s30
	s_cbranch_vccz .LBB100_32
.LBB100_13:                             ;   in Loop: Header=BB100_4 Depth=1
	v_mov_b64_e32 v[12:13], 0
	s_mul_u64 s[30:31], s[8:9], s[24:25]
	s_delay_alu instid0(SALU_CYCLE_1) | instskip(NEXT) | instid1(SALU_CYCLE_1)
	s_lshl_b64 s[30:31], s[30:31], 3
	s_add_nc_u64 s[30:31], s[6:7], s[30:31]
	s_and_saveexec_b32 s38, s3
	s_cbranch_execnz .LBB100_22
; %bb.14:                               ;   in Loop: Header=BB100_4 Depth=1
	s_or_b32 exec_lo, exec_lo, s38
	s_and_saveexec_b32 s38, s4
	s_cbranch_execnz .LBB100_25
.LBB100_15:                             ;   in Loop: Header=BB100_4 Depth=1
	s_or_b32 exec_lo, exec_lo, s38
	s_and_saveexec_b32 s30, s1
.LBB100_16:                             ;   in Loop: Header=BB100_4 Depth=1
	ds_store_b64 v16, v[4:5]
.LBB100_17:                             ;   in Loop: Header=BB100_4 Depth=1
	s_or_b32 exec_lo, exec_lo, s30
	s_wait_dscnt 0x0
	ds_bpermute_b32 v14, v2, v12
	ds_bpermute_b32 v15, v2, v13
	v_cmp_gt_u32_e32 vcc_lo, 24, v1
	s_wait_dscnt 0x0
	s_barrier_signal -1
	s_barrier_wait -1
	v_add_f64_e32 v[12:13], v[12:13], v[14:15]
	v_cndmask_b32_e64 v14, 0, 8, vcc_lo
	v_cmp_gt_u32_e32 vcc_lo, 28, v1
	s_delay_alu instid0(VALU_DEP_2)
	v_add_lshl_u32 v19, v14, v1, 2
	ds_bpermute_b32 v14, v19, v12
	ds_bpermute_b32 v15, v19, v13
	s_wait_dscnt 0x0
	v_add_f64_e32 v[12:13], v[12:13], v[14:15]
	v_cndmask_b32_e64 v14, 0, 4, vcc_lo
	v_cmp_gt_u32_e32 vcc_lo, 30, v1
	s_delay_alu instid0(VALU_DEP_2)
	v_add_lshl_u32 v20, v14, v1, 2
	ds_bpermute_b32 v14, v20, v12
	ds_bpermute_b32 v15, v20, v13
	s_wait_dscnt 0x0
	v_add_f64_e32 v[12:13], v[12:13], v[14:15]
	v_cndmask_b32_e64 v14, 0, 2, vcc_lo
	v_cmp_ne_u32_e32 vcc_lo, 31, v1
	s_delay_alu instid0(VALU_DEP_2)
	v_add_lshl_u32 v21, v14, v1, 2
	ds_bpermute_b32 v14, v21, v12
	ds_bpermute_b32 v15, v21, v13
	s_wait_dscnt 0x0
	v_add_f64_e32 v[12:13], v[12:13], v[14:15]
	v_add_co_ci_u32_e64 v14, null, 0, v1, vcc_lo
	s_delay_alu instid0(VALU_DEP_1)
	v_lshlrev_b32_e32 v22, 2, v14
	ds_bpermute_b32 v14, v22, v12
	ds_bpermute_b32 v15, v22, v13
	s_and_saveexec_b32 s30, s2
	s_cbranch_execz .LBB100_19
; %bb.18:                               ;   in Loop: Header=BB100_4 Depth=1
	s_wait_dscnt 0x0
	v_add_f64_e32 v[12:13], v[12:13], v[14:15]
	ds_store_b64 v17, v[12:13]
.LBB100_19:                             ;   in Loop: Header=BB100_4 Depth=1
	s_or_b32 exec_lo, exec_lo, s30
	s_wait_dscnt 0x0
	v_mov_b64_e32 v[14:15], 0
	s_barrier_signal -1
	s_barrier_wait -1
	s_and_saveexec_b32 s30, s1
	s_cbranch_execnz .LBB100_26
; %bb.20:                               ;   in Loop: Header=BB100_4 Depth=1
	s_or_b32 exec_lo, exec_lo, s30
	s_and_saveexec_b32 s30, s1
	s_cbranch_execnz .LBB100_27
.LBB100_21:                             ;   in Loop: Header=BB100_4 Depth=1
	s_or_b32 exec_lo, exec_lo, s30
                                        ; implicit-def: $vgpr12_vgpr13
	s_and_saveexec_b32 s30, s0
	s_cbranch_execnz .LBB100_28
	s_branch .LBB100_31
.LBB100_22:                             ;   in Loop: Header=BB100_4 Depth=1
	s_wait_dscnt 0x0
	v_mad_nc_u64_u32 v[14:15], s16, s24, v[10:11]
	v_mov_b64_e32 v[12:13], 0
	v_dual_mov_b32 v19, v0 :: v_dual_mov_b32 v20, v18
	s_mov_b32 s39, 0
	s_delay_alu instid0(VALU_DEP_3)
	v_mad_u32 v15, s17, s24, v15
.LBB100_23:                             ;   Parent Loop BB100_4 Depth=1
                                        ; =>  This Inner Loop Header: Depth=2
	global_load_b64 v[22:23], v[14:15], off
	global_load_b64 v[24:25], v20, s[30:31] scale_offset
	v_add_nc_u32_e32 v19, 0x400, v19
	s_wait_xcnt 0x1
	v_add_nc_u64_e32 v[14:15], 0x2000, v[14:15]
	s_wait_xcnt 0x0
	v_add_nc_u32_e32 v20, s5, v20
	v_cmp_le_i32_e32 vcc_lo, s18, v19
	s_or_b32 s39, vcc_lo, s39
	s_wait_loadcnt 0x0
	v_fmac_f64_e32 v[12:13], v[22:23], v[24:25]
	s_and_not1_b32 exec_lo, exec_lo, s39
	s_cbranch_execnz .LBB100_23
; %bb.24:                               ;   in Loop: Header=BB100_4 Depth=1
	s_or_b32 exec_lo, exec_lo, s39
	s_delay_alu instid0(SALU_CYCLE_1)
	s_or_b32 exec_lo, exec_lo, s38
	s_and_saveexec_b32 s38, s4
	s_cbranch_execz .LBB100_15
.LBB100_25:                             ;   in Loop: Header=BB100_4 Depth=1
	s_mul_u64 s[40:41], s[12:13], s[24:25]
	v_lshl_add_u64 v[20:21], v[6:7], 3, s[30:31]
	s_wait_dscnt 0x0
	v_lshl_add_u64 v[14:15], s[40:41], 3, v[8:9]
	s_delay_alu instid0(VALU_DEP_1)
	v_lshl_add_u64 v[14:15], s[18:19], 3, v[14:15]
	global_load_b64 v[22:23], v[14:15], off
	global_load_b64 v[24:25], v[20:21], off
	s_wait_loadcnt 0x0
	v_fmac_f64_e32 v[12:13], v[22:23], v[24:25]
	s_wait_xcnt 0x0
	s_or_b32 exec_lo, exec_lo, s38
	s_and_saveexec_b32 s30, s1
	s_cbranch_execnz .LBB100_16
	s_branch .LBB100_17
.LBB100_26:                             ;   in Loop: Header=BB100_4 Depth=1
	ds_load_b64 v[14:15], v16
	s_or_b32 exec_lo, exec_lo, s30
	s_and_saveexec_b32 s30, s1
	s_cbranch_execz .LBB100_21
.LBB100_27:                             ;   in Loop: Header=BB100_4 Depth=1
	s_wait_dscnt 0x0
	ds_bpermute_b32 v12, v2, v14
	ds_bpermute_b32 v13, v2, v15
	s_wait_dscnt 0x0
	v_add_f64_e32 v[12:13], v[14:15], v[12:13]
	ds_bpermute_b32 v14, v19, v12
	ds_bpermute_b32 v15, v19, v13
	s_wait_dscnt 0x0
	v_add_f64_e32 v[12:13], v[12:13], v[14:15]
	;; [unrolled: 4-line block ×5, first 2 shown]
	s_or_b32 exec_lo, exec_lo, s30
                                        ; implicit-def: $vgpr12_vgpr13
	s_and_saveexec_b32 s30, s0
	s_cbranch_execz .LBB100_31
.LBB100_28:                             ;   in Loop: Header=BB100_4 Depth=1
	s_wait_dscnt 0x0
	s_delay_alu instid0(VALU_DEP_1)
	v_mul_f64_e32 v[12:13], s[26:27], v[14:15]
	s_and_not1_b32 vcc_lo, exec_lo, s36
	s_cbranch_vccnz .LBB100_30
; %bb.29:                               ;   in Loop: Header=BB100_4 Depth=1
	s_add_nc_u64 s[38:39], s[22:23], s[20:21]
	global_load_b64 v[14:15], v3, s[38:39]
	s_wait_loadcnt 0x0
	v_fmac_f64_e32 v[12:13], s[10:11], v[14:15]
.LBB100_30:                             ;   in Loop: Header=BB100_4 Depth=1
	s_or_b32 s37, s37, exec_lo
.LBB100_31:                             ;   in Loop: Header=BB100_4 Depth=1
	s_wait_xcnt 0x0
	s_or_b32 exec_lo, exec_lo, s30
.LBB100_32:                             ;   in Loop: Header=BB100_4 Depth=1
	s_and_saveexec_b32 s30, s37
	s_cbranch_execz .LBB100_2
; %bb.33:                               ;   in Loop: Header=BB100_4 Depth=1
	s_add_nc_u64 s[22:23], s[22:23], s[20:21]
	global_store_b64 v3, v[12:13], s[22:23]
	s_branch .LBB100_2
.LBB100_34:
	s_endpgm
	.section	.rodata,"a",@progbits
	.p2align	6, 0x0
	.amdhsa_kernel _ZL32rocblas_gemvt_warp_reduce_kernelILb1ELi1024EidddEviiT3_lPKT2_lT1_lS3_lS4_lS0_lPT4_lS4_li
		.amdhsa_group_segment_fixed_size 256
		.amdhsa_private_segment_fixed_size 0
		.amdhsa_kernarg_size 140
		.amdhsa_user_sgpr_count 2
		.amdhsa_user_sgpr_dispatch_ptr 0
		.amdhsa_user_sgpr_queue_ptr 0
		.amdhsa_user_sgpr_kernarg_segment_ptr 1
		.amdhsa_user_sgpr_dispatch_id 0
		.amdhsa_user_sgpr_kernarg_preload_length 0
		.amdhsa_user_sgpr_kernarg_preload_offset 0
		.amdhsa_user_sgpr_private_segment_size 0
		.amdhsa_wavefront_size32 1
		.amdhsa_uses_dynamic_stack 0
		.amdhsa_enable_private_segment 0
		.amdhsa_system_sgpr_workgroup_id_x 1
		.amdhsa_system_sgpr_workgroup_id_y 0
		.amdhsa_system_sgpr_workgroup_id_z 1
		.amdhsa_system_sgpr_workgroup_info 0
		.amdhsa_system_vgpr_workitem_id 0
		.amdhsa_next_free_vgpr 26
		.amdhsa_next_free_sgpr 43
		.amdhsa_named_barrier_count 0
		.amdhsa_reserve_vcc 1
		.amdhsa_float_round_mode_32 0
		.amdhsa_float_round_mode_16_64 0
		.amdhsa_float_denorm_mode_32 3
		.amdhsa_float_denorm_mode_16_64 3
		.amdhsa_fp16_overflow 0
		.amdhsa_memory_ordered 1
		.amdhsa_forward_progress 1
		.amdhsa_inst_pref_size 12
		.amdhsa_round_robin_scheduling 0
		.amdhsa_exception_fp_ieee_invalid_op 0
		.amdhsa_exception_fp_denorm_src 0
		.amdhsa_exception_fp_ieee_div_zero 0
		.amdhsa_exception_fp_ieee_overflow 0
		.amdhsa_exception_fp_ieee_underflow 0
		.amdhsa_exception_fp_ieee_inexact 0
		.amdhsa_exception_int_div_zero 0
	.end_amdhsa_kernel
	.section	.text._ZL32rocblas_gemvt_warp_reduce_kernelILb1ELi1024EidddEviiT3_lPKT2_lT1_lS3_lS4_lS0_lPT4_lS4_li,"axG",@progbits,_ZL32rocblas_gemvt_warp_reduce_kernelILb1ELi1024EidddEviiT3_lPKT2_lT1_lS3_lS4_lS0_lPT4_lS4_li,comdat
.Lfunc_end100:
	.size	_ZL32rocblas_gemvt_warp_reduce_kernelILb1ELi1024EidddEviiT3_lPKT2_lT1_lS3_lS4_lS0_lPT4_lS4_li, .Lfunc_end100-_ZL32rocblas_gemvt_warp_reduce_kernelILb1ELi1024EidddEviiT3_lPKT2_lT1_lS3_lS4_lS0_lPT4_lS4_li
                                        ; -- End function
	.set _ZL32rocblas_gemvt_warp_reduce_kernelILb1ELi1024EidddEviiT3_lPKT2_lT1_lS3_lS4_lS0_lPT4_lS4_li.num_vgpr, 26
	.set _ZL32rocblas_gemvt_warp_reduce_kernelILb1ELi1024EidddEviiT3_lPKT2_lT1_lS3_lS4_lS0_lPT4_lS4_li.num_agpr, 0
	.set _ZL32rocblas_gemvt_warp_reduce_kernelILb1ELi1024EidddEviiT3_lPKT2_lT1_lS3_lS4_lS0_lPT4_lS4_li.numbered_sgpr, 43
	.set _ZL32rocblas_gemvt_warp_reduce_kernelILb1ELi1024EidddEviiT3_lPKT2_lT1_lS3_lS4_lS0_lPT4_lS4_li.num_named_barrier, 0
	.set _ZL32rocblas_gemvt_warp_reduce_kernelILb1ELi1024EidddEviiT3_lPKT2_lT1_lS3_lS4_lS0_lPT4_lS4_li.private_seg_size, 0
	.set _ZL32rocblas_gemvt_warp_reduce_kernelILb1ELi1024EidddEviiT3_lPKT2_lT1_lS3_lS4_lS0_lPT4_lS4_li.uses_vcc, 1
	.set _ZL32rocblas_gemvt_warp_reduce_kernelILb1ELi1024EidddEviiT3_lPKT2_lT1_lS3_lS4_lS0_lPT4_lS4_li.uses_flat_scratch, 0
	.set _ZL32rocblas_gemvt_warp_reduce_kernelILb1ELi1024EidddEviiT3_lPKT2_lT1_lS3_lS4_lS0_lPT4_lS4_li.has_dyn_sized_stack, 0
	.set _ZL32rocblas_gemvt_warp_reduce_kernelILb1ELi1024EidddEviiT3_lPKT2_lT1_lS3_lS4_lS0_lPT4_lS4_li.has_recursion, 0
	.set _ZL32rocblas_gemvt_warp_reduce_kernelILb1ELi1024EidddEviiT3_lPKT2_lT1_lS3_lS4_lS0_lPT4_lS4_li.has_indirect_call, 0
	.section	.AMDGPU.csdata,"",@progbits
; Kernel info:
; codeLenInByte = 1464
; TotalNumSgprs: 45
; NumVgprs: 26
; ScratchSize: 0
; MemoryBound: 0
; FloatMode: 240
; IeeeMode: 1
; LDSByteSize: 256 bytes/workgroup (compile time only)
; SGPRBlocks: 0
; VGPRBlocks: 1
; NumSGPRsForWavesPerEU: 45
; NumVGPRsForWavesPerEU: 26
; NamedBarCnt: 0
; Occupancy: 16
; WaveLimiterHint : 0
; COMPUTE_PGM_RSRC2:SCRATCH_EN: 0
; COMPUTE_PGM_RSRC2:USER_SGPR: 2
; COMPUTE_PGM_RSRC2:TRAP_HANDLER: 0
; COMPUTE_PGM_RSRC2:TGID_X_EN: 1
; COMPUTE_PGM_RSRC2:TGID_Y_EN: 0
; COMPUTE_PGM_RSRC2:TGID_Z_EN: 1
; COMPUTE_PGM_RSRC2:TIDIG_COMP_CNT: 0
	.section	.text._ZL32rocblas_gemvt_warp_reduce_kernelILb1ELi1024EldddEviiT3_lPKT2_lT1_lS3_lS4_lS0_lPT4_lS4_li,"axG",@progbits,_ZL32rocblas_gemvt_warp_reduce_kernelILb1ELi1024EldddEviiT3_lPKT2_lT1_lS3_lS4_lS0_lPT4_lS4_li,comdat
	.globl	_ZL32rocblas_gemvt_warp_reduce_kernelILb1ELi1024EldddEviiT3_lPKT2_lT1_lS3_lS4_lS0_lPT4_lS4_li ; -- Begin function _ZL32rocblas_gemvt_warp_reduce_kernelILb1ELi1024EldddEviiT3_lPKT2_lT1_lS3_lS4_lS0_lPT4_lS4_li
	.p2align	8
	.type	_ZL32rocblas_gemvt_warp_reduce_kernelILb1ELi1024EldddEviiT3_lPKT2_lT1_lS3_lS4_lS0_lPT4_lS4_li,@function
_ZL32rocblas_gemvt_warp_reduce_kernelILb1ELi1024EldddEviiT3_lPKT2_lT1_lS3_lS4_lS0_lPT4_lS4_li: ; @_ZL32rocblas_gemvt_warp_reduce_kernelILb1ELi1024EldddEviiT3_lPKT2_lT1_lS3_lS4_lS0_lPT4_lS4_li
; %bb.0:
	s_load_b32 s5, s[0:1], 0x88
	s_bfe_u32 s2, ttmp6, 0x40014
	s_lshr_b32 s3, ttmp7, 16
	s_add_co_i32 s2, s2, 1
	s_bfe_u32 s6, ttmp6, 0x40008
	s_mul_i32 s4, s3, s2
	s_getreg_b32 s2, hwreg(HW_REG_IB_STS2, 6, 4)
	s_add_co_i32 s6, s6, s4
	s_cmp_eq_u32 s2, 0
	s_mov_b32 s7, 0
	s_cselect_b32 s6, s3, s6
	s_wait_kmcnt 0x0
	s_cmp_ge_u32 s6, s5
	s_cbranch_scc1 .LBB101_34
; %bb.1:
	s_clause 0x4
	s_load_b64 s[34:35], s[0:1], 0x8
	s_load_b64 s[36:37], s[0:1], 0x58
	s_load_b512 s[8:23], s[0:1], 0x18
	s_load_b256 s[24:31], s[0:1], 0x68
	s_load_b32 s38, s[0:1], 0x0
	s_wait_xcnt 0x0
	s_bfe_u32 s0, ttmp6, 0x4000c
	s_and_b32 s1, ttmp6, 15
	s_add_co_i32 s0, s0, 1
	v_mov_b64_e32 v[12:13], 0
	s_mul_i32 s0, ttmp9, s0
	s_delay_alu instid0(SALU_CYCLE_1)
	s_add_co_i32 s39, s1, s0
	s_wait_kmcnt 0x0
	s_lshl_b64 s[0:1], s[18:19], 3
	v_cmp_neq_f64_e64 s3, s[34:35], 0
	v_cmp_neq_f64_e64 s4, s[36:37], 1.0
	s_lshl_b64 s[18:19], s[26:27], 3
	s_lshl_b64 s[26:27], s[10:11], 3
	v_cmp_gt_i32_e32 vcc_lo, s38, v0
	v_mov_b32_e32 v3, 0
	s_add_nc_u64 s[18:19], s[24:25], s[18:19]
	s_add_nc_u64 s[16:17], s[16:17], s[0:1]
	;; [unrolled: 1-line block ×3, first 2 shown]
	v_cndmask_b32_e32 v2, 0, v0, vcc_lo
	s_or_b32 s33, s3, s4
	s_cmp_eq_u32 s2, 0
	s_cselect_b32 s2, ttmp9, s39
	s_ashr_i32 s3, s38, 31
	s_delay_alu instid0(SALU_CYCLE_1) | instskip(NEXT) | instid1(SALU_CYCLE_1)
	s_lshr_b32 s3, s3, 22
	s_add_co_i32 s3, s38, s3
	s_delay_alu instid0(SALU_CYCLE_1) | instskip(NEXT) | instid1(SALU_CYCLE_1)
	s_and_b32 s10, s3, 0xfffffc00
	v_dual_mov_b32 v1, v3 :: v_dual_bitop2_b32 v8, s10, v0 bitop3:0x54
	v_lshlrev_b32_e32 v2, 3, v2
	s_ashr_i32 s3, s2, 31
	s_ashr_i32 s11, s10, 31
	s_delay_alu instid0(VALU_DEP_2)
	v_mul_u64_e32 v[10:11], s[20:21], v[0:1]
	v_ashrrev_i32_e32 v9, 31, v8
	s_mul_u64 s[24:25], s[28:29], s[2:3]
	v_cmp_eq_f64_e64 s28, s[34:35], 0
	v_cmp_neq_f64_e64 s29, s[36:37], 0
	v_add_nc_u64_e32 v[6:7], s[0:1], v[2:3]
	v_mul_u64_e32 v[4:5], s[20:21], v[8:9]
	s_mul_u64 s[12:13], s[12:13], s[2:3]
	v_and_b32_e32 v9, 31, v0
	s_lshl_b64 s[12:13], s[12:13], 3
	v_cmp_gt_i32_e64 s2, s38, v8
	v_lshrrev_b32_e32 v8, 2, v0
	v_add_nc_u64_e32 v[6:7], s[12:13], v[6:7]
	s_add_nc_u64 s[12:13], s[12:13], s[26:27]
	v_lshlrev_b32_e32 v1, 3, v9
	s_add_nc_u64 s[8:9], s[8:9], s[12:13]
	v_cmp_eq_u32_e64 s4, 0, v9
	v_and_b32_e32 v20, 0xf8, v8
	v_add_nc_u64_e32 v[8:9], s[8:9], v[2:3]
	v_mbcnt_lo_u32_b32 v2, -1, 0
	v_cmp_eq_u32_e64 s0, 0, v0
	v_cmp_gt_i32_e64 s1, s10, v0
	v_cmp_gt_u32_e64 s3, 32, v0
	s_lshl_b64 s[8:9], s[14:15], 3
	v_lshl_or_b32 v21, v2, 2, 64
	s_lshl_b64 s[12:13], s[22:23], 3
	s_lshl_b64 s[20:21], s[20:21], 13
	s_lshl_b64 s[24:25], s[24:25], 3
	v_lshl_add_u64 v[10:11], v[10:11], 3, s[16:17]
	s_branch .LBB101_4
.LBB101_2:                              ;   in Loop: Header=BB101_4 Depth=1
	s_wait_xcnt 0x0
	s_or_b32 exec_lo, exec_lo, s39
.LBB101_3:                              ;   in Loop: Header=BB101_4 Depth=1
	s_add_co_i32 s6, s6, 0x10000
	s_delay_alu instid0(SALU_CYCLE_1)
	s_cmp_lt_u32 s6, s5
	s_cbranch_scc0 .LBB101_34
.LBB101_4:                              ; =>This Loop Header: Depth=1
                                        ;     Child Loop BB101_23 Depth 2
	s_and_not1_b32 vcc_lo, exec_lo, s33
	s_cbranch_vccnz .LBB101_3
; %bb.5:                                ;   in Loop: Header=BB101_4 Depth=1
	s_mul_u64 s[26:27], s[30:31], s[6:7]
	s_and_not1_b32 vcc_lo, exec_lo, s28
	s_lshl_b64 s[26:27], s[26:27], 3
	s_delay_alu instid0(SALU_CYCLE_1)
	s_add_nc_u64 s[26:27], s[18:19], s[26:27]
	s_cbranch_vccnz .LBB101_9
; %bb.6:                                ;   in Loop: Header=BB101_4 Depth=1
	s_mov_b32 s39, 0
	s_mov_b32 s38, 0
                                        ; implicit-def: $vgpr14_vgpr15
	s_and_saveexec_b32 s40, s0
	s_cbranch_execz .LBB101_10
; %bb.7:                                ;   in Loop: Header=BB101_4 Depth=1
	s_and_not1_b32 vcc_lo, exec_lo, s29
	s_cbranch_vccnz .LBB101_11
; %bb.8:                                ;   in Loop: Header=BB101_4 Depth=1
	s_add_nc_u64 s[42:43], s[26:27], s[24:25]
	global_load_b64 v[14:15], v3, s[42:43]
	s_wait_loadcnt 0x0
	v_mul_f64_e32 v[14:15], s[36:37], v[14:15]
	s_branch .LBB101_12
.LBB101_9:                              ;   in Loop: Header=BB101_4 Depth=1
	s_mov_b32 s38, 0
                                        ; implicit-def: $vgpr14_vgpr15
	s_cbranch_execnz .LBB101_13
	s_branch .LBB101_32
.LBB101_10:                             ;   in Loop: Header=BB101_4 Depth=1
	s_or_b32 exec_lo, exec_lo, s40
	s_delay_alu instid0(SALU_CYCLE_1)
	s_and_b32 vcc_lo, exec_lo, s39
	s_cbranch_vccnz .LBB101_13
	s_branch .LBB101_32
.LBB101_11:                             ;   in Loop: Header=BB101_4 Depth=1
	v_mov_b64_e32 v[14:15], 0
.LBB101_12:                             ;   in Loop: Header=BB101_4 Depth=1
	s_mov_b32 s38, exec_lo
	s_wait_xcnt 0x0
	s_or_b32 exec_lo, exec_lo, s40
	s_delay_alu instid0(SALU_CYCLE_1)
	s_and_b32 vcc_lo, exec_lo, s39
	s_cbranch_vccz .LBB101_32
.LBB101_13:                             ;   in Loop: Header=BB101_4 Depth=1
	v_mov_b64_e32 v[14:15], 0
	s_and_saveexec_b32 s39, s1
	s_cbranch_execnz .LBB101_22
; %bb.14:                               ;   in Loop: Header=BB101_4 Depth=1
	s_or_b32 exec_lo, exec_lo, s39
	s_and_saveexec_b32 s39, s2
	s_cbranch_execnz .LBB101_25
.LBB101_15:                             ;   in Loop: Header=BB101_4 Depth=1
	s_or_b32 exec_lo, exec_lo, s39
	s_and_saveexec_b32 s39, s3
.LBB101_16:                             ;   in Loop: Header=BB101_4 Depth=1
	ds_store_b64 v1, v[12:13]
.LBB101_17:                             ;   in Loop: Header=BB101_4 Depth=1
	s_or_b32 exec_lo, exec_lo, s39
	s_wait_dscnt 0x0
	ds_bpermute_b32 v16, v21, v14
	ds_bpermute_b32 v17, v21, v15
	v_cmp_gt_u32_e32 vcc_lo, 24, v2
	s_wait_dscnt 0x0
	s_barrier_signal -1
	s_barrier_wait -1
	v_add_f64_e32 v[14:15], v[14:15], v[16:17]
	v_cndmask_b32_e64 v16, 0, 8, vcc_lo
	v_cmp_gt_u32_e32 vcc_lo, 28, v2
	s_delay_alu instid0(VALU_DEP_2)
	v_add_lshl_u32 v18, v16, v2, 2
	ds_bpermute_b32 v16, v18, v14
	ds_bpermute_b32 v17, v18, v15
	s_wait_dscnt 0x0
	v_add_f64_e32 v[14:15], v[14:15], v[16:17]
	v_cndmask_b32_e64 v16, 0, 4, vcc_lo
	v_cmp_gt_u32_e32 vcc_lo, 30, v2
	s_delay_alu instid0(VALU_DEP_2)
	v_add_lshl_u32 v19, v16, v2, 2
	ds_bpermute_b32 v16, v19, v14
	ds_bpermute_b32 v17, v19, v15
	s_wait_dscnt 0x0
	v_add_f64_e32 v[14:15], v[14:15], v[16:17]
	v_cndmask_b32_e64 v16, 0, 2, vcc_lo
	v_cmp_ne_u32_e32 vcc_lo, 31, v2
	s_delay_alu instid0(VALU_DEP_2)
	v_add_lshl_u32 v22, v16, v2, 2
	ds_bpermute_b32 v16, v22, v14
	ds_bpermute_b32 v17, v22, v15
	s_wait_dscnt 0x0
	v_add_f64_e32 v[14:15], v[14:15], v[16:17]
	v_add_co_ci_u32_e64 v16, null, 0, v2, vcc_lo
	s_delay_alu instid0(VALU_DEP_1)
	v_lshlrev_b32_e32 v23, 2, v16
	ds_bpermute_b32 v16, v23, v14
	ds_bpermute_b32 v17, v23, v15
	s_and_saveexec_b32 s39, s4
	s_cbranch_execz .LBB101_19
; %bb.18:                               ;   in Loop: Header=BB101_4 Depth=1
	s_wait_dscnt 0x0
	v_add_f64_e32 v[14:15], v[14:15], v[16:17]
	ds_store_b64 v20, v[14:15]
.LBB101_19:                             ;   in Loop: Header=BB101_4 Depth=1
	s_or_b32 exec_lo, exec_lo, s39
	s_wait_dscnt 0x0
	v_mov_b64_e32 v[16:17], 0
	s_barrier_signal -1
	s_barrier_wait -1
	s_and_saveexec_b32 s39, s3
	s_cbranch_execnz .LBB101_26
; %bb.20:                               ;   in Loop: Header=BB101_4 Depth=1
	s_or_b32 exec_lo, exec_lo, s39
	s_and_saveexec_b32 s39, s3
	s_cbranch_execnz .LBB101_27
.LBB101_21:                             ;   in Loop: Header=BB101_4 Depth=1
	s_or_b32 exec_lo, exec_lo, s39
                                        ; implicit-def: $vgpr14_vgpr15
	s_and_saveexec_b32 s39, s0
	s_cbranch_execnz .LBB101_28
	s_branch .LBB101_31
.LBB101_22:                             ;   in Loop: Header=BB101_4 Depth=1
	s_wait_dscnt 0x0
	v_mad_nc_u64_u32 v[16:17], s8, s6, v[8:9]
	v_mad_nc_u64_u32 v[18:19], s12, s6, v[10:11]
	v_mov_b64_e32 v[14:15], 0
	v_mov_b32_e32 v22, v0
	s_mov_b32 s40, 0
	s_delay_alu instid0(VALU_DEP_4) | instskip(NEXT) | instid1(VALU_DEP_4)
	v_mad_u32 v17, s9, s6, v17
	v_mad_u32 v19, s13, s6, v19
.LBB101_23:                             ;   Parent Loop BB101_4 Depth=1
                                        ; =>  This Inner Loop Header: Depth=2
	global_load_b64 v[24:25], v[16:17], off
	global_load_b64 v[26:27], v[18:19], off
	v_add_nc_u32_e32 v22, 0x400, v22
	s_wait_xcnt 0x1
	v_add_nc_u64_e32 v[16:17], 0x2000, v[16:17]
	s_wait_xcnt 0x0
	v_add_nc_u64_e32 v[18:19], s[20:21], v[18:19]
	v_cmp_le_i32_e32 vcc_lo, s10, v22
	s_or_b32 s40, vcc_lo, s40
	s_wait_loadcnt 0x0
	v_fmac_f64_e32 v[14:15], v[24:25], v[26:27]
	s_and_not1_b32 exec_lo, exec_lo, s40
	s_cbranch_execnz .LBB101_23
; %bb.24:                               ;   in Loop: Header=BB101_4 Depth=1
	s_or_b32 exec_lo, exec_lo, s40
	s_delay_alu instid0(SALU_CYCLE_1)
	s_or_b32 exec_lo, exec_lo, s39
	s_and_saveexec_b32 s39, s2
	s_cbranch_execz .LBB101_15
.LBB101_25:                             ;   in Loop: Header=BB101_4 Depth=1
	s_mul_u64 s[40:41], s[14:15], s[6:7]
	s_mul_u64 s[42:43], s[22:23], s[6:7]
	s_wait_dscnt 0x0
	v_lshl_add_u64 v[16:17], s[40:41], 3, v[6:7]
	s_lshl_b64 s[40:41], s[42:43], 3
	s_delay_alu instid0(SALU_CYCLE_1) | instskip(NEXT) | instid1(SALU_CYCLE_1)
	s_add_nc_u64 s[40:41], s[16:17], s[40:41]
	v_lshl_add_u64 v[18:19], v[4:5], 3, s[40:41]
	s_delay_alu instid0(VALU_DEP_2)
	v_lshl_add_u64 v[16:17], s[10:11], 3, v[16:17]
	global_load_b64 v[22:23], v[16:17], off
	global_load_b64 v[24:25], v[18:19], off
	s_wait_loadcnt 0x0
	v_fmac_f64_e32 v[14:15], v[22:23], v[24:25]
	s_wait_xcnt 0x0
	s_or_b32 exec_lo, exec_lo, s39
	s_and_saveexec_b32 s39, s3
	s_cbranch_execnz .LBB101_16
	s_branch .LBB101_17
.LBB101_26:                             ;   in Loop: Header=BB101_4 Depth=1
	ds_load_b64 v[16:17], v1
	s_or_b32 exec_lo, exec_lo, s39
	s_and_saveexec_b32 s39, s3
	s_cbranch_execz .LBB101_21
.LBB101_27:                             ;   in Loop: Header=BB101_4 Depth=1
	s_wait_dscnt 0x0
	ds_bpermute_b32 v14, v21, v16
	ds_bpermute_b32 v15, v21, v17
	s_wait_dscnt 0x0
	v_add_f64_e32 v[14:15], v[16:17], v[14:15]
	ds_bpermute_b32 v16, v18, v14
	ds_bpermute_b32 v17, v18, v15
	s_wait_dscnt 0x0
	v_add_f64_e32 v[14:15], v[14:15], v[16:17]
	;; [unrolled: 4-line block ×5, first 2 shown]
	s_or_b32 exec_lo, exec_lo, s39
                                        ; implicit-def: $vgpr14_vgpr15
	s_and_saveexec_b32 s39, s0
	s_cbranch_execz .LBB101_31
.LBB101_28:                             ;   in Loop: Header=BB101_4 Depth=1
	s_wait_dscnt 0x0
	s_delay_alu instid0(VALU_DEP_1)
	v_mul_f64_e32 v[14:15], s[34:35], v[16:17]
	s_and_not1_b32 vcc_lo, exec_lo, s29
	s_cbranch_vccnz .LBB101_30
; %bb.29:                               ;   in Loop: Header=BB101_4 Depth=1
	s_add_nc_u64 s[40:41], s[26:27], s[24:25]
	global_load_b64 v[16:17], v3, s[40:41]
	s_wait_loadcnt 0x0
	v_fmac_f64_e32 v[14:15], s[36:37], v[16:17]
.LBB101_30:                             ;   in Loop: Header=BB101_4 Depth=1
	s_or_b32 s38, s38, exec_lo
.LBB101_31:                             ;   in Loop: Header=BB101_4 Depth=1
	s_wait_xcnt 0x0
	s_or_b32 exec_lo, exec_lo, s39
.LBB101_32:                             ;   in Loop: Header=BB101_4 Depth=1
	s_and_saveexec_b32 s39, s38
	s_cbranch_execz .LBB101_2
; %bb.33:                               ;   in Loop: Header=BB101_4 Depth=1
	s_add_nc_u64 s[26:27], s[26:27], s[24:25]
	global_store_b64 v3, v[14:15], s[26:27]
	s_branch .LBB101_2
.LBB101_34:
	s_endpgm
	.section	.rodata,"a",@progbits
	.p2align	6, 0x0
	.amdhsa_kernel _ZL32rocblas_gemvt_warp_reduce_kernelILb1ELi1024EldddEviiT3_lPKT2_lT1_lS3_lS4_lS0_lPT4_lS4_li
		.amdhsa_group_segment_fixed_size 256
		.amdhsa_private_segment_fixed_size 0
		.amdhsa_kernarg_size 140
		.amdhsa_user_sgpr_count 2
		.amdhsa_user_sgpr_dispatch_ptr 0
		.amdhsa_user_sgpr_queue_ptr 0
		.amdhsa_user_sgpr_kernarg_segment_ptr 1
		.amdhsa_user_sgpr_dispatch_id 0
		.amdhsa_user_sgpr_kernarg_preload_length 0
		.amdhsa_user_sgpr_kernarg_preload_offset 0
		.amdhsa_user_sgpr_private_segment_size 0
		.amdhsa_wavefront_size32 1
		.amdhsa_uses_dynamic_stack 0
		.amdhsa_enable_private_segment 0
		.amdhsa_system_sgpr_workgroup_id_x 1
		.amdhsa_system_sgpr_workgroup_id_y 0
		.amdhsa_system_sgpr_workgroup_id_z 1
		.amdhsa_system_sgpr_workgroup_info 0
		.amdhsa_system_vgpr_workitem_id 0
		.amdhsa_next_free_vgpr 28
		.amdhsa_next_free_sgpr 44
		.amdhsa_named_barrier_count 0
		.amdhsa_reserve_vcc 1
		.amdhsa_float_round_mode_32 0
		.amdhsa_float_round_mode_16_64 0
		.amdhsa_float_denorm_mode_32 3
		.amdhsa_float_denorm_mode_16_64 3
		.amdhsa_fp16_overflow 0
		.amdhsa_memory_ordered 1
		.amdhsa_forward_progress 1
		.amdhsa_inst_pref_size 12
		.amdhsa_round_robin_scheduling 0
		.amdhsa_exception_fp_ieee_invalid_op 0
		.amdhsa_exception_fp_denorm_src 0
		.amdhsa_exception_fp_ieee_div_zero 0
		.amdhsa_exception_fp_ieee_overflow 0
		.amdhsa_exception_fp_ieee_underflow 0
		.amdhsa_exception_fp_ieee_inexact 0
		.amdhsa_exception_int_div_zero 0
	.end_amdhsa_kernel
	.section	.text._ZL32rocblas_gemvt_warp_reduce_kernelILb1ELi1024EldddEviiT3_lPKT2_lT1_lS3_lS4_lS0_lPT4_lS4_li,"axG",@progbits,_ZL32rocblas_gemvt_warp_reduce_kernelILb1ELi1024EldddEviiT3_lPKT2_lT1_lS3_lS4_lS0_lPT4_lS4_li,comdat
.Lfunc_end101:
	.size	_ZL32rocblas_gemvt_warp_reduce_kernelILb1ELi1024EldddEviiT3_lPKT2_lT1_lS3_lS4_lS0_lPT4_lS4_li, .Lfunc_end101-_ZL32rocblas_gemvt_warp_reduce_kernelILb1ELi1024EldddEviiT3_lPKT2_lT1_lS3_lS4_lS0_lPT4_lS4_li
                                        ; -- End function
	.set _ZL32rocblas_gemvt_warp_reduce_kernelILb1ELi1024EldddEviiT3_lPKT2_lT1_lS3_lS4_lS0_lPT4_lS4_li.num_vgpr, 28
	.set _ZL32rocblas_gemvt_warp_reduce_kernelILb1ELi1024EldddEviiT3_lPKT2_lT1_lS3_lS4_lS0_lPT4_lS4_li.num_agpr, 0
	.set _ZL32rocblas_gemvt_warp_reduce_kernelILb1ELi1024EldddEviiT3_lPKT2_lT1_lS3_lS4_lS0_lPT4_lS4_li.numbered_sgpr, 44
	.set _ZL32rocblas_gemvt_warp_reduce_kernelILb1ELi1024EldddEviiT3_lPKT2_lT1_lS3_lS4_lS0_lPT4_lS4_li.num_named_barrier, 0
	.set _ZL32rocblas_gemvt_warp_reduce_kernelILb1ELi1024EldddEviiT3_lPKT2_lT1_lS3_lS4_lS0_lPT4_lS4_li.private_seg_size, 0
	.set _ZL32rocblas_gemvt_warp_reduce_kernelILb1ELi1024EldddEviiT3_lPKT2_lT1_lS3_lS4_lS0_lPT4_lS4_li.uses_vcc, 1
	.set _ZL32rocblas_gemvt_warp_reduce_kernelILb1ELi1024EldddEviiT3_lPKT2_lT1_lS3_lS4_lS0_lPT4_lS4_li.uses_flat_scratch, 0
	.set _ZL32rocblas_gemvt_warp_reduce_kernelILb1ELi1024EldddEviiT3_lPKT2_lT1_lS3_lS4_lS0_lPT4_lS4_li.has_dyn_sized_stack, 0
	.set _ZL32rocblas_gemvt_warp_reduce_kernelILb1ELi1024EldddEviiT3_lPKT2_lT1_lS3_lS4_lS0_lPT4_lS4_li.has_recursion, 0
	.set _ZL32rocblas_gemvt_warp_reduce_kernelILb1ELi1024EldddEviiT3_lPKT2_lT1_lS3_lS4_lS0_lPT4_lS4_li.has_indirect_call, 0
	.section	.AMDGPU.csdata,"",@progbits
; Kernel info:
; codeLenInByte = 1444
; TotalNumSgprs: 46
; NumVgprs: 28
; ScratchSize: 0
; MemoryBound: 0
; FloatMode: 240
; IeeeMode: 1
; LDSByteSize: 256 bytes/workgroup (compile time only)
; SGPRBlocks: 0
; VGPRBlocks: 1
; NumSGPRsForWavesPerEU: 46
; NumVGPRsForWavesPerEU: 28
; NamedBarCnt: 0
; Occupancy: 16
; WaveLimiterHint : 0
; COMPUTE_PGM_RSRC2:SCRATCH_EN: 0
; COMPUTE_PGM_RSRC2:USER_SGPR: 2
; COMPUTE_PGM_RSRC2:TRAP_HANDLER: 0
; COMPUTE_PGM_RSRC2:TGID_X_EN: 1
; COMPUTE_PGM_RSRC2:TGID_Y_EN: 0
; COMPUTE_PGM_RSRC2:TGID_Z_EN: 1
; COMPUTE_PGM_RSRC2:TIDIG_COMP_CNT: 0
	.section	.text._ZL34rocblas_gemvn_sm_mn_batched_kernelILi32ELi24E19rocblas_complex_numIfEPKS1_S1_EviiT2_lPKT1_lilS7_lilS4_lPT3_lili,"axG",@progbits,_ZL34rocblas_gemvn_sm_mn_batched_kernelILi32ELi24E19rocblas_complex_numIfEPKS1_S1_EviiT2_lPKT1_lilS7_lilS4_lPT3_lili,comdat
	.globl	_ZL34rocblas_gemvn_sm_mn_batched_kernelILi32ELi24E19rocblas_complex_numIfEPKS1_S1_EviiT2_lPKT1_lilS7_lilS4_lPT3_lili ; -- Begin function _ZL34rocblas_gemvn_sm_mn_batched_kernelILi32ELi24E19rocblas_complex_numIfEPKS1_S1_EviiT2_lPKT1_lilS7_lilS4_lPT3_lili
	.p2align	8
	.type	_ZL34rocblas_gemvn_sm_mn_batched_kernelILi32ELi24E19rocblas_complex_numIfEPKS1_S1_EviiT2_lPKT1_lilS7_lilS4_lPT3_lili,@function
_ZL34rocblas_gemvn_sm_mn_batched_kernelILi32ELi24E19rocblas_complex_numIfEPKS1_S1_EviiT2_lPKT1_lilS7_lilS4_lPT3_lili: ; @_ZL34rocblas_gemvn_sm_mn_batched_kernelILi32ELi24E19rocblas_complex_numIfEPKS1_S1_EviiT2_lPKT1_lilS7_lilS4_lPT3_lili
; %bb.0:
	s_endpgm
	.section	.rodata,"a",@progbits
	.p2align	6, 0x0
	.amdhsa_kernel _ZL34rocblas_gemvn_sm_mn_batched_kernelILi32ELi24E19rocblas_complex_numIfEPKS1_S1_EviiT2_lPKT1_lilS7_lilS4_lPT3_lili
		.amdhsa_group_segment_fixed_size 0
		.amdhsa_private_segment_fixed_size 0
		.amdhsa_kernarg_size 140
		.amdhsa_user_sgpr_count 2
		.amdhsa_user_sgpr_dispatch_ptr 0
		.amdhsa_user_sgpr_queue_ptr 0
		.amdhsa_user_sgpr_kernarg_segment_ptr 1
		.amdhsa_user_sgpr_dispatch_id 0
		.amdhsa_user_sgpr_kernarg_preload_length 0
		.amdhsa_user_sgpr_kernarg_preload_offset 0
		.amdhsa_user_sgpr_private_segment_size 0
		.amdhsa_wavefront_size32 1
		.amdhsa_uses_dynamic_stack 0
		.amdhsa_enable_private_segment 0
		.amdhsa_system_sgpr_workgroup_id_x 1
		.amdhsa_system_sgpr_workgroup_id_y 0
		.amdhsa_system_sgpr_workgroup_id_z 0
		.amdhsa_system_sgpr_workgroup_info 0
		.amdhsa_system_vgpr_workitem_id 0
		.amdhsa_next_free_vgpr 1
		.amdhsa_next_free_sgpr 1
		.amdhsa_named_barrier_count 0
		.amdhsa_reserve_vcc 0
		.amdhsa_float_round_mode_32 0
		.amdhsa_float_round_mode_16_64 0
		.amdhsa_float_denorm_mode_32 3
		.amdhsa_float_denorm_mode_16_64 3
		.amdhsa_fp16_overflow 0
		.amdhsa_memory_ordered 1
		.amdhsa_forward_progress 1
		.amdhsa_inst_pref_size 1
		.amdhsa_round_robin_scheduling 0
		.amdhsa_exception_fp_ieee_invalid_op 0
		.amdhsa_exception_fp_denorm_src 0
		.amdhsa_exception_fp_ieee_div_zero 0
		.amdhsa_exception_fp_ieee_overflow 0
		.amdhsa_exception_fp_ieee_underflow 0
		.amdhsa_exception_fp_ieee_inexact 0
		.amdhsa_exception_int_div_zero 0
	.end_amdhsa_kernel
	.section	.text._ZL34rocblas_gemvn_sm_mn_batched_kernelILi32ELi24E19rocblas_complex_numIfEPKS1_S1_EviiT2_lPKT1_lilS7_lilS4_lPT3_lili,"axG",@progbits,_ZL34rocblas_gemvn_sm_mn_batched_kernelILi32ELi24E19rocblas_complex_numIfEPKS1_S1_EviiT2_lPKT1_lilS7_lilS4_lPT3_lili,comdat
.Lfunc_end102:
	.size	_ZL34rocblas_gemvn_sm_mn_batched_kernelILi32ELi24E19rocblas_complex_numIfEPKS1_S1_EviiT2_lPKT1_lilS7_lilS4_lPT3_lili, .Lfunc_end102-_ZL34rocblas_gemvn_sm_mn_batched_kernelILi32ELi24E19rocblas_complex_numIfEPKS1_S1_EviiT2_lPKT1_lilS7_lilS4_lPT3_lili
                                        ; -- End function
	.set _ZL34rocblas_gemvn_sm_mn_batched_kernelILi32ELi24E19rocblas_complex_numIfEPKS1_S1_EviiT2_lPKT1_lilS7_lilS4_lPT3_lili.num_vgpr, 0
	.set _ZL34rocblas_gemvn_sm_mn_batched_kernelILi32ELi24E19rocblas_complex_numIfEPKS1_S1_EviiT2_lPKT1_lilS7_lilS4_lPT3_lili.num_agpr, 0
	.set _ZL34rocblas_gemvn_sm_mn_batched_kernelILi32ELi24E19rocblas_complex_numIfEPKS1_S1_EviiT2_lPKT1_lilS7_lilS4_lPT3_lili.numbered_sgpr, 0
	.set _ZL34rocblas_gemvn_sm_mn_batched_kernelILi32ELi24E19rocblas_complex_numIfEPKS1_S1_EviiT2_lPKT1_lilS7_lilS4_lPT3_lili.num_named_barrier, 0
	.set _ZL34rocblas_gemvn_sm_mn_batched_kernelILi32ELi24E19rocblas_complex_numIfEPKS1_S1_EviiT2_lPKT1_lilS7_lilS4_lPT3_lili.private_seg_size, 0
	.set _ZL34rocblas_gemvn_sm_mn_batched_kernelILi32ELi24E19rocblas_complex_numIfEPKS1_S1_EviiT2_lPKT1_lilS7_lilS4_lPT3_lili.uses_vcc, 0
	.set _ZL34rocblas_gemvn_sm_mn_batched_kernelILi32ELi24E19rocblas_complex_numIfEPKS1_S1_EviiT2_lPKT1_lilS7_lilS4_lPT3_lili.uses_flat_scratch, 0
	.set _ZL34rocblas_gemvn_sm_mn_batched_kernelILi32ELi24E19rocblas_complex_numIfEPKS1_S1_EviiT2_lPKT1_lilS7_lilS4_lPT3_lili.has_dyn_sized_stack, 0
	.set _ZL34rocblas_gemvn_sm_mn_batched_kernelILi32ELi24E19rocblas_complex_numIfEPKS1_S1_EviiT2_lPKT1_lilS7_lilS4_lPT3_lili.has_recursion, 0
	.set _ZL34rocblas_gemvn_sm_mn_batched_kernelILi32ELi24E19rocblas_complex_numIfEPKS1_S1_EviiT2_lPKT1_lilS7_lilS4_lPT3_lili.has_indirect_call, 0
	.section	.AMDGPU.csdata,"",@progbits
; Kernel info:
; codeLenInByte = 4
; TotalNumSgprs: 0
; NumVgprs: 0
; ScratchSize: 0
; MemoryBound: 0
; FloatMode: 240
; IeeeMode: 1
; LDSByteSize: 0 bytes/workgroup (compile time only)
; SGPRBlocks: 0
; VGPRBlocks: 0
; NumSGPRsForWavesPerEU: 1
; NumVGPRsForWavesPerEU: 1
; NamedBarCnt: 0
; Occupancy: 16
; WaveLimiterHint : 0
; COMPUTE_PGM_RSRC2:SCRATCH_EN: 0
; COMPUTE_PGM_RSRC2:USER_SGPR: 2
; COMPUTE_PGM_RSRC2:TRAP_HANDLER: 0
; COMPUTE_PGM_RSRC2:TGID_X_EN: 1
; COMPUTE_PGM_RSRC2:TGID_Y_EN: 0
; COMPUTE_PGM_RSRC2:TGID_Z_EN: 0
; COMPUTE_PGM_RSRC2:TIDIG_COMP_CNT: 0
	.section	.text._ZL34rocblas_gemvn_sm_mn_batched_kernelILi32ELi24E19rocblas_complex_numIfES1_S1_EviiT2_lPKT1_lilS5_lilS2_lPT3_lili,"axG",@progbits,_ZL34rocblas_gemvn_sm_mn_batched_kernelILi32ELi24E19rocblas_complex_numIfES1_S1_EviiT2_lPKT1_lilS5_lilS2_lPT3_lili,comdat
	.globl	_ZL34rocblas_gemvn_sm_mn_batched_kernelILi32ELi24E19rocblas_complex_numIfES1_S1_EviiT2_lPKT1_lilS5_lilS2_lPT3_lili ; -- Begin function _ZL34rocblas_gemvn_sm_mn_batched_kernelILi32ELi24E19rocblas_complex_numIfES1_S1_EviiT2_lPKT1_lilS5_lilS2_lPT3_lili
	.p2align	8
	.type	_ZL34rocblas_gemvn_sm_mn_batched_kernelILi32ELi24E19rocblas_complex_numIfES1_S1_EviiT2_lPKT1_lilS5_lilS2_lPT3_lili,@function
_ZL34rocblas_gemvn_sm_mn_batched_kernelILi32ELi24E19rocblas_complex_numIfES1_S1_EviiT2_lPKT1_lilS5_lilS2_lPT3_lili: ; @_ZL34rocblas_gemvn_sm_mn_batched_kernelILi32ELi24E19rocblas_complex_numIfES1_S1_EviiT2_lPKT1_lilS5_lilS2_lPT3_lili
; %bb.0:
	s_endpgm
	.section	.rodata,"a",@progbits
	.p2align	6, 0x0
	.amdhsa_kernel _ZL34rocblas_gemvn_sm_mn_batched_kernelILi32ELi24E19rocblas_complex_numIfES1_S1_EviiT2_lPKT1_lilS5_lilS2_lPT3_lili
		.amdhsa_group_segment_fixed_size 0
		.amdhsa_private_segment_fixed_size 0
		.amdhsa_kernarg_size 140
		.amdhsa_user_sgpr_count 2
		.amdhsa_user_sgpr_dispatch_ptr 0
		.amdhsa_user_sgpr_queue_ptr 0
		.amdhsa_user_sgpr_kernarg_segment_ptr 1
		.amdhsa_user_sgpr_dispatch_id 0
		.amdhsa_user_sgpr_kernarg_preload_length 0
		.amdhsa_user_sgpr_kernarg_preload_offset 0
		.amdhsa_user_sgpr_private_segment_size 0
		.amdhsa_wavefront_size32 1
		.amdhsa_uses_dynamic_stack 0
		.amdhsa_enable_private_segment 0
		.amdhsa_system_sgpr_workgroup_id_x 1
		.amdhsa_system_sgpr_workgroup_id_y 0
		.amdhsa_system_sgpr_workgroup_id_z 0
		.amdhsa_system_sgpr_workgroup_info 0
		.amdhsa_system_vgpr_workitem_id 0
		.amdhsa_next_free_vgpr 1
		.amdhsa_next_free_sgpr 1
		.amdhsa_named_barrier_count 0
		.amdhsa_reserve_vcc 0
		.amdhsa_float_round_mode_32 0
		.amdhsa_float_round_mode_16_64 0
		.amdhsa_float_denorm_mode_32 3
		.amdhsa_float_denorm_mode_16_64 3
		.amdhsa_fp16_overflow 0
		.amdhsa_memory_ordered 1
		.amdhsa_forward_progress 1
		.amdhsa_inst_pref_size 1
		.amdhsa_round_robin_scheduling 0
		.amdhsa_exception_fp_ieee_invalid_op 0
		.amdhsa_exception_fp_denorm_src 0
		.amdhsa_exception_fp_ieee_div_zero 0
		.amdhsa_exception_fp_ieee_overflow 0
		.amdhsa_exception_fp_ieee_underflow 0
		.amdhsa_exception_fp_ieee_inexact 0
		.amdhsa_exception_int_div_zero 0
	.end_amdhsa_kernel
	.section	.text._ZL34rocblas_gemvn_sm_mn_batched_kernelILi32ELi24E19rocblas_complex_numIfES1_S1_EviiT2_lPKT1_lilS5_lilS2_lPT3_lili,"axG",@progbits,_ZL34rocblas_gemvn_sm_mn_batched_kernelILi32ELi24E19rocblas_complex_numIfES1_S1_EviiT2_lPKT1_lilS5_lilS2_lPT3_lili,comdat
.Lfunc_end103:
	.size	_ZL34rocblas_gemvn_sm_mn_batched_kernelILi32ELi24E19rocblas_complex_numIfES1_S1_EviiT2_lPKT1_lilS5_lilS2_lPT3_lili, .Lfunc_end103-_ZL34rocblas_gemvn_sm_mn_batched_kernelILi32ELi24E19rocblas_complex_numIfES1_S1_EviiT2_lPKT1_lilS5_lilS2_lPT3_lili
                                        ; -- End function
	.set _ZL34rocblas_gemvn_sm_mn_batched_kernelILi32ELi24E19rocblas_complex_numIfES1_S1_EviiT2_lPKT1_lilS5_lilS2_lPT3_lili.num_vgpr, 0
	.set _ZL34rocblas_gemvn_sm_mn_batched_kernelILi32ELi24E19rocblas_complex_numIfES1_S1_EviiT2_lPKT1_lilS5_lilS2_lPT3_lili.num_agpr, 0
	.set _ZL34rocblas_gemvn_sm_mn_batched_kernelILi32ELi24E19rocblas_complex_numIfES1_S1_EviiT2_lPKT1_lilS5_lilS2_lPT3_lili.numbered_sgpr, 0
	.set _ZL34rocblas_gemvn_sm_mn_batched_kernelILi32ELi24E19rocblas_complex_numIfES1_S1_EviiT2_lPKT1_lilS5_lilS2_lPT3_lili.num_named_barrier, 0
	.set _ZL34rocblas_gemvn_sm_mn_batched_kernelILi32ELi24E19rocblas_complex_numIfES1_S1_EviiT2_lPKT1_lilS5_lilS2_lPT3_lili.private_seg_size, 0
	.set _ZL34rocblas_gemvn_sm_mn_batched_kernelILi32ELi24E19rocblas_complex_numIfES1_S1_EviiT2_lPKT1_lilS5_lilS2_lPT3_lili.uses_vcc, 0
	.set _ZL34rocblas_gemvn_sm_mn_batched_kernelILi32ELi24E19rocblas_complex_numIfES1_S1_EviiT2_lPKT1_lilS5_lilS2_lPT3_lili.uses_flat_scratch, 0
	.set _ZL34rocblas_gemvn_sm_mn_batched_kernelILi32ELi24E19rocblas_complex_numIfES1_S1_EviiT2_lPKT1_lilS5_lilS2_lPT3_lili.has_dyn_sized_stack, 0
	.set _ZL34rocblas_gemvn_sm_mn_batched_kernelILi32ELi24E19rocblas_complex_numIfES1_S1_EviiT2_lPKT1_lilS5_lilS2_lPT3_lili.has_recursion, 0
	.set _ZL34rocblas_gemvn_sm_mn_batched_kernelILi32ELi24E19rocblas_complex_numIfES1_S1_EviiT2_lPKT1_lilS5_lilS2_lPT3_lili.has_indirect_call, 0
	.section	.AMDGPU.csdata,"",@progbits
; Kernel info:
; codeLenInByte = 4
; TotalNumSgprs: 0
; NumVgprs: 0
; ScratchSize: 0
; MemoryBound: 0
; FloatMode: 240
; IeeeMode: 1
; LDSByteSize: 0 bytes/workgroup (compile time only)
; SGPRBlocks: 0
; VGPRBlocks: 0
; NumSGPRsForWavesPerEU: 1
; NumVGPRsForWavesPerEU: 1
; NamedBarCnt: 0
; Occupancy: 16
; WaveLimiterHint : 0
; COMPUTE_PGM_RSRC2:SCRATCH_EN: 0
; COMPUTE_PGM_RSRC2:USER_SGPR: 2
; COMPUTE_PGM_RSRC2:TRAP_HANDLER: 0
; COMPUTE_PGM_RSRC2:TGID_X_EN: 1
; COMPUTE_PGM_RSRC2:TGID_Y_EN: 0
; COMPUTE_PGM_RSRC2:TGID_Z_EN: 0
; COMPUTE_PGM_RSRC2:TIDIG_COMP_CNT: 0
	.section	.text._ZL20rocblas_gemvn_kernelILi64ELi4Ei19rocblas_complex_numIfEPKS1_S1_EviiT3_lPKT2_lT1_lS7_lS8_lS4_lPT4_lS8_li,"axG",@progbits,_ZL20rocblas_gemvn_kernelILi64ELi4Ei19rocblas_complex_numIfEPKS1_S1_EviiT3_lPKT2_lT1_lS7_lS8_lS4_lPT4_lS8_li,comdat
	.globl	_ZL20rocblas_gemvn_kernelILi64ELi4Ei19rocblas_complex_numIfEPKS1_S1_EviiT3_lPKT2_lT1_lS7_lS8_lS4_lPT4_lS8_li ; -- Begin function _ZL20rocblas_gemvn_kernelILi64ELi4Ei19rocblas_complex_numIfEPKS1_S1_EviiT3_lPKT2_lT1_lS7_lS8_lS4_lPT4_lS8_li
	.p2align	8
	.type	_ZL20rocblas_gemvn_kernelILi64ELi4Ei19rocblas_complex_numIfEPKS1_S1_EviiT3_lPKT2_lT1_lS7_lS8_lS4_lPT4_lS8_li,@function
_ZL20rocblas_gemvn_kernelILi64ELi4Ei19rocblas_complex_numIfEPKS1_S1_EviiT3_lPKT2_lT1_lS7_lS8_lS4_lPT4_lS8_li: ; @_ZL20rocblas_gemvn_kernelILi64ELi4Ei19rocblas_complex_numIfEPKS1_S1_EviiT3_lPKT2_lT1_lS7_lS8_lS4_lPT4_lS8_li
; %bb.0:
	s_load_b64 s[2:3], s[0:1], 0x9c
	s_wait_kmcnt 0x0
	s_lshr_b32 s4, s2, 16
	s_and_b32 s2, s2, 0xffff
	s_and_b32 s3, s3, 0xffff
	s_mul_i32 s2, s4, s2
	s_delay_alu instid0(SALU_CYCLE_1) | instskip(NEXT) | instid1(SALU_CYCLE_1)
	s_mul_i32 s2, s2, s3
	s_cmp_lg_u32 s2, 0x100
	s_cbranch_scc1 .LBB104_48
; %bb.1:
	s_load_b32 s11, s[0:1], 0x88
	s_bfe_u32 s2, ttmp6, 0x40014
	s_lshr_b32 s3, ttmp7, 16
	s_add_co_i32 s2, s2, 1
	s_bfe_u32 s5, ttmp6, 0x40008
	s_mul_i32 s4, s3, s2
	s_getreg_b32 s2, hwreg(HW_REG_IB_STS2, 6, 4)
	s_add_co_i32 s5, s5, s4
	s_cmp_eq_u32 s2, 0
	s_mov_b32 s35, 0
	s_cselect_b32 s34, s3, s5
	s_wait_kmcnt 0x0
	s_cmp_ge_u32 s34, s11
	s_cbranch_scc1 .LBB104_48
; %bb.2:
	s_clause 0x7
	s_load_b256 s[12:19], s[0:1], 0x8
	s_load_b96 s[8:10], s[0:1], 0x40
	s_load_b96 s[4:6], s[0:1], 0x70
	s_load_b64 s[36:37], s[0:1], 0x0
	s_load_b32 s33, s[0:1], 0x28
	s_load_b128 s[28:31], s[0:1], 0x30
	s_load_b256 s[20:27], s[0:1], 0x50
	s_load_b64 s[38:39], s[0:1], 0x80
	s_wait_xcnt 0x0
	s_bfe_u32 s0, ttmp6, 0x4000c
	v_and_b32_e32 v6, 0x3ff, v0
	s_add_co_i32 s0, s0, 1
	v_bfe_u32 v5, v0, 10, 10
	s_and_b32 s1, ttmp6, 15
	s_mul_i32 s0, ttmp9, s0
	s_delay_alu instid0(SALU_CYCLE_1) | instskip(NEXT) | instid1(VALU_DEP_1)
	s_add_co_i32 s7, s1, s0
	v_lshl_add_u32 v4, v5, 6, v6
	s_wait_kmcnt 0x0
	s_lshl_b64 s[0:1], s[18:19], 3
	s_lshl_b64 s[8:9], s[8:9], 3
	;; [unrolled: 1-line block ×3, first 2 shown]
	s_ashr_i32 s3, s6, 31
	s_cmp_eq_u32 s2, 0
	s_mov_b32 s2, s6
	s_cselect_b32 s7, ttmp9, s7
	s_mov_b32 s40, s36
	s_lshl_b32 s42, s7, 8
	s_delay_alu instid0(SALU_CYCLE_1)
	v_dual_mov_b32 v1, 0 :: v_dual_add_nc_u32 v0, s42, v4
	v_or_b32_e32 v66, s42, v6
	s_ashr_i32 s41, s36, 31
	s_add_nc_u64 s[16:17], s[16:17], s[0:1]
	s_ashr_i32 s0, s37, 31
	v_mul_u64_e32 v[2:3], s[2:3], v[0:1]
	v_cmp_gt_i64_e32 vcc_lo, s[40:41], v[0:1]
	v_dual_lshlrev_b32 v0, 2, v5 :: v_dual_add_nc_u32 v7, 64, v66
	v_or_b32_e32 v9, s42, v4
	s_lshr_b32 s0, s0, 28
	v_mul_lo_u32 v13, v5, s10
	s_add_co_i32 s0, s37, s0
	v_add_nc_u32_e32 v8, 0x80, v66
	v_cmp_gt_i32_e64 s2, s36, v7
	v_add_nc_u32_e32 v7, 0xc0, v66
	s_and_b32 s43, s0, -16
	s_add_nc_u64 s[26:27], s[26:27], s[4:5]
	s_sub_co_i32 s4, s37, s43
	v_cmp_gt_i32_e64 s3, s36, v8
	v_lshlrev_b32_e32 v8, 3, v6
	s_cmp_gt_i32 s4, 0
	v_cmp_gt_i32_e64 s4, s36, v7
	v_cmp_gt_u32_e64 s5, 0x100, v4
	v_mul_lo_u32 v4, s6, v9
	v_or_b32_e32 v7, 2, v0
	v_dual_lshlrev_b32 v76, 2, v13 :: v_dual_bitop2_b32 v10, 3, v0 bitop3:0x54
	v_mul_lo_u32 v11, s33, v0
	v_mul_lo_u32 v12, v5, s33
	s_delay_alu instid0(VALU_DEP_4) | instskip(NEXT) | instid1(VALU_DEP_4)
	v_mad_u32 v68, s33, v7, v6
	v_mad_u32 v69, s33, v10, v6
	;; [unrolled: 1-line block ×3, first 2 shown]
	v_mul_lo_u32 v71, s10, v7
	v_mul_lo_u32 v72, s10, v10
	v_cmp_gt_i32_e64 s0, s43, v0
	v_cmp_gt_i32_e64 s1, s36, v66
	v_lshl_add_u32 v67, v5, 11, v8
	v_lshl_add_u32 v73, v5, 9, v8
	v_cmp_gt_i32_e64 s6, s36, v9
	v_ashrrev_i32_e32 v5, 31, v4
	v_add3_u32 v74, v11, s33, v6
	v_lshl_add_u32 v75, v12, 2, v6
	s_add_nc_u64 s[18:19], s[30:31], s[8:9]
	s_cselect_b32 s44, -1, 0
	s_and_b32 s36, s5, vcc_lo
	s_lshl_b32 s45, s33, 4
	s_lshl_b32 s46, s10, 4
	s_branch .LBB104_6
.LBB104_3:                              ;   in Loop: Header=BB104_6 Depth=1
	s_delay_alu instid0(VALU_DEP_1)
	v_mov_b32_e32 v11, v13
	global_store_b64 v[8:9], v[10:11], off
.LBB104_4:                              ;   in Loop: Header=BB104_6 Depth=1
	s_wait_xcnt 0x0
	s_or_b32 exec_lo, exec_lo, s30
.LBB104_5:                              ;   in Loop: Header=BB104_6 Depth=1
	s_add_co_i32 s34, s34, 0x10000
	s_delay_alu instid0(SALU_CYCLE_1)
	s_cmp_lt_u32 s34, s11
	s_cbranch_scc0 .LBB104_48
.LBB104_6:                              ; =>This Loop Header: Depth=1
                                        ;     Child Loop BB104_20 Depth 2
	s_mul_u64 s[8:9], s[14:15], s[34:35]
	s_wait_xcnt 0x0
	s_mul_u64 s[30:31], s[24:25], s[34:35]
	s_lshl_b64 s[8:9], s[8:9], 3
	s_lshl_b64 s[30:31], s[30:31], 3
	s_add_nc_u64 s[8:9], s[12:13], s[8:9]
	s_add_nc_u64 s[30:31], s[22:23], s[30:31]
	s_clause 0x1
	global_load_b64 v[8:9], v1, s[8:9]
	global_load_b64 v[6:7], v1, s[30:31]
	s_wait_loadcnt 0x1
	v_cmp_eq_f32_e32 vcc_lo, 0, v8
	v_cmp_eq_f32_e64 s7, 0, v9
	s_wait_loadcnt 0x0
	s_wait_xcnt 0x1
	v_cmp_eq_f32_e64 s8, 1.0, v6
	v_cmp_eq_f32_e64 s9, 0, v7
	s_and_b32 s7, vcc_lo, s7
	s_and_b32 s8, s8, s9
	s_delay_alu instid0(SALU_CYCLE_1) | instskip(NEXT) | instid1(SALU_CYCLE_1)
	s_and_b32 s7, s7, s8
	s_and_b32 vcc_lo, exec_lo, s7
	s_cbranch_vccnz .LBB104_5
; %bb.7:                                ;   in Loop: Header=BB104_6 Depth=1
	v_or_b32_e32 v10, v8, v9
	s_mul_u64 s[8:9], s[38:39], s[34:35]
	s_mov_b32 s7, -1
	s_lshl_b64 s[8:9], s[8:9], 3
	s_delay_alu instid0(SALU_CYCLE_1) | instskip(SKIP_1) | instid1(VALU_DEP_1)
	s_add_nc_u64 s[8:9], s[26:27], s[8:9]
	v_and_b32_e32 v10, 0x7fffffff, v10
	v_cmp_ne_u32_e32 vcc_lo, 0, v10
	s_cbranch_vccnz .LBB104_13
; %bb.8:                                ;   in Loop: Header=BB104_6 Depth=1
	s_wait_xcnt 0x0
	s_and_saveexec_b32 s30, s36
	s_cbranch_execz .LBB104_12
; %bb.9:                                ;   in Loop: Header=BB104_6 Depth=1
	v_cmp_neq_f32_e32 vcc_lo, 0, v6
	v_cmp_neq_f32_e64 s7, 0, v7
	v_dual_mov_b32 v12, 0 :: v_dual_mov_b32 v13, 0
	v_lshl_add_u64 v[10:11], v[2:3], 3, s[8:9]
	s_or_b32 s7, vcc_lo, s7
	s_delay_alu instid0(SALU_CYCLE_1)
	s_and_not1_b32 vcc_lo, exec_lo, s7
	s_cbranch_vccnz .LBB104_11
; %bb.10:                               ;   in Loop: Header=BB104_6 Depth=1
	global_load_b64 v[12:13], v[10:11], off
	s_wait_loadcnt 0x0
	v_pk_mul_f32 v[14:15], v[6:7], v[12:13] op_sel:[1,1] op_sel_hi:[0,1]
	s_delay_alu instid0(VALU_DEP_1) | instskip(SKIP_1) | instid1(VALU_DEP_2)
	v_pk_fma_f32 v[16:17], v[6:7], v[12:13], v[14:15] op_sel_hi:[1,0,1]
	v_pk_fma_f32 v[12:13], v[6:7], v[12:13], v[14:15] neg_lo:[0,0,1] neg_hi:[0,0,1]
	v_mov_b32_e32 v13, v17
.LBB104_11:                             ;   in Loop: Header=BB104_6 Depth=1
	global_store_b64 v[10:11], v[12:13], off
.LBB104_12:                             ;   in Loop: Header=BB104_6 Depth=1
	s_wait_xcnt 0x0
	s_or_b32 exec_lo, exec_lo, s30
	s_mov_b32 s7, 0
.LBB104_13:                             ;   in Loop: Header=BB104_6 Depth=1
	s_delay_alu instid0(SALU_CYCLE_1)
	s_and_not1_b32 vcc_lo, exec_lo, s7
	s_cbranch_vccnz .LBB104_5
; %bb.14:                               ;   in Loop: Header=BB104_6 Depth=1
	v_mov_b64_e32 v[12:13], 0
	v_mov_b64_e32 v[14:15], 0
	;; [unrolled: 1-line block ×4, first 2 shown]
	s_wait_xcnt 0x0
	s_mul_u64 s[30:31], s[28:29], s[34:35]
	s_mul_u64 s[40:41], s[20:21], s[34:35]
	v_mov_b32_e32 v62, v0
	s_lshl_b64 s[30:31], s[30:31], 3
	s_lshl_b64 s[40:41], s[40:41], 3
	s_add_nc_u64 s[30:31], s[16:17], s[30:31]
	s_add_nc_u64 s[40:41], s[18:19], s[40:41]
	s_and_saveexec_b32 s7, s0
	s_cbranch_execz .LBB104_26
; %bb.15:                               ;   in Loop: Header=BB104_6 Depth=1
	v_mov_b64_e32 v[10:11], 0
	v_mov_b64_e32 v[16:17], 0
	v_mov_b64_e32 v[14:15], 0
	v_mov_b64_e32 v[12:13], 0
	v_dual_mov_b32 v63, v75 :: v_dual_mov_b32 v64, v69
	v_dual_mov_b32 v65, v68 :: v_dual_mov_b32 v77, v74
	v_mov_b32_e32 v62, v0
	s_mov_b32 s47, 0
	s_mov_b32 s48, 0
	s_branch .LBB104_20
.LBB104_16:                             ;   in Loop: Header=BB104_20 Depth=2
	s_or_b32 exec_lo, exec_lo, s52
	s_wait_loadcnt 0x3
	v_dual_mul_f32 v54, v29, v53 :: v_dual_mul_f32 v55, v28, v53
	s_wait_loadcnt 0x2
	v_dual_mul_f32 v58, v27, v51 :: v_dual_mul_f32 v53, v26, v51
	s_wait_loadcnt 0x1
	v_pk_mul_f32 v[56:57], v[44:45], v[48:49] op_sel:[0,1]
	v_dual_fma_f32 v54, v28, v52, -v54 :: v_dual_fmac_f32 v55, v29, v52
	s_delay_alu instid0(VALU_DEP_3) | instskip(NEXT) | instid1(VALU_DEP_3)
	v_dual_fma_f32 v52, v26, v50, -v58 :: v_dual_fmac_f32 v53, v27, v50
	v_pk_fma_f32 v[50:51], v[20:21], v[48:49], v[56:57] op_sel_hi:[1,0,1]
	v_pk_fma_f32 v[48:49], v[20:21], v[48:49], v[56:57] neg_lo:[0,0,1] neg_hi:[0,0,1]
	s_delay_alu instid0(VALU_DEP_4) | instskip(SKIP_3) | instid1(VALU_DEP_3)
	v_pk_add_f32 v[14:15], v[14:15], v[54:55]
	s_wait_loadcnt 0x0
	v_pk_mul_f32 v[54:55], v[38:39], v[46:47] op_sel:[0,1]
	v_mov_b32_e32 v49, v51
	v_pk_add_f32 v[14:15], v[52:53], v[14:15]
	s_delay_alu instid0(VALU_DEP_3) | instskip(SKIP_1) | instid1(VALU_DEP_2)
	v_pk_fma_f32 v[50:51], v[18:19], v[46:47], v[54:55] op_sel_hi:[1,0,1]
	v_pk_fma_f32 v[46:47], v[18:19], v[46:47], v[54:55] neg_lo:[0,0,1] neg_hi:[0,0,1]
	v_mov_b32_e32 v47, v51
	s_delay_alu instid0(VALU_DEP_4) | instskip(NEXT) | instid1(VALU_DEP_1)
	v_pk_add_f32 v[14:15], v[48:49], v[14:15]
	v_pk_add_f32 v[14:15], v[46:47], v[14:15]
.LBB104_17:                             ;   in Loop: Header=BB104_20 Depth=2
	s_or_b32 exec_lo, exec_lo, s51
	s_wait_loadcnt 0x3
	v_dual_mul_f32 v46, v29, v43 :: v_dual_mul_f32 v47, v28, v43
	s_wait_loadcnt 0x2
	v_dual_mul_f32 v48, v27, v41 :: v_dual_mul_f32 v43, v26, v41
	s_wait_loadcnt 0x1
	v_pk_mul_f32 v[44:45], v[44:45], v[36:37] op_sel:[0,1]
	v_dual_fma_f32 v46, v28, v42, -v46 :: v_dual_fmac_f32 v47, v29, v42
	s_delay_alu instid0(VALU_DEP_3) | instskip(NEXT) | instid1(VALU_DEP_3)
	v_dual_fma_f32 v42, v26, v40, -v48 :: v_dual_fmac_f32 v43, v27, v40
	v_pk_fma_f32 v[40:41], v[20:21], v[36:37], v[44:45] op_sel_hi:[1,0,1]
	s_wait_loadcnt 0x0
	v_pk_mul_f32 v[38:39], v[38:39], v[34:35] op_sel:[0,1]
	v_pk_add_f32 v[16:17], v[16:17], v[46:47]
	v_pk_fma_f32 v[36:37], v[20:21], v[36:37], v[44:45] neg_lo:[0,0,1] neg_hi:[0,0,1]
	v_mov_b32_e32 v37, v41
	s_delay_alu instid0(VALU_DEP_4) | instskip(NEXT) | instid1(VALU_DEP_4)
	v_pk_fma_f32 v[40:41], v[18:19], v[34:35], v[38:39] op_sel_hi:[1,0,1]
	v_pk_add_f32 v[16:17], v[42:43], v[16:17]
	v_pk_fma_f32 v[34:35], v[18:19], v[34:35], v[38:39] neg_lo:[0,0,1] neg_hi:[0,0,1]
	s_delay_alu instid0(VALU_DEP_3) | instskip(NEXT) | instid1(VALU_DEP_3)
	v_mov_b32_e32 v35, v41
	v_pk_add_f32 v[16:17], v[36:37], v[16:17]
	s_delay_alu instid0(VALU_DEP_1)
	v_pk_add_f32 v[16:17], v[34:35], v[16:17]
.LBB104_18:                             ;   in Loop: Header=BB104_20 Depth=2
	s_or_b32 exec_lo, exec_lo, s50
	s_wait_loadcnt 0x3
	v_dual_mul_f32 v34, v29, v33 :: v_dual_mul_f32 v35, v28, v33
	s_wait_loadcnt 0x2
	v_dual_mul_f32 v38, v27, v31 :: v_dual_mul_f32 v33, v26, v31
	s_wait_loadcnt 0x1
	v_pk_mul_f32 v[36:37], v[20:21], v[24:25] op_sel:[1,1] op_sel_hi:[0,1]
	v_dual_fma_f32 v34, v28, v32, -v34 :: v_dual_fmac_f32 v35, v29, v32
	s_delay_alu instid0(VALU_DEP_3) | instskip(NEXT) | instid1(VALU_DEP_3)
	v_dual_fma_f32 v32, v26, v30, -v38 :: v_dual_fmac_f32 v33, v27, v30
	v_pk_fma_f32 v[26:27], v[20:21], v[24:25], v[36:37] op_sel_hi:[1,0,1]
	s_wait_loadcnt 0x0
	v_pk_mul_f32 v[28:29], v[18:19], v[22:23] op_sel:[1,1] op_sel_hi:[0,1]
	v_pk_add_f32 v[10:11], v[10:11], v[34:35]
	v_pk_fma_f32 v[20:21], v[20:21], v[24:25], v[36:37] neg_lo:[0,0,1] neg_hi:[0,0,1]
	s_delay_alu instid0(VALU_DEP_3) | instskip(SKIP_1) | instid1(VALU_DEP_4)
	v_pk_fma_f32 v[24:25], v[18:19], v[22:23], v[28:29] op_sel_hi:[1,0,1]
	v_mov_b32_e32 v21, v27
	v_pk_add_f32 v[10:11], v[32:33], v[10:11]
	v_pk_fma_f32 v[18:19], v[18:19], v[22:23], v[28:29] neg_lo:[0,0,1] neg_hi:[0,0,1]
	s_delay_alu instid0(VALU_DEP_4) | instskip(NEXT) | instid1(VALU_DEP_3)
	v_mov_b32_e32 v19, v25
	v_pk_add_f32 v[10:11], v[20:21], v[10:11]
	s_delay_alu instid0(VALU_DEP_1)
	v_pk_add_f32 v[10:11], v[18:19], v[10:11]
.LBB104_19:                             ;   in Loop: Header=BB104_20 Depth=2
	s_or_b32 exec_lo, exec_lo, s49
	v_dual_add_nc_u32 v62, 16, v62 :: v_dual_add_nc_u32 v77, s45, v77
	v_dual_add_nc_u32 v65, s45, v65 :: v_dual_add_nc_u32 v64, s45, v64
	v_add_nc_u32_e32 v63, s45, v63
	s_delay_alu instid0(VALU_DEP_3) | instskip(SKIP_2) | instid1(SALU_CYCLE_1)
	v_cmp_le_i32_e32 vcc_lo, s43, v62
	s_add_co_i32 s48, s48, s46
	s_or_b32 s47, vcc_lo, s47
	s_and_not1_b32 exec_lo, exec_lo, s47
	s_cbranch_execz .LBB104_25
.LBB104_20:                             ;   Parent Loop BB104_6 Depth=1
                                        ; =>  This Inner Loop Header: Depth=2
	s_and_saveexec_b32 s49, s1
	s_cbranch_execz .LBB104_19
; %bb.21:                               ;   in Loop: Header=BB104_20 Depth=2
	v_dual_add_nc_u32 v35, s48, v76 :: v_dual_add_nc_u32 v37, s48, v70
	v_dual_add_nc_u32 v39, s48, v71 :: v_dual_add_nc_u32 v41, s48, v72
	;; [unrolled: 1-line block ×4, first 2 shown]
	s_clause 0x3
	global_load_b64 v[28:29], v35, s[40:41] scale_offset
	global_load_b64 v[26:27], v37, s[40:41] scale_offset
	;; [unrolled: 1-line block ×4, first 2 shown]
	s_clause 0x3
	global_load_b64 v[32:33], v34, s[30:31] scale_offset
	global_load_b64 v[30:31], v36, s[30:31] scale_offset
	;; [unrolled: 1-line block ×4, first 2 shown]
	s_wait_xcnt 0x0
	s_and_saveexec_b32 s50, s2
	s_cbranch_execz .LBB104_18
; %bb.22:                               ;   in Loop: Header=BB104_20 Depth=2
	v_dual_ashrrev_i32 v35, 31, v34 :: v_dual_ashrrev_i32 v37, 31, v36
	v_dual_ashrrev_i32 v41, 31, v40 :: v_dual_ashrrev_i32 v39, 31, v38
	s_wait_loadcnt 0x5
	v_dual_mov_b32 v44, v21 :: v_dual_mov_b32 v45, v20
	s_delay_alu instid0(VALU_DEP_3)
	v_lshl_add_u64 v[58:59], v[34:35], 3, s[30:31]
	v_lshl_add_u64 v[54:55], v[36:37], 3, s[30:31]
	;; [unrolled: 1-line block ×4, first 2 shown]
	s_clause 0x3
	global_load_b64 v[42:43], v[58:59], off offset:512
	global_load_b64 v[40:41], v[54:55], off offset:512
	;; [unrolled: 1-line block ×4, first 2 shown]
	s_wait_loadcnt 0x8
	v_dual_mov_b32 v38, v19 :: v_dual_mov_b32 v39, v18
	s_wait_xcnt 0x0
	s_and_saveexec_b32 s51, s3
	s_cbranch_execz .LBB104_17
; %bb.23:                               ;   in Loop: Header=BB104_20 Depth=2
	s_clause 0x3
	global_load_b64 v[52:53], v[58:59], off offset:1024
	global_load_b64 v[50:51], v[54:55], off offset:1024
	global_load_b64 v[48:49], v[56:57], off offset:1024
	global_load_b64 v[46:47], v[60:61], off offset:1024
	s_wait_xcnt 0x0
	s_and_saveexec_b32 s52, s4
	s_cbranch_execz .LBB104_16
; %bb.24:                               ;   in Loop: Header=BB104_20 Depth=2
	s_clause 0x3
	global_load_b64 v[78:79], v[58:59], off offset:1536
	global_load_b64 v[80:81], v[54:55], off offset:1536
	;; [unrolled: 1-line block ×4, first 2 shown]
	s_wait_loadcnt 0x3
	s_wait_xcnt 0x2
	v_dual_mul_f32 v54, v29, v79 :: v_dual_mul_f32 v55, v28, v79
	s_wait_loadcnt 0x2
	s_wait_xcnt 0x1
	v_dual_mul_f32 v56, v27, v81 :: v_dual_mul_f32 v57, v26, v81
	s_wait_loadcnt 0x1
	v_pk_mul_f32 v[58:59], v[44:45], v[82:83] op_sel:[0,1]
	v_dual_fma_f32 v54, v28, v78, -v54 :: v_dual_fmac_f32 v55, v29, v78
	s_delay_alu instid0(VALU_DEP_3) | instskip(SKIP_1) | instid1(VALU_DEP_3)
	v_dual_fma_f32 v56, v26, v80, -v56 :: v_dual_fmac_f32 v57, v27, v80
	s_wait_xcnt 0x0
	v_pk_fma_f32 v[60:61], v[20:21], v[82:83], v[58:59] op_sel_hi:[1,0,1]
	v_pk_fma_f32 v[58:59], v[20:21], v[82:83], v[58:59] neg_lo:[0,0,1] neg_hi:[0,0,1]
	v_pk_add_f32 v[12:13], v[12:13], v[54:55]
	s_wait_loadcnt 0x0
	v_pk_mul_f32 v[54:55], v[38:39], v[84:85] op_sel:[0,1]
	s_delay_alu instid0(VALU_DEP_2) | instskip(NEXT) | instid1(VALU_DEP_2)
	v_pk_add_f32 v[12:13], v[56:57], v[12:13]
	v_pk_fma_f32 v[56:57], v[18:19], v[84:85], v[54:55] op_sel_hi:[1,0,1]
	v_mov_b32_e32 v59, v61
	v_pk_fma_f32 v[54:55], v[18:19], v[84:85], v[54:55] neg_lo:[0,0,1] neg_hi:[0,0,1]
	s_delay_alu instid0(VALU_DEP_3) | instskip(NEXT) | instid1(VALU_DEP_3)
	v_mov_b32_e32 v55, v57
	v_pk_add_f32 v[12:13], v[58:59], v[12:13]
	s_delay_alu instid0(VALU_DEP_1)
	v_pk_add_f32 v[12:13], v[54:55], v[12:13]
	s_branch .LBB104_16
.LBB104_25:                             ;   in Loop: Header=BB104_6 Depth=1
	s_or_b32 exec_lo, exec_lo, s47
.LBB104_26:                             ;   in Loop: Header=BB104_6 Depth=1
	s_delay_alu instid0(SALU_CYCLE_1) | instskip(NEXT) | instid1(SALU_CYCLE_1)
	s_or_b32 exec_lo, exec_lo, s7
	s_and_not1_b32 vcc_lo, exec_lo, s44
	s_cbranch_vccnz .LBB104_44
; %bb.27:                               ;   in Loop: Header=BB104_6 Depth=1
	v_dual_mov_b32 v20, 0 :: v_dual_bitop2_b32 v26, 1, v62 bitop3:0x54
	v_cmp_gt_i32_e32 vcc_lo, s37, v62
	s_delay_alu instid0(VALU_DEP_2)
	v_dual_mov_b32 v21, v20 :: v_dual_mov_b32 v18, v20
	v_dual_mov_b32 v19, v20 :: v_dual_mov_b32 v22, v20
	;; [unrolled: 1-line block ×3, first 2 shown]
	v_mov_b32_e32 v25, v20
	s_and_saveexec_b32 s47, vcc_lo
	s_cbranch_execz .LBB104_35
; %bb.28:                               ;   in Loop: Header=BB104_6 Depth=1
	v_mul_lo_u32 v18, v62, s10
	v_dual_mov_b32 v23, 0 :: v_dual_mov_b32 v22, 0
	v_dual_mov_b32 v19, 0 :: v_dual_mov_b32 v21, 0
	v_mov_b32_e32 v20, 0
	s_mov_b32 s48, exec_lo
	global_load_b64 v[24:25], v18, s[40:41] scale_offset
	s_wait_xcnt 0x0
	v_mov_b32_e32 v18, 0
	v_cmpx_gt_i32_e64 s37, v26
	s_cbranch_execz .LBB104_34
; %bb.29:                               ;   in Loop: Header=BB104_6 Depth=1
	v_mul_lo_u32 v18, v26, s10
	v_dual_mov_b32 v19, 0 :: v_dual_bitop2_b32 v27, 2, v62 bitop3:0x54
	v_mov_b32_e32 v20, 0
	s_mov_b32 s49, exec_lo
	v_mov_b32_e32 v21, 0
	global_load_b64 v[22:23], v18, s[40:41] scale_offset
	s_wait_xcnt 0x0
	v_mov_b32_e32 v18, 0
	v_cmpx_gt_i32_e64 s37, v27
	s_cbranch_execz .LBB104_33
; %bb.30:                               ;   in Loop: Header=BB104_6 Depth=1
	v_mul_lo_u32 v18, v27, s10
	v_dual_mov_b32 v21, 0 :: v_dual_bitop2_b32 v27, 3, v62 bitop3:0x54
	v_mov_b32_e32 v20, 0
	s_mov_b32 s50, exec_lo
	global_load_b64 v[18:19], v18, s[40:41] scale_offset
	s_wait_xcnt 0x0
	v_cmpx_gt_i32_e64 s37, v27
	s_cbranch_execz .LBB104_32
; %bb.31:                               ;   in Loop: Header=BB104_6 Depth=1
	v_mul_lo_u32 v20, v27, s10
	global_load_b64 v[20:21], v20, s[40:41] scale_offset
.LBB104_32:                             ;   in Loop: Header=BB104_6 Depth=1
	s_wait_xcnt 0x0
	s_or_b32 exec_lo, exec_lo, s50
.LBB104_33:                             ;   in Loop: Header=BB104_6 Depth=1
	s_delay_alu instid0(SALU_CYCLE_1)
	s_or_b32 exec_lo, exec_lo, s49
.LBB104_34:                             ;   in Loop: Header=BB104_6 Depth=1
	s_delay_alu instid0(SALU_CYCLE_1)
	s_or_b32 exec_lo, exec_lo, s48
.LBB104_35:                             ;   in Loop: Header=BB104_6 Depth=1
	s_delay_alu instid0(SALU_CYCLE_1)
	s_or_b32 exec_lo, exec_lo, s47
	s_and_saveexec_b32 s7, s1
	s_cbranch_execz .LBB104_43
; %bb.36:                               ;   in Loop: Header=BB104_6 Depth=1
	v_mul_lo_u32 v28, v62, s33
	v_or_b32_e32 v27, 2, v62
	v_mul_lo_u32 v30, v26, s33
	s_wait_loadcnt 0x0
	v_dual_mov_b32 v40, v25 :: v_dual_mov_b32 v41, v24
	v_dual_mov_b32 v38, v23 :: v_dual_mov_b32 v39, v22
	;; [unrolled: 1-line block ×3, first 2 shown]
	v_dual_mov_b32 v33, v20 :: v_dual_cndmask_b32 v28, 0, v28
	v_mul_lo_u32 v31, v27, s33
	v_cmp_gt_i32_e32 vcc_lo, s37, v26
	v_cndmask_b32_e32 v26, 0, v30, vcc_lo
	v_cmp_gt_i32_e32 vcc_lo, s37, v27
	s_delay_alu instid0(VALU_DEP_4) | instskip(NEXT) | instid1(VALU_DEP_1)
	v_dual_cndmask_b32 v27, 0, v31, vcc_lo :: v_dual_bitop2_b32 v29, 3, v62 bitop3:0x54
	v_mul_lo_u32 v32, v29, s33
	v_cmp_gt_i32_e32 vcc_lo, s37, v29
	s_delay_alu instid0(VALU_DEP_2) | instskip(NEXT) | instid1(VALU_DEP_4)
	v_dual_cndmask_b32 v29, 0, v32 :: v_dual_add_nc_u32 v44, v28, v66
	v_dual_add_nc_u32 v46, v26, v66 :: v_dual_add_nc_u32 v48, v27, v66
	v_mov_b32_e32 v32, v21
	s_delay_alu instid0(VALU_DEP_3)
	v_add_nc_u32_e32 v42, v29, v66
	s_clause 0x3
	global_load_b64 v[34:35], v44, s[30:31] scale_offset
	global_load_b64 v[30:31], v46, s[30:31] scale_offset
	;; [unrolled: 1-line block ×4, first 2 shown]
	s_wait_xcnt 0x0
	s_and_saveexec_b32 s40, s2
	s_cbranch_execz .LBB104_42
; %bb.37:                               ;   in Loop: Header=BB104_6 Depth=1
	v_dual_ashrrev_i32 v45, 31, v44 :: v_dual_ashrrev_i32 v47, 31, v46
	v_dual_ashrrev_i32 v49, 31, v48 :: v_dual_ashrrev_i32 v43, 31, v42
	s_delay_alu instid0(VALU_DEP_2) | instskip(NEXT) | instid1(VALU_DEP_3)
	v_lshl_add_u64 v[60:61], v[44:45], 3, s[30:31]
	v_lshl_add_u64 v[58:59], v[46:47], 3, s[30:31]
	s_delay_alu instid0(VALU_DEP_3) | instskip(NEXT) | instid1(VALU_DEP_4)
	v_lshl_add_u64 v[62:63], v[48:49], 3, s[30:31]
	v_lshl_add_u64 v[64:65], v[42:43], 3, s[30:31]
	s_clause 0x3
	global_load_b64 v[48:49], v[60:61], off offset:512
	global_load_b64 v[46:47], v[58:59], off offset:512
	;; [unrolled: 1-line block ×4, first 2 shown]
	s_wait_xcnt 0x0
	s_and_saveexec_b32 s30, s3
	s_cbranch_execz .LBB104_41
; %bb.38:                               ;   in Loop: Header=BB104_6 Depth=1
	s_clause 0x3
	global_load_b64 v[56:57], v[60:61], off offset:1024
	global_load_b64 v[54:55], v[58:59], off offset:1024
	;; [unrolled: 1-line block ×4, first 2 shown]
	s_wait_xcnt 0x0
	s_and_saveexec_b32 s31, s4
	s_cbranch_execz .LBB104_40
; %bb.39:                               ;   in Loop: Header=BB104_6 Depth=1
	s_clause 0x3
	global_load_b64 v[78:79], v[60:61], off offset:1536
	global_load_b64 v[80:81], v[58:59], off offset:1536
	;; [unrolled: 1-line block ×4, first 2 shown]
	s_wait_loadcnt 0x3
	s_wait_xcnt 0x2
	v_pk_mul_f32 v[58:59], v[40:41], v[78:79] op_sel:[0,1]
	s_wait_loadcnt 0x2
	v_pk_mul_f32 v[60:61], v[38:39], v[80:81] op_sel:[0,1]
	s_wait_loadcnt 0x1
	s_wait_xcnt 0x0
	v_pk_mul_f32 v[64:65], v[36:37], v[82:83] op_sel:[0,1]
	v_pk_fma_f32 v[62:63], v[24:25], v[78:79], v[58:59] op_sel_hi:[1,0,1]
	v_pk_fma_f32 v[58:59], v[24:25], v[78:79], v[58:59] neg_lo:[0,0,1] neg_hi:[0,0,1]
	v_pk_fma_f32 v[78:79], v[22:23], v[80:81], v[60:61] op_sel_hi:[1,0,1]
	v_pk_fma_f32 v[60:61], v[22:23], v[80:81], v[60:61] neg_lo:[0,0,1] neg_hi:[0,0,1]
	s_delay_alu instid0(VALU_DEP_4) | instskip(SKIP_1) | instid1(VALU_DEP_4)
	v_mov_b32_e32 v59, v63
	v_pk_fma_f32 v[62:63], v[18:19], v[82:83], v[64:65] op_sel_hi:[1,0,1]
	v_mov_b32_e32 v61, v79
	v_pk_fma_f32 v[64:65], v[18:19], v[82:83], v[64:65] neg_lo:[0,0,1] neg_hi:[0,0,1]
	s_delay_alu instid0(VALU_DEP_4) | instskip(SKIP_2) | instid1(VALU_DEP_2)
	v_pk_add_f32 v[12:13], v[12:13], v[58:59]
	s_wait_loadcnt 0x0
	v_pk_mul_f32 v[58:59], v[32:33], v[84:85] op_sel:[0,1]
	v_pk_add_f32 v[12:13], v[60:61], v[12:13]
	s_delay_alu instid0(VALU_DEP_2) | instskip(SKIP_2) | instid1(VALU_DEP_3)
	v_pk_fma_f32 v[60:61], v[20:21], v[84:85], v[58:59] op_sel_hi:[1,0,1]
	v_mov_b32_e32 v65, v63
	v_pk_fma_f32 v[58:59], v[20:21], v[84:85], v[58:59] neg_lo:[0,0,1] neg_hi:[0,0,1]
	v_mov_b32_e32 v59, v61
	s_delay_alu instid0(VALU_DEP_3) | instskip(NEXT) | instid1(VALU_DEP_1)
	v_pk_add_f32 v[12:13], v[64:65], v[12:13]
	v_pk_add_f32 v[12:13], v[58:59], v[12:13]
.LBB104_40:                             ;   in Loop: Header=BB104_6 Depth=1
	s_or_b32 exec_lo, exec_lo, s31
	s_wait_loadcnt 0x3
	v_pk_mul_f32 v[58:59], v[40:41], v[56:57] op_sel:[0,1]
	s_wait_loadcnt 0x2
	v_pk_mul_f32 v[60:61], v[38:39], v[54:55] op_sel:[0,1]
	;; [unrolled: 2-line block ×3, first 2 shown]
	v_pk_fma_f32 v[62:63], v[24:25], v[56:57], v[58:59] op_sel_hi:[1,0,1]
	v_pk_fma_f32 v[56:57], v[24:25], v[56:57], v[58:59] neg_lo:[0,0,1] neg_hi:[0,0,1]
	v_pk_fma_f32 v[58:59], v[22:23], v[54:55], v[60:61] op_sel_hi:[1,0,1]
	v_pk_fma_f32 v[54:55], v[22:23], v[54:55], v[60:61] neg_lo:[0,0,1] neg_hi:[0,0,1]
	v_pk_fma_f32 v[60:61], v[18:19], v[52:53], v[64:65] op_sel_hi:[1,0,1]
	v_mov_b32_e32 v57, v63
	v_pk_fma_f32 v[52:53], v[18:19], v[52:53], v[64:65] neg_lo:[0,0,1] neg_hi:[0,0,1]
	v_mov_b32_e32 v55, v59
	s_delay_alu instid0(VALU_DEP_3) | instskip(SKIP_2) | instid1(VALU_DEP_2)
	v_pk_add_f32 v[14:15], v[14:15], v[56:57]
	s_wait_loadcnt 0x0
	v_pk_mul_f32 v[56:57], v[32:33], v[50:51] op_sel:[0,1]
	v_pk_add_f32 v[14:15], v[54:55], v[14:15]
	s_delay_alu instid0(VALU_DEP_2) | instskip(SKIP_2) | instid1(VALU_DEP_3)
	v_pk_fma_f32 v[54:55], v[20:21], v[50:51], v[56:57] op_sel_hi:[1,0,1]
	v_mov_b32_e32 v53, v61
	v_pk_fma_f32 v[50:51], v[20:21], v[50:51], v[56:57] neg_lo:[0,0,1] neg_hi:[0,0,1]
	v_mov_b32_e32 v51, v55
	s_delay_alu instid0(VALU_DEP_3) | instskip(NEXT) | instid1(VALU_DEP_1)
	v_pk_add_f32 v[14:15], v[52:53], v[14:15]
	v_pk_add_f32 v[14:15], v[50:51], v[14:15]
.LBB104_41:                             ;   in Loop: Header=BB104_6 Depth=1
	s_or_b32 exec_lo, exec_lo, s30
	s_wait_loadcnt 0x3
	v_pk_mul_f32 v[50:51], v[40:41], v[48:49] op_sel:[0,1]
	s_wait_loadcnt 0x2
	v_pk_mul_f32 v[52:53], v[38:39], v[46:47] op_sel:[0,1]
	;; [unrolled: 2-line block ×3, first 2 shown]
	v_pk_fma_f32 v[54:55], v[24:25], v[48:49], v[50:51] op_sel_hi:[1,0,1]
	v_pk_fma_f32 v[48:49], v[24:25], v[48:49], v[50:51] neg_lo:[0,0,1] neg_hi:[0,0,1]
	v_pk_fma_f32 v[50:51], v[22:23], v[46:47], v[52:53] op_sel_hi:[1,0,1]
	v_pk_fma_f32 v[46:47], v[22:23], v[46:47], v[52:53] neg_lo:[0,0,1] neg_hi:[0,0,1]
	v_pk_fma_f32 v[52:53], v[18:19], v[44:45], v[56:57] op_sel_hi:[1,0,1]
	v_mov_b32_e32 v49, v55
	v_pk_fma_f32 v[44:45], v[18:19], v[44:45], v[56:57] neg_lo:[0,0,1] neg_hi:[0,0,1]
	v_mov_b32_e32 v47, v51
	s_delay_alu instid0(VALU_DEP_3) | instskip(SKIP_2) | instid1(VALU_DEP_2)
	v_pk_add_f32 v[16:17], v[16:17], v[48:49]
	s_wait_loadcnt 0x0
	v_pk_mul_f32 v[48:49], v[32:33], v[42:43] op_sel:[0,1]
	v_pk_add_f32 v[16:17], v[46:47], v[16:17]
	s_delay_alu instid0(VALU_DEP_2) | instskip(SKIP_2) | instid1(VALU_DEP_3)
	v_pk_fma_f32 v[46:47], v[20:21], v[42:43], v[48:49] op_sel_hi:[1,0,1]
	v_mov_b32_e32 v45, v53
	v_pk_fma_f32 v[42:43], v[20:21], v[42:43], v[48:49] neg_lo:[0,0,1] neg_hi:[0,0,1]
	v_mov_b32_e32 v43, v47
	s_delay_alu instid0(VALU_DEP_3) | instskip(NEXT) | instid1(VALU_DEP_1)
	v_pk_add_f32 v[16:17], v[44:45], v[16:17]
	v_pk_add_f32 v[16:17], v[42:43], v[16:17]
.LBB104_42:                             ;   in Loop: Header=BB104_6 Depth=1
	s_or_b32 exec_lo, exec_lo, s40
	s_wait_loadcnt 0x3
	v_pk_mul_f32 v[40:41], v[40:41], v[34:35] op_sel:[0,1]
	s_wait_loadcnt 0x2
	v_pk_mul_f32 v[38:39], v[38:39], v[30:31] op_sel:[0,1]
	;; [unrolled: 2-line block ×3, first 2 shown]
	v_pk_fma_f32 v[42:43], v[24:25], v[34:35], v[40:41] op_sel_hi:[1,0,1]
	v_pk_fma_f32 v[24:25], v[24:25], v[34:35], v[40:41] neg_lo:[0,0,1] neg_hi:[0,0,1]
	v_pk_fma_f32 v[34:35], v[22:23], v[30:31], v[38:39] op_sel_hi:[1,0,1]
	v_pk_fma_f32 v[22:23], v[22:23], v[30:31], v[38:39] neg_lo:[0,0,1] neg_hi:[0,0,1]
	v_pk_fma_f32 v[30:31], v[18:19], v[28:29], v[36:37] op_sel_hi:[1,0,1]
	v_mov_b32_e32 v25, v43
	v_pk_fma_f32 v[18:19], v[18:19], v[28:29], v[36:37] neg_lo:[0,0,1] neg_hi:[0,0,1]
	v_mov_b32_e32 v23, v35
	s_delay_alu instid0(VALU_DEP_3) | instskip(SKIP_2) | instid1(VALU_DEP_2)
	v_pk_add_f32 v[10:11], v[10:11], v[24:25]
	s_wait_loadcnt 0x0
	v_pk_mul_f32 v[24:25], v[32:33], v[26:27] op_sel:[0,1]
	v_pk_add_f32 v[10:11], v[22:23], v[10:11]
	s_delay_alu instid0(VALU_DEP_2) | instskip(SKIP_2) | instid1(VALU_DEP_3)
	v_pk_fma_f32 v[22:23], v[20:21], v[26:27], v[24:25] op_sel_hi:[1,0,1]
	v_mov_b32_e32 v19, v31
	v_pk_fma_f32 v[20:21], v[20:21], v[26:27], v[24:25] neg_lo:[0,0,1] neg_hi:[0,0,1]
	v_mov_b32_e32 v21, v23
	s_delay_alu instid0(VALU_DEP_3) | instskip(NEXT) | instid1(VALU_DEP_1)
	v_pk_add_f32 v[10:11], v[18:19], v[10:11]
	v_pk_add_f32 v[10:11], v[20:21], v[10:11]
.LBB104_43:                             ;   in Loop: Header=BB104_6 Depth=1
	s_or_b32 exec_lo, exec_lo, s7
.LBB104_44:                             ;   in Loop: Header=BB104_6 Depth=1
	ds_store_2addr_stride64_b64 v67, v[10:11], v[16:17] offset1:1
	ds_store_2addr_stride64_b64 v67, v[14:15], v[12:13] offset0:2 offset1:3
	s_wait_storecnt 0x0
	s_wait_loadcnt_dscnt 0x0
	s_barrier_signal -1
	s_barrier_wait -1
	s_and_saveexec_b32 s30, s5
	s_cbranch_execz .LBB104_4
; %bb.45:                               ;   in Loop: Header=BB104_6 Depth=1
	ds_load_2addr_stride64_b64 v[10:13], v73 offset1:4
	ds_load_2addr_stride64_b64 v[14:17], v73 offset0:8 offset1:12
	s_wait_dscnt 0x1
	v_pk_add_f32 v[10:11], v[10:11], v[12:13]
	s_wait_dscnt 0x0
	s_delay_alu instid0(VALU_DEP_1) | instskip(NEXT) | instid1(VALU_DEP_1)
	v_pk_add_f32 v[10:11], v[10:11], v[14:15]
	v_pk_add_f32 v[12:13], v[10:11], v[16:17]
	ds_store_b64 v73, v[12:13]
	s_and_b32 exec_lo, exec_lo, s6
	s_cbranch_execz .LBB104_4
; %bb.46:                               ;   in Loop: Header=BB104_6 Depth=1
	v_pk_mul_f32 v[14:15], v[12:13], v[8:9] op_sel:[1,1] op_sel_hi:[1,0]
	v_cmp_neq_f32_e32 vcc_lo, 0, v6
	v_cmp_neq_f32_e64 s7, 0, v7
	s_delay_alu instid0(VALU_DEP_3) | instskip(SKIP_3) | instid1(SALU_CYCLE_1)
	v_pk_fma_f32 v[10:11], v[12:13], v[8:9], v[14:15] op_sel_hi:[0,1,1] neg_lo:[0,0,1] neg_hi:[0,0,1]
	v_pk_fma_f32 v[12:13], v[12:13], v[8:9], v[14:15] op_sel_hi:[0,1,1]
	v_lshl_add_u64 v[8:9], v[4:5], 3, s[8:9]
	s_or_b32 s7, vcc_lo, s7
	s_and_not1_b32 vcc_lo, exec_lo, s7
	s_cbranch_vccnz .LBB104_3
; %bb.47:                               ;   in Loop: Header=BB104_6 Depth=1
	global_load_b64 v[14:15], v[8:9], off
	s_wait_loadcnt 0x0
	v_pk_mul_f32 v[16:17], v[6:7], v[14:15] op_sel:[1,1] op_sel_hi:[0,1]
	s_delay_alu instid0(VALU_DEP_1) | instskip(SKIP_1) | instid1(VALU_DEP_2)
	v_pk_fma_f32 v[18:19], v[6:7], v[14:15], v[16:17] op_sel_hi:[1,0,1]
	v_pk_fma_f32 v[6:7], v[6:7], v[14:15], v[16:17] neg_lo:[0,0,1] neg_hi:[0,0,1]
	v_dual_mov_b32 v11, v13 :: v_dual_mov_b32 v7, v19
	s_delay_alu instid0(VALU_DEP_1) | instskip(NEXT) | instid1(VALU_DEP_1)
	v_pk_add_f32 v[10:11], v[10:11], v[6:7]
	v_mov_b32_e32 v13, v11
	s_branch .LBB104_3
.LBB104_48:
	s_sendmsg sendmsg(MSG_DEALLOC_VGPRS)
	s_endpgm
	.section	.rodata,"a",@progbits
	.p2align	6, 0x0
	.amdhsa_kernel _ZL20rocblas_gemvn_kernelILi64ELi4Ei19rocblas_complex_numIfEPKS1_S1_EviiT3_lPKT2_lT1_lS7_lS8_lS4_lPT4_lS8_li
		.amdhsa_group_segment_fixed_size 8192
		.amdhsa_private_segment_fixed_size 0
		.amdhsa_kernarg_size 400
		.amdhsa_user_sgpr_count 2
		.amdhsa_user_sgpr_dispatch_ptr 0
		.amdhsa_user_sgpr_queue_ptr 0
		.amdhsa_user_sgpr_kernarg_segment_ptr 1
		.amdhsa_user_sgpr_dispatch_id 0
		.amdhsa_user_sgpr_kernarg_preload_length 0
		.amdhsa_user_sgpr_kernarg_preload_offset 0
		.amdhsa_user_sgpr_private_segment_size 0
		.amdhsa_wavefront_size32 1
		.amdhsa_uses_dynamic_stack 0
		.amdhsa_enable_private_segment 0
		.amdhsa_system_sgpr_workgroup_id_x 1
		.amdhsa_system_sgpr_workgroup_id_y 0
		.amdhsa_system_sgpr_workgroup_id_z 1
		.amdhsa_system_sgpr_workgroup_info 0
		.amdhsa_system_vgpr_workitem_id 1
		.amdhsa_next_free_vgpr 86
		.amdhsa_next_free_sgpr 53
		.amdhsa_named_barrier_count 0
		.amdhsa_reserve_vcc 1
		.amdhsa_float_round_mode_32 0
		.amdhsa_float_round_mode_16_64 0
		.amdhsa_float_denorm_mode_32 3
		.amdhsa_float_denorm_mode_16_64 3
		.amdhsa_fp16_overflow 0
		.amdhsa_memory_ordered 1
		.amdhsa_forward_progress 1
		.amdhsa_inst_pref_size 31
		.amdhsa_round_robin_scheduling 0
		.amdhsa_exception_fp_ieee_invalid_op 0
		.amdhsa_exception_fp_denorm_src 0
		.amdhsa_exception_fp_ieee_div_zero 0
		.amdhsa_exception_fp_ieee_overflow 0
		.amdhsa_exception_fp_ieee_underflow 0
		.amdhsa_exception_fp_ieee_inexact 0
		.amdhsa_exception_int_div_zero 0
	.end_amdhsa_kernel
	.section	.text._ZL20rocblas_gemvn_kernelILi64ELi4Ei19rocblas_complex_numIfEPKS1_S1_EviiT3_lPKT2_lT1_lS7_lS8_lS4_lPT4_lS8_li,"axG",@progbits,_ZL20rocblas_gemvn_kernelILi64ELi4Ei19rocblas_complex_numIfEPKS1_S1_EviiT3_lPKT2_lT1_lS7_lS8_lS4_lPT4_lS8_li,comdat
.Lfunc_end104:
	.size	_ZL20rocblas_gemvn_kernelILi64ELi4Ei19rocblas_complex_numIfEPKS1_S1_EviiT3_lPKT2_lT1_lS7_lS8_lS4_lPT4_lS8_li, .Lfunc_end104-_ZL20rocblas_gemvn_kernelILi64ELi4Ei19rocblas_complex_numIfEPKS1_S1_EviiT3_lPKT2_lT1_lS7_lS8_lS4_lPT4_lS8_li
                                        ; -- End function
	.set _ZL20rocblas_gemvn_kernelILi64ELi4Ei19rocblas_complex_numIfEPKS1_S1_EviiT3_lPKT2_lT1_lS7_lS8_lS4_lPT4_lS8_li.num_vgpr, 86
	.set _ZL20rocblas_gemvn_kernelILi64ELi4Ei19rocblas_complex_numIfEPKS1_S1_EviiT3_lPKT2_lT1_lS7_lS8_lS4_lPT4_lS8_li.num_agpr, 0
	.set _ZL20rocblas_gemvn_kernelILi64ELi4Ei19rocblas_complex_numIfEPKS1_S1_EviiT3_lPKT2_lT1_lS7_lS8_lS4_lPT4_lS8_li.numbered_sgpr, 53
	.set _ZL20rocblas_gemvn_kernelILi64ELi4Ei19rocblas_complex_numIfEPKS1_S1_EviiT3_lPKT2_lT1_lS7_lS8_lS4_lPT4_lS8_li.num_named_barrier, 0
	.set _ZL20rocblas_gemvn_kernelILi64ELi4Ei19rocblas_complex_numIfEPKS1_S1_EviiT3_lPKT2_lT1_lS7_lS8_lS4_lPT4_lS8_li.private_seg_size, 0
	.set _ZL20rocblas_gemvn_kernelILi64ELi4Ei19rocblas_complex_numIfEPKS1_S1_EviiT3_lPKT2_lT1_lS7_lS8_lS4_lPT4_lS8_li.uses_vcc, 1
	.set _ZL20rocblas_gemvn_kernelILi64ELi4Ei19rocblas_complex_numIfEPKS1_S1_EviiT3_lPKT2_lT1_lS7_lS8_lS4_lPT4_lS8_li.uses_flat_scratch, 0
	.set _ZL20rocblas_gemvn_kernelILi64ELi4Ei19rocblas_complex_numIfEPKS1_S1_EviiT3_lPKT2_lT1_lS7_lS8_lS4_lPT4_lS8_li.has_dyn_sized_stack, 0
	.set _ZL20rocblas_gemvn_kernelILi64ELi4Ei19rocblas_complex_numIfEPKS1_S1_EviiT3_lPKT2_lT1_lS7_lS8_lS4_lPT4_lS8_li.has_recursion, 0
	.set _ZL20rocblas_gemvn_kernelILi64ELi4Ei19rocblas_complex_numIfEPKS1_S1_EviiT3_lPKT2_lT1_lS7_lS8_lS4_lPT4_lS8_li.has_indirect_call, 0
	.section	.AMDGPU.csdata,"",@progbits
; Kernel info:
; codeLenInByte = 3952
; TotalNumSgprs: 55
; NumVgprs: 86
; ScratchSize: 0
; MemoryBound: 0
; FloatMode: 240
; IeeeMode: 1
; LDSByteSize: 8192 bytes/workgroup (compile time only)
; SGPRBlocks: 0
; VGPRBlocks: 5
; NumSGPRsForWavesPerEU: 55
; NumVGPRsForWavesPerEU: 86
; NamedBarCnt: 0
; Occupancy: 10
; WaveLimiterHint : 1
; COMPUTE_PGM_RSRC2:SCRATCH_EN: 0
; COMPUTE_PGM_RSRC2:USER_SGPR: 2
; COMPUTE_PGM_RSRC2:TRAP_HANDLER: 0
; COMPUTE_PGM_RSRC2:TGID_X_EN: 1
; COMPUTE_PGM_RSRC2:TGID_Y_EN: 0
; COMPUTE_PGM_RSRC2:TGID_Z_EN: 1
; COMPUTE_PGM_RSRC2:TIDIG_COMP_CNT: 1
	.section	.text._ZL20rocblas_gemvn_kernelILi64ELi4El19rocblas_complex_numIfEPKS1_S1_EviiT3_lPKT2_lT1_lS7_lS8_lS4_lPT4_lS8_li,"axG",@progbits,_ZL20rocblas_gemvn_kernelILi64ELi4El19rocblas_complex_numIfEPKS1_S1_EviiT3_lPKT2_lT1_lS7_lS8_lS4_lPT4_lS8_li,comdat
	.globl	_ZL20rocblas_gemvn_kernelILi64ELi4El19rocblas_complex_numIfEPKS1_S1_EviiT3_lPKT2_lT1_lS7_lS8_lS4_lPT4_lS8_li ; -- Begin function _ZL20rocblas_gemvn_kernelILi64ELi4El19rocblas_complex_numIfEPKS1_S1_EviiT3_lPKT2_lT1_lS7_lS8_lS4_lPT4_lS8_li
	.p2align	8
	.type	_ZL20rocblas_gemvn_kernelILi64ELi4El19rocblas_complex_numIfEPKS1_S1_EviiT3_lPKT2_lT1_lS7_lS8_lS4_lPT4_lS8_li,@function
_ZL20rocblas_gemvn_kernelILi64ELi4El19rocblas_complex_numIfEPKS1_S1_EviiT3_lPKT2_lT1_lS7_lS8_lS4_lPT4_lS8_li: ; @_ZL20rocblas_gemvn_kernelILi64ELi4El19rocblas_complex_numIfEPKS1_S1_EviiT3_lPKT2_lT1_lS7_lS8_lS4_lPT4_lS8_li
; %bb.0:
	s_load_b64 s[2:3], s[0:1], 0x9c
	s_wait_kmcnt 0x0
	s_lshr_b32 s4, s2, 16
	s_and_b32 s2, s2, 0xffff
	s_and_b32 s3, s3, 0xffff
	s_mul_i32 s2, s4, s2
	s_delay_alu instid0(SALU_CYCLE_1) | instskip(NEXT) | instid1(SALU_CYCLE_1)
	s_mul_i32 s2, s2, s3
	s_cmp_lg_u32 s2, 0x100
	s_cbranch_scc1 .LBB105_48
; %bb.1:
	s_load_b32 s33, s[0:1], 0x88
	s_bfe_u32 s2, ttmp6, 0x40014
	s_lshr_b32 s3, ttmp7, 16
	s_add_co_i32 s2, s2, 1
	s_bfe_u32 s5, ttmp6, 0x40008
	s_mul_i32 s4, s3, s2
	s_getreg_b32 s2, hwreg(HW_REG_IB_STS2, 6, 4)
	s_add_co_i32 s5, s5, s4
	s_cmp_eq_u32 s2, 0
	s_mov_b32 s11, 0
	s_cselect_b32 s10, s3, s5
	s_wait_kmcnt 0x0
	s_cmp_ge_u32 s10, s33
	s_cbranch_scc1 .LBB105_48
; %bb.2:
	s_clause 0x2
	s_load_b512 s[12:27], s[0:1], 0x8
	s_load_b512 s[36:51], s[0:1], 0x48
	s_load_b64 s[28:29], s[0:1], 0x0
	s_wait_xcnt 0x0
	s_bfe_u32 s0, ttmp6, 0x4000c
	v_and_b32_e32 v24, 0x3ff, v0
	s_add_co_i32 s0, s0, 1
	v_bfe_u32 v4, v0, 10, 10
	s_and_b32 s1, ttmp6, 15
	s_mul_i32 s0, ttmp9, s0
	v_mov_b32_e32 v1, 0
	s_add_co_i32 s1, s1, s0
	v_lshl_add_u32 v10, v4, 6, v24
	v_lshlrev_b32_e32 v96, 2, v4
	s_delay_alu instid0(VALU_DEP_3) | instskip(NEXT) | instid1(VALU_DEP_1)
	v_dual_mov_b32 v5, v1 :: v_dual_lshlrev_b32 v2, 3, v24
	v_lshl_add_u32 v97, v4, 11, v2
	v_lshl_add_u32 v98, v4, 9, v2
	s_wait_kmcnt 0x0
	s_lshl_b64 s[4:5], s[18:19], 3
	s_lshl_b64 s[18:19], s[26:27], 3
	;; [unrolled: 1-line block ×3, first 2 shown]
	s_cmp_eq_u32 s2, 0
	s_mov_b32 s2, s28
	s_cselect_b32 s0, ttmp9, s1
	s_ashr_i32 s3, s28, 31
	s_lshl_b32 s1, s0, 8
	v_cmp_gt_u32_e64 s0, 0x100, v10
	v_dual_add_nc_u32 v0, s1, v10 :: v_dual_bitop2_b32 v10, s1, v10 bitop3:0x54
	v_mul_u64_e32 v[6:7], s[36:37], v[4:5]
	v_mul_u64_e32 v[8:9], s[20:21], v[4:5]
	v_mad_nc_u64_u32 v[20:21], s36, v96, s[36:37]
	s_delay_alu instid0(VALU_DEP_4)
	v_cmp_gt_i64_e32 vcc_lo, s[2:3], v[0:1]
	v_mul_u64_e32 v[2:3], s[48:49], v[0:1]
	v_dual_ashrrev_i32 v11, 31, v10 :: v_dual_bitop2_b32 v0, 3, v96 bitop3:0x54
	v_mad_nc_u64_u32 v[22:23], s20, v96, s[20:21]
	s_ashr_i32 s2, s29, 31
	v_or_b32_e32 v24, s1, v24
	s_delay_alu instid0(VALU_DEP_3)
	v_mul_u64_e32 v[12:13], s[20:21], v[0:1]
	v_mul_u64_e32 v[14:15], s[36:37], v[0:1]
	v_or_b32_e32 v0, 2, v96
	v_mul_u64_e32 v[4:5], s[48:49], v[10:11]
	s_lshr_b32 s2, s2, 28
	v_mad_u32 v21, s37, v96, v21
	s_add_co_i32 s2, s29, s2
	v_mul_u64_e32 v[16:17], s[20:21], v[0:1]
	v_mul_u64_e32 v[18:19], s[36:37], v[0:1]
	s_and_b32 s52, s2, -16
	v_mad_u32 v23, s21, v96, v23
	s_sub_co_i32 s3, s29, s52
	v_dual_ashrrev_i32 v25, 31, v24 :: v_dual_add_nc_u32 v0, 64, v24
	s_cmp_gt_i32 s3, 0
	v_cmp_gt_i32_e64 s3, s28, v10
	v_add_nc_u32_e32 v28, 0x80, v24
	v_add_nc_u32_e32 v29, 0xc0, v24
	s_add_nc_u64 s[16:17], s[16:17], s[4:5]
	s_add_nc_u64 s[30:31], s[44:45], s[6:7]
	v_cmp_gt_i32_e64 s1, s52, v96
	v_cmp_gt_i32_e64 s2, s28, v24
	v_lshlrev_b64_e32 v[10:11], 5, v[6:7]
	v_lshlrev_b64_e32 v[26:27], 5, v[8:9]
	;; [unrolled: 1-line block ×3, first 2 shown]
	v_cmp_gt_i32_e64 s4, s28, v0
	v_cmp_gt_i32_e64 s5, s28, v28
	;; [unrolled: 1-line block ×3, first 2 shown]
	v_lshl_add_u64 v[20:21], v[20:21], 3, s[24:25]
	v_add_nc_u64_e32 v[8:9], s[24:25], v[10:11]
	v_add_nc_u64_e32 v[10:11], s[16:17], v[26:27]
	v_lshl_add_u64 v[22:23], v[22:23], 3, s[16:17]
	v_lshl_add_u64 v[12:13], v[12:13], 3, s[16:17]
	;; [unrolled: 1-line block ×3, first 2 shown]
	s_add_nc_u64 s[26:27], s[24:25], s[18:19]
	s_cselect_b32 s53, -1, 0
	s_lshl_b64 s[34:35], s[38:39], 3
	s_and_b32 s28, s0, vcc_lo
	s_lshl_b64 s[44:45], s[22:23], 3
	v_lshl_add_u64 v[16:17], v[16:17], 3, s[16:17]
	v_lshl_add_u64 v[18:19], v[18:19], 3, s[24:25]
	s_lshl_b64 s[24:25], s[36:37], 7
	s_lshl_b64 s[46:47], s[20:21], 7
	s_branch .LBB105_6
.LBB105_3:                              ;   in Loop: Header=BB105_6 Depth=1
	s_delay_alu instid0(VALU_DEP_1)
	v_mov_b32_e32 v29, v31
	global_store_b64 v[26:27], v[28:29], off
.LBB105_4:                              ;   in Loop: Header=BB105_6 Depth=1
	s_wait_xcnt 0x0
	s_or_b32 exec_lo, exec_lo, s8
.LBB105_5:                              ;   in Loop: Header=BB105_6 Depth=1
	s_add_co_i32 s10, s10, 0x10000
	s_delay_alu instid0(SALU_CYCLE_1)
	s_cmp_lt_u32 s10, s33
	s_cbranch_scc0 .LBB105_48
.LBB105_6:                              ; =>This Loop Header: Depth=1
                                        ;     Child Loop BB105_20 Depth 2
	s_mul_u64 s[8:9], s[14:15], s[10:11]
	s_wait_xcnt 0x0
	s_mul_u64 s[48:49], s[42:43], s[10:11]
	s_lshl_b64 s[8:9], s[8:9], 3
	s_lshl_b64 s[48:49], s[48:49], 3
	s_add_nc_u64 s[8:9], s[12:13], s[8:9]
	s_add_nc_u64 s[48:49], s[40:41], s[48:49]
	s_clause 0x1
	global_load_b64 v[26:27], v1, s[8:9]
	global_load_b64 v[24:25], v1, s[48:49]
	s_wait_loadcnt 0x1
	v_cmp_eq_f32_e32 vcc_lo, 0, v26
	v_cmp_eq_f32_e64 s7, 0, v27
	s_wait_loadcnt 0x0
	s_wait_xcnt 0x1
	v_cmp_eq_f32_e64 s8, 1.0, v24
	v_cmp_eq_f32_e64 s9, 0, v25
	s_and_b32 s7, vcc_lo, s7
	s_and_b32 s8, s8, s9
	s_delay_alu instid0(SALU_CYCLE_1) | instskip(NEXT) | instid1(SALU_CYCLE_1)
	s_and_b32 s7, s7, s8
	s_and_b32 vcc_lo, exec_lo, s7
	s_cbranch_vccnz .LBB105_5
; %bb.7:                                ;   in Loop: Header=BB105_6 Depth=1
	v_or_b32_e32 v0, v26, v27
	s_mul_u64 s[8:9], s[50:51], s[10:11]
	s_mov_b32 s7, -1
	s_lshl_b64 s[8:9], s[8:9], 3
	s_wait_xcnt 0x0
	s_add_nc_u64 s[48:49], s[30:31], s[8:9]
	v_and_b32_e32 v0, 0x7fffffff, v0
	s_delay_alu instid0(VALU_DEP_1)
	v_cmp_ne_u32_e32 vcc_lo, 0, v0
	s_cbranch_vccnz .LBB105_13
; %bb.8:                                ;   in Loop: Header=BB105_6 Depth=1
	s_and_saveexec_b32 s8, s28
	s_cbranch_execz .LBB105_12
; %bb.9:                                ;   in Loop: Header=BB105_6 Depth=1
	v_cmp_neq_f32_e32 vcc_lo, 0, v24
	v_cmp_neq_f32_e64 s7, 0, v25
	v_dual_mov_b32 v30, 0 :: v_dual_mov_b32 v31, 0
	v_lshl_add_u64 v[28:29], v[2:3], 3, s[48:49]
	s_or_b32 s7, vcc_lo, s7
	s_delay_alu instid0(SALU_CYCLE_1)
	s_and_not1_b32 vcc_lo, exec_lo, s7
	s_cbranch_vccnz .LBB105_11
; %bb.10:                               ;   in Loop: Header=BB105_6 Depth=1
	global_load_b64 v[30:31], v[28:29], off
	s_wait_loadcnt 0x0
	v_pk_mul_f32 v[32:33], v[24:25], v[30:31] op_sel:[1,1] op_sel_hi:[0,1]
	s_delay_alu instid0(VALU_DEP_1) | instskip(SKIP_1) | instid1(VALU_DEP_2)
	v_pk_fma_f32 v[34:35], v[24:25], v[30:31], v[32:33] op_sel_hi:[1,0,1]
	v_pk_fma_f32 v[30:31], v[24:25], v[30:31], v[32:33] neg_lo:[0,0,1] neg_hi:[0,0,1]
	v_mov_b32_e32 v31, v35
.LBB105_11:                             ;   in Loop: Header=BB105_6 Depth=1
	global_store_b64 v[28:29], v[30:31], off
.LBB105_12:                             ;   in Loop: Header=BB105_6 Depth=1
	s_wait_xcnt 0x0
	s_or_b32 exec_lo, exec_lo, s8
	s_mov_b32 s7, 0
.LBB105_13:                             ;   in Loop: Header=BB105_6 Depth=1
	s_delay_alu instid0(SALU_CYCLE_1)
	s_and_not1_b32 vcc_lo, exec_lo, s7
	s_cbranch_vccnz .LBB105_5
; %bb.14:                               ;   in Loop: Header=BB105_6 Depth=1
	v_mov_b64_e32 v[30:31], 0
	v_mov_b64_e32 v[32:33], 0
	;; [unrolled: 1-line block ×4, first 2 shown]
	v_mov_b32_e32 v0, v96
	s_and_saveexec_b32 s7, s1
	s_cbranch_execz .LBB105_26
; %bb.15:                               ;   in Loop: Header=BB105_6 Depth=1
	s_mul_u64 s[8:9], s[34:35], s[10:11]
	s_mul_u64 s[54:55], s[44:45], s[10:11]
	v_add_nc_u64_e32 v[36:37], s[8:9], v[8:9]
	v_add_nc_u64_e32 v[38:39], s[54:55], v[12:13]
	;; [unrolled: 1-line block ×8, first 2 shown]
	v_mov_b64_e32 v[28:29], 0
	v_mov_b64_e32 v[34:35], 0
	;; [unrolled: 1-line block ×4, first 2 shown]
	v_mov_b32_e32 v0, v96
	s_mov_b32 s8, 0
	s_branch .LBB105_20
.LBB105_16:                             ;   in Loop: Header=BB105_20 Depth=2
	s_or_b32 exec_lo, exec_lo, s56
	s_wait_loadcnt 0x3
	v_dual_mul_f32 v88, v61, v87 :: v_dual_mul_f32 v89, v60, v87
	s_wait_loadcnt 0x2
	v_dual_mul_f32 v92, v63, v85 :: v_dual_mul_f32 v87, v62, v85
	s_wait_loadcnt 0x1
	v_pk_mul_f32 v[90:91], v[78:79], v[82:83] op_sel:[0,1]
	v_dual_fma_f32 v88, v60, v86, -v88 :: v_dual_fmac_f32 v89, v61, v86
	s_delay_alu instid0(VALU_DEP_3) | instskip(NEXT) | instid1(VALU_DEP_3)
	v_dual_fma_f32 v86, v62, v84, -v92 :: v_dual_fmac_f32 v87, v63, v84
	v_pk_fma_f32 v[84:85], v[54:55], v[82:83], v[90:91] op_sel_hi:[1,0,1]
	v_pk_fma_f32 v[82:83], v[54:55], v[82:83], v[90:91] neg_lo:[0,0,1] neg_hi:[0,0,1]
	s_delay_alu instid0(VALU_DEP_4) | instskip(SKIP_3) | instid1(VALU_DEP_3)
	v_pk_add_f32 v[32:33], v[32:33], v[88:89]
	s_wait_loadcnt 0x0
	v_pk_mul_f32 v[88:89], v[72:73], v[80:81] op_sel:[0,1]
	v_mov_b32_e32 v83, v85
	v_pk_add_f32 v[32:33], v[86:87], v[32:33]
	s_delay_alu instid0(VALU_DEP_3) | instskip(SKIP_1) | instid1(VALU_DEP_2)
	v_pk_fma_f32 v[84:85], v[52:53], v[80:81], v[88:89] op_sel_hi:[1,0,1]
	v_pk_fma_f32 v[80:81], v[52:53], v[80:81], v[88:89] neg_lo:[0,0,1] neg_hi:[0,0,1]
	v_mov_b32_e32 v81, v85
	s_delay_alu instid0(VALU_DEP_4) | instskip(NEXT) | instid1(VALU_DEP_1)
	v_pk_add_f32 v[32:33], v[82:83], v[32:33]
	v_pk_add_f32 v[32:33], v[80:81], v[32:33]
.LBB105_17:                             ;   in Loop: Header=BB105_20 Depth=2
	s_or_b32 exec_lo, exec_lo, s55
	s_wait_loadcnt 0x3
	v_dual_mul_f32 v80, v61, v77 :: v_dual_mul_f32 v81, v60, v77
	s_wait_loadcnt 0x2
	v_dual_mul_f32 v82, v63, v75 :: v_dual_mul_f32 v77, v62, v75
	s_wait_loadcnt 0x1
	v_pk_mul_f32 v[78:79], v[78:79], v[70:71] op_sel:[0,1]
	v_dual_fma_f32 v80, v60, v76, -v80 :: v_dual_fmac_f32 v81, v61, v76
	s_delay_alu instid0(VALU_DEP_3) | instskip(NEXT) | instid1(VALU_DEP_3)
	v_dual_fma_f32 v76, v62, v74, -v82 :: v_dual_fmac_f32 v77, v63, v74
	v_pk_fma_f32 v[74:75], v[54:55], v[70:71], v[78:79] op_sel_hi:[1,0,1]
	s_wait_loadcnt 0x0
	v_pk_mul_f32 v[72:73], v[72:73], v[68:69] op_sel:[0,1]
	v_pk_add_f32 v[34:35], v[34:35], v[80:81]
	v_pk_fma_f32 v[70:71], v[54:55], v[70:71], v[78:79] neg_lo:[0,0,1] neg_hi:[0,0,1]
	v_mov_b32_e32 v71, v75
	s_delay_alu instid0(VALU_DEP_4) | instskip(NEXT) | instid1(VALU_DEP_4)
	v_pk_fma_f32 v[74:75], v[52:53], v[68:69], v[72:73] op_sel_hi:[1,0,1]
	v_pk_add_f32 v[34:35], v[76:77], v[34:35]
	v_pk_fma_f32 v[68:69], v[52:53], v[68:69], v[72:73] neg_lo:[0,0,1] neg_hi:[0,0,1]
	s_delay_alu instid0(VALU_DEP_3) | instskip(NEXT) | instid1(VALU_DEP_3)
	v_mov_b32_e32 v69, v75
	v_pk_add_f32 v[34:35], v[70:71], v[34:35]
	s_delay_alu instid0(VALU_DEP_1)
	v_pk_add_f32 v[34:35], v[68:69], v[34:35]
.LBB105_18:                             ;   in Loop: Header=BB105_20 Depth=2
	s_or_b32 exec_lo, exec_lo, s54
	s_wait_loadcnt 0x3
	v_dual_mul_f32 v68, v61, v67 :: v_dual_mul_f32 v69, v60, v67
	s_wait_loadcnt 0x2
	v_dual_mul_f32 v72, v63, v65 :: v_dual_mul_f32 v67, v62, v65
	s_wait_loadcnt 0x1
	v_pk_mul_f32 v[70:71], v[54:55], v[58:59] op_sel:[1,1] op_sel_hi:[0,1]
	v_dual_fma_f32 v68, v60, v66, -v68 :: v_dual_fmac_f32 v69, v61, v66
	s_delay_alu instid0(VALU_DEP_3) | instskip(NEXT) | instid1(VALU_DEP_3)
	v_dual_fma_f32 v66, v62, v64, -v72 :: v_dual_fmac_f32 v67, v63, v64
	v_pk_fma_f32 v[60:61], v[54:55], v[58:59], v[70:71] op_sel_hi:[1,0,1]
	s_wait_loadcnt 0x0
	v_pk_mul_f32 v[62:63], v[52:53], v[56:57] op_sel:[1,1] op_sel_hi:[0,1]
	v_pk_add_f32 v[28:29], v[28:29], v[68:69]
	v_pk_fma_f32 v[54:55], v[54:55], v[58:59], v[70:71] neg_lo:[0,0,1] neg_hi:[0,0,1]
	s_delay_alu instid0(VALU_DEP_3) | instskip(SKIP_1) | instid1(VALU_DEP_4)
	v_pk_fma_f32 v[58:59], v[52:53], v[56:57], v[62:63] op_sel_hi:[1,0,1]
	v_mov_b32_e32 v55, v61
	v_pk_add_f32 v[28:29], v[66:67], v[28:29]
	v_pk_fma_f32 v[52:53], v[52:53], v[56:57], v[62:63] neg_lo:[0,0,1] neg_hi:[0,0,1]
	s_delay_alu instid0(VALU_DEP_4) | instskip(NEXT) | instid1(VALU_DEP_3)
	v_mov_b32_e32 v53, v59
	v_pk_add_f32 v[28:29], v[54:55], v[28:29]
	s_delay_alu instid0(VALU_DEP_1)
	v_pk_add_f32 v[28:29], v[52:53], v[28:29]
.LBB105_19:                             ;   in Loop: Header=BB105_20 Depth=2
	s_or_b32 exec_lo, exec_lo, s9
	v_add_nc_u32_e32 v0, 16, v0
	v_add_nc_u64_e32 v[36:37], s[24:25], v[36:37]
	v_add_nc_u64_e32 v[38:39], s[46:47], v[38:39]
	;; [unrolled: 1-line block ×7, first 2 shown]
	v_cmp_le_i32_e32 vcc_lo, s52, v0
	v_add_nc_u64_e32 v[50:51], s[46:47], v[50:51]
	s_or_b32 s8, vcc_lo, s8
	s_delay_alu instid0(SALU_CYCLE_1)
	s_and_not1_b32 exec_lo, exec_lo, s8
	s_cbranch_execz .LBB105_25
.LBB105_20:                             ;   Parent Loop BB105_6 Depth=1
                                        ; =>  This Inner Loop Header: Depth=2
	s_and_saveexec_b32 s9, s2
	s_cbranch_execz .LBB105_19
; %bb.21:                               ;   in Loop: Header=BB105_20 Depth=2
	v_add_nc_u64_e32 v[52:53], s[18:19], v[36:37]
	v_add_nc_u64_e32 v[54:55], s[18:19], v[48:49]
	;; [unrolled: 1-line block ×8, first 2 shown]
	global_load_b64 v[60:61], v[52:53], off
	global_load_b64 v[62:63], v[54:55], off
	global_load_b64 v[54:55], v[56:57], off
	global_load_b64 v[52:53], v[58:59], off
	global_load_b64 v[66:67], v[94:95], off
	global_load_b64 v[64:65], v[92:93], off
	global_load_b64 v[58:59], v[88:89], off
	global_load_b64 v[56:57], v[90:91], off
	s_wait_xcnt 0x0
	s_and_saveexec_b32 s54, s4
	s_cbranch_execz .LBB105_18
; %bb.22:                               ;   in Loop: Header=BB105_20 Depth=2
	global_load_b64 v[76:77], v[94:95], off offset:512
	global_load_b64 v[74:75], v[92:93], off offset:512
	;; [unrolled: 1-line block ×4, first 2 shown]
	s_wait_loadcnt 0x9
	v_dual_mov_b32 v78, v55 :: v_dual_mov_b32 v79, v54
	s_wait_loadcnt 0x8
	v_dual_mov_b32 v72, v53 :: v_dual_mov_b32 v73, v52
	s_wait_xcnt 0x0
	s_and_saveexec_b32 s55, s5
	s_cbranch_execz .LBB105_17
; %bb.23:                               ;   in Loop: Header=BB105_20 Depth=2
	global_load_b64 v[86:87], v[94:95], off offset:1024
	global_load_b64 v[84:85], v[92:93], off offset:1024
	;; [unrolled: 1-line block ×4, first 2 shown]
	s_wait_xcnt 0x0
	s_and_saveexec_b32 s56, s6
	s_cbranch_execz .LBB105_16
; %bb.24:                               ;   in Loop: Header=BB105_20 Depth=2
	global_load_b64 v[94:95], v[94:95], off offset:1536
	global_load_b64 v[92:93], v[92:93], off offset:1536
	;; [unrolled: 1-line block ×4, first 2 shown]
	s_wait_loadcnt 0x3
	v_dual_mul_f32 v99, v61, v95 :: v_dual_mul_f32 v101, v60, v95
	s_wait_loadcnt 0x2
	s_wait_xcnt 0x3
	v_dual_mul_f32 v104, v63, v93 :: v_dual_mul_f32 v95, v62, v93
	s_wait_loadcnt 0x1
	v_pk_mul_f32 v[102:103], v[78:79], v[88:89] op_sel:[0,1]
	v_dual_fma_f32 v100, v60, v94, -v99 :: v_dual_fmac_f32 v101, v61, v94
	s_delay_alu instid0(VALU_DEP_3) | instskip(SKIP_1) | instid1(VALU_DEP_3)
	v_dual_fma_f32 v94, v62, v92, -v104 :: v_dual_fmac_f32 v95, v63, v92
	s_wait_xcnt 0x2
	v_pk_fma_f32 v[92:93], v[54:55], v[88:89], v[102:103] op_sel_hi:[1,0,1]
	s_wait_xcnt 0x1
	v_pk_fma_f32 v[88:89], v[54:55], v[88:89], v[102:103] neg_lo:[0,0,1] neg_hi:[0,0,1]
	v_pk_add_f32 v[30:31], v[30:31], v[100:101]
	s_wait_loadcnt 0x0
	v_pk_mul_f32 v[100:101], v[72:73], v[90:91] op_sel:[0,1]
	v_mov_b32_e32 v89, v93
	s_delay_alu instid0(VALU_DEP_3) | instskip(NEXT) | instid1(VALU_DEP_3)
	v_pk_add_f32 v[30:31], v[94:95], v[30:31]
	v_pk_fma_f32 v[92:93], v[52:53], v[90:91], v[100:101] op_sel_hi:[1,0,1]
	s_wait_xcnt 0x0
	v_pk_fma_f32 v[90:91], v[52:53], v[90:91], v[100:101] neg_lo:[0,0,1] neg_hi:[0,0,1]
	s_delay_alu instid0(VALU_DEP_2) | instskip(SKIP_1) | instid1(VALU_DEP_1)
	v_mov_b32_e32 v91, v93
	v_pk_add_f32 v[30:31], v[88:89], v[30:31]
	v_pk_add_f32 v[30:31], v[90:91], v[30:31]
	s_branch .LBB105_16
.LBB105_25:                             ;   in Loop: Header=BB105_6 Depth=1
	s_or_b32 exec_lo, exec_lo, s8
.LBB105_26:                             ;   in Loop: Header=BB105_6 Depth=1
	s_delay_alu instid0(SALU_CYCLE_1) | instskip(NEXT) | instid1(SALU_CYCLE_1)
	s_or_b32 exec_lo, exec_lo, s7
	s_and_not1_b32 vcc_lo, exec_lo, s53
	s_cbranch_vccnz .LBB105_44
; %bb.27:                               ;   in Loop: Header=BB105_6 Depth=1
	v_dual_mov_b32 v42, 0 :: v_dual_bitop2_b32 v44, 1, v0 bitop3:0x54
	v_cmp_gt_i32_e32 vcc_lo, s29, v0
	s_delay_alu instid0(VALU_DEP_2)
	v_dual_mov_b32 v43, v42 :: v_dual_mov_b32 v40, v42
	v_dual_mov_b32 v41, v42 :: v_dual_mov_b32 v38, v42
	v_dual_mov_b32 v39, v42 :: v_dual_mov_b32 v36, v42
	v_mov_b32_e32 v37, v42
	s_and_saveexec_b32 s54, vcc_lo
	s_cbranch_execz .LBB105_35
; %bb.28:                               ;   in Loop: Header=BB105_6 Depth=1
	v_mul_u64_e32 v[36:37], s[36:37], v[0:1]
	s_mul_u64 s[8:9], s[38:39], s[10:11]
	v_dual_mov_b32 v39, 0 :: v_dual_mov_b32 v38, 0
	s_lshl_b64 s[8:9], s[8:9], 3
	v_dual_mov_b32 v41, 0 :: v_dual_mov_b32 v40, 0
	s_add_nc_u64 s[8:9], s[26:27], s[8:9]
	v_dual_mov_b32 v43, 0 :: v_dual_mov_b32 v42, 0
	s_mov_b32 s55, exec_lo
	s_delay_alu instid0(VALU_DEP_4)
	v_lshl_add_u64 v[36:37], v[36:37], 3, s[8:9]
	global_load_b64 v[36:37], v[36:37], off
	s_wait_xcnt 0x0
	v_cmpx_gt_i32_e64 s29, v44
	s_cbranch_execz .LBB105_34
; %bb.29:                               ;   in Loop: Header=BB105_6 Depth=1
	v_dual_mov_b32 v45, v1 :: v_dual_bitop2_b32 v46, 2, v0 bitop3:0x54
	v_dual_mov_b32 v41, 0 :: v_dual_mov_b32 v40, 0
	v_dual_mov_b32 v43, 0 :: v_dual_mov_b32 v42, 0
	s_delay_alu instid0(VALU_DEP_3) | instskip(SKIP_1) | instid1(VALU_DEP_1)
	v_mul_u64_e32 v[38:39], s[36:37], v[44:45]
	s_mov_b32 s56, exec_lo
	v_lshl_add_u64 v[38:39], v[38:39], 3, s[8:9]
	global_load_b64 v[38:39], v[38:39], off
	s_wait_xcnt 0x0
	v_cmpx_gt_i32_e64 s29, v46
	s_cbranch_execz .LBB105_33
; %bb.30:                               ;   in Loop: Header=BB105_6 Depth=1
	v_dual_mov_b32 v47, v1 :: v_dual_mov_b32 v43, 0
	v_mov_b32_e32 v42, 0
	s_mov_b32 s57, exec_lo
	s_delay_alu instid0(VALU_DEP_2) | instskip(SKIP_1) | instid1(VALU_DEP_2)
	v_mul_u64_e32 v[40:41], s[36:37], v[46:47]
	v_or_b32_e32 v46, 3, v0
	v_lshl_add_u64 v[40:41], v[40:41], 3, s[8:9]
	global_load_b64 v[40:41], v[40:41], off
	s_wait_xcnt 0x0
	v_cmpx_gt_i32_e64 s29, v46
	s_cbranch_execz .LBB105_32
; %bb.31:                               ;   in Loop: Header=BB105_6 Depth=1
	v_mov_b32_e32 v47, v1
	s_delay_alu instid0(VALU_DEP_1) | instskip(NEXT) | instid1(VALU_DEP_1)
	v_mul_u64_e32 v[42:43], s[36:37], v[46:47]
	v_lshl_add_u64 v[42:43], v[42:43], 3, s[8:9]
	global_load_b64 v[42:43], v[42:43], off
.LBB105_32:                             ;   in Loop: Header=BB105_6 Depth=1
	s_wait_xcnt 0x0
	s_or_b32 exec_lo, exec_lo, s57
.LBB105_33:                             ;   in Loop: Header=BB105_6 Depth=1
	s_delay_alu instid0(SALU_CYCLE_1)
	s_or_b32 exec_lo, exec_lo, s56
.LBB105_34:                             ;   in Loop: Header=BB105_6 Depth=1
	s_delay_alu instid0(SALU_CYCLE_1)
	s_or_b32 exec_lo, exec_lo, s55
.LBB105_35:                             ;   in Loop: Header=BB105_6 Depth=1
	s_delay_alu instid0(SALU_CYCLE_1)
	s_or_b32 exec_lo, exec_lo, s54
	s_and_saveexec_b32 s54, s2
	s_cbranch_execz .LBB105_43
; %bb.36:                               ;   in Loop: Header=BB105_6 Depth=1
	v_dual_mov_b32 v45, v1 :: v_dual_bitop2_b32 v46, 2, v0 bitop3:0x54
	v_mov_b32_e32 v47, v1
	v_mul_u64_e32 v[48:49], s[20:21], v[0:1]
	v_or_b32_e32 v0, 3, v0
	s_delay_alu instid0(VALU_DEP_4)
	v_mul_u64_e32 v[50:51], s[20:21], v[44:45]
	s_mul_u64 s[8:9], s[22:23], s[10:11]
	v_mul_u64_e32 v[52:53], s[20:21], v[46:47]
	v_cmp_gt_i32_e64 s7, s29, v44
	v_mul_u64_e32 v[54:55], s[20:21], v[0:1]
	s_lshl_b64 s[56:57], s[8:9], 3
	v_cmp_gt_i32_e64 s8, s29, v46
	v_cmp_gt_i32_e64 s9, s29, v0
	s_wait_loadcnt 0x0
	v_dual_mov_b32 v58, v37 :: v_dual_mov_b32 v59, v36
	v_dual_mov_b32 v56, v39 :: v_dual_mov_b32 v57, v38
	v_dual_cndmask_b32 v45, 0, v49 :: v_dual_cndmask_b32 v44, 0, v48
	v_dual_cndmask_b32 v47, 0, v51, s7 :: v_dual_cndmask_b32 v46, 0, v50, s7
	v_dual_cndmask_b32 v49, 0, v53, s8 :: v_dual_cndmask_b32 v48, 0, v52, s8
	;; [unrolled: 1-line block ×3, first 2 shown]
	s_add_nc_u64 s[8:9], s[16:17], s[56:57]
	v_dual_mov_b32 v54, v41 :: v_dual_mov_b32 v55, v40
	v_lshl_add_u64 v[44:45], v[44:45], 3, s[8:9]
	v_lshl_add_u64 v[46:47], v[46:47], 3, s[8:9]
	v_lshl_add_u64 v[48:49], v[48:49], 3, s[8:9]
	v_lshl_add_u64 v[50:51], v[50:51], 3, s[8:9]
	s_delay_alu instid0(VALU_DEP_4) | instskip(NEXT) | instid1(VALU_DEP_4)
	v_add_nc_u64_e32 v[76:77], v[44:45], v[6:7]
	v_add_nc_u64_e32 v[78:79], v[46:47], v[6:7]
	s_delay_alu instid0(VALU_DEP_4) | instskip(NEXT) | instid1(VALU_DEP_4)
	v_add_nc_u64_e32 v[80:81], v[48:49], v[6:7]
	v_add_nc_u64_e32 v[82:83], v[50:51], v[6:7]
	s_clause 0x3
	global_load_b64 v[52:53], v[76:77], off
	global_load_b64 v[48:49], v[78:79], off
	;; [unrolled: 1-line block ×4, first 2 shown]
	v_dual_mov_b32 v50, v43 :: v_dual_mov_b32 v51, v42
	s_wait_xcnt 0x0
	s_and_saveexec_b32 s7, s4
	s_cbranch_execz .LBB105_42
; %bb.37:                               ;   in Loop: Header=BB105_6 Depth=1
	s_clause 0x3
	global_load_b64 v[66:67], v[76:77], off offset:512
	global_load_b64 v[64:65], v[78:79], off offset:512
	global_load_b64 v[62:63], v[80:81], off offset:512
	global_load_b64 v[60:61], v[82:83], off offset:512
	s_wait_xcnt 0x0
	s_and_saveexec_b32 s8, s5
	s_cbranch_execz .LBB105_41
; %bb.38:                               ;   in Loop: Header=BB105_6 Depth=1
	s_clause 0x3
	global_load_b64 v[74:75], v[76:77], off offset:1024
	global_load_b64 v[72:73], v[78:79], off offset:1024
	global_load_b64 v[70:71], v[80:81], off offset:1024
	global_load_b64 v[68:69], v[82:83], off offset:1024
	;; [unrolled: 9-line block ×3, first 2 shown]
	s_wait_loadcnt 0x3
	v_pk_mul_f32 v[84:85], v[58:59], v[76:77] op_sel:[0,1]
	s_wait_loadcnt 0x2
	v_pk_mul_f32 v[86:87], v[56:57], v[78:79] op_sel:[0,1]
	;; [unrolled: 2-line block ×3, first 2 shown]
	v_pk_fma_f32 v[88:89], v[36:37], v[76:77], v[84:85] op_sel_hi:[1,0,1]
	s_wait_xcnt 0x3
	v_pk_fma_f32 v[76:77], v[36:37], v[76:77], v[84:85] neg_lo:[0,0,1] neg_hi:[0,0,1]
	v_pk_fma_f32 v[84:85], v[38:39], v[78:79], v[86:87] op_sel_hi:[1,0,1]
	s_wait_xcnt 0x2
	v_pk_fma_f32 v[78:79], v[38:39], v[78:79], v[86:87] neg_lo:[0,0,1] neg_hi:[0,0,1]
	v_pk_fma_f32 v[86:87], v[40:41], v[80:81], v[90:91] op_sel_hi:[1,0,1]
	v_mov_b32_e32 v77, v89
	s_wait_xcnt 0x1
	v_pk_fma_f32 v[80:81], v[40:41], v[80:81], v[90:91] neg_lo:[0,0,1] neg_hi:[0,0,1]
	v_mov_b32_e32 v79, v85
	s_delay_alu instid0(VALU_DEP_3) | instskip(SKIP_2) | instid1(VALU_DEP_2)
	v_pk_add_f32 v[30:31], v[30:31], v[76:77]
	s_wait_loadcnt 0x0
	v_pk_mul_f32 v[76:77], v[50:51], v[82:83] op_sel:[0,1]
	v_pk_add_f32 v[30:31], v[78:79], v[30:31]
	s_delay_alu instid0(VALU_DEP_2) | instskip(SKIP_2) | instid1(VALU_DEP_3)
	v_pk_fma_f32 v[78:79], v[42:43], v[82:83], v[76:77] op_sel_hi:[1,0,1]
	v_mov_b32_e32 v81, v87
	v_pk_fma_f32 v[76:77], v[42:43], v[82:83], v[76:77] neg_lo:[0,0,1] neg_hi:[0,0,1]
	v_mov_b32_e32 v77, v79
	s_delay_alu instid0(VALU_DEP_3) | instskip(NEXT) | instid1(VALU_DEP_1)
	v_pk_add_f32 v[30:31], v[80:81], v[30:31]
	v_pk_add_f32 v[30:31], v[76:77], v[30:31]
.LBB105_40:                             ;   in Loop: Header=BB105_6 Depth=1
	s_wait_xcnt 0x0
	s_or_b32 exec_lo, exec_lo, s9
	s_wait_loadcnt 0x3
	v_pk_mul_f32 v[76:77], v[58:59], v[74:75] op_sel:[0,1]
	s_wait_loadcnt 0x2
	v_pk_mul_f32 v[78:79], v[56:57], v[72:73] op_sel:[0,1]
	;; [unrolled: 2-line block ×3, first 2 shown]
	v_pk_fma_f32 v[80:81], v[36:37], v[74:75], v[76:77] op_sel_hi:[1,0,1]
	v_pk_fma_f32 v[74:75], v[36:37], v[74:75], v[76:77] neg_lo:[0,0,1] neg_hi:[0,0,1]
	v_pk_fma_f32 v[76:77], v[38:39], v[72:73], v[78:79] op_sel_hi:[1,0,1]
	v_pk_fma_f32 v[72:73], v[38:39], v[72:73], v[78:79] neg_lo:[0,0,1] neg_hi:[0,0,1]
	v_pk_fma_f32 v[78:79], v[40:41], v[70:71], v[82:83] op_sel_hi:[1,0,1]
	v_mov_b32_e32 v75, v81
	v_pk_fma_f32 v[70:71], v[40:41], v[70:71], v[82:83] neg_lo:[0,0,1] neg_hi:[0,0,1]
	v_mov_b32_e32 v73, v77
	s_delay_alu instid0(VALU_DEP_3) | instskip(SKIP_2) | instid1(VALU_DEP_2)
	v_pk_add_f32 v[32:33], v[32:33], v[74:75]
	s_wait_loadcnt 0x0
	v_pk_mul_f32 v[74:75], v[50:51], v[68:69] op_sel:[0,1]
	v_pk_add_f32 v[32:33], v[72:73], v[32:33]
	s_delay_alu instid0(VALU_DEP_2) | instskip(SKIP_2) | instid1(VALU_DEP_3)
	v_pk_fma_f32 v[72:73], v[42:43], v[68:69], v[74:75] op_sel_hi:[1,0,1]
	v_mov_b32_e32 v71, v79
	v_pk_fma_f32 v[68:69], v[42:43], v[68:69], v[74:75] neg_lo:[0,0,1] neg_hi:[0,0,1]
	v_mov_b32_e32 v69, v73
	s_delay_alu instid0(VALU_DEP_3) | instskip(NEXT) | instid1(VALU_DEP_1)
	v_pk_add_f32 v[32:33], v[70:71], v[32:33]
	v_pk_add_f32 v[32:33], v[68:69], v[32:33]
.LBB105_41:                             ;   in Loop: Header=BB105_6 Depth=1
	s_or_b32 exec_lo, exec_lo, s8
	s_wait_loadcnt 0x3
	v_pk_mul_f32 v[68:69], v[58:59], v[66:67] op_sel:[0,1]
	s_wait_loadcnt 0x2
	v_pk_mul_f32 v[70:71], v[56:57], v[64:65] op_sel:[0,1]
	;; [unrolled: 2-line block ×3, first 2 shown]
	v_pk_fma_f32 v[72:73], v[36:37], v[66:67], v[68:69] op_sel_hi:[1,0,1]
	v_pk_fma_f32 v[66:67], v[36:37], v[66:67], v[68:69] neg_lo:[0,0,1] neg_hi:[0,0,1]
	v_pk_fma_f32 v[68:69], v[38:39], v[64:65], v[70:71] op_sel_hi:[1,0,1]
	v_pk_fma_f32 v[64:65], v[38:39], v[64:65], v[70:71] neg_lo:[0,0,1] neg_hi:[0,0,1]
	v_pk_fma_f32 v[70:71], v[40:41], v[62:63], v[74:75] op_sel_hi:[1,0,1]
	v_mov_b32_e32 v67, v73
	v_pk_fma_f32 v[62:63], v[40:41], v[62:63], v[74:75] neg_lo:[0,0,1] neg_hi:[0,0,1]
	v_mov_b32_e32 v65, v69
	s_delay_alu instid0(VALU_DEP_3) | instskip(SKIP_2) | instid1(VALU_DEP_2)
	v_pk_add_f32 v[34:35], v[34:35], v[66:67]
	s_wait_loadcnt 0x0
	v_pk_mul_f32 v[66:67], v[50:51], v[60:61] op_sel:[0,1]
	v_pk_add_f32 v[34:35], v[64:65], v[34:35]
	s_delay_alu instid0(VALU_DEP_2) | instskip(SKIP_2) | instid1(VALU_DEP_3)
	v_pk_fma_f32 v[64:65], v[42:43], v[60:61], v[66:67] op_sel_hi:[1,0,1]
	v_mov_b32_e32 v63, v71
	v_pk_fma_f32 v[60:61], v[42:43], v[60:61], v[66:67] neg_lo:[0,0,1] neg_hi:[0,0,1]
	v_mov_b32_e32 v61, v65
	s_delay_alu instid0(VALU_DEP_3) | instskip(NEXT) | instid1(VALU_DEP_1)
	v_pk_add_f32 v[34:35], v[62:63], v[34:35]
	v_pk_add_f32 v[34:35], v[60:61], v[34:35]
.LBB105_42:                             ;   in Loop: Header=BB105_6 Depth=1
	s_or_b32 exec_lo, exec_lo, s7
	s_wait_loadcnt 0x3
	v_pk_mul_f32 v[58:59], v[58:59], v[52:53] op_sel:[0,1]
	s_wait_loadcnt 0x2
	v_pk_mul_f32 v[56:57], v[56:57], v[48:49] op_sel:[0,1]
	;; [unrolled: 2-line block ×3, first 2 shown]
	v_pk_fma_f32 v[60:61], v[36:37], v[52:53], v[58:59] op_sel_hi:[1,0,1]
	v_pk_fma_f32 v[36:37], v[36:37], v[52:53], v[58:59] neg_lo:[0,0,1] neg_hi:[0,0,1]
	v_pk_fma_f32 v[52:53], v[38:39], v[48:49], v[56:57] op_sel_hi:[1,0,1]
	v_pk_fma_f32 v[38:39], v[38:39], v[48:49], v[56:57] neg_lo:[0,0,1] neg_hi:[0,0,1]
	v_pk_fma_f32 v[48:49], v[40:41], v[46:47], v[54:55] op_sel_hi:[1,0,1]
	v_mov_b32_e32 v37, v61
	v_pk_fma_f32 v[40:41], v[40:41], v[46:47], v[54:55] neg_lo:[0,0,1] neg_hi:[0,0,1]
	v_mov_b32_e32 v39, v53
	s_delay_alu instid0(VALU_DEP_3) | instskip(SKIP_2) | instid1(VALU_DEP_2)
	v_pk_add_f32 v[28:29], v[28:29], v[36:37]
	s_wait_loadcnt 0x0
	v_pk_mul_f32 v[36:37], v[50:51], v[44:45] op_sel:[0,1]
	v_pk_add_f32 v[28:29], v[38:39], v[28:29]
	s_delay_alu instid0(VALU_DEP_2) | instskip(SKIP_2) | instid1(VALU_DEP_3)
	v_pk_fma_f32 v[38:39], v[42:43], v[44:45], v[36:37] op_sel_hi:[1,0,1]
	v_mov_b32_e32 v41, v49
	v_pk_fma_f32 v[36:37], v[42:43], v[44:45], v[36:37] neg_lo:[0,0,1] neg_hi:[0,0,1]
	v_mov_b32_e32 v37, v39
	s_delay_alu instid0(VALU_DEP_3) | instskip(NEXT) | instid1(VALU_DEP_1)
	v_pk_add_f32 v[28:29], v[40:41], v[28:29]
	v_pk_add_f32 v[28:29], v[36:37], v[28:29]
.LBB105_43:                             ;   in Loop: Header=BB105_6 Depth=1
	s_or_b32 exec_lo, exec_lo, s54
.LBB105_44:                             ;   in Loop: Header=BB105_6 Depth=1
	ds_store_2addr_stride64_b64 v97, v[28:29], v[34:35] offset1:1
	ds_store_2addr_stride64_b64 v97, v[32:33], v[30:31] offset0:2 offset1:3
	s_wait_storecnt 0x0
	s_wait_loadcnt_dscnt 0x0
	s_barrier_signal -1
	s_barrier_wait -1
	s_and_saveexec_b32 s8, s0
	s_cbranch_execz .LBB105_4
; %bb.45:                               ;   in Loop: Header=BB105_6 Depth=1
	ds_load_2addr_stride64_b64 v[28:31], v98 offset1:4
	ds_load_2addr_stride64_b64 v[32:35], v98 offset0:8 offset1:12
	s_wait_dscnt 0x1
	v_pk_add_f32 v[28:29], v[28:29], v[30:31]
	s_wait_dscnt 0x0
	s_delay_alu instid0(VALU_DEP_1) | instskip(NEXT) | instid1(VALU_DEP_1)
	v_pk_add_f32 v[28:29], v[28:29], v[32:33]
	v_pk_add_f32 v[30:31], v[28:29], v[34:35]
	ds_store_b64 v98, v[30:31]
	s_and_b32 exec_lo, exec_lo, s3
	s_cbranch_execz .LBB105_4
; %bb.46:                               ;   in Loop: Header=BB105_6 Depth=1
	v_pk_mul_f32 v[32:33], v[30:31], v[26:27] op_sel:[1,1] op_sel_hi:[1,0]
	v_cmp_neq_f32_e32 vcc_lo, 0, v24
	v_cmp_neq_f32_e64 s7, 0, v25
	s_delay_alu instid0(VALU_DEP_3) | instskip(SKIP_3) | instid1(SALU_CYCLE_1)
	v_pk_fma_f32 v[28:29], v[30:31], v[26:27], v[32:33] op_sel_hi:[0,1,1] neg_lo:[0,0,1] neg_hi:[0,0,1]
	v_pk_fma_f32 v[30:31], v[30:31], v[26:27], v[32:33] op_sel_hi:[0,1,1]
	v_lshl_add_u64 v[26:27], v[4:5], 3, s[48:49]
	s_or_b32 s7, vcc_lo, s7
	s_and_not1_b32 vcc_lo, exec_lo, s7
	s_cbranch_vccnz .LBB105_3
; %bb.47:                               ;   in Loop: Header=BB105_6 Depth=1
	global_load_b64 v[32:33], v[26:27], off
	s_wait_loadcnt 0x0
	v_pk_mul_f32 v[34:35], v[24:25], v[32:33] op_sel:[1,1] op_sel_hi:[0,1]
	s_delay_alu instid0(VALU_DEP_1) | instskip(SKIP_1) | instid1(VALU_DEP_2)
	v_pk_fma_f32 v[36:37], v[24:25], v[32:33], v[34:35] op_sel_hi:[1,0,1]
	v_pk_fma_f32 v[24:25], v[24:25], v[32:33], v[34:35] neg_lo:[0,0,1] neg_hi:[0,0,1]
	v_dual_mov_b32 v29, v31 :: v_dual_mov_b32 v25, v37
	s_delay_alu instid0(VALU_DEP_1) | instskip(NEXT) | instid1(VALU_DEP_1)
	v_pk_add_f32 v[28:29], v[28:29], v[24:25]
	v_mov_b32_e32 v31, v29
	s_branch .LBB105_3
.LBB105_48:
	s_sendmsg sendmsg(MSG_DEALLOC_VGPRS)
	s_endpgm
	.section	.rodata,"a",@progbits
	.p2align	6, 0x0
	.amdhsa_kernel _ZL20rocblas_gemvn_kernelILi64ELi4El19rocblas_complex_numIfEPKS1_S1_EviiT3_lPKT2_lT1_lS7_lS8_lS4_lPT4_lS8_li
		.amdhsa_group_segment_fixed_size 8192
		.amdhsa_private_segment_fixed_size 0
		.amdhsa_kernarg_size 400
		.amdhsa_user_sgpr_count 2
		.amdhsa_user_sgpr_dispatch_ptr 0
		.amdhsa_user_sgpr_queue_ptr 0
		.amdhsa_user_sgpr_kernarg_segment_ptr 1
		.amdhsa_user_sgpr_dispatch_id 0
		.amdhsa_user_sgpr_kernarg_preload_length 0
		.amdhsa_user_sgpr_kernarg_preload_offset 0
		.amdhsa_user_sgpr_private_segment_size 0
		.amdhsa_wavefront_size32 1
		.amdhsa_uses_dynamic_stack 0
		.amdhsa_enable_private_segment 0
		.amdhsa_system_sgpr_workgroup_id_x 1
		.amdhsa_system_sgpr_workgroup_id_y 0
		.amdhsa_system_sgpr_workgroup_id_z 1
		.amdhsa_system_sgpr_workgroup_info 0
		.amdhsa_system_vgpr_workitem_id 1
		.amdhsa_next_free_vgpr 105
		.amdhsa_next_free_sgpr 58
		.amdhsa_named_barrier_count 0
		.amdhsa_reserve_vcc 1
		.amdhsa_float_round_mode_32 0
		.amdhsa_float_round_mode_16_64 0
		.amdhsa_float_denorm_mode_32 3
		.amdhsa_float_denorm_mode_16_64 3
		.amdhsa_fp16_overflow 0
		.amdhsa_memory_ordered 1
		.amdhsa_forward_progress 1
		.amdhsa_inst_pref_size 31
		.amdhsa_round_robin_scheduling 0
		.amdhsa_exception_fp_ieee_invalid_op 0
		.amdhsa_exception_fp_denorm_src 0
		.amdhsa_exception_fp_ieee_div_zero 0
		.amdhsa_exception_fp_ieee_overflow 0
		.amdhsa_exception_fp_ieee_underflow 0
		.amdhsa_exception_fp_ieee_inexact 0
		.amdhsa_exception_int_div_zero 0
	.end_amdhsa_kernel
	.section	.text._ZL20rocblas_gemvn_kernelILi64ELi4El19rocblas_complex_numIfEPKS1_S1_EviiT3_lPKT2_lT1_lS7_lS8_lS4_lPT4_lS8_li,"axG",@progbits,_ZL20rocblas_gemvn_kernelILi64ELi4El19rocblas_complex_numIfEPKS1_S1_EviiT3_lPKT2_lT1_lS7_lS8_lS4_lPT4_lS8_li,comdat
.Lfunc_end105:
	.size	_ZL20rocblas_gemvn_kernelILi64ELi4El19rocblas_complex_numIfEPKS1_S1_EviiT3_lPKT2_lT1_lS7_lS8_lS4_lPT4_lS8_li, .Lfunc_end105-_ZL20rocblas_gemvn_kernelILi64ELi4El19rocblas_complex_numIfEPKS1_S1_EviiT3_lPKT2_lT1_lS7_lS8_lS4_lPT4_lS8_li
                                        ; -- End function
	.set _ZL20rocblas_gemvn_kernelILi64ELi4El19rocblas_complex_numIfEPKS1_S1_EviiT3_lPKT2_lT1_lS7_lS8_lS4_lPT4_lS8_li.num_vgpr, 105
	.set _ZL20rocblas_gemvn_kernelILi64ELi4El19rocblas_complex_numIfEPKS1_S1_EviiT3_lPKT2_lT1_lS7_lS8_lS4_lPT4_lS8_li.num_agpr, 0
	.set _ZL20rocblas_gemvn_kernelILi64ELi4El19rocblas_complex_numIfEPKS1_S1_EviiT3_lPKT2_lT1_lS7_lS8_lS4_lPT4_lS8_li.numbered_sgpr, 58
	.set _ZL20rocblas_gemvn_kernelILi64ELi4El19rocblas_complex_numIfEPKS1_S1_EviiT3_lPKT2_lT1_lS7_lS8_lS4_lPT4_lS8_li.num_named_barrier, 0
	.set _ZL20rocblas_gemvn_kernelILi64ELi4El19rocblas_complex_numIfEPKS1_S1_EviiT3_lPKT2_lT1_lS7_lS8_lS4_lPT4_lS8_li.private_seg_size, 0
	.set _ZL20rocblas_gemvn_kernelILi64ELi4El19rocblas_complex_numIfEPKS1_S1_EviiT3_lPKT2_lT1_lS7_lS8_lS4_lPT4_lS8_li.uses_vcc, 1
	.set _ZL20rocblas_gemvn_kernelILi64ELi4El19rocblas_complex_numIfEPKS1_S1_EviiT3_lPKT2_lT1_lS7_lS8_lS4_lPT4_lS8_li.uses_flat_scratch, 0
	.set _ZL20rocblas_gemvn_kernelILi64ELi4El19rocblas_complex_numIfEPKS1_S1_EviiT3_lPKT2_lT1_lS7_lS8_lS4_lPT4_lS8_li.has_dyn_sized_stack, 0
	.set _ZL20rocblas_gemvn_kernelILi64ELi4El19rocblas_complex_numIfEPKS1_S1_EviiT3_lPKT2_lT1_lS7_lS8_lS4_lPT4_lS8_li.has_recursion, 0
	.set _ZL20rocblas_gemvn_kernelILi64ELi4El19rocblas_complex_numIfEPKS1_S1_EviiT3_lPKT2_lT1_lS7_lS8_lS4_lPT4_lS8_li.has_indirect_call, 0
	.section	.AMDGPU.csdata,"",@progbits
; Kernel info:
; codeLenInByte = 3924
; TotalNumSgprs: 60
; NumVgprs: 105
; ScratchSize: 0
; MemoryBound: 0
; FloatMode: 240
; IeeeMode: 1
; LDSByteSize: 8192 bytes/workgroup (compile time only)
; SGPRBlocks: 0
; VGPRBlocks: 6
; NumSGPRsForWavesPerEU: 60
; NumVGPRsForWavesPerEU: 105
; NamedBarCnt: 0
; Occupancy: 9
; WaveLimiterHint : 1
; COMPUTE_PGM_RSRC2:SCRATCH_EN: 0
; COMPUTE_PGM_RSRC2:USER_SGPR: 2
; COMPUTE_PGM_RSRC2:TRAP_HANDLER: 0
; COMPUTE_PGM_RSRC2:TGID_X_EN: 1
; COMPUTE_PGM_RSRC2:TGID_Y_EN: 0
; COMPUTE_PGM_RSRC2:TGID_Z_EN: 1
; COMPUTE_PGM_RSRC2:TIDIG_COMP_CNT: 1
	.section	.text._ZL20rocblas_gemvn_kernelILi64ELi4Ei19rocblas_complex_numIfES1_S1_EviiT3_lPKT2_lT1_lS5_lS6_lS2_lPT4_lS6_li,"axG",@progbits,_ZL20rocblas_gemvn_kernelILi64ELi4Ei19rocblas_complex_numIfES1_S1_EviiT3_lPKT2_lT1_lS5_lS6_lS2_lPT4_lS6_li,comdat
	.globl	_ZL20rocblas_gemvn_kernelILi64ELi4Ei19rocblas_complex_numIfES1_S1_EviiT3_lPKT2_lT1_lS5_lS6_lS2_lPT4_lS6_li ; -- Begin function _ZL20rocblas_gemvn_kernelILi64ELi4Ei19rocblas_complex_numIfES1_S1_EviiT3_lPKT2_lT1_lS5_lS6_lS2_lPT4_lS6_li
	.p2align	8
	.type	_ZL20rocblas_gemvn_kernelILi64ELi4Ei19rocblas_complex_numIfES1_S1_EviiT3_lPKT2_lT1_lS5_lS6_lS2_lPT4_lS6_li,@function
_ZL20rocblas_gemvn_kernelILi64ELi4Ei19rocblas_complex_numIfES1_S1_EviiT3_lPKT2_lT1_lS5_lS6_lS2_lPT4_lS6_li: ; @_ZL20rocblas_gemvn_kernelILi64ELi4Ei19rocblas_complex_numIfES1_S1_EviiT3_lPKT2_lT1_lS5_lS6_lS2_lPT4_lS6_li
; %bb.0:
	s_load_b64 s[2:3], s[0:1], 0x9c
	s_wait_kmcnt 0x0
	s_lshr_b32 s4, s2, 16
	s_and_b32 s2, s2, 0xffff
	s_and_b32 s3, s3, 0xffff
	s_mul_i32 s2, s4, s2
	s_delay_alu instid0(SALU_CYCLE_1) | instskip(NEXT) | instid1(SALU_CYCLE_1)
	s_mul_i32 s2, s2, s3
	s_cmp_lg_u32 s2, 0x100
	s_cbranch_scc1 .LBB106_48
; %bb.1:
	s_load_b32 s27, s[0:1], 0x88
	s_bfe_u32 s2, ttmp6, 0x40014
	s_lshr_b32 s3, ttmp7, 16
	s_add_co_i32 s2, s2, 1
	s_bfe_u32 s4, ttmp6, 0x40008
	s_mul_i32 s2, s3, s2
	s_getreg_b32 s30, hwreg(HW_REG_IB_STS2, 6, 4)
	s_add_co_i32 s4, s4, s2
	s_cmp_eq_u32 s30, 0
	s_mov_b32 s29, 0
	s_cselect_b32 s28, s3, s4
	s_wait_kmcnt 0x0
	s_cmp_ge_u32 s28, s27
	s_cbranch_scc1 .LBB106_48
; %bb.2:
	s_clause 0x5
	s_load_b128 s[4:7], s[0:1], 0x18
	s_load_b96 s[24:26], s[0:1], 0x40
	s_load_b128 s[20:23], s[0:1], 0x68
	s_load_b32 s2, s[0:1], 0x78
	s_load_b128 s[8:11], s[0:1], 0x0
	s_load_b128 s[12:15], s[0:1], 0x50
	v_and_b32_e32 v4, 0x3ff, v0
	v_bfe_u32 v5, v0, 10, 10
	s_delay_alu instid0(VALU_DEP_2) | instskip(NEXT) | instid1(VALU_DEP_2)
	v_dual_mov_b32 v1, 0 :: v_dual_lshlrev_b32 v0, 3, v4
	v_lshl_add_u32 v2, v5, 6, v4
	s_delay_alu instid0(VALU_DEP_2)
	v_lshl_add_u32 v61, v5, 11, v0
	v_lshl_add_u32 v62, v5, 9, v0
	s_wait_kmcnt 0x0
	s_lshl_b64 s[34:35], s[6:7], 3
	s_lshl_b64 s[36:37], s[24:25], 3
	;; [unrolled: 1-line block ×3, first 2 shown]
	s_ashr_i32 s3, s2, 31
	s_cmp_neq_f32 s10, 0
	s_clause 0x2
	s_load_b32 s33, s[0:1], 0x28
	s_load_b128 s[16:19], s[0:1], 0x30
	s_load_b64 s[22:23], s[0:1], 0x80
	s_mov_b32 s38, s8
	s_add_nc_u64 s[20:21], s[20:21], s[6:7]
	s_cselect_b32 s24, -1, 0
	s_cmp_neq_f32 s11, 0
	s_wait_xcnt 0x0
	s_cselect_b32 s0, -1, 0
	s_delay_alu instid0(SALU_CYCLE_1)
	s_or_b32 s31, s24, s0
	s_cmp_neq_f32 s14, 1.0
	s_add_nc_u64 s[24:25], s[4:5], s[34:35]
	v_cmp_gt_u32_e64 s0, 0x100, v2
	s_mov_b32 s34, s11
	s_cselect_b32 s40, -1, 0
	s_cmp_neq_f32 s15, 0
	s_mov_b32 s35, s10
	s_wait_kmcnt 0x0
	s_add_nc_u64 s[18:19], s[18:19], s[36:37]
	s_cselect_b32 s41, -1, 0
	s_or_b32 s1, s10, s11
	s_delay_alu instid0(SALU_CYCLE_1) | instskip(NEXT) | instid1(SALU_CYCLE_1)
	s_bitset0_b32 s1, 31
	s_cmp_eq_u32 s1, 0
	s_cselect_b32 s42, -1, 0
	s_bfe_u32 s1, ttmp6, 0x4000c
	s_and_b32 s4, ttmp6, 15
	s_add_co_i32 s1, s1, 1
	s_delay_alu instid0(SALU_CYCLE_1) | instskip(NEXT) | instid1(SALU_CYCLE_1)
	s_mul_i32 s1, ttmp9, s1
	s_add_co_i32 s4, s4, s1
	s_cmp_eq_u32 s30, 0
	s_mov_b32 s30, s15
	s_cselect_b32 s1, ttmp9, s4
	s_ashr_i32 s39, s8, 31
	s_lshl_b32 s43, s1, 8
	s_delay_alu instid0(SALU_CYCLE_1) | instskip(SKIP_2) | instid1(VALU_DEP_2)
	v_dual_lshlrev_b32 v60, 2, v5 :: v_dual_add_nc_u32 v0, s43, v2
	v_or_b32_e32 v3, s43, v2
	s_cmp_neq_f32 s14, 0
	v_mul_lo_u32 v6, s33, v60
	s_delay_alu instid0(VALU_DEP_3) | instskip(NEXT) | instid1(VALU_DEP_3)
	v_cmp_gt_i64_e32 vcc_lo, s[38:39], v[0:1]
	v_mul_lo_u32 v2, s2, v3
	v_or_b32_e32 v63, s43, v4
	v_mul_u64_e32 v[0:1], s[2:3], v[0:1]
	v_cmp_gt_i32_e64 s2, s8, v3
	s_cselect_b32 s1, -1, 0
	s_ashr_i32 s4, s9, 31
	v_mad_u32 v67, s26, v60, s26
	s_lshr_b32 s3, s4, 28
	s_or_b32 s44, s1, s41
	s_add_co_i32 s3, s9, s3
	v_add3_u32 v64, v6, s33, v4
	v_ashrrev_i32_e32 v3, 31, v2
	v_add_nc_u32_e32 v8, 0x80, v63
	v_add_nc_u32_e32 v7, 64, v63
	;; [unrolled: 1-line block ×3, first 2 shown]
	s_and_b32 s45, s3, -16
	v_cmp_gt_i32_e64 s1, s8, v63
	v_cmp_gt_i32_e64 s4, s8, v8
	v_mul_lo_u32 v8, v5, s33
	v_mul_lo_u32 v5, v5, s26
	v_cmp_gt_i32_e64 s3, s8, v7
	v_cmp_gt_i32_e64 s5, s8, v9
	v_or_b32_e32 v7, 2, v60
	v_or_b32_e32 v9, 3, v60
	s_sub_co_i32 s6, s9, s45
	s_delay_alu instid0(SALU_CYCLE_1) | instskip(SKIP_1) | instid1(VALU_DEP_2)
	s_cmp_gt_i32 s6, 0
	v_cmp_gt_i32_e64 s6, s45, v60
	v_mad_u32 v66, s33, v9, v4
	v_mul_lo_u32 v69, s26, v9
	v_lshlrev_b32_e32 v71, 2, v5
	v_mad_u32 v65, s33, v7, v4
	v_mul_lo_u32 v68, s26, v7
	v_lshl_add_u32 v70, v8, 2, v4
	s_cselect_b32 s8, -1, 0
	s_or_b32 s7, s31, s40
	s_and_b32 s46, s0, vcc_lo
	s_mov_b32 s31, s14
	s_or_b32 s47, s7, s41
	s_lshl_b32 s48, s33, 4
	s_lshl_b32 s49, s26, 4
	s_branch .LBB106_6
.LBB106_3:                              ;   in Loop: Header=BB106_6 Depth=1
	s_delay_alu instid0(VALU_DEP_1)
	v_mov_b32_e32 v5, v9
	global_store_b64 v[6:7], v[4:5], off
.LBB106_4:                              ;   in Loop: Header=BB106_6 Depth=1
	s_wait_xcnt 0x0
	s_or_b32 exec_lo, exec_lo, s7
.LBB106_5:                              ;   in Loop: Header=BB106_6 Depth=1
	s_add_co_i32 s28, s28, 0x10000
	s_delay_alu instid0(SALU_CYCLE_1)
	s_cmp_lt_u32 s28, s27
	s_cbranch_scc0 .LBB106_48
.LBB106_6:                              ; =>This Loop Header: Depth=1
                                        ;     Child Loop BB106_20 Depth 2
	s_and_not1_b32 vcc_lo, exec_lo, s47
	s_cbranch_vccnz .LBB106_5
; %bb.7:                                ;   in Loop: Header=BB106_6 Depth=1
	s_mul_u64 s[36:37], s[22:23], s[28:29]
	s_and_not1_b32 vcc_lo, exec_lo, s42
	s_lshl_b64 s[36:37], s[36:37], 3
	s_mov_b32 s7, -1
	s_add_nc_u64 s[36:37], s[20:21], s[36:37]
	s_cbranch_vccnz .LBB106_13
; %bb.8:                                ;   in Loop: Header=BB106_6 Depth=1
	s_and_saveexec_b32 s7, s46
	s_cbranch_execz .LBB106_12
; %bb.9:                                ;   in Loop: Header=BB106_6 Depth=1
	v_dual_mov_b32 v6, 0 :: v_dual_mov_b32 v7, 0
	v_lshl_add_u64 v[4:5], v[0:1], 3, s[36:37]
	s_and_not1_b32 vcc_lo, exec_lo, s44
	s_cbranch_vccnz .LBB106_11
; %bb.10:                               ;   in Loop: Header=BB106_6 Depth=1
	global_load_b64 v[6:7], v[4:5], off
	v_mov_b64_e32 v[8:9], s[30:31]
	v_mov_b64_e32 v[10:11], s[14:15]
	s_wait_loadcnt 0x0
	s_delay_alu instid0(VALU_DEP_2) | instskip(NEXT) | instid1(VALU_DEP_1)
	v_pk_mul_f32 v[8:9], v[8:9], v[6:7] op_sel:[0,1]
	v_pk_fma_f32 v[12:13], v[10:11], v[6:7], v[8:9] op_sel_hi:[1,0,1]
	v_pk_fma_f32 v[6:7], v[10:11], v[6:7], v[8:9] neg_lo:[0,0,1] neg_hi:[0,0,1]
	s_delay_alu instid0(VALU_DEP_2)
	v_mov_b32_e32 v7, v13
.LBB106_11:                             ;   in Loop: Header=BB106_6 Depth=1
	global_store_b64 v[4:5], v[6:7], off
.LBB106_12:                             ;   in Loop: Header=BB106_6 Depth=1
	s_wait_xcnt 0x0
	s_or_b32 exec_lo, exec_lo, s7
	s_mov_b32 s7, 0
.LBB106_13:                             ;   in Loop: Header=BB106_6 Depth=1
	s_delay_alu instid0(SALU_CYCLE_1)
	s_and_not1_b32 vcc_lo, exec_lo, s7
	s_cbranch_vccnz .LBB106_5
; %bb.14:                               ;   in Loop: Header=BB106_6 Depth=1
	v_mov_b64_e32 v[10:11], 0
	v_mov_b64_e32 v[6:7], 0
	;; [unrolled: 1-line block ×4, first 2 shown]
	s_mul_u64 s[38:39], s[16:17], s[28:29]
	s_mul_u64 s[40:41], s[12:13], s[28:29]
	v_mov_b32_e32 v56, v60
	s_lshl_b64 s[38:39], s[38:39], 3
	s_lshl_b64 s[40:41], s[40:41], 3
	s_add_nc_u64 s[38:39], s[24:25], s[38:39]
	s_add_nc_u64 s[40:41], s[18:19], s[40:41]
	s_and_saveexec_b32 s7, s6
	s_cbranch_execz .LBB106_26
; %bb.15:                               ;   in Loop: Header=BB106_6 Depth=1
	v_mov_b64_e32 v[4:5], 0
	v_mov_b64_e32 v[8:9], 0
	;; [unrolled: 1-line block ×4, first 2 shown]
	v_dual_mov_b32 v57, v70 :: v_dual_mov_b32 v58, v66
	v_dual_mov_b32 v59, v65 :: v_dual_mov_b32 v72, v64
	v_mov_b32_e32 v56, v60
	s_mov_b32 s50, 0
	s_mov_b32 s51, 0
	s_branch .LBB106_20
.LBB106_16:                             ;   in Loop: Header=BB106_20 Depth=2
	s_wait_xcnt 0x0
	s_or_b32 exec_lo, exec_lo, s55
	s_wait_loadcnt 0x3
	v_dual_mul_f32 v48, v23, v47 :: v_dual_mul_f32 v49, v22, v47
	s_wait_loadcnt 0x2
	v_dual_mul_f32 v52, v21, v45 :: v_dual_mul_f32 v47, v20, v45
	s_wait_loadcnt 0x1
	v_pk_mul_f32 v[50:51], v[38:39], v[42:43] op_sel:[0,1]
	v_dual_fma_f32 v48, v22, v46, -v48 :: v_dual_fmac_f32 v49, v23, v46
	s_delay_alu instid0(VALU_DEP_3) | instskip(NEXT) | instid1(VALU_DEP_3)
	v_dual_fma_f32 v46, v20, v44, -v52 :: v_dual_fmac_f32 v47, v21, v44
	v_pk_fma_f32 v[44:45], v[14:15], v[42:43], v[50:51] op_sel_hi:[1,0,1]
	v_pk_fma_f32 v[42:43], v[14:15], v[42:43], v[50:51] neg_lo:[0,0,1] neg_hi:[0,0,1]
	s_delay_alu instid0(VALU_DEP_4) | instskip(SKIP_3) | instid1(VALU_DEP_3)
	v_pk_add_f32 v[6:7], v[6:7], v[48:49]
	s_wait_loadcnt 0x0
	v_pk_mul_f32 v[48:49], v[32:33], v[40:41] op_sel:[0,1]
	v_mov_b32_e32 v43, v45
	v_pk_add_f32 v[6:7], v[46:47], v[6:7]
	s_delay_alu instid0(VALU_DEP_3) | instskip(SKIP_1) | instid1(VALU_DEP_2)
	v_pk_fma_f32 v[44:45], v[12:13], v[40:41], v[48:49] op_sel_hi:[1,0,1]
	v_pk_fma_f32 v[40:41], v[12:13], v[40:41], v[48:49] neg_lo:[0,0,1] neg_hi:[0,0,1]
	v_mov_b32_e32 v41, v45
	s_delay_alu instid0(VALU_DEP_4) | instskip(NEXT) | instid1(VALU_DEP_1)
	v_pk_add_f32 v[6:7], v[42:43], v[6:7]
	v_pk_add_f32 v[6:7], v[40:41], v[6:7]
.LBB106_17:                             ;   in Loop: Header=BB106_20 Depth=2
	s_or_b32 exec_lo, exec_lo, s54
	s_wait_loadcnt 0x3
	v_dual_mul_f32 v40, v23, v37 :: v_dual_mul_f32 v41, v22, v37
	s_wait_loadcnt 0x2
	v_dual_mul_f32 v42, v21, v35 :: v_dual_mul_f32 v37, v20, v35
	s_wait_loadcnt 0x1
	v_pk_mul_f32 v[38:39], v[38:39], v[30:31] op_sel:[0,1]
	v_dual_fma_f32 v40, v22, v36, -v40 :: v_dual_fmac_f32 v41, v23, v36
	s_delay_alu instid0(VALU_DEP_3) | instskip(NEXT) | instid1(VALU_DEP_3)
	v_dual_fma_f32 v36, v20, v34, -v42 :: v_dual_fmac_f32 v37, v21, v34
	v_pk_fma_f32 v[34:35], v[14:15], v[30:31], v[38:39] op_sel_hi:[1,0,1]
	s_wait_loadcnt 0x0
	v_pk_mul_f32 v[32:33], v[32:33], v[28:29] op_sel:[0,1]
	v_pk_add_f32 v[8:9], v[8:9], v[40:41]
	v_pk_fma_f32 v[30:31], v[14:15], v[30:31], v[38:39] neg_lo:[0,0,1] neg_hi:[0,0,1]
	v_mov_b32_e32 v31, v35
	s_delay_alu instid0(VALU_DEP_4) | instskip(NEXT) | instid1(VALU_DEP_4)
	v_pk_fma_f32 v[34:35], v[12:13], v[28:29], v[32:33] op_sel_hi:[1,0,1]
	v_pk_add_f32 v[8:9], v[36:37], v[8:9]
	v_pk_fma_f32 v[28:29], v[12:13], v[28:29], v[32:33] neg_lo:[0,0,1] neg_hi:[0,0,1]
	s_delay_alu instid0(VALU_DEP_3) | instskip(NEXT) | instid1(VALU_DEP_3)
	v_mov_b32_e32 v29, v35
	v_pk_add_f32 v[8:9], v[30:31], v[8:9]
	s_delay_alu instid0(VALU_DEP_1)
	v_pk_add_f32 v[8:9], v[28:29], v[8:9]
.LBB106_18:                             ;   in Loop: Header=BB106_20 Depth=2
	s_or_b32 exec_lo, exec_lo, s53
	s_wait_loadcnt 0x3
	v_dual_mul_f32 v28, v23, v27 :: v_dual_mul_f32 v29, v22, v27
	s_wait_loadcnt 0x2
	v_dual_mul_f32 v32, v21, v25 :: v_dual_mul_f32 v27, v20, v25
	s_wait_loadcnt 0x1
	v_pk_mul_f32 v[30:31], v[14:15], v[18:19] op_sel:[1,1] op_sel_hi:[0,1]
	v_dual_fma_f32 v28, v22, v26, -v28 :: v_dual_fmac_f32 v29, v23, v26
	s_delay_alu instid0(VALU_DEP_3) | instskip(NEXT) | instid1(VALU_DEP_3)
	v_dual_fma_f32 v26, v20, v24, -v32 :: v_dual_fmac_f32 v27, v21, v24
	v_pk_fma_f32 v[20:21], v[14:15], v[18:19], v[30:31] op_sel_hi:[1,0,1]
	s_wait_loadcnt 0x0
	v_pk_mul_f32 v[22:23], v[12:13], v[16:17] op_sel:[1,1] op_sel_hi:[0,1]
	v_pk_add_f32 v[4:5], v[4:5], v[28:29]
	v_pk_fma_f32 v[14:15], v[14:15], v[18:19], v[30:31] neg_lo:[0,0,1] neg_hi:[0,0,1]
	s_delay_alu instid0(VALU_DEP_3) | instskip(SKIP_1) | instid1(VALU_DEP_4)
	v_pk_fma_f32 v[18:19], v[12:13], v[16:17], v[22:23] op_sel_hi:[1,0,1]
	v_mov_b32_e32 v15, v21
	v_pk_add_f32 v[4:5], v[26:27], v[4:5]
	v_pk_fma_f32 v[12:13], v[12:13], v[16:17], v[22:23] neg_lo:[0,0,1] neg_hi:[0,0,1]
	s_delay_alu instid0(VALU_DEP_4) | instskip(NEXT) | instid1(VALU_DEP_3)
	v_mov_b32_e32 v13, v19
	v_pk_add_f32 v[4:5], v[14:15], v[4:5]
	s_delay_alu instid0(VALU_DEP_1)
	v_pk_add_f32 v[4:5], v[12:13], v[4:5]
.LBB106_19:                             ;   in Loop: Header=BB106_20 Depth=2
	s_or_b32 exec_lo, exec_lo, s52
	v_dual_add_nc_u32 v56, 16, v56 :: v_dual_add_nc_u32 v59, s48, v59
	v_dual_add_nc_u32 v72, s48, v72 :: v_dual_add_nc_u32 v58, s48, v58
	v_add_nc_u32_e32 v57, s48, v57
	s_delay_alu instid0(VALU_DEP_3) | instskip(SKIP_2) | instid1(SALU_CYCLE_1)
	v_cmp_le_i32_e32 vcc_lo, s45, v56
	s_add_co_i32 s51, s51, s49
	s_or_b32 s50, vcc_lo, s50
	s_and_not1_b32 exec_lo, exec_lo, s50
	s_cbranch_execz .LBB106_25
.LBB106_20:                             ;   Parent Loop BB106_6 Depth=1
                                        ; =>  This Inner Loop Header: Depth=2
	s_and_saveexec_b32 s52, s1
	s_cbranch_execz .LBB106_19
; %bb.21:                               ;   in Loop: Header=BB106_20 Depth=2
	v_dual_add_nc_u32 v29, s51, v71 :: v_dual_add_nc_u32 v33, s51, v68
	v_dual_add_nc_u32 v31, s51, v67 :: v_dual_add_nc_u32 v35, s51, v69
	;; [unrolled: 1-line block ×4, first 2 shown]
	s_clause 0x3
	global_load_b64 v[22:23], v29, s[40:41] scale_offset
	global_load_b64 v[20:21], v31, s[40:41] scale_offset
	;; [unrolled: 1-line block ×4, first 2 shown]
	s_clause 0x3
	global_load_b64 v[26:27], v28, s[38:39] scale_offset
	global_load_b64 v[24:25], v30, s[38:39] scale_offset
	;; [unrolled: 1-line block ×4, first 2 shown]
	s_wait_xcnt 0x0
	s_and_saveexec_b32 s53, s3
	s_cbranch_execz .LBB106_18
; %bb.22:                               ;   in Loop: Header=BB106_20 Depth=2
	v_dual_ashrrev_i32 v29, 31, v28 :: v_dual_ashrrev_i32 v31, 31, v30
	v_dual_ashrrev_i32 v35, 31, v34 :: v_dual_ashrrev_i32 v33, 31, v32
	s_wait_loadcnt 0x5
	v_dual_mov_b32 v38, v15 :: v_dual_mov_b32 v39, v14
	s_delay_alu instid0(VALU_DEP_3)
	v_lshl_add_u64 v[54:55], v[28:29], 3, s[38:39]
	v_lshl_add_u64 v[52:53], v[30:31], 3, s[38:39]
	;; [unrolled: 1-line block ×4, first 2 shown]
	s_clause 0x3
	global_load_b64 v[36:37], v[54:55], off offset:512
	global_load_b64 v[34:35], v[52:53], off offset:512
	;; [unrolled: 1-line block ×4, first 2 shown]
	s_wait_loadcnt 0x8
	v_dual_mov_b32 v32, v13 :: v_dual_mov_b32 v33, v12
	s_wait_xcnt 0x0
	s_and_saveexec_b32 s54, s4
	s_cbranch_execz .LBB106_17
; %bb.23:                               ;   in Loop: Header=BB106_20 Depth=2
	s_clause 0x3
	global_load_b64 v[46:47], v[54:55], off offset:1024
	global_load_b64 v[44:45], v[52:53], off offset:1024
	global_load_b64 v[42:43], v[48:49], off offset:1024
	global_load_b64 v[40:41], v[50:51], off offset:1024
	s_wait_xcnt 0x0
	s_and_saveexec_b32 s55, s5
	s_cbranch_execz .LBB106_16
; %bb.24:                               ;   in Loop: Header=BB106_20 Depth=2
	s_clause 0x3
	global_load_b64 v[54:55], v[54:55], off offset:1536
	global_load_b64 v[52:53], v[52:53], off offset:1536
	;; [unrolled: 1-line block ×4, first 2 shown]
	s_wait_loadcnt 0x3
	v_dual_mul_f32 v73, v23, v55 :: v_dual_mul_f32 v75, v22, v55
	s_wait_loadcnt 0x2
	s_wait_xcnt 0x3
	s_delay_alu instid0(VALU_DEP_1) | instskip(NEXT) | instid1(VALU_DEP_2)
	v_dual_mul_f32 v55, v20, v53 :: v_dual_fma_f32 v74, v22, v54, -v73
	v_dual_fmac_f32 v75, v23, v54 :: v_dual_mul_f32 v54, v21, v53
	s_delay_alu instid0(VALU_DEP_2) | instskip(NEXT) | instid1(VALU_DEP_2)
	v_fmac_f32_e32 v55, v21, v52
	v_pk_add_f32 v[10:11], v[10:11], v[74:75]
	s_delay_alu instid0(VALU_DEP_3) | instskip(SKIP_3) | instid1(VALU_DEP_2)
	v_fma_f32 v54, v20, v52, -v54
	s_wait_loadcnt 0x1
	s_wait_xcnt 0x2
	v_pk_mul_f32 v[52:53], v[38:39], v[48:49] op_sel:[0,1]
	v_pk_add_f32 v[10:11], v[54:55], v[10:11]
	s_delay_alu instid0(VALU_DEP_2) | instskip(SKIP_2) | instid1(VALU_DEP_1)
	v_pk_fma_f32 v[54:55], v[14:15], v[48:49], v[52:53] neg_lo:[0,0,1] neg_hi:[0,0,1]
	s_wait_xcnt 0x1
	v_pk_fma_f32 v[48:49], v[14:15], v[48:49], v[52:53] op_sel_hi:[1,0,1]
	v_mov_b32_e32 v55, v49
	s_wait_loadcnt 0x0
	v_pk_mul_f32 v[48:49], v[32:33], v[50:51] op_sel:[0,1]
	s_delay_alu instid0(VALU_DEP_1) | instskip(SKIP_1) | instid1(VALU_DEP_1)
	v_pk_fma_f32 v[52:53], v[12:13], v[50:51], v[48:49] neg_lo:[0,0,1] neg_hi:[0,0,1]
	v_pk_fma_f32 v[48:49], v[12:13], v[50:51], v[48:49] op_sel_hi:[1,0,1]
	v_mov_b32_e32 v53, v49
	v_pk_add_f32 v[10:11], v[54:55], v[10:11]
	s_delay_alu instid0(VALU_DEP_1)
	v_pk_add_f32 v[10:11], v[52:53], v[10:11]
	s_branch .LBB106_16
.LBB106_25:                             ;   in Loop: Header=BB106_6 Depth=1
	s_or_b32 exec_lo, exec_lo, s50
.LBB106_26:                             ;   in Loop: Header=BB106_6 Depth=1
	s_delay_alu instid0(SALU_CYCLE_1) | instskip(NEXT) | instid1(SALU_CYCLE_1)
	s_or_b32 exec_lo, exec_lo, s7
	s_and_not1_b32 vcc_lo, exec_lo, s8
	s_cbranch_vccnz .LBB106_44
; %bb.27:                               ;   in Loop: Header=BB106_6 Depth=1
	v_dual_mov_b32 v14, 0 :: v_dual_bitop2_b32 v20, 1, v56 bitop3:0x54
	v_cmp_gt_i32_e32 vcc_lo, s9, v56
	s_delay_alu instid0(VALU_DEP_2)
	v_dual_mov_b32 v15, v14 :: v_dual_mov_b32 v12, v14
	v_dual_mov_b32 v13, v14 :: v_dual_mov_b32 v16, v14
	;; [unrolled: 1-line block ×3, first 2 shown]
	v_mov_b32_e32 v19, v14
	s_and_saveexec_b32 s50, vcc_lo
	s_cbranch_execz .LBB106_35
; %bb.28:                               ;   in Loop: Header=BB106_6 Depth=1
	v_mul_lo_u32 v12, v56, s26
	v_dual_mov_b32 v17, 0 :: v_dual_mov_b32 v16, 0
	v_dual_mov_b32 v13, 0 :: v_dual_mov_b32 v15, 0
	v_mov_b32_e32 v14, 0
	s_mov_b32 s51, exec_lo
	global_load_b64 v[18:19], v12, s[40:41] scale_offset
	s_wait_xcnt 0x0
	v_mov_b32_e32 v12, 0
	v_cmpx_gt_i32_e64 s9, v20
	s_cbranch_execz .LBB106_34
; %bb.29:                               ;   in Loop: Header=BB106_6 Depth=1
	v_mul_lo_u32 v12, v20, s26
	v_dual_mov_b32 v13, 0 :: v_dual_bitop2_b32 v21, 2, v56 bitop3:0x54
	v_mov_b32_e32 v14, 0
	s_mov_b32 s52, exec_lo
	v_mov_b32_e32 v15, 0
	global_load_b64 v[16:17], v12, s[40:41] scale_offset
	s_wait_xcnt 0x0
	v_mov_b32_e32 v12, 0
	v_cmpx_gt_i32_e64 s9, v21
	s_cbranch_execz .LBB106_33
; %bb.30:                               ;   in Loop: Header=BB106_6 Depth=1
	v_mul_lo_u32 v12, v21, s26
	v_dual_mov_b32 v15, 0 :: v_dual_bitop2_b32 v21, 3, v56 bitop3:0x54
	v_mov_b32_e32 v14, 0
	s_mov_b32 s53, exec_lo
	global_load_b64 v[12:13], v12, s[40:41] scale_offset
	s_wait_xcnt 0x0
	v_cmpx_gt_i32_e64 s9, v21
	s_cbranch_execz .LBB106_32
; %bb.31:                               ;   in Loop: Header=BB106_6 Depth=1
	v_mul_lo_u32 v14, v21, s26
	global_load_b64 v[14:15], v14, s[40:41] scale_offset
.LBB106_32:                             ;   in Loop: Header=BB106_6 Depth=1
	s_wait_xcnt 0x0
	s_or_b32 exec_lo, exec_lo, s53
.LBB106_33:                             ;   in Loop: Header=BB106_6 Depth=1
	s_delay_alu instid0(SALU_CYCLE_1)
	s_or_b32 exec_lo, exec_lo, s52
.LBB106_34:                             ;   in Loop: Header=BB106_6 Depth=1
	s_delay_alu instid0(SALU_CYCLE_1)
	s_or_b32 exec_lo, exec_lo, s51
.LBB106_35:                             ;   in Loop: Header=BB106_6 Depth=1
	s_delay_alu instid0(SALU_CYCLE_1)
	s_or_b32 exec_lo, exec_lo, s50
	s_and_saveexec_b32 s7, s1
	s_cbranch_execz .LBB106_43
; %bb.36:                               ;   in Loop: Header=BB106_6 Depth=1
	v_mul_lo_u32 v22, v56, s33
	v_or_b32_e32 v21, 2, v56
	v_mul_lo_u32 v24, v20, s33
	s_wait_loadcnt 0x0
	v_dual_mov_b32 v34, v19 :: v_dual_mov_b32 v35, v18
	v_dual_mov_b32 v32, v17 :: v_dual_mov_b32 v33, v16
	;; [unrolled: 1-line block ×3, first 2 shown]
	v_dual_mov_b32 v27, v14 :: v_dual_cndmask_b32 v22, 0, v22
	v_mul_lo_u32 v25, v21, s33
	v_cmp_gt_i32_e32 vcc_lo, s9, v20
	v_cndmask_b32_e32 v20, 0, v24, vcc_lo
	v_cmp_gt_i32_e32 vcc_lo, s9, v21
	s_delay_alu instid0(VALU_DEP_4) | instskip(NEXT) | instid1(VALU_DEP_1)
	v_dual_cndmask_b32 v21, 0, v25, vcc_lo :: v_dual_bitop2_b32 v23, 3, v56 bitop3:0x54
	v_mul_lo_u32 v26, v23, s33
	v_cmp_gt_i32_e32 vcc_lo, s9, v23
	s_delay_alu instid0(VALU_DEP_2) | instskip(NEXT) | instid1(VALU_DEP_4)
	v_dual_cndmask_b32 v23, 0, v26 :: v_dual_add_nc_u32 v38, v22, v63
	v_dual_add_nc_u32 v40, v20, v63 :: v_dual_add_nc_u32 v42, v21, v63
	v_mov_b32_e32 v26, v15
	s_delay_alu instid0(VALU_DEP_3)
	v_add_nc_u32_e32 v36, v23, v63
	s_clause 0x3
	global_load_b64 v[28:29], v38, s[38:39] scale_offset
	global_load_b64 v[24:25], v40, s[38:39] scale_offset
	;; [unrolled: 1-line block ×4, first 2 shown]
	s_wait_xcnt 0x0
	s_and_saveexec_b32 s40, s3
	s_cbranch_execz .LBB106_42
; %bb.37:                               ;   in Loop: Header=BB106_6 Depth=1
	v_dual_ashrrev_i32 v39, 31, v38 :: v_dual_ashrrev_i32 v41, 31, v40
	v_dual_ashrrev_i32 v43, 31, v42 :: v_dual_ashrrev_i32 v37, 31, v36
	s_delay_alu instid0(VALU_DEP_2) | instskip(NEXT) | instid1(VALU_DEP_3)
	v_lshl_add_u64 v[54:55], v[38:39], 3, s[38:39]
	v_lshl_add_u64 v[52:53], v[40:41], 3, s[38:39]
	s_delay_alu instid0(VALU_DEP_3) | instskip(NEXT) | instid1(VALU_DEP_4)
	v_lshl_add_u64 v[56:57], v[42:43], 3, s[38:39]
	v_lshl_add_u64 v[58:59], v[36:37], 3, s[38:39]
	s_clause 0x3
	global_load_b64 v[42:43], v[54:55], off offset:512
	global_load_b64 v[40:41], v[52:53], off offset:512
	global_load_b64 v[38:39], v[56:57], off offset:512
	global_load_b64 v[36:37], v[58:59], off offset:512
	s_wait_xcnt 0x0
	s_and_saveexec_b32 s38, s4
	s_cbranch_execz .LBB106_41
; %bb.38:                               ;   in Loop: Header=BB106_6 Depth=1
	s_clause 0x3
	global_load_b64 v[50:51], v[54:55], off offset:1024
	global_load_b64 v[48:49], v[52:53], off offset:1024
	;; [unrolled: 1-line block ×4, first 2 shown]
	s_wait_xcnt 0x0
	s_and_saveexec_b32 s39, s5
	s_cbranch_execz .LBB106_40
; %bb.39:                               ;   in Loop: Header=BB106_6 Depth=1
	s_clause 0x3
	global_load_b64 v[72:73], v[54:55], off offset:1536
	global_load_b64 v[74:75], v[52:53], off offset:1536
	;; [unrolled: 1-line block ×4, first 2 shown]
	s_wait_loadcnt 0x3
	s_wait_xcnt 0x2
	v_pk_mul_f32 v[52:53], v[34:35], v[72:73] op_sel:[0,1]
	s_delay_alu instid0(VALU_DEP_1) | instskip(SKIP_1) | instid1(VALU_DEP_1)
	v_pk_fma_f32 v[54:55], v[18:19], v[72:73], v[52:53] neg_lo:[0,0,1] neg_hi:[0,0,1]
	v_pk_fma_f32 v[52:53], v[18:19], v[72:73], v[52:53] op_sel_hi:[1,0,1]
	v_mov_b32_e32 v55, v53
	s_wait_loadcnt 0x2
	v_pk_mul_f32 v[52:53], v[32:33], v[74:75] op_sel:[0,1]
	s_delay_alu instid0(VALU_DEP_2) | instskip(NEXT) | instid1(VALU_DEP_2)
	v_pk_add_f32 v[10:11], v[10:11], v[54:55]
	v_pk_fma_f32 v[54:55], v[16:17], v[74:75], v[52:53] neg_lo:[0,0,1] neg_hi:[0,0,1]
	v_pk_fma_f32 v[52:53], v[16:17], v[74:75], v[52:53] op_sel_hi:[1,0,1]
	s_delay_alu instid0(VALU_DEP_1) | instskip(SKIP_2) | instid1(VALU_DEP_2)
	v_mov_b32_e32 v55, v53
	s_wait_loadcnt 0x1
	v_pk_mul_f32 v[52:53], v[30:31], v[76:77] op_sel:[0,1]
	v_pk_add_f32 v[10:11], v[54:55], v[10:11]
	s_delay_alu instid0(VALU_DEP_2) | instskip(SKIP_1) | instid1(VALU_DEP_1)
	v_pk_fma_f32 v[54:55], v[12:13], v[76:77], v[52:53] neg_lo:[0,0,1] neg_hi:[0,0,1]
	v_pk_fma_f32 v[52:53], v[12:13], v[76:77], v[52:53] op_sel_hi:[1,0,1]
	v_mov_b32_e32 v55, v53
	s_wait_loadcnt 0x0
	v_pk_mul_f32 v[52:53], v[26:27], v[78:79] op_sel:[0,1]
	s_delay_alu instid0(VALU_DEP_2) | instskip(NEXT) | instid1(VALU_DEP_2)
	v_pk_add_f32 v[10:11], v[54:55], v[10:11]
	v_pk_fma_f32 v[54:55], v[14:15], v[78:79], v[52:53] neg_lo:[0,0,1] neg_hi:[0,0,1]
	v_pk_fma_f32 v[52:53], v[14:15], v[78:79], v[52:53] op_sel_hi:[1,0,1]
	s_delay_alu instid0(VALU_DEP_1) | instskip(NEXT) | instid1(VALU_DEP_1)
	v_mov_b32_e32 v55, v53
	v_pk_add_f32 v[10:11], v[54:55], v[10:11]
.LBB106_40:                             ;   in Loop: Header=BB106_6 Depth=1
	s_wait_xcnt 0x0
	s_or_b32 exec_lo, exec_lo, s39
	s_wait_loadcnt 0x3
	v_pk_mul_f32 v[52:53], v[34:35], v[50:51] op_sel:[0,1]
	s_wait_loadcnt 0x2
	v_pk_mul_f32 v[54:55], v[32:33], v[48:49] op_sel:[0,1]
	;; [unrolled: 2-line block ×3, first 2 shown]
	v_pk_fma_f32 v[56:57], v[18:19], v[50:51], v[52:53] op_sel_hi:[1,0,1]
	v_pk_fma_f32 v[50:51], v[18:19], v[50:51], v[52:53] neg_lo:[0,0,1] neg_hi:[0,0,1]
	v_pk_fma_f32 v[52:53], v[16:17], v[48:49], v[54:55] op_sel_hi:[1,0,1]
	v_pk_fma_f32 v[48:49], v[16:17], v[48:49], v[54:55] neg_lo:[0,0,1] neg_hi:[0,0,1]
	v_pk_fma_f32 v[54:55], v[12:13], v[46:47], v[58:59] op_sel_hi:[1,0,1]
	v_mov_b32_e32 v51, v57
	v_pk_fma_f32 v[46:47], v[12:13], v[46:47], v[58:59] neg_lo:[0,0,1] neg_hi:[0,0,1]
	v_mov_b32_e32 v49, v53
	s_delay_alu instid0(VALU_DEP_3) | instskip(SKIP_2) | instid1(VALU_DEP_2)
	v_pk_add_f32 v[6:7], v[6:7], v[50:51]
	s_wait_loadcnt 0x0
	v_pk_mul_f32 v[50:51], v[26:27], v[44:45] op_sel:[0,1]
	v_pk_add_f32 v[6:7], v[48:49], v[6:7]
	s_delay_alu instid0(VALU_DEP_2) | instskip(SKIP_2) | instid1(VALU_DEP_3)
	v_pk_fma_f32 v[48:49], v[14:15], v[44:45], v[50:51] op_sel_hi:[1,0,1]
	v_mov_b32_e32 v47, v55
	v_pk_fma_f32 v[44:45], v[14:15], v[44:45], v[50:51] neg_lo:[0,0,1] neg_hi:[0,0,1]
	v_mov_b32_e32 v45, v49
	s_delay_alu instid0(VALU_DEP_3) | instskip(NEXT) | instid1(VALU_DEP_1)
	v_pk_add_f32 v[6:7], v[46:47], v[6:7]
	v_pk_add_f32 v[6:7], v[44:45], v[6:7]
.LBB106_41:                             ;   in Loop: Header=BB106_6 Depth=1
	s_or_b32 exec_lo, exec_lo, s38
	s_wait_loadcnt 0x3
	v_pk_mul_f32 v[44:45], v[34:35], v[42:43] op_sel:[0,1]
	s_wait_loadcnt 0x2
	v_pk_mul_f32 v[46:47], v[32:33], v[40:41] op_sel:[0,1]
	;; [unrolled: 2-line block ×3, first 2 shown]
	v_pk_fma_f32 v[48:49], v[18:19], v[42:43], v[44:45] op_sel_hi:[1,0,1]
	v_pk_fma_f32 v[42:43], v[18:19], v[42:43], v[44:45] neg_lo:[0,0,1] neg_hi:[0,0,1]
	v_pk_fma_f32 v[44:45], v[16:17], v[40:41], v[46:47] op_sel_hi:[1,0,1]
	v_pk_fma_f32 v[40:41], v[16:17], v[40:41], v[46:47] neg_lo:[0,0,1] neg_hi:[0,0,1]
	v_pk_fma_f32 v[46:47], v[12:13], v[38:39], v[50:51] op_sel_hi:[1,0,1]
	v_mov_b32_e32 v43, v49
	v_pk_fma_f32 v[38:39], v[12:13], v[38:39], v[50:51] neg_lo:[0,0,1] neg_hi:[0,0,1]
	v_mov_b32_e32 v41, v45
	s_delay_alu instid0(VALU_DEP_3) | instskip(SKIP_2) | instid1(VALU_DEP_2)
	v_pk_add_f32 v[8:9], v[8:9], v[42:43]
	s_wait_loadcnt 0x0
	v_pk_mul_f32 v[42:43], v[26:27], v[36:37] op_sel:[0,1]
	v_pk_add_f32 v[8:9], v[40:41], v[8:9]
	s_delay_alu instid0(VALU_DEP_2) | instskip(SKIP_2) | instid1(VALU_DEP_3)
	v_pk_fma_f32 v[40:41], v[14:15], v[36:37], v[42:43] op_sel_hi:[1,0,1]
	v_mov_b32_e32 v39, v47
	v_pk_fma_f32 v[36:37], v[14:15], v[36:37], v[42:43] neg_lo:[0,0,1] neg_hi:[0,0,1]
	v_mov_b32_e32 v37, v41
	s_delay_alu instid0(VALU_DEP_3) | instskip(NEXT) | instid1(VALU_DEP_1)
	v_pk_add_f32 v[8:9], v[38:39], v[8:9]
	v_pk_add_f32 v[8:9], v[36:37], v[8:9]
.LBB106_42:                             ;   in Loop: Header=BB106_6 Depth=1
	s_or_b32 exec_lo, exec_lo, s40
	s_wait_loadcnt 0x3
	v_pk_mul_f32 v[34:35], v[34:35], v[28:29] op_sel:[0,1]
	s_wait_loadcnt 0x2
	v_pk_mul_f32 v[32:33], v[32:33], v[24:25] op_sel:[0,1]
	;; [unrolled: 2-line block ×3, first 2 shown]
	v_pk_fma_f32 v[36:37], v[18:19], v[28:29], v[34:35] op_sel_hi:[1,0,1]
	v_pk_fma_f32 v[18:19], v[18:19], v[28:29], v[34:35] neg_lo:[0,0,1] neg_hi:[0,0,1]
	v_pk_fma_f32 v[28:29], v[16:17], v[24:25], v[32:33] op_sel_hi:[1,0,1]
	v_pk_fma_f32 v[16:17], v[16:17], v[24:25], v[32:33] neg_lo:[0,0,1] neg_hi:[0,0,1]
	v_pk_fma_f32 v[24:25], v[12:13], v[22:23], v[30:31] op_sel_hi:[1,0,1]
	v_mov_b32_e32 v19, v37
	v_pk_fma_f32 v[12:13], v[12:13], v[22:23], v[30:31] neg_lo:[0,0,1] neg_hi:[0,0,1]
	v_mov_b32_e32 v17, v29
	s_delay_alu instid0(VALU_DEP_3) | instskip(SKIP_2) | instid1(VALU_DEP_2)
	v_pk_add_f32 v[4:5], v[4:5], v[18:19]
	s_wait_loadcnt 0x0
	v_pk_mul_f32 v[18:19], v[26:27], v[20:21] op_sel:[0,1]
	v_pk_add_f32 v[4:5], v[16:17], v[4:5]
	s_delay_alu instid0(VALU_DEP_2) | instskip(SKIP_2) | instid1(VALU_DEP_3)
	v_pk_fma_f32 v[16:17], v[14:15], v[20:21], v[18:19] op_sel_hi:[1,0,1]
	v_mov_b32_e32 v13, v25
	v_pk_fma_f32 v[14:15], v[14:15], v[20:21], v[18:19] neg_lo:[0,0,1] neg_hi:[0,0,1]
	v_mov_b32_e32 v15, v17
	s_delay_alu instid0(VALU_DEP_3) | instskip(NEXT) | instid1(VALU_DEP_1)
	v_pk_add_f32 v[4:5], v[12:13], v[4:5]
	v_pk_add_f32 v[4:5], v[14:15], v[4:5]
.LBB106_43:                             ;   in Loop: Header=BB106_6 Depth=1
	s_or_b32 exec_lo, exec_lo, s7
.LBB106_44:                             ;   in Loop: Header=BB106_6 Depth=1
	ds_store_2addr_stride64_b64 v61, v[4:5], v[8:9] offset1:1
	ds_store_2addr_stride64_b64 v61, v[6:7], v[10:11] offset0:2 offset1:3
	s_wait_storecnt 0x0
	s_wait_loadcnt_dscnt 0x0
	s_barrier_signal -1
	s_barrier_wait -1
	s_and_saveexec_b32 s7, s0
	s_cbranch_execz .LBB106_4
; %bb.45:                               ;   in Loop: Header=BB106_6 Depth=1
	ds_load_2addr_stride64_b64 v[4:7], v62 offset1:4
	ds_load_2addr_stride64_b64 v[8:11], v62 offset0:8 offset1:12
	s_wait_dscnt 0x1
	v_pk_add_f32 v[4:5], v[4:5], v[6:7]
	s_wait_dscnt 0x0
	s_delay_alu instid0(VALU_DEP_1) | instskip(NEXT) | instid1(VALU_DEP_1)
	v_pk_add_f32 v[4:5], v[4:5], v[8:9]
	v_pk_add_f32 v[6:7], v[4:5], v[10:11]
	ds_store_b64 v62, v[6:7]
	s_and_b32 exec_lo, exec_lo, s2
	s_cbranch_execz .LBB106_4
; %bb.46:                               ;   in Loop: Header=BB106_6 Depth=1
	v_mov_b64_e32 v[4:5], s[34:35]
	v_mov_b64_e32 v[8:9], s[10:11]
	s_and_not1_b32 vcc_lo, exec_lo, s44
	s_delay_alu instid0(VALU_DEP_2) | instskip(NEXT) | instid1(VALU_DEP_1)
	v_pk_mul_f32 v[10:11], v[6:7], v[4:5] op_sel:[1,0]
	v_pk_fma_f32 v[4:5], v[6:7], v[8:9], v[10:11] op_sel_hi:[0,1,1] neg_lo:[0,0,1] neg_hi:[0,0,1]
	v_pk_fma_f32 v[8:9], v[6:7], v[8:9], v[10:11] op_sel_hi:[0,1,1]
	v_lshl_add_u64 v[6:7], v[2:3], 3, s[36:37]
	s_cbranch_vccnz .LBB106_3
; %bb.47:                               ;   in Loop: Header=BB106_6 Depth=1
	global_load_b64 v[10:11], v[6:7], off
	v_mov_b64_e32 v[12:13], s[30:31]
	v_mov_b64_e32 v[14:15], s[14:15]
	s_wait_loadcnt 0x0
	s_delay_alu instid0(VALU_DEP_2) | instskip(NEXT) | instid1(VALU_DEP_1)
	v_pk_mul_f32 v[12:13], v[12:13], v[10:11] op_sel:[0,1]
	v_pk_fma_f32 v[16:17], v[14:15], v[10:11], v[12:13] op_sel_hi:[1,0,1]
	v_mov_b32_e32 v5, v9
	v_pk_fma_f32 v[8:9], v[14:15], v[10:11], v[12:13] neg_lo:[0,0,1] neg_hi:[0,0,1]
	s_delay_alu instid0(VALU_DEP_3) | instskip(NEXT) | instid1(VALU_DEP_1)
	v_mov_b32_e32 v9, v17
	v_pk_add_f32 v[4:5], v[4:5], v[8:9]
	s_delay_alu instid0(VALU_DEP_1)
	v_mov_b32_e32 v9, v5
	s_branch .LBB106_3
.LBB106_48:
	s_sendmsg sendmsg(MSG_DEALLOC_VGPRS)
	s_endpgm
	.section	.rodata,"a",@progbits
	.p2align	6, 0x0
	.amdhsa_kernel _ZL20rocblas_gemvn_kernelILi64ELi4Ei19rocblas_complex_numIfES1_S1_EviiT3_lPKT2_lT1_lS5_lS6_lS2_lPT4_lS6_li
		.amdhsa_group_segment_fixed_size 8192
		.amdhsa_private_segment_fixed_size 0
		.amdhsa_kernarg_size 400
		.amdhsa_user_sgpr_count 2
		.amdhsa_user_sgpr_dispatch_ptr 0
		.amdhsa_user_sgpr_queue_ptr 0
		.amdhsa_user_sgpr_kernarg_segment_ptr 1
		.amdhsa_user_sgpr_dispatch_id 0
		.amdhsa_user_sgpr_kernarg_preload_length 0
		.amdhsa_user_sgpr_kernarg_preload_offset 0
		.amdhsa_user_sgpr_private_segment_size 0
		.amdhsa_wavefront_size32 1
		.amdhsa_uses_dynamic_stack 0
		.amdhsa_enable_private_segment 0
		.amdhsa_system_sgpr_workgroup_id_x 1
		.amdhsa_system_sgpr_workgroup_id_y 0
		.amdhsa_system_sgpr_workgroup_id_z 1
		.amdhsa_system_sgpr_workgroup_info 0
		.amdhsa_system_vgpr_workitem_id 1
		.amdhsa_next_free_vgpr 80
		.amdhsa_next_free_sgpr 56
		.amdhsa_named_barrier_count 0
		.amdhsa_reserve_vcc 1
		.amdhsa_float_round_mode_32 0
		.amdhsa_float_round_mode_16_64 0
		.amdhsa_float_denorm_mode_32 3
		.amdhsa_float_denorm_mode_16_64 3
		.amdhsa_fp16_overflow 0
		.amdhsa_memory_ordered 1
		.amdhsa_forward_progress 1
		.amdhsa_inst_pref_size 31
		.amdhsa_round_robin_scheduling 0
		.amdhsa_exception_fp_ieee_invalid_op 0
		.amdhsa_exception_fp_denorm_src 0
		.amdhsa_exception_fp_ieee_div_zero 0
		.amdhsa_exception_fp_ieee_overflow 0
		.amdhsa_exception_fp_ieee_underflow 0
		.amdhsa_exception_fp_ieee_inexact 0
		.amdhsa_exception_int_div_zero 0
	.end_amdhsa_kernel
	.section	.text._ZL20rocblas_gemvn_kernelILi64ELi4Ei19rocblas_complex_numIfES1_S1_EviiT3_lPKT2_lT1_lS5_lS6_lS2_lPT4_lS6_li,"axG",@progbits,_ZL20rocblas_gemvn_kernelILi64ELi4Ei19rocblas_complex_numIfES1_S1_EviiT3_lPKT2_lT1_lS5_lS6_lS2_lPT4_lS6_li,comdat
.Lfunc_end106:
	.size	_ZL20rocblas_gemvn_kernelILi64ELi4Ei19rocblas_complex_numIfES1_S1_EviiT3_lPKT2_lT1_lS5_lS6_lS2_lPT4_lS6_li, .Lfunc_end106-_ZL20rocblas_gemvn_kernelILi64ELi4Ei19rocblas_complex_numIfES1_S1_EviiT3_lPKT2_lT1_lS5_lS6_lS2_lPT4_lS6_li
                                        ; -- End function
	.set _ZL20rocblas_gemvn_kernelILi64ELi4Ei19rocblas_complex_numIfES1_S1_EviiT3_lPKT2_lT1_lS5_lS6_lS2_lPT4_lS6_li.num_vgpr, 80
	.set _ZL20rocblas_gemvn_kernelILi64ELi4Ei19rocblas_complex_numIfES1_S1_EviiT3_lPKT2_lT1_lS5_lS6_lS2_lPT4_lS6_li.num_agpr, 0
	.set _ZL20rocblas_gemvn_kernelILi64ELi4Ei19rocblas_complex_numIfES1_S1_EviiT3_lPKT2_lT1_lS5_lS6_lS2_lPT4_lS6_li.numbered_sgpr, 56
	.set _ZL20rocblas_gemvn_kernelILi64ELi4Ei19rocblas_complex_numIfES1_S1_EviiT3_lPKT2_lT1_lS5_lS6_lS2_lPT4_lS6_li.num_named_barrier, 0
	.set _ZL20rocblas_gemvn_kernelILi64ELi4Ei19rocblas_complex_numIfES1_S1_EviiT3_lPKT2_lT1_lS5_lS6_lS2_lPT4_lS6_li.private_seg_size, 0
	.set _ZL20rocblas_gemvn_kernelILi64ELi4Ei19rocblas_complex_numIfES1_S1_EviiT3_lPKT2_lT1_lS5_lS6_lS2_lPT4_lS6_li.uses_vcc, 1
	.set _ZL20rocblas_gemvn_kernelILi64ELi4Ei19rocblas_complex_numIfES1_S1_EviiT3_lPKT2_lT1_lS5_lS6_lS2_lPT4_lS6_li.uses_flat_scratch, 0
	.set _ZL20rocblas_gemvn_kernelILi64ELi4Ei19rocblas_complex_numIfES1_S1_EviiT3_lPKT2_lT1_lS5_lS6_lS2_lPT4_lS6_li.has_dyn_sized_stack, 0
	.set _ZL20rocblas_gemvn_kernelILi64ELi4Ei19rocblas_complex_numIfES1_S1_EviiT3_lPKT2_lT1_lS5_lS6_lS2_lPT4_lS6_li.has_recursion, 0
	.set _ZL20rocblas_gemvn_kernelILi64ELi4Ei19rocblas_complex_numIfES1_S1_EviiT3_lPKT2_lT1_lS5_lS6_lS2_lPT4_lS6_li.has_indirect_call, 0
	.section	.AMDGPU.csdata,"",@progbits
; Kernel info:
; codeLenInByte = 3944
; TotalNumSgprs: 58
; NumVgprs: 80
; ScratchSize: 0
; MemoryBound: 0
; FloatMode: 240
; IeeeMode: 1
; LDSByteSize: 8192 bytes/workgroup (compile time only)
; SGPRBlocks: 0
; VGPRBlocks: 4
; NumSGPRsForWavesPerEU: 58
; NumVGPRsForWavesPerEU: 80
; NamedBarCnt: 0
; Occupancy: 12
; WaveLimiterHint : 0
; COMPUTE_PGM_RSRC2:SCRATCH_EN: 0
; COMPUTE_PGM_RSRC2:USER_SGPR: 2
; COMPUTE_PGM_RSRC2:TRAP_HANDLER: 0
; COMPUTE_PGM_RSRC2:TGID_X_EN: 1
; COMPUTE_PGM_RSRC2:TGID_Y_EN: 0
; COMPUTE_PGM_RSRC2:TGID_Z_EN: 1
; COMPUTE_PGM_RSRC2:TIDIG_COMP_CNT: 1
	.section	.text._ZL20rocblas_gemvn_kernelILi64ELi4El19rocblas_complex_numIfES1_S1_EviiT3_lPKT2_lT1_lS5_lS6_lS2_lPT4_lS6_li,"axG",@progbits,_ZL20rocblas_gemvn_kernelILi64ELi4El19rocblas_complex_numIfES1_S1_EviiT3_lPKT2_lT1_lS5_lS6_lS2_lPT4_lS6_li,comdat
	.globl	_ZL20rocblas_gemvn_kernelILi64ELi4El19rocblas_complex_numIfES1_S1_EviiT3_lPKT2_lT1_lS5_lS6_lS2_lPT4_lS6_li ; -- Begin function _ZL20rocblas_gemvn_kernelILi64ELi4El19rocblas_complex_numIfES1_S1_EviiT3_lPKT2_lT1_lS5_lS6_lS2_lPT4_lS6_li
	.p2align	8
	.type	_ZL20rocblas_gemvn_kernelILi64ELi4El19rocblas_complex_numIfES1_S1_EviiT3_lPKT2_lT1_lS5_lS6_lS2_lPT4_lS6_li,@function
_ZL20rocblas_gemvn_kernelILi64ELi4El19rocblas_complex_numIfES1_S1_EviiT3_lPKT2_lT1_lS5_lS6_lS2_lPT4_lS6_li: ; @_ZL20rocblas_gemvn_kernelILi64ELi4El19rocblas_complex_numIfES1_S1_EviiT3_lPKT2_lT1_lS5_lS6_lS2_lPT4_lS6_li
; %bb.0:
	s_load_b64 s[2:3], s[0:1], 0x9c
	s_wait_kmcnt 0x0
	s_lshr_b32 s4, s2, 16
	s_and_b32 s2, s2, 0xffff
	s_and_b32 s3, s3, 0xffff
	s_mul_i32 s2, s4, s2
	s_delay_alu instid0(SALU_CYCLE_1) | instskip(NEXT) | instid1(SALU_CYCLE_1)
	s_mul_i32 s2, s2, s3
	s_cmp_lg_u32 s2, 0x100
	s_cbranch_scc1 .LBB107_48
; %bb.1:
	s_load_b32 s33, s[0:1], 0x88
	s_bfe_u32 s2, ttmp6, 0x40014
	s_lshr_b32 s3, ttmp7, 16
	s_add_co_i32 s2, s2, 1
	s_bfe_u32 s4, ttmp6, 0x40008
	s_mul_i32 s2, s3, s2
	s_getreg_b32 s6, hwreg(HW_REG_IB_STS2, 6, 4)
	s_add_co_i32 s4, s4, s2
	s_cmp_eq_u32 s6, 0
	s_mov_b32 s35, 0
	s_cselect_b32 s34, s3, s4
	s_wait_kmcnt 0x0
	s_cmp_ge_u32 s34, s33
	s_cbranch_scc1 .LBB107_48
; %bb.2:
	s_clause 0x3
	s_load_b512 s[8:23], s[0:1], 0x18
	s_load_b256 s[24:31], s[0:1], 0x68
	s_load_b128 s[36:39], s[0:1], 0x0
	s_load_b64 s[40:41], s[0:1], 0x58
	v_and_b32_e32 v12, 0x3ff, v0
	v_bfe_u32 v2, v0, 10, 10
	s_delay_alu instid0(VALU_DEP_2) | instskip(NEXT) | instid1(VALU_DEP_2)
	v_dual_mov_b32 v1, 0 :: v_dual_lshlrev_b32 v0, 3, v12
	v_lshl_add_u32 v13, v2, 6, v12
	s_delay_alu instid0(VALU_DEP_2) | instskip(NEXT) | instid1(VALU_DEP_3)
	v_dual_mov_b32 v3, v1 :: v_dual_lshlrev_b32 v92, 2, v2
	v_lshl_add_u32 v93, v2, 11, v0
	v_lshl_add_u32 v94, v2, 9, v0
	s_wait_kmcnt 0x0
	s_lshl_b64 s[4:5], s[10:11], 3
	s_lshl_b64 s[10:11], s[18:19], 3
	;; [unrolled: 1-line block ×3, first 2 shown]
	s_cmp_neq_f32 s38, 0
	s_mov_b32 s46, s36
	v_mul_u64_e32 v[8:9], s[20:21], v[2:3]
	v_mul_u64_e32 v[10:11], s[12:13], v[2:3]
	s_cselect_b32 s0, -1, 0
	s_cmp_neq_f32 s39, 0
	v_mad_nc_u64_u32 v[2:3], s20, v92, s[20:21]
	v_mad_nc_u64_u32 v[6:7], s12, v92, s[12:13]
	s_add_nc_u64 s[24:25], s[24:25], s[2:3]
	s_cselect_b32 s1, -1, 0
	s_add_nc_u64 s[42:43], s[8:9], s[4:5]
	s_or_b32 s7, s0, s1
	s_cmp_neq_f32 s40, 1.0
	v_cmp_gt_u32_e64 s0, 0x100, v13
	s_mov_b32 s18, s41
	s_mov_b32 s19, s40
	s_cselect_b32 s48, -1, 0
	s_cmp_neq_f32 s41, 0
	v_mad_u32 v3, s21, v92, v3
	v_mad_u32 v7, s13, v92, v7
	s_mov_b32 s26, s39
	s_cselect_b32 s49, -1, 0
	s_or_b32 s1, s38, s39
	s_add_nc_u64 s[44:45], s[16:17], s[10:11]
	s_bitset0_b32 s1, 31
	s_delay_alu instid0(SALU_CYCLE_1)
	s_cmp_eq_u32 s1, 0
	s_cselect_b32 s52, -1, 0
	s_bfe_u32 s1, ttmp6, 0x4000c
	s_and_b32 s27, ttmp6, 15
	s_add_co_i32 s1, s1, 1
	v_lshl_add_u64 v[2:3], v[2:3], 3, s[16:17]
	s_mul_i32 s1, ttmp9, s1
	v_lshlrev_b64_e32 v[8:9], 5, v[8:9]
	s_add_co_i32 s1, s27, s1
	s_cmp_eq_u32 s6, 0
	v_lshlrev_b64_e32 v[10:11], 5, v[10:11]
	s_cselect_b32 s1, ttmp9, s1
	s_ashr_i32 s47, s36, 31
	s_lshl_b32 s1, s1, 8
	s_cmp_neq_f32 s40, 0
	v_dual_add_nc_u32 v0, s1, v13 :: v_dual_bitop2_b32 v14, s1, v13 bitop3:0x54
	v_or_b32_e32 v20, s1, v12
	s_cselect_b32 s1, -1, 0
	s_ashr_i32 s2, s37, 31
	s_delay_alu instid0(VALU_DEP_2)
	v_cmp_gt_i64_e32 vcc_lo, s[46:47], v[0:1]
	v_mul_u64_e32 v[4:5], s[28:29], v[0:1]
	v_dual_ashrrev_i32 v15, 31, v14 :: v_dual_bitop2_b32 v0, 3, v92 bitop3:0x54
	s_lshr_b32 s2, s2, 28
	v_ashrrev_i32_e32 v21, 31, v20
	s_add_co_i32 s3, s37, s2
	s_delay_alu instid0(VALU_DEP_2)
	v_mul_u64_e32 v[16:17], s[12:13], v[0:1]
	v_mul_u64_e32 v[18:19], s[20:21], v[0:1]
	v_or_b32_e32 v0, 2, v92
	v_mul_u64_e32 v[12:13], s[28:29], v[14:15]
	v_add_nc_u32_e32 v15, 0x80, v20
	v_add_nc_u32_e32 v26, 0xc0, v20
	s_and_b32 s54, s3, -16
	v_mul_u64_e32 v[22:23], s[12:13], v[0:1]
	v_mul_u64_e32 v[24:25], s[20:21], v[0:1]
	v_add_nc_u32_e32 v0, 64, v20
	s_sub_co_i32 s6, s37, s54
	v_add_nc_u64_e32 v[8:9], s[16:17], v[8:9]
	v_add_nc_u64_e32 v[10:11], s[42:43], v[10:11]
	s_or_b32 s53, s1, s49
	v_cmp_gt_i32_e64 s2, s36, v14
	v_cmp_gt_i32_e64 s4, s36, v15
	v_lshlrev_b64_e32 v[14:15], 3, v[20:21]
	s_cmp_gt_i32 s6, 0
	v_lshl_add_u64 v[6:7], v[6:7], 3, s[42:43]
	v_cmp_gt_i32_e64 s1, s36, v20
	v_cmp_gt_i32_e64 s3, s36, v0
	;; [unrolled: 1-line block ×4, first 2 shown]
	s_cselect_b32 s36, -1, 0
	s_or_b32 s7, s7, s48
	s_mov_b32 s27, s38
	s_and_b32 s55, s0, vcc_lo
	s_lshl_b64 s[28:29], s[22:23], 3
	s_or_b32 s56, s7, s49
	s_lshl_b64 s[46:47], s[14:15], 3
	s_lshl_b64 s[48:49], s[12:13], 7
	v_lshl_add_u64 v[16:17], v[16:17], 3, s[42:43]
	v_lshl_add_u64 v[18:19], v[18:19], 3, s[16:17]
	;; [unrolled: 1-line block ×4, first 2 shown]
	s_lshl_b64 s[16:17], s[20:21], 7
	s_branch .LBB107_6
.LBB107_3:                              ;   in Loop: Header=BB107_6 Depth=1
	s_delay_alu instid0(VALU_DEP_1)
	v_mov_b32_e32 v25, v29
	global_store_b64 v[26:27], v[24:25], off
.LBB107_4:                              ;   in Loop: Header=BB107_6 Depth=1
	s_wait_xcnt 0x0
	s_or_b32 exec_lo, exec_lo, s7
.LBB107_5:                              ;   in Loop: Header=BB107_6 Depth=1
	s_add_co_i32 s34, s34, 0x10000
	s_delay_alu instid0(SALU_CYCLE_1)
	s_cmp_lt_u32 s34, s33
	s_cbranch_scc0 .LBB107_48
.LBB107_6:                              ; =>This Loop Header: Depth=1
                                        ;     Child Loop BB107_20 Depth 2
	s_and_not1_b32 vcc_lo, exec_lo, s56
	s_cbranch_vccnz .LBB107_5
; %bb.7:                                ;   in Loop: Header=BB107_6 Depth=1
	s_mul_u64 s[8:9], s[30:31], s[34:35]
	s_and_not1_b32 vcc_lo, exec_lo, s52
	s_lshl_b64 s[8:9], s[8:9], 3
	s_mov_b32 s7, -1
	s_add_nc_u64 s[50:51], s[24:25], s[8:9]
	s_cbranch_vccnz .LBB107_13
; %bb.8:                                ;   in Loop: Header=BB107_6 Depth=1
	s_and_saveexec_b32 s7, s55
	s_cbranch_execz .LBB107_12
; %bb.9:                                ;   in Loop: Header=BB107_6 Depth=1
	v_dual_mov_b32 v26, 0 :: v_dual_mov_b32 v27, 0
	v_lshl_add_u64 v[24:25], v[4:5], 3, s[50:51]
	s_and_not1_b32 vcc_lo, exec_lo, s53
	s_cbranch_vccnz .LBB107_11
; %bb.10:                               ;   in Loop: Header=BB107_6 Depth=1
	global_load_b64 v[26:27], v[24:25], off
	v_mov_b64_e32 v[28:29], s[18:19]
	v_mov_b64_e32 v[30:31], s[40:41]
	s_wait_loadcnt 0x0
	s_delay_alu instid0(VALU_DEP_2) | instskip(NEXT) | instid1(VALU_DEP_1)
	v_pk_mul_f32 v[28:29], v[28:29], v[26:27] op_sel:[0,1]
	v_pk_fma_f32 v[32:33], v[30:31], v[26:27], v[28:29] op_sel_hi:[1,0,1]
	v_pk_fma_f32 v[26:27], v[30:31], v[26:27], v[28:29] neg_lo:[0,0,1] neg_hi:[0,0,1]
	s_delay_alu instid0(VALU_DEP_2)
	v_mov_b32_e32 v27, v33
.LBB107_11:                             ;   in Loop: Header=BB107_6 Depth=1
	global_store_b64 v[24:25], v[26:27], off
.LBB107_12:                             ;   in Loop: Header=BB107_6 Depth=1
	s_wait_xcnt 0x0
	s_or_b32 exec_lo, exec_lo, s7
	s_mov_b32 s7, 0
.LBB107_13:                             ;   in Loop: Header=BB107_6 Depth=1
	s_delay_alu instid0(SALU_CYCLE_1)
	s_and_not1_b32 vcc_lo, exec_lo, s7
	s_cbranch_vccnz .LBB107_5
; %bb.14:                               ;   in Loop: Header=BB107_6 Depth=1
	v_mov_b64_e32 v[26:27], 0
	v_mov_b64_e32 v[28:29], 0
	;; [unrolled: 1-line block ×4, first 2 shown]
	v_mov_b32_e32 v0, v92
	s_and_saveexec_b32 s7, s6
	s_cbranch_execz .LBB107_26
; %bb.15:                               ;   in Loop: Header=BB107_6 Depth=1
	s_mul_u64 s[8:9], s[28:29], s[34:35]
	s_mul_u64 s[58:59], s[46:47], s[34:35]
	v_add_nc_u64_e32 v[32:33], s[8:9], v[8:9]
	v_add_nc_u64_e32 v[34:35], s[58:59], v[16:17]
	;; [unrolled: 1-line block ×8, first 2 shown]
	v_mov_b64_e32 v[24:25], 0
	v_mov_b64_e32 v[30:31], 0
	v_mov_b64_e32 v[28:29], 0
	v_mov_b64_e32 v[26:27], 0
	v_mov_b32_e32 v0, v92
	s_mov_b32 s8, 0
	s_branch .LBB107_20
.LBB107_16:                             ;   in Loop: Header=BB107_20 Depth=2
	s_or_b32 exec_lo, exec_lo, s59
	s_wait_loadcnt 0x3
	v_dual_mul_f32 v84, v57, v83 :: v_dual_mul_f32 v85, v56, v83
	s_wait_loadcnt 0x2
	v_dual_mul_f32 v88, v59, v81 :: v_dual_mul_f32 v83, v58, v81
	s_wait_loadcnt 0x1
	v_pk_mul_f32 v[86:87], v[74:75], v[78:79] op_sel:[0,1]
	v_dual_fma_f32 v84, v56, v82, -v84 :: v_dual_fmac_f32 v85, v57, v82
	s_delay_alu instid0(VALU_DEP_3) | instskip(NEXT) | instid1(VALU_DEP_3)
	v_dual_fma_f32 v82, v58, v80, -v88 :: v_dual_fmac_f32 v83, v59, v80
	v_pk_fma_f32 v[80:81], v[50:51], v[78:79], v[86:87] op_sel_hi:[1,0,1]
	v_pk_fma_f32 v[78:79], v[50:51], v[78:79], v[86:87] neg_lo:[0,0,1] neg_hi:[0,0,1]
	s_delay_alu instid0(VALU_DEP_4) | instskip(SKIP_3) | instid1(VALU_DEP_3)
	v_pk_add_f32 v[28:29], v[28:29], v[84:85]
	s_wait_loadcnt 0x0
	v_pk_mul_f32 v[84:85], v[68:69], v[76:77] op_sel:[0,1]
	v_mov_b32_e32 v79, v81
	v_pk_add_f32 v[28:29], v[82:83], v[28:29]
	s_delay_alu instid0(VALU_DEP_3) | instskip(SKIP_1) | instid1(VALU_DEP_2)
	v_pk_fma_f32 v[80:81], v[48:49], v[76:77], v[84:85] op_sel_hi:[1,0,1]
	v_pk_fma_f32 v[76:77], v[48:49], v[76:77], v[84:85] neg_lo:[0,0,1] neg_hi:[0,0,1]
	v_mov_b32_e32 v77, v81
	s_delay_alu instid0(VALU_DEP_4) | instskip(NEXT) | instid1(VALU_DEP_1)
	v_pk_add_f32 v[28:29], v[78:79], v[28:29]
	v_pk_add_f32 v[28:29], v[76:77], v[28:29]
.LBB107_17:                             ;   in Loop: Header=BB107_20 Depth=2
	s_or_b32 exec_lo, exec_lo, s58
	s_wait_loadcnt 0x3
	v_dual_mul_f32 v76, v57, v73 :: v_dual_mul_f32 v77, v56, v73
	s_wait_loadcnt 0x2
	v_dual_mul_f32 v78, v59, v71 :: v_dual_mul_f32 v73, v58, v71
	s_wait_loadcnt 0x1
	v_pk_mul_f32 v[74:75], v[74:75], v[66:67] op_sel:[0,1]
	v_dual_fma_f32 v76, v56, v72, -v76 :: v_dual_fmac_f32 v77, v57, v72
	s_delay_alu instid0(VALU_DEP_3) | instskip(NEXT) | instid1(VALU_DEP_3)
	v_dual_fma_f32 v72, v58, v70, -v78 :: v_dual_fmac_f32 v73, v59, v70
	v_pk_fma_f32 v[70:71], v[50:51], v[66:67], v[74:75] op_sel_hi:[1,0,1]
	s_wait_loadcnt 0x0
	v_pk_mul_f32 v[68:69], v[68:69], v[64:65] op_sel:[0,1]
	v_pk_add_f32 v[30:31], v[30:31], v[76:77]
	v_pk_fma_f32 v[66:67], v[50:51], v[66:67], v[74:75] neg_lo:[0,0,1] neg_hi:[0,0,1]
	v_mov_b32_e32 v67, v71
	s_delay_alu instid0(VALU_DEP_4) | instskip(NEXT) | instid1(VALU_DEP_4)
	v_pk_fma_f32 v[70:71], v[48:49], v[64:65], v[68:69] op_sel_hi:[1,0,1]
	v_pk_add_f32 v[30:31], v[72:73], v[30:31]
	v_pk_fma_f32 v[64:65], v[48:49], v[64:65], v[68:69] neg_lo:[0,0,1] neg_hi:[0,0,1]
	s_delay_alu instid0(VALU_DEP_3) | instskip(NEXT) | instid1(VALU_DEP_3)
	v_mov_b32_e32 v65, v71
	v_pk_add_f32 v[30:31], v[66:67], v[30:31]
	s_delay_alu instid0(VALU_DEP_1)
	v_pk_add_f32 v[30:31], v[64:65], v[30:31]
.LBB107_18:                             ;   in Loop: Header=BB107_20 Depth=2
	s_or_b32 exec_lo, exec_lo, s57
	s_wait_loadcnt 0x3
	v_dual_mul_f32 v64, v57, v63 :: v_dual_mul_f32 v65, v56, v63
	s_wait_loadcnt 0x2
	v_dual_mul_f32 v68, v59, v61 :: v_dual_mul_f32 v63, v58, v61
	s_wait_loadcnt 0x1
	v_pk_mul_f32 v[66:67], v[50:51], v[54:55] op_sel:[1,1] op_sel_hi:[0,1]
	v_dual_fma_f32 v64, v56, v62, -v64 :: v_dual_fmac_f32 v65, v57, v62
	s_delay_alu instid0(VALU_DEP_3) | instskip(NEXT) | instid1(VALU_DEP_3)
	v_dual_fma_f32 v62, v58, v60, -v68 :: v_dual_fmac_f32 v63, v59, v60
	v_pk_fma_f32 v[56:57], v[50:51], v[54:55], v[66:67] op_sel_hi:[1,0,1]
	s_wait_loadcnt 0x0
	v_pk_mul_f32 v[58:59], v[48:49], v[52:53] op_sel:[1,1] op_sel_hi:[0,1]
	v_pk_add_f32 v[24:25], v[24:25], v[64:65]
	v_pk_fma_f32 v[50:51], v[50:51], v[54:55], v[66:67] neg_lo:[0,0,1] neg_hi:[0,0,1]
	s_delay_alu instid0(VALU_DEP_3) | instskip(SKIP_1) | instid1(VALU_DEP_4)
	v_pk_fma_f32 v[54:55], v[48:49], v[52:53], v[58:59] op_sel_hi:[1,0,1]
	v_mov_b32_e32 v51, v57
	v_pk_add_f32 v[24:25], v[62:63], v[24:25]
	v_pk_fma_f32 v[48:49], v[48:49], v[52:53], v[58:59] neg_lo:[0,0,1] neg_hi:[0,0,1]
	s_delay_alu instid0(VALU_DEP_4) | instskip(NEXT) | instid1(VALU_DEP_3)
	v_mov_b32_e32 v49, v55
	v_pk_add_f32 v[24:25], v[50:51], v[24:25]
	s_delay_alu instid0(VALU_DEP_1)
	v_pk_add_f32 v[24:25], v[48:49], v[24:25]
.LBB107_19:                             ;   in Loop: Header=BB107_20 Depth=2
	s_or_b32 exec_lo, exec_lo, s9
	v_add_nc_u32_e32 v0, 16, v0
	v_add_nc_u64_e32 v[32:33], s[16:17], v[32:33]
	v_add_nc_u64_e32 v[34:35], s[48:49], v[34:35]
	v_add_nc_u64_e32 v[36:37], s[16:17], v[36:37]
	v_add_nc_u64_e32 v[38:39], s[48:49], v[38:39]
	v_add_nc_u64_e32 v[40:41], s[48:49], v[40:41]
	v_add_nc_u64_e32 v[42:43], s[16:17], v[42:43]
	v_add_nc_u64_e32 v[44:45], s[16:17], v[44:45]
	v_cmp_le_i32_e32 vcc_lo, s54, v0
	v_add_nc_u64_e32 v[46:47], s[48:49], v[46:47]
	s_or_b32 s8, vcc_lo, s8
	s_delay_alu instid0(SALU_CYCLE_1)
	s_and_not1_b32 exec_lo, exec_lo, s8
	s_cbranch_execz .LBB107_25
.LBB107_20:                             ;   Parent Loop BB107_6 Depth=1
                                        ; =>  This Inner Loop Header: Depth=2
	s_and_saveexec_b32 s9, s1
	s_cbranch_execz .LBB107_19
; %bb.21:                               ;   in Loop: Header=BB107_20 Depth=2
	v_add_nc_u64_e32 v[48:49], s[10:11], v[32:33]
	v_add_nc_u64_e32 v[50:51], s[10:11], v[44:45]
	;; [unrolled: 1-line block ×8, first 2 shown]
	global_load_b64 v[56:57], v[48:49], off
	global_load_b64 v[58:59], v[50:51], off
	;; [unrolled: 1-line block ×8, first 2 shown]
	s_wait_xcnt 0x0
	s_and_saveexec_b32 s57, s3
	s_cbranch_execz .LBB107_18
; %bb.22:                               ;   in Loop: Header=BB107_20 Depth=2
	global_load_b64 v[72:73], v[90:91], off offset:512
	global_load_b64 v[70:71], v[88:89], off offset:512
	;; [unrolled: 1-line block ×4, first 2 shown]
	s_wait_loadcnt 0x9
	v_dual_mov_b32 v74, v51 :: v_dual_mov_b32 v75, v50
	s_wait_loadcnt 0x8
	v_dual_mov_b32 v68, v49 :: v_dual_mov_b32 v69, v48
	s_wait_xcnt 0x0
	s_and_saveexec_b32 s58, s4
	s_cbranch_execz .LBB107_17
; %bb.23:                               ;   in Loop: Header=BB107_20 Depth=2
	global_load_b64 v[82:83], v[90:91], off offset:1024
	global_load_b64 v[80:81], v[88:89], off offset:1024
	;; [unrolled: 1-line block ×4, first 2 shown]
	s_wait_xcnt 0x0
	s_and_saveexec_b32 s59, s5
	s_cbranch_execz .LBB107_16
; %bb.24:                               ;   in Loop: Header=BB107_20 Depth=2
	global_load_b64 v[90:91], v[90:91], off offset:1536
	global_load_b64 v[88:89], v[88:89], off offset:1536
	;; [unrolled: 1-line block ×4, first 2 shown]
	s_wait_loadcnt 0x3
	v_dual_mul_f32 v95, v57, v91 :: v_dual_mul_f32 v97, v56, v91
	s_wait_loadcnt 0x2
	s_wait_xcnt 0x3
	v_dual_mul_f32 v100, v59, v89 :: v_dual_mul_f32 v91, v58, v89
	s_wait_loadcnt 0x1
	v_pk_mul_f32 v[98:99], v[74:75], v[84:85] op_sel:[0,1]
	v_dual_fma_f32 v96, v56, v90, -v95 :: v_dual_fmac_f32 v97, v57, v90
	s_delay_alu instid0(VALU_DEP_3) | instskip(SKIP_1) | instid1(VALU_DEP_3)
	v_dual_fma_f32 v90, v58, v88, -v100 :: v_dual_fmac_f32 v91, v59, v88
	s_wait_xcnt 0x2
	v_pk_fma_f32 v[88:89], v[50:51], v[84:85], v[98:99] op_sel_hi:[1,0,1]
	s_wait_xcnt 0x1
	v_pk_fma_f32 v[84:85], v[50:51], v[84:85], v[98:99] neg_lo:[0,0,1] neg_hi:[0,0,1]
	v_pk_add_f32 v[26:27], v[26:27], v[96:97]
	s_wait_loadcnt 0x0
	v_pk_mul_f32 v[96:97], v[68:69], v[86:87] op_sel:[0,1]
	v_mov_b32_e32 v85, v89
	s_delay_alu instid0(VALU_DEP_3) | instskip(NEXT) | instid1(VALU_DEP_3)
	v_pk_add_f32 v[26:27], v[90:91], v[26:27]
	v_pk_fma_f32 v[88:89], v[48:49], v[86:87], v[96:97] op_sel_hi:[1,0,1]
	s_wait_xcnt 0x0
	v_pk_fma_f32 v[86:87], v[48:49], v[86:87], v[96:97] neg_lo:[0,0,1] neg_hi:[0,0,1]
	s_delay_alu instid0(VALU_DEP_2) | instskip(SKIP_1) | instid1(VALU_DEP_1)
	v_mov_b32_e32 v87, v89
	v_pk_add_f32 v[26:27], v[84:85], v[26:27]
	v_pk_add_f32 v[26:27], v[86:87], v[26:27]
	s_branch .LBB107_16
.LBB107_25:                             ;   in Loop: Header=BB107_6 Depth=1
	s_or_b32 exec_lo, exec_lo, s8
.LBB107_26:                             ;   in Loop: Header=BB107_6 Depth=1
	s_delay_alu instid0(SALU_CYCLE_1) | instskip(NEXT) | instid1(SALU_CYCLE_1)
	s_or_b32 exec_lo, exec_lo, s7
	s_and_not1_b32 vcc_lo, exec_lo, s36
	s_cbranch_vccnz .LBB107_44
; %bb.27:                               ;   in Loop: Header=BB107_6 Depth=1
	v_dual_mov_b32 v38, 0 :: v_dual_bitop2_b32 v40, 1, v0 bitop3:0x54
	v_cmp_gt_i32_e32 vcc_lo, s37, v0
	s_delay_alu instid0(VALU_DEP_2)
	v_dual_mov_b32 v39, v38 :: v_dual_mov_b32 v36, v38
	v_dual_mov_b32 v37, v38 :: v_dual_mov_b32 v34, v38
	;; [unrolled: 1-line block ×3, first 2 shown]
	v_mov_b32_e32 v33, v38
	s_and_saveexec_b32 s57, vcc_lo
	s_cbranch_execz .LBB107_35
; %bb.28:                               ;   in Loop: Header=BB107_6 Depth=1
	v_mul_u64_e32 v[32:33], s[20:21], v[0:1]
	s_mul_u64 s[8:9], s[22:23], s[34:35]
	v_dual_mov_b32 v35, 0 :: v_dual_mov_b32 v34, 0
	s_lshl_b64 s[8:9], s[8:9], 3
	v_dual_mov_b32 v37, 0 :: v_dual_mov_b32 v36, 0
	s_add_nc_u64 s[8:9], s[44:45], s[8:9]
	v_dual_mov_b32 v39, 0 :: v_dual_mov_b32 v38, 0
	s_mov_b32 s58, exec_lo
	s_delay_alu instid0(VALU_DEP_4)
	v_lshl_add_u64 v[32:33], v[32:33], 3, s[8:9]
	global_load_b64 v[32:33], v[32:33], off
	s_wait_xcnt 0x0
	v_cmpx_gt_i32_e64 s37, v40
	s_cbranch_execz .LBB107_34
; %bb.29:                               ;   in Loop: Header=BB107_6 Depth=1
	v_dual_mov_b32 v41, v1 :: v_dual_bitop2_b32 v42, 2, v0 bitop3:0x54
	v_dual_mov_b32 v37, 0 :: v_dual_mov_b32 v36, 0
	v_dual_mov_b32 v39, 0 :: v_dual_mov_b32 v38, 0
	s_delay_alu instid0(VALU_DEP_3) | instskip(SKIP_1) | instid1(VALU_DEP_1)
	v_mul_u64_e32 v[34:35], s[20:21], v[40:41]
	s_mov_b32 s59, exec_lo
	v_lshl_add_u64 v[34:35], v[34:35], 3, s[8:9]
	global_load_b64 v[34:35], v[34:35], off
	s_wait_xcnt 0x0
	v_cmpx_gt_i32_e64 s37, v42
	s_cbranch_execz .LBB107_33
; %bb.30:                               ;   in Loop: Header=BB107_6 Depth=1
	v_dual_mov_b32 v43, v1 :: v_dual_mov_b32 v39, 0
	v_mov_b32_e32 v38, 0
	s_mov_b32 s60, exec_lo
	s_delay_alu instid0(VALU_DEP_2) | instskip(SKIP_1) | instid1(VALU_DEP_2)
	v_mul_u64_e32 v[36:37], s[20:21], v[42:43]
	v_or_b32_e32 v42, 3, v0
	v_lshl_add_u64 v[36:37], v[36:37], 3, s[8:9]
	global_load_b64 v[36:37], v[36:37], off
	s_wait_xcnt 0x0
	v_cmpx_gt_i32_e64 s37, v42
	s_cbranch_execz .LBB107_32
; %bb.31:                               ;   in Loop: Header=BB107_6 Depth=1
	v_mov_b32_e32 v43, v1
	s_delay_alu instid0(VALU_DEP_1) | instskip(NEXT) | instid1(VALU_DEP_1)
	v_mul_u64_e32 v[38:39], s[20:21], v[42:43]
	v_lshl_add_u64 v[38:39], v[38:39], 3, s[8:9]
	global_load_b64 v[38:39], v[38:39], off
.LBB107_32:                             ;   in Loop: Header=BB107_6 Depth=1
	s_wait_xcnt 0x0
	s_or_b32 exec_lo, exec_lo, s60
.LBB107_33:                             ;   in Loop: Header=BB107_6 Depth=1
	s_delay_alu instid0(SALU_CYCLE_1)
	s_or_b32 exec_lo, exec_lo, s59
.LBB107_34:                             ;   in Loop: Header=BB107_6 Depth=1
	s_delay_alu instid0(SALU_CYCLE_1)
	s_or_b32 exec_lo, exec_lo, s58
.LBB107_35:                             ;   in Loop: Header=BB107_6 Depth=1
	s_delay_alu instid0(SALU_CYCLE_1)
	s_or_b32 exec_lo, exec_lo, s57
	s_and_saveexec_b32 s57, s1
	s_cbranch_execz .LBB107_43
; %bb.36:                               ;   in Loop: Header=BB107_6 Depth=1
	v_dual_mov_b32 v41, v1 :: v_dual_bitop2_b32 v42, 2, v0 bitop3:0x54
	v_mov_b32_e32 v43, v1
	v_mul_u64_e32 v[44:45], s[12:13], v[0:1]
	v_or_b32_e32 v0, 3, v0
	s_delay_alu instid0(VALU_DEP_4)
	v_mul_u64_e32 v[46:47], s[12:13], v[40:41]
	s_mul_u64 s[8:9], s[14:15], s[34:35]
	v_mul_u64_e32 v[48:49], s[12:13], v[42:43]
	v_cmp_gt_i32_e64 s7, s37, v40
	v_mul_u64_e32 v[50:51], s[12:13], v[0:1]
	s_lshl_b64 s[58:59], s[8:9], 3
	v_cmp_gt_i32_e64 s8, s37, v42
	v_cmp_gt_i32_e64 s9, s37, v0
	s_wait_loadcnt 0x0
	v_dual_mov_b32 v54, v33 :: v_dual_mov_b32 v55, v32
	v_dual_mov_b32 v52, v35 :: v_dual_mov_b32 v53, v34
	v_dual_cndmask_b32 v41, 0, v45 :: v_dual_cndmask_b32 v40, 0, v44
	v_dual_cndmask_b32 v43, 0, v47, s7 :: v_dual_cndmask_b32 v42, 0, v46, s7
	v_dual_cndmask_b32 v45, 0, v49, s8 :: v_dual_cndmask_b32 v44, 0, v48, s8
	;; [unrolled: 1-line block ×3, first 2 shown]
	s_add_nc_u64 s[8:9], s[42:43], s[58:59]
	v_dual_mov_b32 v50, v37 :: v_dual_mov_b32 v51, v36
	v_lshl_add_u64 v[40:41], v[40:41], 3, s[8:9]
	v_lshl_add_u64 v[42:43], v[42:43], 3, s[8:9]
	;; [unrolled: 1-line block ×4, first 2 shown]
	s_delay_alu instid0(VALU_DEP_4) | instskip(NEXT) | instid1(VALU_DEP_4)
	v_add_nc_u64_e32 v[72:73], v[40:41], v[14:15]
	v_add_nc_u64_e32 v[74:75], v[42:43], v[14:15]
	s_delay_alu instid0(VALU_DEP_4) | instskip(NEXT) | instid1(VALU_DEP_4)
	v_add_nc_u64_e32 v[76:77], v[44:45], v[14:15]
	v_add_nc_u64_e32 v[78:79], v[46:47], v[14:15]
	s_clause 0x3
	global_load_b64 v[48:49], v[72:73], off
	global_load_b64 v[44:45], v[74:75], off
	global_load_b64 v[42:43], v[76:77], off
	global_load_b64 v[40:41], v[78:79], off
	v_dual_mov_b32 v46, v39 :: v_dual_mov_b32 v47, v38
	s_wait_xcnt 0x0
	s_and_saveexec_b32 s7, s3
	s_cbranch_execz .LBB107_42
; %bb.37:                               ;   in Loop: Header=BB107_6 Depth=1
	s_clause 0x3
	global_load_b64 v[62:63], v[72:73], off offset:512
	global_load_b64 v[60:61], v[74:75], off offset:512
	global_load_b64 v[58:59], v[76:77], off offset:512
	global_load_b64 v[56:57], v[78:79], off offset:512
	s_wait_xcnt 0x0
	s_and_saveexec_b32 s8, s4
	s_cbranch_execz .LBB107_41
; %bb.38:                               ;   in Loop: Header=BB107_6 Depth=1
	s_clause 0x3
	global_load_b64 v[70:71], v[72:73], off offset:1024
	global_load_b64 v[68:69], v[74:75], off offset:1024
	global_load_b64 v[66:67], v[76:77], off offset:1024
	global_load_b64 v[64:65], v[78:79], off offset:1024
	;; [unrolled: 9-line block ×3, first 2 shown]
	s_wait_loadcnt 0x3
	v_pk_mul_f32 v[80:81], v[54:55], v[72:73] op_sel:[0,1]
	s_wait_loadcnt 0x2
	v_pk_mul_f32 v[82:83], v[52:53], v[74:75] op_sel:[0,1]
	;; [unrolled: 2-line block ×3, first 2 shown]
	v_pk_fma_f32 v[84:85], v[32:33], v[72:73], v[80:81] op_sel_hi:[1,0,1]
	s_wait_xcnt 0x3
	v_pk_fma_f32 v[72:73], v[32:33], v[72:73], v[80:81] neg_lo:[0,0,1] neg_hi:[0,0,1]
	v_pk_fma_f32 v[80:81], v[34:35], v[74:75], v[82:83] op_sel_hi:[1,0,1]
	s_wait_xcnt 0x2
	v_pk_fma_f32 v[74:75], v[34:35], v[74:75], v[82:83] neg_lo:[0,0,1] neg_hi:[0,0,1]
	v_pk_fma_f32 v[82:83], v[36:37], v[76:77], v[86:87] op_sel_hi:[1,0,1]
	v_mov_b32_e32 v73, v85
	s_wait_xcnt 0x1
	v_pk_fma_f32 v[76:77], v[36:37], v[76:77], v[86:87] neg_lo:[0,0,1] neg_hi:[0,0,1]
	v_mov_b32_e32 v75, v81
	s_delay_alu instid0(VALU_DEP_3) | instskip(SKIP_2) | instid1(VALU_DEP_2)
	v_pk_add_f32 v[26:27], v[26:27], v[72:73]
	s_wait_loadcnt 0x0
	v_pk_mul_f32 v[72:73], v[46:47], v[78:79] op_sel:[0,1]
	v_pk_add_f32 v[26:27], v[74:75], v[26:27]
	s_delay_alu instid0(VALU_DEP_2) | instskip(SKIP_2) | instid1(VALU_DEP_3)
	v_pk_fma_f32 v[74:75], v[38:39], v[78:79], v[72:73] op_sel_hi:[1,0,1]
	v_mov_b32_e32 v77, v83
	v_pk_fma_f32 v[72:73], v[38:39], v[78:79], v[72:73] neg_lo:[0,0,1] neg_hi:[0,0,1]
	v_mov_b32_e32 v73, v75
	s_delay_alu instid0(VALU_DEP_3) | instskip(NEXT) | instid1(VALU_DEP_1)
	v_pk_add_f32 v[26:27], v[76:77], v[26:27]
	v_pk_add_f32 v[26:27], v[72:73], v[26:27]
.LBB107_40:                             ;   in Loop: Header=BB107_6 Depth=1
	s_wait_xcnt 0x0
	s_or_b32 exec_lo, exec_lo, s9
	s_wait_loadcnt 0x3
	v_pk_mul_f32 v[72:73], v[54:55], v[70:71] op_sel:[0,1]
	s_wait_loadcnt 0x2
	v_pk_mul_f32 v[74:75], v[52:53], v[68:69] op_sel:[0,1]
	;; [unrolled: 2-line block ×3, first 2 shown]
	v_pk_fma_f32 v[76:77], v[32:33], v[70:71], v[72:73] op_sel_hi:[1,0,1]
	v_pk_fma_f32 v[70:71], v[32:33], v[70:71], v[72:73] neg_lo:[0,0,1] neg_hi:[0,0,1]
	v_pk_fma_f32 v[72:73], v[34:35], v[68:69], v[74:75] op_sel_hi:[1,0,1]
	v_pk_fma_f32 v[68:69], v[34:35], v[68:69], v[74:75] neg_lo:[0,0,1] neg_hi:[0,0,1]
	v_pk_fma_f32 v[74:75], v[36:37], v[66:67], v[78:79] op_sel_hi:[1,0,1]
	v_mov_b32_e32 v71, v77
	v_pk_fma_f32 v[66:67], v[36:37], v[66:67], v[78:79] neg_lo:[0,0,1] neg_hi:[0,0,1]
	v_mov_b32_e32 v69, v73
	s_delay_alu instid0(VALU_DEP_3) | instskip(SKIP_2) | instid1(VALU_DEP_2)
	v_pk_add_f32 v[28:29], v[28:29], v[70:71]
	s_wait_loadcnt 0x0
	v_pk_mul_f32 v[70:71], v[46:47], v[64:65] op_sel:[0,1]
	v_pk_add_f32 v[28:29], v[68:69], v[28:29]
	s_delay_alu instid0(VALU_DEP_2) | instskip(SKIP_2) | instid1(VALU_DEP_3)
	v_pk_fma_f32 v[68:69], v[38:39], v[64:65], v[70:71] op_sel_hi:[1,0,1]
	v_mov_b32_e32 v67, v75
	v_pk_fma_f32 v[64:65], v[38:39], v[64:65], v[70:71] neg_lo:[0,0,1] neg_hi:[0,0,1]
	v_mov_b32_e32 v65, v69
	s_delay_alu instid0(VALU_DEP_3) | instskip(NEXT) | instid1(VALU_DEP_1)
	v_pk_add_f32 v[28:29], v[66:67], v[28:29]
	v_pk_add_f32 v[28:29], v[64:65], v[28:29]
.LBB107_41:                             ;   in Loop: Header=BB107_6 Depth=1
	s_or_b32 exec_lo, exec_lo, s8
	s_wait_loadcnt 0x3
	v_pk_mul_f32 v[64:65], v[54:55], v[62:63] op_sel:[0,1]
	s_wait_loadcnt 0x2
	v_pk_mul_f32 v[66:67], v[52:53], v[60:61] op_sel:[0,1]
	;; [unrolled: 2-line block ×3, first 2 shown]
	v_pk_fma_f32 v[68:69], v[32:33], v[62:63], v[64:65] op_sel_hi:[1,0,1]
	v_pk_fma_f32 v[62:63], v[32:33], v[62:63], v[64:65] neg_lo:[0,0,1] neg_hi:[0,0,1]
	v_pk_fma_f32 v[64:65], v[34:35], v[60:61], v[66:67] op_sel_hi:[1,0,1]
	v_pk_fma_f32 v[60:61], v[34:35], v[60:61], v[66:67] neg_lo:[0,0,1] neg_hi:[0,0,1]
	v_pk_fma_f32 v[66:67], v[36:37], v[58:59], v[70:71] op_sel_hi:[1,0,1]
	v_mov_b32_e32 v63, v69
	v_pk_fma_f32 v[58:59], v[36:37], v[58:59], v[70:71] neg_lo:[0,0,1] neg_hi:[0,0,1]
	v_mov_b32_e32 v61, v65
	s_delay_alu instid0(VALU_DEP_3) | instskip(SKIP_2) | instid1(VALU_DEP_2)
	v_pk_add_f32 v[30:31], v[30:31], v[62:63]
	s_wait_loadcnt 0x0
	v_pk_mul_f32 v[62:63], v[46:47], v[56:57] op_sel:[0,1]
	v_pk_add_f32 v[30:31], v[60:61], v[30:31]
	s_delay_alu instid0(VALU_DEP_2) | instskip(SKIP_2) | instid1(VALU_DEP_3)
	v_pk_fma_f32 v[60:61], v[38:39], v[56:57], v[62:63] op_sel_hi:[1,0,1]
	v_mov_b32_e32 v59, v67
	v_pk_fma_f32 v[56:57], v[38:39], v[56:57], v[62:63] neg_lo:[0,0,1] neg_hi:[0,0,1]
	v_mov_b32_e32 v57, v61
	s_delay_alu instid0(VALU_DEP_3) | instskip(NEXT) | instid1(VALU_DEP_1)
	v_pk_add_f32 v[30:31], v[58:59], v[30:31]
	v_pk_add_f32 v[30:31], v[56:57], v[30:31]
.LBB107_42:                             ;   in Loop: Header=BB107_6 Depth=1
	s_or_b32 exec_lo, exec_lo, s7
	s_wait_loadcnt 0x3
	v_pk_mul_f32 v[54:55], v[54:55], v[48:49] op_sel:[0,1]
	s_wait_loadcnt 0x2
	v_pk_mul_f32 v[52:53], v[52:53], v[44:45] op_sel:[0,1]
	;; [unrolled: 2-line block ×3, first 2 shown]
	v_pk_fma_f32 v[56:57], v[32:33], v[48:49], v[54:55] op_sel_hi:[1,0,1]
	v_pk_fma_f32 v[32:33], v[32:33], v[48:49], v[54:55] neg_lo:[0,0,1] neg_hi:[0,0,1]
	v_pk_fma_f32 v[48:49], v[34:35], v[44:45], v[52:53] op_sel_hi:[1,0,1]
	v_pk_fma_f32 v[34:35], v[34:35], v[44:45], v[52:53] neg_lo:[0,0,1] neg_hi:[0,0,1]
	v_pk_fma_f32 v[44:45], v[36:37], v[42:43], v[50:51] op_sel_hi:[1,0,1]
	v_mov_b32_e32 v33, v57
	v_pk_fma_f32 v[36:37], v[36:37], v[42:43], v[50:51] neg_lo:[0,0,1] neg_hi:[0,0,1]
	v_mov_b32_e32 v35, v49
	s_delay_alu instid0(VALU_DEP_3) | instskip(SKIP_2) | instid1(VALU_DEP_2)
	v_pk_add_f32 v[24:25], v[24:25], v[32:33]
	s_wait_loadcnt 0x0
	v_pk_mul_f32 v[32:33], v[46:47], v[40:41] op_sel:[0,1]
	v_pk_add_f32 v[24:25], v[34:35], v[24:25]
	s_delay_alu instid0(VALU_DEP_2) | instskip(SKIP_2) | instid1(VALU_DEP_3)
	v_pk_fma_f32 v[34:35], v[38:39], v[40:41], v[32:33] op_sel_hi:[1,0,1]
	v_mov_b32_e32 v37, v45
	v_pk_fma_f32 v[32:33], v[38:39], v[40:41], v[32:33] neg_lo:[0,0,1] neg_hi:[0,0,1]
	v_mov_b32_e32 v33, v35
	s_delay_alu instid0(VALU_DEP_3) | instskip(NEXT) | instid1(VALU_DEP_1)
	v_pk_add_f32 v[24:25], v[36:37], v[24:25]
	v_pk_add_f32 v[24:25], v[32:33], v[24:25]
.LBB107_43:                             ;   in Loop: Header=BB107_6 Depth=1
	s_or_b32 exec_lo, exec_lo, s57
.LBB107_44:                             ;   in Loop: Header=BB107_6 Depth=1
	ds_store_2addr_stride64_b64 v93, v[24:25], v[30:31] offset1:1
	ds_store_2addr_stride64_b64 v93, v[28:29], v[26:27] offset0:2 offset1:3
	s_wait_storecnt 0x0
	s_wait_loadcnt_dscnt 0x0
	s_barrier_signal -1
	s_barrier_wait -1
	s_and_saveexec_b32 s7, s0
	s_cbranch_execz .LBB107_4
; %bb.45:                               ;   in Loop: Header=BB107_6 Depth=1
	ds_load_2addr_stride64_b64 v[24:27], v94 offset1:4
	ds_load_2addr_stride64_b64 v[28:31], v94 offset0:8 offset1:12
	s_wait_dscnt 0x1
	v_pk_add_f32 v[24:25], v[24:25], v[26:27]
	s_wait_dscnt 0x0
	s_delay_alu instid0(VALU_DEP_1) | instskip(NEXT) | instid1(VALU_DEP_1)
	v_pk_add_f32 v[24:25], v[24:25], v[28:29]
	v_pk_add_f32 v[26:27], v[24:25], v[30:31]
	ds_store_b64 v94, v[26:27]
	s_and_b32 exec_lo, exec_lo, s2
	s_cbranch_execz .LBB107_4
; %bb.46:                               ;   in Loop: Header=BB107_6 Depth=1
	v_mov_b64_e32 v[24:25], s[26:27]
	v_mov_b64_e32 v[28:29], s[38:39]
	s_and_not1_b32 vcc_lo, exec_lo, s53
	s_delay_alu instid0(VALU_DEP_2) | instskip(NEXT) | instid1(VALU_DEP_1)
	v_pk_mul_f32 v[30:31], v[26:27], v[24:25] op_sel:[1,0]
	v_pk_fma_f32 v[24:25], v[26:27], v[28:29], v[30:31] op_sel_hi:[0,1,1] neg_lo:[0,0,1] neg_hi:[0,0,1]
	v_pk_fma_f32 v[28:29], v[26:27], v[28:29], v[30:31] op_sel_hi:[0,1,1]
	v_lshl_add_u64 v[26:27], v[12:13], 3, s[50:51]
	s_cbranch_vccnz .LBB107_3
; %bb.47:                               ;   in Loop: Header=BB107_6 Depth=1
	global_load_b64 v[30:31], v[26:27], off
	v_mov_b64_e32 v[32:33], s[18:19]
	v_mov_b64_e32 v[34:35], s[40:41]
	s_wait_loadcnt 0x0
	s_delay_alu instid0(VALU_DEP_2) | instskip(NEXT) | instid1(VALU_DEP_1)
	v_pk_mul_f32 v[32:33], v[32:33], v[30:31] op_sel:[0,1]
	v_pk_fma_f32 v[36:37], v[34:35], v[30:31], v[32:33] op_sel_hi:[1,0,1]
	v_mov_b32_e32 v25, v29
	v_pk_fma_f32 v[28:29], v[34:35], v[30:31], v[32:33] neg_lo:[0,0,1] neg_hi:[0,0,1]
	s_delay_alu instid0(VALU_DEP_3) | instskip(NEXT) | instid1(VALU_DEP_1)
	v_mov_b32_e32 v29, v37
	v_pk_add_f32 v[24:25], v[24:25], v[28:29]
	s_delay_alu instid0(VALU_DEP_1)
	v_mov_b32_e32 v29, v25
	s_branch .LBB107_3
.LBB107_48:
	s_sendmsg sendmsg(MSG_DEALLOC_VGPRS)
	s_endpgm
	.section	.rodata,"a",@progbits
	.p2align	6, 0x0
	.amdhsa_kernel _ZL20rocblas_gemvn_kernelILi64ELi4El19rocblas_complex_numIfES1_S1_EviiT3_lPKT2_lT1_lS5_lS6_lS2_lPT4_lS6_li
		.amdhsa_group_segment_fixed_size 8192
		.amdhsa_private_segment_fixed_size 0
		.amdhsa_kernarg_size 400
		.amdhsa_user_sgpr_count 2
		.amdhsa_user_sgpr_dispatch_ptr 0
		.amdhsa_user_sgpr_queue_ptr 0
		.amdhsa_user_sgpr_kernarg_segment_ptr 1
		.amdhsa_user_sgpr_dispatch_id 0
		.amdhsa_user_sgpr_kernarg_preload_length 0
		.amdhsa_user_sgpr_kernarg_preload_offset 0
		.amdhsa_user_sgpr_private_segment_size 0
		.amdhsa_wavefront_size32 1
		.amdhsa_uses_dynamic_stack 0
		.amdhsa_enable_private_segment 0
		.amdhsa_system_sgpr_workgroup_id_x 1
		.amdhsa_system_sgpr_workgroup_id_y 0
		.amdhsa_system_sgpr_workgroup_id_z 1
		.amdhsa_system_sgpr_workgroup_info 0
		.amdhsa_system_vgpr_workitem_id 1
		.amdhsa_next_free_vgpr 101
		.amdhsa_next_free_sgpr 61
		.amdhsa_named_barrier_count 0
		.amdhsa_reserve_vcc 1
		.amdhsa_float_round_mode_32 0
		.amdhsa_float_round_mode_16_64 0
		.amdhsa_float_denorm_mode_32 3
		.amdhsa_float_denorm_mode_16_64 3
		.amdhsa_fp16_overflow 0
		.amdhsa_memory_ordered 1
		.amdhsa_forward_progress 1
		.amdhsa_inst_pref_size 31
		.amdhsa_round_robin_scheduling 0
		.amdhsa_exception_fp_ieee_invalid_op 0
		.amdhsa_exception_fp_denorm_src 0
		.amdhsa_exception_fp_ieee_div_zero 0
		.amdhsa_exception_fp_ieee_overflow 0
		.amdhsa_exception_fp_ieee_underflow 0
		.amdhsa_exception_fp_ieee_inexact 0
		.amdhsa_exception_int_div_zero 0
	.end_amdhsa_kernel
	.section	.text._ZL20rocblas_gemvn_kernelILi64ELi4El19rocblas_complex_numIfES1_S1_EviiT3_lPKT2_lT1_lS5_lS6_lS2_lPT4_lS6_li,"axG",@progbits,_ZL20rocblas_gemvn_kernelILi64ELi4El19rocblas_complex_numIfES1_S1_EviiT3_lPKT2_lT1_lS5_lS6_lS2_lPT4_lS6_li,comdat
.Lfunc_end107:
	.size	_ZL20rocblas_gemvn_kernelILi64ELi4El19rocblas_complex_numIfES1_S1_EviiT3_lPKT2_lT1_lS5_lS6_lS2_lPT4_lS6_li, .Lfunc_end107-_ZL20rocblas_gemvn_kernelILi64ELi4El19rocblas_complex_numIfES1_S1_EviiT3_lPKT2_lT1_lS5_lS6_lS2_lPT4_lS6_li
                                        ; -- End function
	.set _ZL20rocblas_gemvn_kernelILi64ELi4El19rocblas_complex_numIfES1_S1_EviiT3_lPKT2_lT1_lS5_lS6_lS2_lPT4_lS6_li.num_vgpr, 101
	.set _ZL20rocblas_gemvn_kernelILi64ELi4El19rocblas_complex_numIfES1_S1_EviiT3_lPKT2_lT1_lS5_lS6_lS2_lPT4_lS6_li.num_agpr, 0
	.set _ZL20rocblas_gemvn_kernelILi64ELi4El19rocblas_complex_numIfES1_S1_EviiT3_lPKT2_lT1_lS5_lS6_lS2_lPT4_lS6_li.numbered_sgpr, 61
	.set _ZL20rocblas_gemvn_kernelILi64ELi4El19rocblas_complex_numIfES1_S1_EviiT3_lPKT2_lT1_lS5_lS6_lS2_lPT4_lS6_li.num_named_barrier, 0
	.set _ZL20rocblas_gemvn_kernelILi64ELi4El19rocblas_complex_numIfES1_S1_EviiT3_lPKT2_lT1_lS5_lS6_lS2_lPT4_lS6_li.private_seg_size, 0
	.set _ZL20rocblas_gemvn_kernelILi64ELi4El19rocblas_complex_numIfES1_S1_EviiT3_lPKT2_lT1_lS5_lS6_lS2_lPT4_lS6_li.uses_vcc, 1
	.set _ZL20rocblas_gemvn_kernelILi64ELi4El19rocblas_complex_numIfES1_S1_EviiT3_lPKT2_lT1_lS5_lS6_lS2_lPT4_lS6_li.uses_flat_scratch, 0
	.set _ZL20rocblas_gemvn_kernelILi64ELi4El19rocblas_complex_numIfES1_S1_EviiT3_lPKT2_lT1_lS5_lS6_lS2_lPT4_lS6_li.has_dyn_sized_stack, 0
	.set _ZL20rocblas_gemvn_kernelILi64ELi4El19rocblas_complex_numIfES1_S1_EviiT3_lPKT2_lT1_lS5_lS6_lS2_lPT4_lS6_li.has_recursion, 0
	.set _ZL20rocblas_gemvn_kernelILi64ELi4El19rocblas_complex_numIfES1_S1_EviiT3_lPKT2_lT1_lS5_lS6_lS2_lPT4_lS6_li.has_indirect_call, 0
	.section	.AMDGPU.csdata,"",@progbits
; Kernel info:
; codeLenInByte = 3880
; TotalNumSgprs: 63
; NumVgprs: 101
; ScratchSize: 0
; MemoryBound: 0
; FloatMode: 240
; IeeeMode: 1
; LDSByteSize: 8192 bytes/workgroup (compile time only)
; SGPRBlocks: 0
; VGPRBlocks: 6
; NumSGPRsForWavesPerEU: 63
; NumVGPRsForWavesPerEU: 101
; NamedBarCnt: 0
; Occupancy: 9
; WaveLimiterHint : 1
; COMPUTE_PGM_RSRC2:SCRATCH_EN: 0
; COMPUTE_PGM_RSRC2:USER_SGPR: 2
; COMPUTE_PGM_RSRC2:TRAP_HANDLER: 0
; COMPUTE_PGM_RSRC2:TGID_X_EN: 1
; COMPUTE_PGM_RSRC2:TGID_Y_EN: 0
; COMPUTE_PGM_RSRC2:TGID_Z_EN: 1
; COMPUTE_PGM_RSRC2:TIDIG_COMP_CNT: 1
	.section	.text._ZL20rocblas_gemvn_kernelILi32ELi16Ei19rocblas_complex_numIfEPKS1_S1_EviiT3_lPKT2_lT1_lS7_lS8_lS4_lPT4_lS8_li,"axG",@progbits,_ZL20rocblas_gemvn_kernelILi32ELi16Ei19rocblas_complex_numIfEPKS1_S1_EviiT3_lPKT2_lT1_lS7_lS8_lS4_lPT4_lS8_li,comdat
	.globl	_ZL20rocblas_gemvn_kernelILi32ELi16Ei19rocblas_complex_numIfEPKS1_S1_EviiT3_lPKT2_lT1_lS7_lS8_lS4_lPT4_lS8_li ; -- Begin function _ZL20rocblas_gemvn_kernelILi32ELi16Ei19rocblas_complex_numIfEPKS1_S1_EviiT3_lPKT2_lT1_lS7_lS8_lS4_lPT4_lS8_li
	.p2align	8
	.type	_ZL20rocblas_gemvn_kernelILi32ELi16Ei19rocblas_complex_numIfEPKS1_S1_EviiT3_lPKT2_lT1_lS7_lS8_lS4_lPT4_lS8_li,@function
_ZL20rocblas_gemvn_kernelILi32ELi16Ei19rocblas_complex_numIfEPKS1_S1_EviiT3_lPKT2_lT1_lS7_lS8_lS4_lPT4_lS8_li: ; @_ZL20rocblas_gemvn_kernelILi32ELi16Ei19rocblas_complex_numIfEPKS1_S1_EviiT3_lPKT2_lT1_lS7_lS8_lS4_lPT4_lS8_li
; %bb.0:
	s_load_b64 s[2:3], s[0:1], 0x9c
	s_wait_kmcnt 0x0
	s_lshr_b32 s4, s2, 16
	s_and_b32 s2, s2, 0xffff
	s_and_b32 s3, s3, 0xffff
	s_mul_i32 s2, s4, s2
	s_delay_alu instid0(SALU_CYCLE_1) | instskip(NEXT) | instid1(SALU_CYCLE_1)
	s_mul_i32 s2, s2, s3
	s_cmp_lg_u32 s2, 0x200
	s_cbranch_scc1 .LBB108_48
; %bb.1:
	s_load_b32 s11, s[0:1], 0x88
	s_bfe_u32 s2, ttmp6, 0x40014
	s_lshr_b32 s3, ttmp7, 16
	s_add_co_i32 s2, s2, 1
	s_bfe_u32 s5, ttmp6, 0x40008
	s_mul_i32 s4, s3, s2
	s_getreg_b32 s2, hwreg(HW_REG_IB_STS2, 6, 4)
	s_add_co_i32 s5, s5, s4
	s_cmp_eq_u32 s2, 0
	s_mov_b32 s35, 0
	s_cselect_b32 s34, s3, s5
	s_wait_kmcnt 0x0
	s_cmp_ge_u32 s34, s11
	s_cbranch_scc1 .LBB108_48
; %bb.2:
	s_clause 0x7
	s_load_b256 s[12:19], s[0:1], 0x8
	s_load_b96 s[8:10], s[0:1], 0x40
	s_load_b96 s[4:6], s[0:1], 0x70
	s_load_b64 s[36:37], s[0:1], 0x0
	s_load_b32 s33, s[0:1], 0x28
	s_load_b128 s[28:31], s[0:1], 0x30
	s_load_b256 s[20:27], s[0:1], 0x50
	s_load_b64 s[38:39], s[0:1], 0x80
	s_wait_xcnt 0x0
	s_bfe_u32 s0, ttmp6, 0x4000c
	v_and_b32_e32 v6, 0x3ff, v0
	s_add_co_i32 s0, s0, 1
	v_bfe_u32 v5, v0, 10, 10
	s_and_b32 s1, ttmp6, 15
	s_mul_i32 s0, ttmp9, s0
	s_delay_alu instid0(SALU_CYCLE_1) | instskip(NEXT) | instid1(VALU_DEP_1)
	s_add_co_i32 s7, s1, s0
	v_lshl_add_u32 v4, v5, 5, v6
	s_wait_kmcnt 0x0
	s_lshl_b64 s[0:1], s[18:19], 3
	s_lshl_b64 s[8:9], s[8:9], 3
	;; [unrolled: 1-line block ×3, first 2 shown]
	s_ashr_i32 s3, s6, 31
	s_cmp_eq_u32 s2, 0
	s_mov_b32 s2, s6
	s_cselect_b32 s7, ttmp9, s7
	s_mov_b32 s40, s36
	s_lshl_b32 s42, s7, 7
	s_delay_alu instid0(SALU_CYCLE_1)
	v_dual_mov_b32 v1, 0 :: v_dual_add_nc_u32 v0, s42, v4
	v_add_nc_u32_e32 v66, s42, v6
	s_ashr_i32 s41, s36, 31
	s_add_nc_u64 s[16:17], s[16:17], s[0:1]
	s_ashr_i32 s0, s37, 31
	v_mul_u64_e32 v[2:3], s[2:3], v[0:1]
	v_cmp_gt_i64_e32 vcc_lo, s[40:41], v[0:1]
	v_dual_lshlrev_b32 v0, 2, v5 :: v_dual_add_nc_u32 v7, 32, v66
	v_add_nc_u32_e32 v8, 64, v66
	s_lshr_b32 s0, s0, 26
	v_mul_lo_u32 v13, v5, s10
	s_add_co_i32 s43, s37, s0
	v_cmp_gt_i32_e64 s2, s36, v7
	v_add_nc_u32_e32 v7, 0x60, v66
	v_cmp_gt_i32_e64 s3, s36, v8
	v_dual_lshlrev_b32 v8, 3, v6 :: v_dual_bitop2_b32 v9, s42, v4 bitop3:0x54
	s_and_not1_b32 s43, s43, 63
	s_add_nc_u64 s[26:27], s[26:27], s[4:5]
	s_sub_co_i32 s4, s37, s43
	v_cmp_gt_u32_e64 s5, 0x80, v4
	s_cmp_gt_i32 s4, 0
	v_cmp_gt_i32_e64 s4, s36, v7
	v_mul_lo_u32 v4, s6, v9
	v_dual_lshlrev_b32 v76, 2, v13 :: v_dual_bitop2_b32 v7, 2, v0 bitop3:0x54
	v_or_b32_e32 v10, 3, v0
	v_mul_lo_u32 v11, s33, v0
	v_mul_lo_u32 v12, v5, s33
	s_delay_alu instid0(VALU_DEP_4)
	v_mad_u32 v68, s33, v7, v6
	v_mad_u32 v70, s10, v0, s10
	;; [unrolled: 1-line block ×3, first 2 shown]
	v_mul_lo_u32 v71, s10, v7
	v_mul_lo_u32 v72, s10, v10
	v_cmp_gt_i32_e64 s0, s43, v0
	v_cmp_gt_i32_e64 s1, s36, v66
	v_lshl_add_u32 v67, v5, 10, v8
	v_lshl_add_u32 v73, v5, 8, v8
	v_cmp_gt_i32_e64 s6, s36, v9
	v_ashrrev_i32_e32 v5, 31, v4
	v_add3_u32 v74, v11, s33, v6
	v_lshl_add_u32 v75, v12, 2, v6
	s_add_nc_u64 s[18:19], s[30:31], s[8:9]
	s_cselect_b32 s44, -1, 0
	s_and_b32 s36, s5, vcc_lo
	s_lshl_b32 s45, s33, 6
	s_lshl_b32 s46, s10, 6
	s_branch .LBB108_6
.LBB108_3:                              ;   in Loop: Header=BB108_6 Depth=1
	s_delay_alu instid0(VALU_DEP_1)
	v_mov_b32_e32 v11, v13
	global_store_b64 v[8:9], v[10:11], off
.LBB108_4:                              ;   in Loop: Header=BB108_6 Depth=1
	s_wait_xcnt 0x0
	s_or_b32 exec_lo, exec_lo, s30
.LBB108_5:                              ;   in Loop: Header=BB108_6 Depth=1
	s_add_co_i32 s34, s34, 0x10000
	s_delay_alu instid0(SALU_CYCLE_1)
	s_cmp_lt_u32 s34, s11
	s_cbranch_scc0 .LBB108_48
.LBB108_6:                              ; =>This Loop Header: Depth=1
                                        ;     Child Loop BB108_20 Depth 2
	s_mul_u64 s[8:9], s[14:15], s[34:35]
	s_wait_xcnt 0x0
	s_mul_u64 s[30:31], s[24:25], s[34:35]
	s_lshl_b64 s[8:9], s[8:9], 3
	s_lshl_b64 s[30:31], s[30:31], 3
	s_add_nc_u64 s[8:9], s[12:13], s[8:9]
	s_add_nc_u64 s[30:31], s[22:23], s[30:31]
	s_clause 0x1
	global_load_b64 v[8:9], v1, s[8:9]
	global_load_b64 v[6:7], v1, s[30:31]
	s_wait_loadcnt 0x1
	v_cmp_eq_f32_e32 vcc_lo, 0, v8
	v_cmp_eq_f32_e64 s7, 0, v9
	s_wait_loadcnt 0x0
	s_wait_xcnt 0x1
	v_cmp_eq_f32_e64 s8, 1.0, v6
	v_cmp_eq_f32_e64 s9, 0, v7
	s_and_b32 s7, vcc_lo, s7
	s_and_b32 s8, s8, s9
	s_delay_alu instid0(SALU_CYCLE_1) | instskip(NEXT) | instid1(SALU_CYCLE_1)
	s_and_b32 s7, s7, s8
	s_and_b32 vcc_lo, exec_lo, s7
	s_cbranch_vccnz .LBB108_5
; %bb.7:                                ;   in Loop: Header=BB108_6 Depth=1
	v_or_b32_e32 v10, v8, v9
	s_mul_u64 s[8:9], s[38:39], s[34:35]
	s_mov_b32 s7, -1
	s_lshl_b64 s[8:9], s[8:9], 3
	s_delay_alu instid0(SALU_CYCLE_1) | instskip(SKIP_1) | instid1(VALU_DEP_1)
	s_add_nc_u64 s[8:9], s[26:27], s[8:9]
	v_and_b32_e32 v10, 0x7fffffff, v10
	v_cmp_ne_u32_e32 vcc_lo, 0, v10
	s_cbranch_vccnz .LBB108_13
; %bb.8:                                ;   in Loop: Header=BB108_6 Depth=1
	s_wait_xcnt 0x0
	s_and_saveexec_b32 s30, s36
	s_cbranch_execz .LBB108_12
; %bb.9:                                ;   in Loop: Header=BB108_6 Depth=1
	v_cmp_neq_f32_e32 vcc_lo, 0, v6
	v_cmp_neq_f32_e64 s7, 0, v7
	v_dual_mov_b32 v12, 0 :: v_dual_mov_b32 v13, 0
	v_lshl_add_u64 v[10:11], v[2:3], 3, s[8:9]
	s_or_b32 s7, vcc_lo, s7
	s_delay_alu instid0(SALU_CYCLE_1)
	s_and_not1_b32 vcc_lo, exec_lo, s7
	s_cbranch_vccnz .LBB108_11
; %bb.10:                               ;   in Loop: Header=BB108_6 Depth=1
	global_load_b64 v[12:13], v[10:11], off
	s_wait_loadcnt 0x0
	v_pk_mul_f32 v[14:15], v[6:7], v[12:13] op_sel:[1,1] op_sel_hi:[0,1]
	s_delay_alu instid0(VALU_DEP_1) | instskip(SKIP_1) | instid1(VALU_DEP_2)
	v_pk_fma_f32 v[16:17], v[6:7], v[12:13], v[14:15] op_sel_hi:[1,0,1]
	v_pk_fma_f32 v[12:13], v[6:7], v[12:13], v[14:15] neg_lo:[0,0,1] neg_hi:[0,0,1]
	v_mov_b32_e32 v13, v17
.LBB108_11:                             ;   in Loop: Header=BB108_6 Depth=1
	global_store_b64 v[10:11], v[12:13], off
.LBB108_12:                             ;   in Loop: Header=BB108_6 Depth=1
	s_wait_xcnt 0x0
	s_or_b32 exec_lo, exec_lo, s30
	s_mov_b32 s7, 0
.LBB108_13:                             ;   in Loop: Header=BB108_6 Depth=1
	s_delay_alu instid0(SALU_CYCLE_1)
	s_and_not1_b32 vcc_lo, exec_lo, s7
	s_cbranch_vccnz .LBB108_5
; %bb.14:                               ;   in Loop: Header=BB108_6 Depth=1
	v_mov_b64_e32 v[12:13], 0
	v_mov_b64_e32 v[14:15], 0
	;; [unrolled: 1-line block ×4, first 2 shown]
	s_wait_xcnt 0x0
	s_mul_u64 s[30:31], s[28:29], s[34:35]
	s_mul_u64 s[40:41], s[20:21], s[34:35]
	v_mov_b32_e32 v62, v0
	s_lshl_b64 s[30:31], s[30:31], 3
	s_lshl_b64 s[40:41], s[40:41], 3
	s_add_nc_u64 s[30:31], s[16:17], s[30:31]
	s_add_nc_u64 s[40:41], s[18:19], s[40:41]
	s_and_saveexec_b32 s7, s0
	s_cbranch_execz .LBB108_26
; %bb.15:                               ;   in Loop: Header=BB108_6 Depth=1
	v_mov_b64_e32 v[10:11], 0
	v_mov_b64_e32 v[16:17], 0
	;; [unrolled: 1-line block ×4, first 2 shown]
	v_dual_mov_b32 v63, v75 :: v_dual_mov_b32 v64, v69
	v_dual_mov_b32 v65, v68 :: v_dual_mov_b32 v77, v74
	v_mov_b32_e32 v62, v0
	s_mov_b32 s47, 0
	s_mov_b32 s48, 0
	s_branch .LBB108_20
.LBB108_16:                             ;   in Loop: Header=BB108_20 Depth=2
	s_or_b32 exec_lo, exec_lo, s52
	s_wait_loadcnt 0x3
	v_dual_mul_f32 v54, v29, v53 :: v_dual_mul_f32 v55, v28, v53
	s_wait_loadcnt 0x2
	v_dual_mul_f32 v58, v27, v51 :: v_dual_mul_f32 v53, v26, v51
	s_wait_loadcnt 0x1
	v_pk_mul_f32 v[56:57], v[44:45], v[48:49] op_sel:[0,1]
	v_dual_fma_f32 v54, v28, v52, -v54 :: v_dual_fmac_f32 v55, v29, v52
	s_delay_alu instid0(VALU_DEP_3) | instskip(NEXT) | instid1(VALU_DEP_3)
	v_dual_fma_f32 v52, v26, v50, -v58 :: v_dual_fmac_f32 v53, v27, v50
	v_pk_fma_f32 v[50:51], v[20:21], v[48:49], v[56:57] op_sel_hi:[1,0,1]
	v_pk_fma_f32 v[48:49], v[20:21], v[48:49], v[56:57] neg_lo:[0,0,1] neg_hi:[0,0,1]
	s_delay_alu instid0(VALU_DEP_4) | instskip(SKIP_3) | instid1(VALU_DEP_3)
	v_pk_add_f32 v[14:15], v[14:15], v[54:55]
	s_wait_loadcnt 0x0
	v_pk_mul_f32 v[54:55], v[38:39], v[46:47] op_sel:[0,1]
	v_mov_b32_e32 v49, v51
	v_pk_add_f32 v[14:15], v[52:53], v[14:15]
	s_delay_alu instid0(VALU_DEP_3) | instskip(SKIP_1) | instid1(VALU_DEP_2)
	v_pk_fma_f32 v[50:51], v[18:19], v[46:47], v[54:55] op_sel_hi:[1,0,1]
	v_pk_fma_f32 v[46:47], v[18:19], v[46:47], v[54:55] neg_lo:[0,0,1] neg_hi:[0,0,1]
	v_mov_b32_e32 v47, v51
	s_delay_alu instid0(VALU_DEP_4) | instskip(NEXT) | instid1(VALU_DEP_1)
	v_pk_add_f32 v[14:15], v[48:49], v[14:15]
	v_pk_add_f32 v[14:15], v[46:47], v[14:15]
.LBB108_17:                             ;   in Loop: Header=BB108_20 Depth=2
	s_or_b32 exec_lo, exec_lo, s51
	s_wait_loadcnt 0x3
	v_dual_mul_f32 v46, v29, v43 :: v_dual_mul_f32 v47, v28, v43
	s_wait_loadcnt 0x2
	v_dual_mul_f32 v48, v27, v41 :: v_dual_mul_f32 v43, v26, v41
	s_wait_loadcnt 0x1
	v_pk_mul_f32 v[44:45], v[44:45], v[36:37] op_sel:[0,1]
	v_dual_fma_f32 v46, v28, v42, -v46 :: v_dual_fmac_f32 v47, v29, v42
	s_delay_alu instid0(VALU_DEP_3) | instskip(NEXT) | instid1(VALU_DEP_3)
	v_dual_fma_f32 v42, v26, v40, -v48 :: v_dual_fmac_f32 v43, v27, v40
	v_pk_fma_f32 v[40:41], v[20:21], v[36:37], v[44:45] op_sel_hi:[1,0,1]
	s_wait_loadcnt 0x0
	v_pk_mul_f32 v[38:39], v[38:39], v[34:35] op_sel:[0,1]
	v_pk_add_f32 v[16:17], v[16:17], v[46:47]
	v_pk_fma_f32 v[36:37], v[20:21], v[36:37], v[44:45] neg_lo:[0,0,1] neg_hi:[0,0,1]
	v_mov_b32_e32 v37, v41
	s_delay_alu instid0(VALU_DEP_4) | instskip(NEXT) | instid1(VALU_DEP_4)
	v_pk_fma_f32 v[40:41], v[18:19], v[34:35], v[38:39] op_sel_hi:[1,0,1]
	v_pk_add_f32 v[16:17], v[42:43], v[16:17]
	v_pk_fma_f32 v[34:35], v[18:19], v[34:35], v[38:39] neg_lo:[0,0,1] neg_hi:[0,0,1]
	s_delay_alu instid0(VALU_DEP_3) | instskip(NEXT) | instid1(VALU_DEP_3)
	v_mov_b32_e32 v35, v41
	v_pk_add_f32 v[16:17], v[36:37], v[16:17]
	s_delay_alu instid0(VALU_DEP_1)
	v_pk_add_f32 v[16:17], v[34:35], v[16:17]
.LBB108_18:                             ;   in Loop: Header=BB108_20 Depth=2
	s_or_b32 exec_lo, exec_lo, s50
	s_wait_loadcnt 0x3
	v_dual_mul_f32 v34, v29, v33 :: v_dual_mul_f32 v35, v28, v33
	s_wait_loadcnt 0x2
	v_dual_mul_f32 v38, v27, v31 :: v_dual_mul_f32 v33, v26, v31
	s_wait_loadcnt 0x1
	v_pk_mul_f32 v[36:37], v[20:21], v[24:25] op_sel:[1,1] op_sel_hi:[0,1]
	v_dual_fma_f32 v34, v28, v32, -v34 :: v_dual_fmac_f32 v35, v29, v32
	s_delay_alu instid0(VALU_DEP_3) | instskip(NEXT) | instid1(VALU_DEP_3)
	v_dual_fma_f32 v32, v26, v30, -v38 :: v_dual_fmac_f32 v33, v27, v30
	v_pk_fma_f32 v[26:27], v[20:21], v[24:25], v[36:37] op_sel_hi:[1,0,1]
	s_wait_loadcnt 0x0
	v_pk_mul_f32 v[28:29], v[18:19], v[22:23] op_sel:[1,1] op_sel_hi:[0,1]
	v_pk_add_f32 v[10:11], v[10:11], v[34:35]
	v_pk_fma_f32 v[20:21], v[20:21], v[24:25], v[36:37] neg_lo:[0,0,1] neg_hi:[0,0,1]
	s_delay_alu instid0(VALU_DEP_3) | instskip(SKIP_1) | instid1(VALU_DEP_4)
	v_pk_fma_f32 v[24:25], v[18:19], v[22:23], v[28:29] op_sel_hi:[1,0,1]
	v_mov_b32_e32 v21, v27
	v_pk_add_f32 v[10:11], v[32:33], v[10:11]
	v_pk_fma_f32 v[18:19], v[18:19], v[22:23], v[28:29] neg_lo:[0,0,1] neg_hi:[0,0,1]
	s_delay_alu instid0(VALU_DEP_4) | instskip(NEXT) | instid1(VALU_DEP_3)
	v_mov_b32_e32 v19, v25
	v_pk_add_f32 v[10:11], v[20:21], v[10:11]
	s_delay_alu instid0(VALU_DEP_1)
	v_pk_add_f32 v[10:11], v[18:19], v[10:11]
.LBB108_19:                             ;   in Loop: Header=BB108_20 Depth=2
	s_or_b32 exec_lo, exec_lo, s49
	v_dual_add_nc_u32 v62, 64, v62 :: v_dual_add_nc_u32 v77, s45, v77
	v_dual_add_nc_u32 v65, s45, v65 :: v_dual_add_nc_u32 v64, s45, v64
	v_add_nc_u32_e32 v63, s45, v63
	s_delay_alu instid0(VALU_DEP_3) | instskip(SKIP_2) | instid1(SALU_CYCLE_1)
	v_cmp_le_i32_e32 vcc_lo, s43, v62
	s_add_co_i32 s48, s48, s46
	s_or_b32 s47, vcc_lo, s47
	s_and_not1_b32 exec_lo, exec_lo, s47
	s_cbranch_execz .LBB108_25
.LBB108_20:                             ;   Parent Loop BB108_6 Depth=1
                                        ; =>  This Inner Loop Header: Depth=2
	s_and_saveexec_b32 s49, s1
	s_cbranch_execz .LBB108_19
; %bb.21:                               ;   in Loop: Header=BB108_20 Depth=2
	v_dual_add_nc_u32 v35, s48, v76 :: v_dual_add_nc_u32 v37, s48, v70
	v_dual_add_nc_u32 v39, s48, v71 :: v_dual_add_nc_u32 v41, s48, v72
	;; [unrolled: 1-line block ×4, first 2 shown]
	s_clause 0x3
	global_load_b64 v[28:29], v35, s[40:41] scale_offset
	global_load_b64 v[26:27], v37, s[40:41] scale_offset
	;; [unrolled: 1-line block ×4, first 2 shown]
	s_clause 0x3
	global_load_b64 v[32:33], v34, s[30:31] scale_offset
	global_load_b64 v[30:31], v36, s[30:31] scale_offset
	;; [unrolled: 1-line block ×4, first 2 shown]
	s_wait_xcnt 0x0
	s_and_saveexec_b32 s50, s2
	s_cbranch_execz .LBB108_18
; %bb.22:                               ;   in Loop: Header=BB108_20 Depth=2
	v_dual_ashrrev_i32 v35, 31, v34 :: v_dual_ashrrev_i32 v37, 31, v36
	v_dual_ashrrev_i32 v41, 31, v40 :: v_dual_ashrrev_i32 v39, 31, v38
	s_wait_loadcnt 0x5
	v_dual_mov_b32 v44, v21 :: v_dual_mov_b32 v45, v20
	s_delay_alu instid0(VALU_DEP_3)
	v_lshl_add_u64 v[58:59], v[34:35], 3, s[30:31]
	v_lshl_add_u64 v[54:55], v[36:37], 3, s[30:31]
	;; [unrolled: 1-line block ×4, first 2 shown]
	s_clause 0x3
	global_load_b64 v[42:43], v[58:59], off offset:256
	global_load_b64 v[40:41], v[54:55], off offset:256
	;; [unrolled: 1-line block ×4, first 2 shown]
	s_wait_loadcnt 0x8
	v_dual_mov_b32 v38, v19 :: v_dual_mov_b32 v39, v18
	s_wait_xcnt 0x0
	s_and_saveexec_b32 s51, s3
	s_cbranch_execz .LBB108_17
; %bb.23:                               ;   in Loop: Header=BB108_20 Depth=2
	s_clause 0x3
	global_load_b64 v[52:53], v[58:59], off offset:512
	global_load_b64 v[50:51], v[54:55], off offset:512
	;; [unrolled: 1-line block ×4, first 2 shown]
	s_wait_xcnt 0x0
	s_and_saveexec_b32 s52, s4
	s_cbranch_execz .LBB108_16
; %bb.24:                               ;   in Loop: Header=BB108_20 Depth=2
	s_clause 0x3
	global_load_b64 v[78:79], v[58:59], off offset:768
	global_load_b64 v[80:81], v[54:55], off offset:768
	;; [unrolled: 1-line block ×4, first 2 shown]
	s_wait_loadcnt 0x3
	s_wait_xcnt 0x2
	v_dual_mul_f32 v54, v29, v79 :: v_dual_mul_f32 v55, v28, v79
	s_wait_loadcnt 0x2
	s_wait_xcnt 0x1
	v_dual_mul_f32 v56, v27, v81 :: v_dual_mul_f32 v57, v26, v81
	s_wait_loadcnt 0x1
	v_pk_mul_f32 v[58:59], v[44:45], v[82:83] op_sel:[0,1]
	v_dual_fma_f32 v54, v28, v78, -v54 :: v_dual_fmac_f32 v55, v29, v78
	s_delay_alu instid0(VALU_DEP_3) | instskip(SKIP_1) | instid1(VALU_DEP_3)
	v_dual_fma_f32 v56, v26, v80, -v56 :: v_dual_fmac_f32 v57, v27, v80
	s_wait_xcnt 0x0
	v_pk_fma_f32 v[60:61], v[20:21], v[82:83], v[58:59] op_sel_hi:[1,0,1]
	v_pk_fma_f32 v[58:59], v[20:21], v[82:83], v[58:59] neg_lo:[0,0,1] neg_hi:[0,0,1]
	v_pk_add_f32 v[12:13], v[12:13], v[54:55]
	s_wait_loadcnt 0x0
	v_pk_mul_f32 v[54:55], v[38:39], v[84:85] op_sel:[0,1]
	s_delay_alu instid0(VALU_DEP_2) | instskip(NEXT) | instid1(VALU_DEP_2)
	v_pk_add_f32 v[12:13], v[56:57], v[12:13]
	v_pk_fma_f32 v[56:57], v[18:19], v[84:85], v[54:55] op_sel_hi:[1,0,1]
	v_mov_b32_e32 v59, v61
	v_pk_fma_f32 v[54:55], v[18:19], v[84:85], v[54:55] neg_lo:[0,0,1] neg_hi:[0,0,1]
	s_delay_alu instid0(VALU_DEP_3) | instskip(NEXT) | instid1(VALU_DEP_3)
	v_mov_b32_e32 v55, v57
	v_pk_add_f32 v[12:13], v[58:59], v[12:13]
	s_delay_alu instid0(VALU_DEP_1)
	v_pk_add_f32 v[12:13], v[54:55], v[12:13]
	s_branch .LBB108_16
.LBB108_25:                             ;   in Loop: Header=BB108_6 Depth=1
	s_or_b32 exec_lo, exec_lo, s47
.LBB108_26:                             ;   in Loop: Header=BB108_6 Depth=1
	s_delay_alu instid0(SALU_CYCLE_1) | instskip(NEXT) | instid1(SALU_CYCLE_1)
	s_or_b32 exec_lo, exec_lo, s7
	s_and_not1_b32 vcc_lo, exec_lo, s44
	s_cbranch_vccnz .LBB108_44
; %bb.27:                               ;   in Loop: Header=BB108_6 Depth=1
	v_dual_mov_b32 v20, 0 :: v_dual_bitop2_b32 v26, 1, v62 bitop3:0x54
	v_cmp_gt_i32_e32 vcc_lo, s37, v62
	s_delay_alu instid0(VALU_DEP_2)
	v_dual_mov_b32 v21, v20 :: v_dual_mov_b32 v18, v20
	v_dual_mov_b32 v19, v20 :: v_dual_mov_b32 v22, v20
	;; [unrolled: 1-line block ×3, first 2 shown]
	v_mov_b32_e32 v25, v20
	s_and_saveexec_b32 s47, vcc_lo
	s_cbranch_execz .LBB108_35
; %bb.28:                               ;   in Loop: Header=BB108_6 Depth=1
	v_mul_lo_u32 v18, v62, s10
	v_dual_mov_b32 v23, 0 :: v_dual_mov_b32 v22, 0
	v_dual_mov_b32 v19, 0 :: v_dual_mov_b32 v21, 0
	v_mov_b32_e32 v20, 0
	s_mov_b32 s48, exec_lo
	global_load_b64 v[24:25], v18, s[40:41] scale_offset
	s_wait_xcnt 0x0
	v_mov_b32_e32 v18, 0
	v_cmpx_gt_i32_e64 s37, v26
	s_cbranch_execz .LBB108_34
; %bb.29:                               ;   in Loop: Header=BB108_6 Depth=1
	v_mul_lo_u32 v18, v26, s10
	v_dual_mov_b32 v19, 0 :: v_dual_bitop2_b32 v27, 2, v62 bitop3:0x54
	v_mov_b32_e32 v20, 0
	s_mov_b32 s49, exec_lo
	v_mov_b32_e32 v21, 0
	global_load_b64 v[22:23], v18, s[40:41] scale_offset
	s_wait_xcnt 0x0
	v_mov_b32_e32 v18, 0
	v_cmpx_gt_i32_e64 s37, v27
	s_cbranch_execz .LBB108_33
; %bb.30:                               ;   in Loop: Header=BB108_6 Depth=1
	v_mul_lo_u32 v18, v27, s10
	v_dual_mov_b32 v21, 0 :: v_dual_bitop2_b32 v27, 3, v62 bitop3:0x54
	v_mov_b32_e32 v20, 0
	s_mov_b32 s50, exec_lo
	global_load_b64 v[18:19], v18, s[40:41] scale_offset
	s_wait_xcnt 0x0
	v_cmpx_gt_i32_e64 s37, v27
	s_cbranch_execz .LBB108_32
; %bb.31:                               ;   in Loop: Header=BB108_6 Depth=1
	v_mul_lo_u32 v20, v27, s10
	global_load_b64 v[20:21], v20, s[40:41] scale_offset
.LBB108_32:                             ;   in Loop: Header=BB108_6 Depth=1
	s_wait_xcnt 0x0
	s_or_b32 exec_lo, exec_lo, s50
.LBB108_33:                             ;   in Loop: Header=BB108_6 Depth=1
	s_delay_alu instid0(SALU_CYCLE_1)
	s_or_b32 exec_lo, exec_lo, s49
.LBB108_34:                             ;   in Loop: Header=BB108_6 Depth=1
	s_delay_alu instid0(SALU_CYCLE_1)
	s_or_b32 exec_lo, exec_lo, s48
.LBB108_35:                             ;   in Loop: Header=BB108_6 Depth=1
	s_delay_alu instid0(SALU_CYCLE_1)
	s_or_b32 exec_lo, exec_lo, s47
	s_and_saveexec_b32 s7, s1
	s_cbranch_execz .LBB108_43
; %bb.36:                               ;   in Loop: Header=BB108_6 Depth=1
	v_mul_lo_u32 v28, v62, s33
	v_or_b32_e32 v27, 2, v62
	v_mul_lo_u32 v30, v26, s33
	s_wait_loadcnt 0x0
	v_dual_mov_b32 v40, v25 :: v_dual_mov_b32 v41, v24
	v_dual_mov_b32 v38, v23 :: v_dual_mov_b32 v39, v22
	;; [unrolled: 1-line block ×3, first 2 shown]
	v_dual_mov_b32 v33, v20 :: v_dual_cndmask_b32 v28, 0, v28
	v_mul_lo_u32 v31, v27, s33
	v_cmp_gt_i32_e32 vcc_lo, s37, v26
	v_cndmask_b32_e32 v26, 0, v30, vcc_lo
	v_cmp_gt_i32_e32 vcc_lo, s37, v27
	s_delay_alu instid0(VALU_DEP_4) | instskip(NEXT) | instid1(VALU_DEP_1)
	v_dual_cndmask_b32 v27, 0, v31, vcc_lo :: v_dual_bitop2_b32 v29, 3, v62 bitop3:0x54
	v_mul_lo_u32 v32, v29, s33
	v_cmp_gt_i32_e32 vcc_lo, s37, v29
	s_delay_alu instid0(VALU_DEP_2) | instskip(NEXT) | instid1(VALU_DEP_4)
	v_dual_cndmask_b32 v29, 0, v32 :: v_dual_add_nc_u32 v44, v28, v66
	v_dual_add_nc_u32 v46, v26, v66 :: v_dual_add_nc_u32 v48, v27, v66
	v_mov_b32_e32 v32, v21
	s_delay_alu instid0(VALU_DEP_3)
	v_add_nc_u32_e32 v42, v29, v66
	s_clause 0x3
	global_load_b64 v[34:35], v44, s[30:31] scale_offset
	global_load_b64 v[30:31], v46, s[30:31] scale_offset
	;; [unrolled: 1-line block ×4, first 2 shown]
	s_wait_xcnt 0x0
	s_and_saveexec_b32 s40, s2
	s_cbranch_execz .LBB108_42
; %bb.37:                               ;   in Loop: Header=BB108_6 Depth=1
	v_dual_ashrrev_i32 v45, 31, v44 :: v_dual_ashrrev_i32 v47, 31, v46
	v_dual_ashrrev_i32 v49, 31, v48 :: v_dual_ashrrev_i32 v43, 31, v42
	s_delay_alu instid0(VALU_DEP_2) | instskip(NEXT) | instid1(VALU_DEP_3)
	v_lshl_add_u64 v[60:61], v[44:45], 3, s[30:31]
	v_lshl_add_u64 v[58:59], v[46:47], 3, s[30:31]
	s_delay_alu instid0(VALU_DEP_3) | instskip(NEXT) | instid1(VALU_DEP_4)
	v_lshl_add_u64 v[62:63], v[48:49], 3, s[30:31]
	v_lshl_add_u64 v[64:65], v[42:43], 3, s[30:31]
	s_clause 0x3
	global_load_b64 v[48:49], v[60:61], off offset:256
	global_load_b64 v[46:47], v[58:59], off offset:256
	;; [unrolled: 1-line block ×4, first 2 shown]
	s_wait_xcnt 0x0
	s_and_saveexec_b32 s30, s3
	s_cbranch_execz .LBB108_41
; %bb.38:                               ;   in Loop: Header=BB108_6 Depth=1
	s_clause 0x3
	global_load_b64 v[56:57], v[60:61], off offset:512
	global_load_b64 v[54:55], v[58:59], off offset:512
	;; [unrolled: 1-line block ×4, first 2 shown]
	s_wait_xcnt 0x0
	s_and_saveexec_b32 s31, s4
	s_cbranch_execz .LBB108_40
; %bb.39:                               ;   in Loop: Header=BB108_6 Depth=1
	s_clause 0x3
	global_load_b64 v[78:79], v[60:61], off offset:768
	global_load_b64 v[80:81], v[58:59], off offset:768
	;; [unrolled: 1-line block ×4, first 2 shown]
	s_wait_loadcnt 0x3
	s_wait_xcnt 0x2
	v_pk_mul_f32 v[58:59], v[40:41], v[78:79] op_sel:[0,1]
	s_wait_loadcnt 0x2
	v_pk_mul_f32 v[60:61], v[38:39], v[80:81] op_sel:[0,1]
	s_wait_loadcnt 0x1
	s_wait_xcnt 0x0
	v_pk_mul_f32 v[64:65], v[36:37], v[82:83] op_sel:[0,1]
	v_pk_fma_f32 v[62:63], v[24:25], v[78:79], v[58:59] op_sel_hi:[1,0,1]
	v_pk_fma_f32 v[58:59], v[24:25], v[78:79], v[58:59] neg_lo:[0,0,1] neg_hi:[0,0,1]
	v_pk_fma_f32 v[78:79], v[22:23], v[80:81], v[60:61] op_sel_hi:[1,0,1]
	v_pk_fma_f32 v[60:61], v[22:23], v[80:81], v[60:61] neg_lo:[0,0,1] neg_hi:[0,0,1]
	s_delay_alu instid0(VALU_DEP_4) | instskip(SKIP_1) | instid1(VALU_DEP_4)
	v_mov_b32_e32 v59, v63
	v_pk_fma_f32 v[62:63], v[18:19], v[82:83], v[64:65] op_sel_hi:[1,0,1]
	v_mov_b32_e32 v61, v79
	v_pk_fma_f32 v[64:65], v[18:19], v[82:83], v[64:65] neg_lo:[0,0,1] neg_hi:[0,0,1]
	s_delay_alu instid0(VALU_DEP_4) | instskip(SKIP_2) | instid1(VALU_DEP_2)
	v_pk_add_f32 v[12:13], v[12:13], v[58:59]
	s_wait_loadcnt 0x0
	v_pk_mul_f32 v[58:59], v[32:33], v[84:85] op_sel:[0,1]
	v_pk_add_f32 v[12:13], v[60:61], v[12:13]
	s_delay_alu instid0(VALU_DEP_2) | instskip(SKIP_2) | instid1(VALU_DEP_3)
	v_pk_fma_f32 v[60:61], v[20:21], v[84:85], v[58:59] op_sel_hi:[1,0,1]
	v_mov_b32_e32 v65, v63
	v_pk_fma_f32 v[58:59], v[20:21], v[84:85], v[58:59] neg_lo:[0,0,1] neg_hi:[0,0,1]
	v_mov_b32_e32 v59, v61
	s_delay_alu instid0(VALU_DEP_3) | instskip(NEXT) | instid1(VALU_DEP_1)
	v_pk_add_f32 v[12:13], v[64:65], v[12:13]
	v_pk_add_f32 v[12:13], v[58:59], v[12:13]
.LBB108_40:                             ;   in Loop: Header=BB108_6 Depth=1
	s_or_b32 exec_lo, exec_lo, s31
	s_wait_loadcnt 0x3
	v_pk_mul_f32 v[58:59], v[40:41], v[56:57] op_sel:[0,1]
	s_wait_loadcnt 0x2
	v_pk_mul_f32 v[60:61], v[38:39], v[54:55] op_sel:[0,1]
	;; [unrolled: 2-line block ×3, first 2 shown]
	v_pk_fma_f32 v[62:63], v[24:25], v[56:57], v[58:59] op_sel_hi:[1,0,1]
	v_pk_fma_f32 v[56:57], v[24:25], v[56:57], v[58:59] neg_lo:[0,0,1] neg_hi:[0,0,1]
	v_pk_fma_f32 v[58:59], v[22:23], v[54:55], v[60:61] op_sel_hi:[1,0,1]
	v_pk_fma_f32 v[54:55], v[22:23], v[54:55], v[60:61] neg_lo:[0,0,1] neg_hi:[0,0,1]
	v_pk_fma_f32 v[60:61], v[18:19], v[52:53], v[64:65] op_sel_hi:[1,0,1]
	v_mov_b32_e32 v57, v63
	v_pk_fma_f32 v[52:53], v[18:19], v[52:53], v[64:65] neg_lo:[0,0,1] neg_hi:[0,0,1]
	v_mov_b32_e32 v55, v59
	s_delay_alu instid0(VALU_DEP_3) | instskip(SKIP_2) | instid1(VALU_DEP_2)
	v_pk_add_f32 v[14:15], v[14:15], v[56:57]
	s_wait_loadcnt 0x0
	v_pk_mul_f32 v[56:57], v[32:33], v[50:51] op_sel:[0,1]
	v_pk_add_f32 v[14:15], v[54:55], v[14:15]
	s_delay_alu instid0(VALU_DEP_2) | instskip(SKIP_2) | instid1(VALU_DEP_3)
	v_pk_fma_f32 v[54:55], v[20:21], v[50:51], v[56:57] op_sel_hi:[1,0,1]
	v_mov_b32_e32 v53, v61
	v_pk_fma_f32 v[50:51], v[20:21], v[50:51], v[56:57] neg_lo:[0,0,1] neg_hi:[0,0,1]
	v_mov_b32_e32 v51, v55
	s_delay_alu instid0(VALU_DEP_3) | instskip(NEXT) | instid1(VALU_DEP_1)
	v_pk_add_f32 v[14:15], v[52:53], v[14:15]
	v_pk_add_f32 v[14:15], v[50:51], v[14:15]
.LBB108_41:                             ;   in Loop: Header=BB108_6 Depth=1
	s_or_b32 exec_lo, exec_lo, s30
	s_wait_loadcnt 0x3
	v_pk_mul_f32 v[50:51], v[40:41], v[48:49] op_sel:[0,1]
	s_wait_loadcnt 0x2
	v_pk_mul_f32 v[52:53], v[38:39], v[46:47] op_sel:[0,1]
	;; [unrolled: 2-line block ×3, first 2 shown]
	v_pk_fma_f32 v[54:55], v[24:25], v[48:49], v[50:51] op_sel_hi:[1,0,1]
	v_pk_fma_f32 v[48:49], v[24:25], v[48:49], v[50:51] neg_lo:[0,0,1] neg_hi:[0,0,1]
	v_pk_fma_f32 v[50:51], v[22:23], v[46:47], v[52:53] op_sel_hi:[1,0,1]
	v_pk_fma_f32 v[46:47], v[22:23], v[46:47], v[52:53] neg_lo:[0,0,1] neg_hi:[0,0,1]
	v_pk_fma_f32 v[52:53], v[18:19], v[44:45], v[56:57] op_sel_hi:[1,0,1]
	v_mov_b32_e32 v49, v55
	v_pk_fma_f32 v[44:45], v[18:19], v[44:45], v[56:57] neg_lo:[0,0,1] neg_hi:[0,0,1]
	v_mov_b32_e32 v47, v51
	s_delay_alu instid0(VALU_DEP_3) | instskip(SKIP_2) | instid1(VALU_DEP_2)
	v_pk_add_f32 v[16:17], v[16:17], v[48:49]
	s_wait_loadcnt 0x0
	v_pk_mul_f32 v[48:49], v[32:33], v[42:43] op_sel:[0,1]
	v_pk_add_f32 v[16:17], v[46:47], v[16:17]
	s_delay_alu instid0(VALU_DEP_2) | instskip(SKIP_2) | instid1(VALU_DEP_3)
	v_pk_fma_f32 v[46:47], v[20:21], v[42:43], v[48:49] op_sel_hi:[1,0,1]
	v_mov_b32_e32 v45, v53
	v_pk_fma_f32 v[42:43], v[20:21], v[42:43], v[48:49] neg_lo:[0,0,1] neg_hi:[0,0,1]
	v_mov_b32_e32 v43, v47
	s_delay_alu instid0(VALU_DEP_3) | instskip(NEXT) | instid1(VALU_DEP_1)
	v_pk_add_f32 v[16:17], v[44:45], v[16:17]
	v_pk_add_f32 v[16:17], v[42:43], v[16:17]
.LBB108_42:                             ;   in Loop: Header=BB108_6 Depth=1
	s_or_b32 exec_lo, exec_lo, s40
	s_wait_loadcnt 0x3
	v_pk_mul_f32 v[40:41], v[40:41], v[34:35] op_sel:[0,1]
	s_wait_loadcnt 0x2
	v_pk_mul_f32 v[38:39], v[38:39], v[30:31] op_sel:[0,1]
	;; [unrolled: 2-line block ×3, first 2 shown]
	v_pk_fma_f32 v[42:43], v[24:25], v[34:35], v[40:41] op_sel_hi:[1,0,1]
	v_pk_fma_f32 v[24:25], v[24:25], v[34:35], v[40:41] neg_lo:[0,0,1] neg_hi:[0,0,1]
	v_pk_fma_f32 v[34:35], v[22:23], v[30:31], v[38:39] op_sel_hi:[1,0,1]
	v_pk_fma_f32 v[22:23], v[22:23], v[30:31], v[38:39] neg_lo:[0,0,1] neg_hi:[0,0,1]
	v_pk_fma_f32 v[30:31], v[18:19], v[28:29], v[36:37] op_sel_hi:[1,0,1]
	v_mov_b32_e32 v25, v43
	v_pk_fma_f32 v[18:19], v[18:19], v[28:29], v[36:37] neg_lo:[0,0,1] neg_hi:[0,0,1]
	v_mov_b32_e32 v23, v35
	s_delay_alu instid0(VALU_DEP_3) | instskip(SKIP_2) | instid1(VALU_DEP_2)
	v_pk_add_f32 v[10:11], v[10:11], v[24:25]
	s_wait_loadcnt 0x0
	v_pk_mul_f32 v[24:25], v[32:33], v[26:27] op_sel:[0,1]
	v_pk_add_f32 v[10:11], v[22:23], v[10:11]
	s_delay_alu instid0(VALU_DEP_2) | instskip(SKIP_2) | instid1(VALU_DEP_3)
	v_pk_fma_f32 v[22:23], v[20:21], v[26:27], v[24:25] op_sel_hi:[1,0,1]
	v_mov_b32_e32 v19, v31
	v_pk_fma_f32 v[20:21], v[20:21], v[26:27], v[24:25] neg_lo:[0,0,1] neg_hi:[0,0,1]
	v_mov_b32_e32 v21, v23
	s_delay_alu instid0(VALU_DEP_3) | instskip(NEXT) | instid1(VALU_DEP_1)
	v_pk_add_f32 v[10:11], v[18:19], v[10:11]
	v_pk_add_f32 v[10:11], v[20:21], v[10:11]
.LBB108_43:                             ;   in Loop: Header=BB108_6 Depth=1
	s_or_b32 exec_lo, exec_lo, s7
.LBB108_44:                             ;   in Loop: Header=BB108_6 Depth=1
	ds_store_2addr_b64 v67, v[10:11], v[16:17] offset1:32
	ds_store_2addr_b64 v67, v[14:15], v[12:13] offset0:64 offset1:96
	s_wait_storecnt 0x0
	s_wait_loadcnt_dscnt 0x0
	s_barrier_signal -1
	s_barrier_wait -1
	s_and_saveexec_b32 s30, s5
	s_cbranch_execz .LBB108_4
; %bb.45:                               ;   in Loop: Header=BB108_6 Depth=1
	ds_load_2addr_stride64_b64 v[10:13], v73 offset1:2
	ds_load_2addr_stride64_b64 v[14:17], v73 offset0:4 offset1:6
	ds_load_2addr_stride64_b64 v[18:21], v73 offset0:8 offset1:10
	s_wait_dscnt 0x2
	v_pk_add_f32 v[22:23], v[10:11], v[12:13]
	ds_load_2addr_stride64_b64 v[10:13], v73 offset0:12 offset1:14
	s_wait_dscnt 0x2
	v_pk_add_f32 v[14:15], v[22:23], v[14:15]
	s_delay_alu instid0(VALU_DEP_1) | instskip(SKIP_3) | instid1(VALU_DEP_1)
	v_pk_add_f32 v[22:23], v[14:15], v[16:17]
	ds_load_2addr_stride64_b64 v[14:17], v73 offset0:16 offset1:18
	s_wait_dscnt 0x2
	v_pk_add_f32 v[18:19], v[22:23], v[18:19]
	v_pk_add_f32 v[22:23], v[18:19], v[20:21]
	ds_load_2addr_stride64_b64 v[18:21], v73 offset0:20 offset1:22
	s_wait_dscnt 0x2
	v_pk_add_f32 v[10:11], v[22:23], v[10:11]
	s_delay_alu instid0(VALU_DEP_1) | instskip(SKIP_1) | instid1(VALU_DEP_1)
	v_pk_add_f32 v[10:11], v[10:11], v[12:13]
	s_wait_dscnt 0x1
	v_pk_add_f32 v[14:15], v[10:11], v[14:15]
	ds_load_2addr_stride64_b64 v[10:13], v73 offset0:24 offset1:26
	v_pk_add_f32 v[14:15], v[14:15], v[16:17]
	s_wait_dscnt 0x1
	s_delay_alu instid0(VALU_DEP_1) | instskip(SKIP_3) | instid1(VALU_DEP_1)
	v_pk_add_f32 v[18:19], v[14:15], v[18:19]
	ds_load_2addr_stride64_b64 v[14:17], v73 offset0:28 offset1:30
	v_pk_add_f32 v[18:19], v[18:19], v[20:21]
	s_wait_dscnt 0x1
	v_pk_add_f32 v[10:11], v[18:19], v[10:11]
	s_delay_alu instid0(VALU_DEP_1) | instskip(SKIP_1) | instid1(VALU_DEP_1)
	v_pk_add_f32 v[10:11], v[10:11], v[12:13]
	s_wait_dscnt 0x0
	v_pk_add_f32 v[10:11], v[10:11], v[14:15]
	s_delay_alu instid0(VALU_DEP_1)
	v_pk_add_f32 v[12:13], v[10:11], v[16:17]
	ds_store_b64 v73, v[12:13]
	s_and_b32 exec_lo, exec_lo, s6
	s_cbranch_execz .LBB108_4
; %bb.46:                               ;   in Loop: Header=BB108_6 Depth=1
	v_pk_mul_f32 v[14:15], v[12:13], v[8:9] op_sel:[1,1] op_sel_hi:[1,0]
	v_cmp_neq_f32_e32 vcc_lo, 0, v6
	v_cmp_neq_f32_e64 s7, 0, v7
	s_delay_alu instid0(VALU_DEP_3) | instskip(SKIP_3) | instid1(SALU_CYCLE_1)
	v_pk_fma_f32 v[10:11], v[12:13], v[8:9], v[14:15] op_sel_hi:[0,1,1] neg_lo:[0,0,1] neg_hi:[0,0,1]
	v_pk_fma_f32 v[12:13], v[12:13], v[8:9], v[14:15] op_sel_hi:[0,1,1]
	v_lshl_add_u64 v[8:9], v[4:5], 3, s[8:9]
	s_or_b32 s7, vcc_lo, s7
	s_and_not1_b32 vcc_lo, exec_lo, s7
	s_cbranch_vccnz .LBB108_3
; %bb.47:                               ;   in Loop: Header=BB108_6 Depth=1
	global_load_b64 v[14:15], v[8:9], off
	s_wait_loadcnt 0x0
	v_pk_mul_f32 v[16:17], v[6:7], v[14:15] op_sel:[1,1] op_sel_hi:[0,1]
	s_delay_alu instid0(VALU_DEP_1) | instskip(SKIP_1) | instid1(VALU_DEP_2)
	v_pk_fma_f32 v[18:19], v[6:7], v[14:15], v[16:17] op_sel_hi:[1,0,1]
	v_pk_fma_f32 v[6:7], v[6:7], v[14:15], v[16:17] neg_lo:[0,0,1] neg_hi:[0,0,1]
	v_dual_mov_b32 v11, v13 :: v_dual_mov_b32 v7, v19
	s_delay_alu instid0(VALU_DEP_1) | instskip(NEXT) | instid1(VALU_DEP_1)
	v_pk_add_f32 v[10:11], v[10:11], v[6:7]
	v_mov_b32_e32 v13, v11
	s_branch .LBB108_3
.LBB108_48:
	s_sendmsg sendmsg(MSG_DEALLOC_VGPRS)
	s_endpgm
	.section	.rodata,"a",@progbits
	.p2align	6, 0x0
	.amdhsa_kernel _ZL20rocblas_gemvn_kernelILi32ELi16Ei19rocblas_complex_numIfEPKS1_S1_EviiT3_lPKT2_lT1_lS7_lS8_lS4_lPT4_lS8_li
		.amdhsa_group_segment_fixed_size 16384
		.amdhsa_private_segment_fixed_size 0
		.amdhsa_kernarg_size 400
		.amdhsa_user_sgpr_count 2
		.amdhsa_user_sgpr_dispatch_ptr 0
		.amdhsa_user_sgpr_queue_ptr 0
		.amdhsa_user_sgpr_kernarg_segment_ptr 1
		.amdhsa_user_sgpr_dispatch_id 0
		.amdhsa_user_sgpr_kernarg_preload_length 0
		.amdhsa_user_sgpr_kernarg_preload_offset 0
		.amdhsa_user_sgpr_private_segment_size 0
		.amdhsa_wavefront_size32 1
		.amdhsa_uses_dynamic_stack 0
		.amdhsa_enable_private_segment 0
		.amdhsa_system_sgpr_workgroup_id_x 1
		.amdhsa_system_sgpr_workgroup_id_y 0
		.amdhsa_system_sgpr_workgroup_id_z 1
		.amdhsa_system_sgpr_workgroup_info 0
		.amdhsa_system_vgpr_workitem_id 1
		.amdhsa_next_free_vgpr 86
		.amdhsa_next_free_sgpr 53
		.amdhsa_named_barrier_count 0
		.amdhsa_reserve_vcc 1
		.amdhsa_float_round_mode_32 0
		.amdhsa_float_round_mode_16_64 0
		.amdhsa_float_denorm_mode_32 3
		.amdhsa_float_denorm_mode_16_64 3
		.amdhsa_fp16_overflow 0
		.amdhsa_memory_ordered 1
		.amdhsa_forward_progress 1
		.amdhsa_inst_pref_size 33
		.amdhsa_round_robin_scheduling 0
		.amdhsa_exception_fp_ieee_invalid_op 0
		.amdhsa_exception_fp_denorm_src 0
		.amdhsa_exception_fp_ieee_div_zero 0
		.amdhsa_exception_fp_ieee_overflow 0
		.amdhsa_exception_fp_ieee_underflow 0
		.amdhsa_exception_fp_ieee_inexact 0
		.amdhsa_exception_int_div_zero 0
	.end_amdhsa_kernel
	.section	.text._ZL20rocblas_gemvn_kernelILi32ELi16Ei19rocblas_complex_numIfEPKS1_S1_EviiT3_lPKT2_lT1_lS7_lS8_lS4_lPT4_lS8_li,"axG",@progbits,_ZL20rocblas_gemvn_kernelILi32ELi16Ei19rocblas_complex_numIfEPKS1_S1_EviiT3_lPKT2_lT1_lS7_lS8_lS4_lPT4_lS8_li,comdat
.Lfunc_end108:
	.size	_ZL20rocblas_gemvn_kernelILi32ELi16Ei19rocblas_complex_numIfEPKS1_S1_EviiT3_lPKT2_lT1_lS7_lS8_lS4_lPT4_lS8_li, .Lfunc_end108-_ZL20rocblas_gemvn_kernelILi32ELi16Ei19rocblas_complex_numIfEPKS1_S1_EviiT3_lPKT2_lT1_lS7_lS8_lS4_lPT4_lS8_li
                                        ; -- End function
	.set _ZL20rocblas_gemvn_kernelILi32ELi16Ei19rocblas_complex_numIfEPKS1_S1_EviiT3_lPKT2_lT1_lS7_lS8_lS4_lPT4_lS8_li.num_vgpr, 86
	.set _ZL20rocblas_gemvn_kernelILi32ELi16Ei19rocblas_complex_numIfEPKS1_S1_EviiT3_lPKT2_lT1_lS7_lS8_lS4_lPT4_lS8_li.num_agpr, 0
	.set _ZL20rocblas_gemvn_kernelILi32ELi16Ei19rocblas_complex_numIfEPKS1_S1_EviiT3_lPKT2_lT1_lS7_lS8_lS4_lPT4_lS8_li.numbered_sgpr, 53
	.set _ZL20rocblas_gemvn_kernelILi32ELi16Ei19rocblas_complex_numIfEPKS1_S1_EviiT3_lPKT2_lT1_lS7_lS8_lS4_lPT4_lS8_li.num_named_barrier, 0
	.set _ZL20rocblas_gemvn_kernelILi32ELi16Ei19rocblas_complex_numIfEPKS1_S1_EviiT3_lPKT2_lT1_lS7_lS8_lS4_lPT4_lS8_li.private_seg_size, 0
	.set _ZL20rocblas_gemvn_kernelILi32ELi16Ei19rocblas_complex_numIfEPKS1_S1_EviiT3_lPKT2_lT1_lS7_lS8_lS4_lPT4_lS8_li.uses_vcc, 1
	.set _ZL20rocblas_gemvn_kernelILi32ELi16Ei19rocblas_complex_numIfEPKS1_S1_EviiT3_lPKT2_lT1_lS7_lS8_lS4_lPT4_lS8_li.uses_flat_scratch, 0
	.set _ZL20rocblas_gemvn_kernelILi32ELi16Ei19rocblas_complex_numIfEPKS1_S1_EviiT3_lPKT2_lT1_lS7_lS8_lS4_lPT4_lS8_li.has_dyn_sized_stack, 0
	.set _ZL20rocblas_gemvn_kernelILi32ELi16Ei19rocblas_complex_numIfEPKS1_S1_EviiT3_lPKT2_lT1_lS7_lS8_lS4_lPT4_lS8_li.has_recursion, 0
	.set _ZL20rocblas_gemvn_kernelILi32ELi16Ei19rocblas_complex_numIfEPKS1_S1_EviiT3_lPKT2_lT1_lS7_lS8_lS4_lPT4_lS8_li.has_indirect_call, 0
	.section	.AMDGPU.csdata,"",@progbits
; Kernel info:
; codeLenInByte = 4136
; TotalNumSgprs: 55
; NumVgprs: 86
; ScratchSize: 0
; MemoryBound: 0
; FloatMode: 240
; IeeeMode: 1
; LDSByteSize: 16384 bytes/workgroup (compile time only)
; SGPRBlocks: 0
; VGPRBlocks: 5
; NumSGPRsForWavesPerEU: 55
; NumVGPRsForWavesPerEU: 86
; NamedBarCnt: 0
; Occupancy: 10
; WaveLimiterHint : 1
; COMPUTE_PGM_RSRC2:SCRATCH_EN: 0
; COMPUTE_PGM_RSRC2:USER_SGPR: 2
; COMPUTE_PGM_RSRC2:TRAP_HANDLER: 0
; COMPUTE_PGM_RSRC2:TGID_X_EN: 1
; COMPUTE_PGM_RSRC2:TGID_Y_EN: 0
; COMPUTE_PGM_RSRC2:TGID_Z_EN: 1
; COMPUTE_PGM_RSRC2:TIDIG_COMP_CNT: 1
	.section	.text._ZL20rocblas_gemvn_kernelILi32ELi16El19rocblas_complex_numIfEPKS1_S1_EviiT3_lPKT2_lT1_lS7_lS8_lS4_lPT4_lS8_li,"axG",@progbits,_ZL20rocblas_gemvn_kernelILi32ELi16El19rocblas_complex_numIfEPKS1_S1_EviiT3_lPKT2_lT1_lS7_lS8_lS4_lPT4_lS8_li,comdat
	.globl	_ZL20rocblas_gemvn_kernelILi32ELi16El19rocblas_complex_numIfEPKS1_S1_EviiT3_lPKT2_lT1_lS7_lS8_lS4_lPT4_lS8_li ; -- Begin function _ZL20rocblas_gemvn_kernelILi32ELi16El19rocblas_complex_numIfEPKS1_S1_EviiT3_lPKT2_lT1_lS7_lS8_lS4_lPT4_lS8_li
	.p2align	8
	.type	_ZL20rocblas_gemvn_kernelILi32ELi16El19rocblas_complex_numIfEPKS1_S1_EviiT3_lPKT2_lT1_lS7_lS8_lS4_lPT4_lS8_li,@function
_ZL20rocblas_gemvn_kernelILi32ELi16El19rocblas_complex_numIfEPKS1_S1_EviiT3_lPKT2_lT1_lS7_lS8_lS4_lPT4_lS8_li: ; @_ZL20rocblas_gemvn_kernelILi32ELi16El19rocblas_complex_numIfEPKS1_S1_EviiT3_lPKT2_lT1_lS7_lS8_lS4_lPT4_lS8_li
; %bb.0:
	s_load_b64 s[2:3], s[0:1], 0x9c
	s_wait_kmcnt 0x0
	s_lshr_b32 s4, s2, 16
	s_and_b32 s2, s2, 0xffff
	s_and_b32 s3, s3, 0xffff
	s_mul_i32 s2, s4, s2
	s_delay_alu instid0(SALU_CYCLE_1) | instskip(NEXT) | instid1(SALU_CYCLE_1)
	s_mul_i32 s2, s2, s3
	s_cmp_lg_u32 s2, 0x200
	s_cbranch_scc1 .LBB109_48
; %bb.1:
	s_load_b32 s33, s[0:1], 0x88
	s_bfe_u32 s2, ttmp6, 0x40014
	s_lshr_b32 s3, ttmp7, 16
	s_add_co_i32 s2, s2, 1
	s_bfe_u32 s5, ttmp6, 0x40008
	s_mul_i32 s4, s3, s2
	s_getreg_b32 s2, hwreg(HW_REG_IB_STS2, 6, 4)
	s_add_co_i32 s5, s5, s4
	s_cmp_eq_u32 s2, 0
	s_mov_b32 s11, 0
	s_cselect_b32 s10, s3, s5
	s_wait_kmcnt 0x0
	s_cmp_ge_u32 s10, s33
	s_cbranch_scc1 .LBB109_48
; %bb.2:
	s_clause 0x2
	s_load_b512 s[12:27], s[0:1], 0x8
	s_load_b512 s[36:51], s[0:1], 0x48
	s_load_b64 s[28:29], s[0:1], 0x0
	s_wait_xcnt 0x0
	s_bfe_u32 s0, ttmp6, 0x4000c
	v_and_b32_e32 v24, 0x3ff, v0
	s_add_co_i32 s0, s0, 1
	v_bfe_u32 v4, v0, 10, 10
	s_and_b32 s1, ttmp6, 15
	s_mul_i32 s0, ttmp9, s0
	v_mov_b32_e32 v1, 0
	s_add_co_i32 s1, s1, s0
	v_lshl_add_u32 v10, v4, 5, v24
	v_lshlrev_b32_e32 v96, 2, v4
	s_delay_alu instid0(VALU_DEP_3) | instskip(NEXT) | instid1(VALU_DEP_1)
	v_dual_mov_b32 v5, v1 :: v_dual_lshlrev_b32 v2, 3, v24
	v_lshl_add_u32 v97, v4, 10, v2
	v_lshl_add_u32 v98, v4, 8, v2
	s_wait_kmcnt 0x0
	s_lshl_b64 s[4:5], s[18:19], 3
	s_lshl_b64 s[18:19], s[26:27], 3
	s_lshl_b64 s[6:7], s[46:47], 3
	s_cmp_eq_u32 s2, 0
	s_mov_b32 s2, s28
	s_cselect_b32 s0, ttmp9, s1
	s_ashr_i32 s3, s28, 31
	s_lshl_b32 s1, s0, 7
	v_cmp_gt_u32_e64 s0, 0x80, v10
	v_dual_add_nc_u32 v0, s1, v10 :: v_dual_bitop2_b32 v10, s1, v10 bitop3:0x54
	v_mul_u64_e32 v[6:7], s[36:37], v[4:5]
	v_mul_u64_e32 v[8:9], s[20:21], v[4:5]
	v_mad_nc_u64_u32 v[20:21], s36, v96, s[36:37]
	s_delay_alu instid0(VALU_DEP_4)
	v_cmp_gt_i64_e32 vcc_lo, s[2:3], v[0:1]
	v_mul_u64_e32 v[2:3], s[48:49], v[0:1]
	v_dual_ashrrev_i32 v11, 31, v10 :: v_dual_bitop2_b32 v0, 3, v96 bitop3:0x54
	v_mad_nc_u64_u32 v[22:23], s20, v96, s[20:21]
	s_ashr_i32 s2, s29, 31
	v_add_nc_u32_e32 v24, s1, v24
	s_delay_alu instid0(VALU_DEP_3)
	v_mul_u64_e32 v[12:13], s[20:21], v[0:1]
	v_mul_u64_e32 v[14:15], s[36:37], v[0:1]
	v_or_b32_e32 v0, 2, v96
	v_mul_u64_e32 v[4:5], s[48:49], v[10:11]
	s_lshr_b32 s2, s2, 26
	v_mad_u32 v21, s37, v96, v21
	s_add_co_i32 s52, s29, s2
	v_mul_u64_e32 v[16:17], s[20:21], v[0:1]
	v_mul_u64_e32 v[18:19], s[36:37], v[0:1]
	s_and_not1_b32 s52, s52, 63
	v_mad_u32 v23, s21, v96, v23
	s_sub_co_i32 s3, s29, s52
	v_dual_ashrrev_i32 v25, 31, v24 :: v_dual_add_nc_u32 v0, 32, v24
	s_cmp_gt_i32 s3, 0
	v_cmp_gt_i32_e64 s3, s28, v10
	v_add_nc_u32_e32 v28, 64, v24
	v_add_nc_u32_e32 v29, 0x60, v24
	s_add_nc_u64 s[16:17], s[16:17], s[4:5]
	s_add_nc_u64 s[30:31], s[44:45], s[6:7]
	v_cmp_gt_i32_e64 s1, s52, v96
	v_cmp_gt_i32_e64 s2, s28, v24
	v_lshlrev_b64_e32 v[10:11], 5, v[6:7]
	v_lshlrev_b64_e32 v[26:27], 5, v[8:9]
	;; [unrolled: 1-line block ×3, first 2 shown]
	v_cmp_gt_i32_e64 s4, s28, v0
	v_cmp_gt_i32_e64 s5, s28, v28
	;; [unrolled: 1-line block ×3, first 2 shown]
	v_lshl_add_u64 v[20:21], v[20:21], 3, s[24:25]
	v_add_nc_u64_e32 v[8:9], s[24:25], v[10:11]
	v_add_nc_u64_e32 v[10:11], s[16:17], v[26:27]
	v_lshl_add_u64 v[22:23], v[22:23], 3, s[16:17]
	v_lshl_add_u64 v[12:13], v[12:13], 3, s[16:17]
	;; [unrolled: 1-line block ×3, first 2 shown]
	s_add_nc_u64 s[26:27], s[24:25], s[18:19]
	s_cselect_b32 s53, -1, 0
	s_lshl_b64 s[34:35], s[38:39], 3
	s_and_b32 s28, s0, vcc_lo
	s_lshl_b64 s[44:45], s[22:23], 3
	v_lshl_add_u64 v[16:17], v[16:17], 3, s[16:17]
	v_lshl_add_u64 v[18:19], v[18:19], 3, s[24:25]
	s_lshl_b64 s[24:25], s[36:37], 9
	s_lshl_b64 s[46:47], s[20:21], 9
	s_branch .LBB109_6
.LBB109_3:                              ;   in Loop: Header=BB109_6 Depth=1
	s_delay_alu instid0(VALU_DEP_1)
	v_mov_b32_e32 v29, v31
	global_store_b64 v[26:27], v[28:29], off
.LBB109_4:                              ;   in Loop: Header=BB109_6 Depth=1
	s_wait_xcnt 0x0
	s_or_b32 exec_lo, exec_lo, s8
.LBB109_5:                              ;   in Loop: Header=BB109_6 Depth=1
	s_add_co_i32 s10, s10, 0x10000
	s_delay_alu instid0(SALU_CYCLE_1)
	s_cmp_lt_u32 s10, s33
	s_cbranch_scc0 .LBB109_48
.LBB109_6:                              ; =>This Loop Header: Depth=1
                                        ;     Child Loop BB109_20 Depth 2
	s_mul_u64 s[8:9], s[14:15], s[10:11]
	s_wait_xcnt 0x0
	s_mul_u64 s[48:49], s[42:43], s[10:11]
	s_lshl_b64 s[8:9], s[8:9], 3
	s_lshl_b64 s[48:49], s[48:49], 3
	s_add_nc_u64 s[8:9], s[12:13], s[8:9]
	s_add_nc_u64 s[48:49], s[40:41], s[48:49]
	s_clause 0x1
	global_load_b64 v[26:27], v1, s[8:9]
	global_load_b64 v[24:25], v1, s[48:49]
	s_wait_loadcnt 0x1
	v_cmp_eq_f32_e32 vcc_lo, 0, v26
	v_cmp_eq_f32_e64 s7, 0, v27
	s_wait_loadcnt 0x0
	s_wait_xcnt 0x1
	v_cmp_eq_f32_e64 s8, 1.0, v24
	v_cmp_eq_f32_e64 s9, 0, v25
	s_and_b32 s7, vcc_lo, s7
	s_and_b32 s8, s8, s9
	s_delay_alu instid0(SALU_CYCLE_1) | instskip(NEXT) | instid1(SALU_CYCLE_1)
	s_and_b32 s7, s7, s8
	s_and_b32 vcc_lo, exec_lo, s7
	s_cbranch_vccnz .LBB109_5
; %bb.7:                                ;   in Loop: Header=BB109_6 Depth=1
	v_or_b32_e32 v0, v26, v27
	s_mul_u64 s[8:9], s[50:51], s[10:11]
	s_mov_b32 s7, -1
	s_lshl_b64 s[8:9], s[8:9], 3
	s_wait_xcnt 0x0
	s_add_nc_u64 s[48:49], s[30:31], s[8:9]
	v_and_b32_e32 v0, 0x7fffffff, v0
	s_delay_alu instid0(VALU_DEP_1)
	v_cmp_ne_u32_e32 vcc_lo, 0, v0
	s_cbranch_vccnz .LBB109_13
; %bb.8:                                ;   in Loop: Header=BB109_6 Depth=1
	s_and_saveexec_b32 s8, s28
	s_cbranch_execz .LBB109_12
; %bb.9:                                ;   in Loop: Header=BB109_6 Depth=1
	v_cmp_neq_f32_e32 vcc_lo, 0, v24
	v_cmp_neq_f32_e64 s7, 0, v25
	v_dual_mov_b32 v30, 0 :: v_dual_mov_b32 v31, 0
	v_lshl_add_u64 v[28:29], v[2:3], 3, s[48:49]
	s_or_b32 s7, vcc_lo, s7
	s_delay_alu instid0(SALU_CYCLE_1)
	s_and_not1_b32 vcc_lo, exec_lo, s7
	s_cbranch_vccnz .LBB109_11
; %bb.10:                               ;   in Loop: Header=BB109_6 Depth=1
	global_load_b64 v[30:31], v[28:29], off
	s_wait_loadcnt 0x0
	v_pk_mul_f32 v[32:33], v[24:25], v[30:31] op_sel:[1,1] op_sel_hi:[0,1]
	s_delay_alu instid0(VALU_DEP_1) | instskip(SKIP_1) | instid1(VALU_DEP_2)
	v_pk_fma_f32 v[34:35], v[24:25], v[30:31], v[32:33] op_sel_hi:[1,0,1]
	v_pk_fma_f32 v[30:31], v[24:25], v[30:31], v[32:33] neg_lo:[0,0,1] neg_hi:[0,0,1]
	v_mov_b32_e32 v31, v35
.LBB109_11:                             ;   in Loop: Header=BB109_6 Depth=1
	global_store_b64 v[28:29], v[30:31], off
.LBB109_12:                             ;   in Loop: Header=BB109_6 Depth=1
	s_wait_xcnt 0x0
	s_or_b32 exec_lo, exec_lo, s8
	s_mov_b32 s7, 0
.LBB109_13:                             ;   in Loop: Header=BB109_6 Depth=1
	s_delay_alu instid0(SALU_CYCLE_1)
	s_and_not1_b32 vcc_lo, exec_lo, s7
	s_cbranch_vccnz .LBB109_5
; %bb.14:                               ;   in Loop: Header=BB109_6 Depth=1
	v_mov_b64_e32 v[30:31], 0
	v_mov_b64_e32 v[32:33], 0
	;; [unrolled: 1-line block ×4, first 2 shown]
	v_mov_b32_e32 v0, v96
	s_and_saveexec_b32 s7, s1
	s_cbranch_execz .LBB109_26
; %bb.15:                               ;   in Loop: Header=BB109_6 Depth=1
	s_mul_u64 s[8:9], s[34:35], s[10:11]
	s_mul_u64 s[54:55], s[44:45], s[10:11]
	v_add_nc_u64_e32 v[36:37], s[8:9], v[8:9]
	v_add_nc_u64_e32 v[38:39], s[54:55], v[12:13]
	;; [unrolled: 1-line block ×8, first 2 shown]
	v_mov_b64_e32 v[28:29], 0
	v_mov_b64_e32 v[34:35], 0
	;; [unrolled: 1-line block ×4, first 2 shown]
	v_mov_b32_e32 v0, v96
	s_mov_b32 s8, 0
	s_branch .LBB109_20
.LBB109_16:                             ;   in Loop: Header=BB109_20 Depth=2
	s_or_b32 exec_lo, exec_lo, s56
	s_wait_loadcnt 0x3
	v_dual_mul_f32 v88, v61, v87 :: v_dual_mul_f32 v89, v60, v87
	s_wait_loadcnt 0x2
	v_dual_mul_f32 v92, v63, v85 :: v_dual_mul_f32 v87, v62, v85
	s_wait_loadcnt 0x1
	v_pk_mul_f32 v[90:91], v[78:79], v[82:83] op_sel:[0,1]
	v_dual_fma_f32 v88, v60, v86, -v88 :: v_dual_fmac_f32 v89, v61, v86
	s_delay_alu instid0(VALU_DEP_3) | instskip(NEXT) | instid1(VALU_DEP_3)
	v_dual_fma_f32 v86, v62, v84, -v92 :: v_dual_fmac_f32 v87, v63, v84
	v_pk_fma_f32 v[84:85], v[54:55], v[82:83], v[90:91] op_sel_hi:[1,0,1]
	v_pk_fma_f32 v[82:83], v[54:55], v[82:83], v[90:91] neg_lo:[0,0,1] neg_hi:[0,0,1]
	s_delay_alu instid0(VALU_DEP_4) | instskip(SKIP_3) | instid1(VALU_DEP_3)
	v_pk_add_f32 v[32:33], v[32:33], v[88:89]
	s_wait_loadcnt 0x0
	v_pk_mul_f32 v[88:89], v[72:73], v[80:81] op_sel:[0,1]
	v_mov_b32_e32 v83, v85
	v_pk_add_f32 v[32:33], v[86:87], v[32:33]
	s_delay_alu instid0(VALU_DEP_3) | instskip(SKIP_1) | instid1(VALU_DEP_2)
	v_pk_fma_f32 v[84:85], v[52:53], v[80:81], v[88:89] op_sel_hi:[1,0,1]
	v_pk_fma_f32 v[80:81], v[52:53], v[80:81], v[88:89] neg_lo:[0,0,1] neg_hi:[0,0,1]
	v_mov_b32_e32 v81, v85
	s_delay_alu instid0(VALU_DEP_4) | instskip(NEXT) | instid1(VALU_DEP_1)
	v_pk_add_f32 v[32:33], v[82:83], v[32:33]
	v_pk_add_f32 v[32:33], v[80:81], v[32:33]
.LBB109_17:                             ;   in Loop: Header=BB109_20 Depth=2
	s_or_b32 exec_lo, exec_lo, s55
	s_wait_loadcnt 0x3
	v_dual_mul_f32 v80, v61, v77 :: v_dual_mul_f32 v81, v60, v77
	s_wait_loadcnt 0x2
	v_dual_mul_f32 v82, v63, v75 :: v_dual_mul_f32 v77, v62, v75
	s_wait_loadcnt 0x1
	v_pk_mul_f32 v[78:79], v[78:79], v[70:71] op_sel:[0,1]
	v_dual_fma_f32 v80, v60, v76, -v80 :: v_dual_fmac_f32 v81, v61, v76
	s_delay_alu instid0(VALU_DEP_3) | instskip(NEXT) | instid1(VALU_DEP_3)
	v_dual_fma_f32 v76, v62, v74, -v82 :: v_dual_fmac_f32 v77, v63, v74
	v_pk_fma_f32 v[74:75], v[54:55], v[70:71], v[78:79] op_sel_hi:[1,0,1]
	s_wait_loadcnt 0x0
	v_pk_mul_f32 v[72:73], v[72:73], v[68:69] op_sel:[0,1]
	v_pk_add_f32 v[34:35], v[34:35], v[80:81]
	v_pk_fma_f32 v[70:71], v[54:55], v[70:71], v[78:79] neg_lo:[0,0,1] neg_hi:[0,0,1]
	v_mov_b32_e32 v71, v75
	s_delay_alu instid0(VALU_DEP_4) | instskip(NEXT) | instid1(VALU_DEP_4)
	v_pk_fma_f32 v[74:75], v[52:53], v[68:69], v[72:73] op_sel_hi:[1,0,1]
	v_pk_add_f32 v[34:35], v[76:77], v[34:35]
	v_pk_fma_f32 v[68:69], v[52:53], v[68:69], v[72:73] neg_lo:[0,0,1] neg_hi:[0,0,1]
	s_delay_alu instid0(VALU_DEP_3) | instskip(NEXT) | instid1(VALU_DEP_3)
	v_mov_b32_e32 v69, v75
	v_pk_add_f32 v[34:35], v[70:71], v[34:35]
	s_delay_alu instid0(VALU_DEP_1)
	v_pk_add_f32 v[34:35], v[68:69], v[34:35]
.LBB109_18:                             ;   in Loop: Header=BB109_20 Depth=2
	s_or_b32 exec_lo, exec_lo, s54
	s_wait_loadcnt 0x3
	v_dual_mul_f32 v68, v61, v67 :: v_dual_mul_f32 v69, v60, v67
	s_wait_loadcnt 0x2
	v_dual_mul_f32 v72, v63, v65 :: v_dual_mul_f32 v67, v62, v65
	s_wait_loadcnt 0x1
	v_pk_mul_f32 v[70:71], v[54:55], v[58:59] op_sel:[1,1] op_sel_hi:[0,1]
	v_dual_fma_f32 v68, v60, v66, -v68 :: v_dual_fmac_f32 v69, v61, v66
	s_delay_alu instid0(VALU_DEP_3) | instskip(NEXT) | instid1(VALU_DEP_3)
	v_dual_fma_f32 v66, v62, v64, -v72 :: v_dual_fmac_f32 v67, v63, v64
	v_pk_fma_f32 v[60:61], v[54:55], v[58:59], v[70:71] op_sel_hi:[1,0,1]
	s_wait_loadcnt 0x0
	v_pk_mul_f32 v[62:63], v[52:53], v[56:57] op_sel:[1,1] op_sel_hi:[0,1]
	v_pk_add_f32 v[28:29], v[28:29], v[68:69]
	v_pk_fma_f32 v[54:55], v[54:55], v[58:59], v[70:71] neg_lo:[0,0,1] neg_hi:[0,0,1]
	s_delay_alu instid0(VALU_DEP_3) | instskip(SKIP_1) | instid1(VALU_DEP_4)
	v_pk_fma_f32 v[58:59], v[52:53], v[56:57], v[62:63] op_sel_hi:[1,0,1]
	v_mov_b32_e32 v55, v61
	v_pk_add_f32 v[28:29], v[66:67], v[28:29]
	v_pk_fma_f32 v[52:53], v[52:53], v[56:57], v[62:63] neg_lo:[0,0,1] neg_hi:[0,0,1]
	s_delay_alu instid0(VALU_DEP_4) | instskip(NEXT) | instid1(VALU_DEP_3)
	v_mov_b32_e32 v53, v59
	v_pk_add_f32 v[28:29], v[54:55], v[28:29]
	s_delay_alu instid0(VALU_DEP_1)
	v_pk_add_f32 v[28:29], v[52:53], v[28:29]
.LBB109_19:                             ;   in Loop: Header=BB109_20 Depth=2
	s_or_b32 exec_lo, exec_lo, s9
	v_add_nc_u32_e32 v0, 64, v0
	v_add_nc_u64_e32 v[36:37], s[24:25], v[36:37]
	v_add_nc_u64_e32 v[38:39], s[46:47], v[38:39]
	v_add_nc_u64_e32 v[40:41], s[24:25], v[40:41]
	v_add_nc_u64_e32 v[42:43], s[46:47], v[42:43]
	v_add_nc_u64_e32 v[44:45], s[46:47], v[44:45]
	v_add_nc_u64_e32 v[46:47], s[24:25], v[46:47]
	v_add_nc_u64_e32 v[48:49], s[24:25], v[48:49]
	v_cmp_le_i32_e32 vcc_lo, s52, v0
	v_add_nc_u64_e32 v[50:51], s[46:47], v[50:51]
	s_or_b32 s8, vcc_lo, s8
	s_delay_alu instid0(SALU_CYCLE_1)
	s_and_not1_b32 exec_lo, exec_lo, s8
	s_cbranch_execz .LBB109_25
.LBB109_20:                             ;   Parent Loop BB109_6 Depth=1
                                        ; =>  This Inner Loop Header: Depth=2
	s_and_saveexec_b32 s9, s2
	s_cbranch_execz .LBB109_19
; %bb.21:                               ;   in Loop: Header=BB109_20 Depth=2
	v_add_nc_u64_e32 v[52:53], s[18:19], v[36:37]
	v_add_nc_u64_e32 v[54:55], s[18:19], v[48:49]
	;; [unrolled: 1-line block ×8, first 2 shown]
	global_load_b64 v[60:61], v[52:53], off
	global_load_b64 v[62:63], v[54:55], off
	;; [unrolled: 1-line block ×8, first 2 shown]
	s_wait_xcnt 0x0
	s_and_saveexec_b32 s54, s4
	s_cbranch_execz .LBB109_18
; %bb.22:                               ;   in Loop: Header=BB109_20 Depth=2
	global_load_b64 v[76:77], v[94:95], off offset:256
	global_load_b64 v[74:75], v[92:93], off offset:256
	;; [unrolled: 1-line block ×4, first 2 shown]
	s_wait_loadcnt 0x9
	v_dual_mov_b32 v78, v55 :: v_dual_mov_b32 v79, v54
	s_wait_loadcnt 0x8
	v_dual_mov_b32 v72, v53 :: v_dual_mov_b32 v73, v52
	s_wait_xcnt 0x0
	s_and_saveexec_b32 s55, s5
	s_cbranch_execz .LBB109_17
; %bb.23:                               ;   in Loop: Header=BB109_20 Depth=2
	global_load_b64 v[86:87], v[94:95], off offset:512
	global_load_b64 v[84:85], v[92:93], off offset:512
	;; [unrolled: 1-line block ×4, first 2 shown]
	s_wait_xcnt 0x0
	s_and_saveexec_b32 s56, s6
	s_cbranch_execz .LBB109_16
; %bb.24:                               ;   in Loop: Header=BB109_20 Depth=2
	global_load_b64 v[94:95], v[94:95], off offset:768
	global_load_b64 v[92:93], v[92:93], off offset:768
	;; [unrolled: 1-line block ×4, first 2 shown]
	s_wait_loadcnt 0x3
	v_dual_mul_f32 v99, v61, v95 :: v_dual_mul_f32 v101, v60, v95
	s_wait_loadcnt 0x2
	s_wait_xcnt 0x3
	v_dual_mul_f32 v104, v63, v93 :: v_dual_mul_f32 v95, v62, v93
	s_wait_loadcnt 0x1
	v_pk_mul_f32 v[102:103], v[78:79], v[88:89] op_sel:[0,1]
	v_dual_fma_f32 v100, v60, v94, -v99 :: v_dual_fmac_f32 v101, v61, v94
	s_delay_alu instid0(VALU_DEP_3) | instskip(SKIP_1) | instid1(VALU_DEP_3)
	v_dual_fma_f32 v94, v62, v92, -v104 :: v_dual_fmac_f32 v95, v63, v92
	s_wait_xcnt 0x2
	v_pk_fma_f32 v[92:93], v[54:55], v[88:89], v[102:103] op_sel_hi:[1,0,1]
	s_wait_xcnt 0x1
	v_pk_fma_f32 v[88:89], v[54:55], v[88:89], v[102:103] neg_lo:[0,0,1] neg_hi:[0,0,1]
	v_pk_add_f32 v[30:31], v[30:31], v[100:101]
	s_wait_loadcnt 0x0
	v_pk_mul_f32 v[100:101], v[72:73], v[90:91] op_sel:[0,1]
	v_mov_b32_e32 v89, v93
	s_delay_alu instid0(VALU_DEP_3) | instskip(NEXT) | instid1(VALU_DEP_3)
	v_pk_add_f32 v[30:31], v[94:95], v[30:31]
	v_pk_fma_f32 v[92:93], v[52:53], v[90:91], v[100:101] op_sel_hi:[1,0,1]
	s_wait_xcnt 0x0
	v_pk_fma_f32 v[90:91], v[52:53], v[90:91], v[100:101] neg_lo:[0,0,1] neg_hi:[0,0,1]
	s_delay_alu instid0(VALU_DEP_2) | instskip(SKIP_1) | instid1(VALU_DEP_1)
	v_mov_b32_e32 v91, v93
	v_pk_add_f32 v[30:31], v[88:89], v[30:31]
	v_pk_add_f32 v[30:31], v[90:91], v[30:31]
	s_branch .LBB109_16
.LBB109_25:                             ;   in Loop: Header=BB109_6 Depth=1
	s_or_b32 exec_lo, exec_lo, s8
.LBB109_26:                             ;   in Loop: Header=BB109_6 Depth=1
	s_delay_alu instid0(SALU_CYCLE_1) | instskip(NEXT) | instid1(SALU_CYCLE_1)
	s_or_b32 exec_lo, exec_lo, s7
	s_and_not1_b32 vcc_lo, exec_lo, s53
	s_cbranch_vccnz .LBB109_44
; %bb.27:                               ;   in Loop: Header=BB109_6 Depth=1
	v_dual_mov_b32 v42, 0 :: v_dual_bitop2_b32 v44, 1, v0 bitop3:0x54
	v_cmp_gt_i32_e32 vcc_lo, s29, v0
	s_delay_alu instid0(VALU_DEP_2)
	v_dual_mov_b32 v43, v42 :: v_dual_mov_b32 v40, v42
	v_dual_mov_b32 v41, v42 :: v_dual_mov_b32 v38, v42
	;; [unrolled: 1-line block ×3, first 2 shown]
	v_mov_b32_e32 v37, v42
	s_and_saveexec_b32 s54, vcc_lo
	s_cbranch_execz .LBB109_35
; %bb.28:                               ;   in Loop: Header=BB109_6 Depth=1
	v_mul_u64_e32 v[36:37], s[36:37], v[0:1]
	s_mul_u64 s[8:9], s[38:39], s[10:11]
	v_dual_mov_b32 v39, 0 :: v_dual_mov_b32 v38, 0
	s_lshl_b64 s[8:9], s[8:9], 3
	v_dual_mov_b32 v41, 0 :: v_dual_mov_b32 v40, 0
	s_add_nc_u64 s[8:9], s[26:27], s[8:9]
	v_dual_mov_b32 v43, 0 :: v_dual_mov_b32 v42, 0
	s_mov_b32 s55, exec_lo
	s_delay_alu instid0(VALU_DEP_4)
	v_lshl_add_u64 v[36:37], v[36:37], 3, s[8:9]
	global_load_b64 v[36:37], v[36:37], off
	s_wait_xcnt 0x0
	v_cmpx_gt_i32_e64 s29, v44
	s_cbranch_execz .LBB109_34
; %bb.29:                               ;   in Loop: Header=BB109_6 Depth=1
	v_dual_mov_b32 v45, v1 :: v_dual_bitop2_b32 v46, 2, v0 bitop3:0x54
	v_dual_mov_b32 v41, 0 :: v_dual_mov_b32 v40, 0
	v_dual_mov_b32 v43, 0 :: v_dual_mov_b32 v42, 0
	s_delay_alu instid0(VALU_DEP_3) | instskip(SKIP_1) | instid1(VALU_DEP_1)
	v_mul_u64_e32 v[38:39], s[36:37], v[44:45]
	s_mov_b32 s56, exec_lo
	v_lshl_add_u64 v[38:39], v[38:39], 3, s[8:9]
	global_load_b64 v[38:39], v[38:39], off
	s_wait_xcnt 0x0
	v_cmpx_gt_i32_e64 s29, v46
	s_cbranch_execz .LBB109_33
; %bb.30:                               ;   in Loop: Header=BB109_6 Depth=1
	v_dual_mov_b32 v47, v1 :: v_dual_mov_b32 v43, 0
	v_mov_b32_e32 v42, 0
	s_mov_b32 s57, exec_lo
	s_delay_alu instid0(VALU_DEP_2) | instskip(SKIP_1) | instid1(VALU_DEP_2)
	v_mul_u64_e32 v[40:41], s[36:37], v[46:47]
	v_or_b32_e32 v46, 3, v0
	v_lshl_add_u64 v[40:41], v[40:41], 3, s[8:9]
	global_load_b64 v[40:41], v[40:41], off
	s_wait_xcnt 0x0
	v_cmpx_gt_i32_e64 s29, v46
	s_cbranch_execz .LBB109_32
; %bb.31:                               ;   in Loop: Header=BB109_6 Depth=1
	v_mov_b32_e32 v47, v1
	s_delay_alu instid0(VALU_DEP_1) | instskip(NEXT) | instid1(VALU_DEP_1)
	v_mul_u64_e32 v[42:43], s[36:37], v[46:47]
	v_lshl_add_u64 v[42:43], v[42:43], 3, s[8:9]
	global_load_b64 v[42:43], v[42:43], off
.LBB109_32:                             ;   in Loop: Header=BB109_6 Depth=1
	s_wait_xcnt 0x0
	s_or_b32 exec_lo, exec_lo, s57
.LBB109_33:                             ;   in Loop: Header=BB109_6 Depth=1
	s_delay_alu instid0(SALU_CYCLE_1)
	s_or_b32 exec_lo, exec_lo, s56
.LBB109_34:                             ;   in Loop: Header=BB109_6 Depth=1
	s_delay_alu instid0(SALU_CYCLE_1)
	s_or_b32 exec_lo, exec_lo, s55
.LBB109_35:                             ;   in Loop: Header=BB109_6 Depth=1
	s_delay_alu instid0(SALU_CYCLE_1)
	s_or_b32 exec_lo, exec_lo, s54
	s_and_saveexec_b32 s54, s2
	s_cbranch_execz .LBB109_43
; %bb.36:                               ;   in Loop: Header=BB109_6 Depth=1
	v_dual_mov_b32 v45, v1 :: v_dual_bitop2_b32 v46, 2, v0 bitop3:0x54
	v_mov_b32_e32 v47, v1
	v_mul_u64_e32 v[48:49], s[20:21], v[0:1]
	v_or_b32_e32 v0, 3, v0
	s_delay_alu instid0(VALU_DEP_4)
	v_mul_u64_e32 v[50:51], s[20:21], v[44:45]
	s_mul_u64 s[8:9], s[22:23], s[10:11]
	v_mul_u64_e32 v[52:53], s[20:21], v[46:47]
	v_cmp_gt_i32_e64 s7, s29, v44
	v_mul_u64_e32 v[54:55], s[20:21], v[0:1]
	s_lshl_b64 s[56:57], s[8:9], 3
	v_cmp_gt_i32_e64 s8, s29, v46
	v_cmp_gt_i32_e64 s9, s29, v0
	s_wait_loadcnt 0x0
	v_dual_mov_b32 v58, v37 :: v_dual_mov_b32 v59, v36
	v_dual_mov_b32 v56, v39 :: v_dual_mov_b32 v57, v38
	v_dual_cndmask_b32 v45, 0, v49 :: v_dual_cndmask_b32 v44, 0, v48
	v_dual_cndmask_b32 v47, 0, v51, s7 :: v_dual_cndmask_b32 v46, 0, v50, s7
	v_dual_cndmask_b32 v49, 0, v53, s8 :: v_dual_cndmask_b32 v48, 0, v52, s8
	v_dual_cndmask_b32 v51, 0, v55, s9 :: v_dual_cndmask_b32 v50, 0, v54, s9
	s_add_nc_u64 s[8:9], s[16:17], s[56:57]
	v_dual_mov_b32 v54, v41 :: v_dual_mov_b32 v55, v40
	v_lshl_add_u64 v[44:45], v[44:45], 3, s[8:9]
	v_lshl_add_u64 v[46:47], v[46:47], 3, s[8:9]
	;; [unrolled: 1-line block ×4, first 2 shown]
	s_delay_alu instid0(VALU_DEP_4) | instskip(NEXT) | instid1(VALU_DEP_4)
	v_add_nc_u64_e32 v[76:77], v[44:45], v[6:7]
	v_add_nc_u64_e32 v[78:79], v[46:47], v[6:7]
	s_delay_alu instid0(VALU_DEP_4) | instskip(NEXT) | instid1(VALU_DEP_4)
	v_add_nc_u64_e32 v[80:81], v[48:49], v[6:7]
	v_add_nc_u64_e32 v[82:83], v[50:51], v[6:7]
	s_clause 0x3
	global_load_b64 v[52:53], v[76:77], off
	global_load_b64 v[48:49], v[78:79], off
	;; [unrolled: 1-line block ×4, first 2 shown]
	v_dual_mov_b32 v50, v43 :: v_dual_mov_b32 v51, v42
	s_wait_xcnt 0x0
	s_and_saveexec_b32 s7, s4
	s_cbranch_execz .LBB109_42
; %bb.37:                               ;   in Loop: Header=BB109_6 Depth=1
	s_clause 0x3
	global_load_b64 v[66:67], v[76:77], off offset:256
	global_load_b64 v[64:65], v[78:79], off offset:256
	global_load_b64 v[62:63], v[80:81], off offset:256
	global_load_b64 v[60:61], v[82:83], off offset:256
	s_wait_xcnt 0x0
	s_and_saveexec_b32 s8, s5
	s_cbranch_execz .LBB109_41
; %bb.38:                               ;   in Loop: Header=BB109_6 Depth=1
	s_clause 0x3
	global_load_b64 v[74:75], v[76:77], off offset:512
	global_load_b64 v[72:73], v[78:79], off offset:512
	global_load_b64 v[70:71], v[80:81], off offset:512
	global_load_b64 v[68:69], v[82:83], off offset:512
	;; [unrolled: 9-line block ×3, first 2 shown]
	s_wait_loadcnt 0x3
	v_pk_mul_f32 v[84:85], v[58:59], v[76:77] op_sel:[0,1]
	s_wait_loadcnt 0x2
	v_pk_mul_f32 v[86:87], v[56:57], v[78:79] op_sel:[0,1]
	;; [unrolled: 2-line block ×3, first 2 shown]
	v_pk_fma_f32 v[88:89], v[36:37], v[76:77], v[84:85] op_sel_hi:[1,0,1]
	s_wait_xcnt 0x3
	v_pk_fma_f32 v[76:77], v[36:37], v[76:77], v[84:85] neg_lo:[0,0,1] neg_hi:[0,0,1]
	v_pk_fma_f32 v[84:85], v[38:39], v[78:79], v[86:87] op_sel_hi:[1,0,1]
	s_wait_xcnt 0x2
	v_pk_fma_f32 v[78:79], v[38:39], v[78:79], v[86:87] neg_lo:[0,0,1] neg_hi:[0,0,1]
	v_pk_fma_f32 v[86:87], v[40:41], v[80:81], v[90:91] op_sel_hi:[1,0,1]
	v_mov_b32_e32 v77, v89
	s_wait_xcnt 0x1
	v_pk_fma_f32 v[80:81], v[40:41], v[80:81], v[90:91] neg_lo:[0,0,1] neg_hi:[0,0,1]
	v_mov_b32_e32 v79, v85
	s_delay_alu instid0(VALU_DEP_3) | instskip(SKIP_2) | instid1(VALU_DEP_2)
	v_pk_add_f32 v[30:31], v[30:31], v[76:77]
	s_wait_loadcnt 0x0
	v_pk_mul_f32 v[76:77], v[50:51], v[82:83] op_sel:[0,1]
	v_pk_add_f32 v[30:31], v[78:79], v[30:31]
	s_delay_alu instid0(VALU_DEP_2) | instskip(SKIP_2) | instid1(VALU_DEP_3)
	v_pk_fma_f32 v[78:79], v[42:43], v[82:83], v[76:77] op_sel_hi:[1,0,1]
	v_mov_b32_e32 v81, v87
	v_pk_fma_f32 v[76:77], v[42:43], v[82:83], v[76:77] neg_lo:[0,0,1] neg_hi:[0,0,1]
	v_mov_b32_e32 v77, v79
	s_delay_alu instid0(VALU_DEP_3) | instskip(NEXT) | instid1(VALU_DEP_1)
	v_pk_add_f32 v[30:31], v[80:81], v[30:31]
	v_pk_add_f32 v[30:31], v[76:77], v[30:31]
.LBB109_40:                             ;   in Loop: Header=BB109_6 Depth=1
	s_wait_xcnt 0x0
	s_or_b32 exec_lo, exec_lo, s9
	s_wait_loadcnt 0x3
	v_pk_mul_f32 v[76:77], v[58:59], v[74:75] op_sel:[0,1]
	s_wait_loadcnt 0x2
	v_pk_mul_f32 v[78:79], v[56:57], v[72:73] op_sel:[0,1]
	;; [unrolled: 2-line block ×3, first 2 shown]
	v_pk_fma_f32 v[80:81], v[36:37], v[74:75], v[76:77] op_sel_hi:[1,0,1]
	v_pk_fma_f32 v[74:75], v[36:37], v[74:75], v[76:77] neg_lo:[0,0,1] neg_hi:[0,0,1]
	v_pk_fma_f32 v[76:77], v[38:39], v[72:73], v[78:79] op_sel_hi:[1,0,1]
	v_pk_fma_f32 v[72:73], v[38:39], v[72:73], v[78:79] neg_lo:[0,0,1] neg_hi:[0,0,1]
	v_pk_fma_f32 v[78:79], v[40:41], v[70:71], v[82:83] op_sel_hi:[1,0,1]
	v_mov_b32_e32 v75, v81
	v_pk_fma_f32 v[70:71], v[40:41], v[70:71], v[82:83] neg_lo:[0,0,1] neg_hi:[0,0,1]
	v_mov_b32_e32 v73, v77
	s_delay_alu instid0(VALU_DEP_3) | instskip(SKIP_2) | instid1(VALU_DEP_2)
	v_pk_add_f32 v[32:33], v[32:33], v[74:75]
	s_wait_loadcnt 0x0
	v_pk_mul_f32 v[74:75], v[50:51], v[68:69] op_sel:[0,1]
	v_pk_add_f32 v[32:33], v[72:73], v[32:33]
	s_delay_alu instid0(VALU_DEP_2) | instskip(SKIP_2) | instid1(VALU_DEP_3)
	v_pk_fma_f32 v[72:73], v[42:43], v[68:69], v[74:75] op_sel_hi:[1,0,1]
	v_mov_b32_e32 v71, v79
	v_pk_fma_f32 v[68:69], v[42:43], v[68:69], v[74:75] neg_lo:[0,0,1] neg_hi:[0,0,1]
	v_mov_b32_e32 v69, v73
	s_delay_alu instid0(VALU_DEP_3) | instskip(NEXT) | instid1(VALU_DEP_1)
	v_pk_add_f32 v[32:33], v[70:71], v[32:33]
	v_pk_add_f32 v[32:33], v[68:69], v[32:33]
.LBB109_41:                             ;   in Loop: Header=BB109_6 Depth=1
	s_or_b32 exec_lo, exec_lo, s8
	s_wait_loadcnt 0x3
	v_pk_mul_f32 v[68:69], v[58:59], v[66:67] op_sel:[0,1]
	s_wait_loadcnt 0x2
	v_pk_mul_f32 v[70:71], v[56:57], v[64:65] op_sel:[0,1]
	;; [unrolled: 2-line block ×3, first 2 shown]
	v_pk_fma_f32 v[72:73], v[36:37], v[66:67], v[68:69] op_sel_hi:[1,0,1]
	v_pk_fma_f32 v[66:67], v[36:37], v[66:67], v[68:69] neg_lo:[0,0,1] neg_hi:[0,0,1]
	v_pk_fma_f32 v[68:69], v[38:39], v[64:65], v[70:71] op_sel_hi:[1,0,1]
	v_pk_fma_f32 v[64:65], v[38:39], v[64:65], v[70:71] neg_lo:[0,0,1] neg_hi:[0,0,1]
	v_pk_fma_f32 v[70:71], v[40:41], v[62:63], v[74:75] op_sel_hi:[1,0,1]
	v_mov_b32_e32 v67, v73
	v_pk_fma_f32 v[62:63], v[40:41], v[62:63], v[74:75] neg_lo:[0,0,1] neg_hi:[0,0,1]
	v_mov_b32_e32 v65, v69
	s_delay_alu instid0(VALU_DEP_3) | instskip(SKIP_2) | instid1(VALU_DEP_2)
	v_pk_add_f32 v[34:35], v[34:35], v[66:67]
	s_wait_loadcnt 0x0
	v_pk_mul_f32 v[66:67], v[50:51], v[60:61] op_sel:[0,1]
	v_pk_add_f32 v[34:35], v[64:65], v[34:35]
	s_delay_alu instid0(VALU_DEP_2) | instskip(SKIP_2) | instid1(VALU_DEP_3)
	v_pk_fma_f32 v[64:65], v[42:43], v[60:61], v[66:67] op_sel_hi:[1,0,1]
	v_mov_b32_e32 v63, v71
	v_pk_fma_f32 v[60:61], v[42:43], v[60:61], v[66:67] neg_lo:[0,0,1] neg_hi:[0,0,1]
	v_mov_b32_e32 v61, v65
	s_delay_alu instid0(VALU_DEP_3) | instskip(NEXT) | instid1(VALU_DEP_1)
	v_pk_add_f32 v[34:35], v[62:63], v[34:35]
	v_pk_add_f32 v[34:35], v[60:61], v[34:35]
.LBB109_42:                             ;   in Loop: Header=BB109_6 Depth=1
	s_or_b32 exec_lo, exec_lo, s7
	s_wait_loadcnt 0x3
	v_pk_mul_f32 v[58:59], v[58:59], v[52:53] op_sel:[0,1]
	s_wait_loadcnt 0x2
	v_pk_mul_f32 v[56:57], v[56:57], v[48:49] op_sel:[0,1]
	;; [unrolled: 2-line block ×3, first 2 shown]
	v_pk_fma_f32 v[60:61], v[36:37], v[52:53], v[58:59] op_sel_hi:[1,0,1]
	v_pk_fma_f32 v[36:37], v[36:37], v[52:53], v[58:59] neg_lo:[0,0,1] neg_hi:[0,0,1]
	v_pk_fma_f32 v[52:53], v[38:39], v[48:49], v[56:57] op_sel_hi:[1,0,1]
	v_pk_fma_f32 v[38:39], v[38:39], v[48:49], v[56:57] neg_lo:[0,0,1] neg_hi:[0,0,1]
	v_pk_fma_f32 v[48:49], v[40:41], v[46:47], v[54:55] op_sel_hi:[1,0,1]
	v_mov_b32_e32 v37, v61
	v_pk_fma_f32 v[40:41], v[40:41], v[46:47], v[54:55] neg_lo:[0,0,1] neg_hi:[0,0,1]
	v_mov_b32_e32 v39, v53
	s_delay_alu instid0(VALU_DEP_3) | instskip(SKIP_2) | instid1(VALU_DEP_2)
	v_pk_add_f32 v[28:29], v[28:29], v[36:37]
	s_wait_loadcnt 0x0
	v_pk_mul_f32 v[36:37], v[50:51], v[44:45] op_sel:[0,1]
	v_pk_add_f32 v[28:29], v[38:39], v[28:29]
	s_delay_alu instid0(VALU_DEP_2) | instskip(SKIP_2) | instid1(VALU_DEP_3)
	v_pk_fma_f32 v[38:39], v[42:43], v[44:45], v[36:37] op_sel_hi:[1,0,1]
	v_mov_b32_e32 v41, v49
	v_pk_fma_f32 v[36:37], v[42:43], v[44:45], v[36:37] neg_lo:[0,0,1] neg_hi:[0,0,1]
	v_mov_b32_e32 v37, v39
	s_delay_alu instid0(VALU_DEP_3) | instskip(NEXT) | instid1(VALU_DEP_1)
	v_pk_add_f32 v[28:29], v[40:41], v[28:29]
	v_pk_add_f32 v[28:29], v[36:37], v[28:29]
.LBB109_43:                             ;   in Loop: Header=BB109_6 Depth=1
	s_or_b32 exec_lo, exec_lo, s54
.LBB109_44:                             ;   in Loop: Header=BB109_6 Depth=1
	ds_store_2addr_b64 v97, v[28:29], v[34:35] offset1:32
	ds_store_2addr_b64 v97, v[32:33], v[30:31] offset0:64 offset1:96
	s_wait_storecnt 0x0
	s_wait_loadcnt_dscnt 0x0
	s_barrier_signal -1
	s_barrier_wait -1
	s_and_saveexec_b32 s8, s0
	s_cbranch_execz .LBB109_4
; %bb.45:                               ;   in Loop: Header=BB109_6 Depth=1
	ds_load_2addr_stride64_b64 v[28:31], v98 offset1:2
	ds_load_2addr_stride64_b64 v[32:35], v98 offset0:4 offset1:6
	ds_load_2addr_stride64_b64 v[36:39], v98 offset0:8 offset1:10
	s_wait_dscnt 0x2
	v_pk_add_f32 v[40:41], v[28:29], v[30:31]
	ds_load_2addr_stride64_b64 v[28:31], v98 offset0:12 offset1:14
	s_wait_dscnt 0x2
	v_pk_add_f32 v[32:33], v[40:41], v[32:33]
	s_delay_alu instid0(VALU_DEP_1) | instskip(SKIP_3) | instid1(VALU_DEP_1)
	v_pk_add_f32 v[40:41], v[32:33], v[34:35]
	ds_load_2addr_stride64_b64 v[32:35], v98 offset0:16 offset1:18
	s_wait_dscnt 0x2
	v_pk_add_f32 v[36:37], v[40:41], v[36:37]
	v_pk_add_f32 v[40:41], v[36:37], v[38:39]
	ds_load_2addr_stride64_b64 v[36:39], v98 offset0:20 offset1:22
	s_wait_dscnt 0x2
	v_pk_add_f32 v[28:29], v[40:41], v[28:29]
	s_delay_alu instid0(VALU_DEP_1) | instskip(SKIP_1) | instid1(VALU_DEP_1)
	v_pk_add_f32 v[28:29], v[28:29], v[30:31]
	s_wait_dscnt 0x1
	v_pk_add_f32 v[32:33], v[28:29], v[32:33]
	ds_load_2addr_stride64_b64 v[28:31], v98 offset0:24 offset1:26
	v_pk_add_f32 v[32:33], v[32:33], v[34:35]
	s_wait_dscnt 0x1
	s_delay_alu instid0(VALU_DEP_1) | instskip(SKIP_3) | instid1(VALU_DEP_1)
	v_pk_add_f32 v[36:37], v[32:33], v[36:37]
	ds_load_2addr_stride64_b64 v[32:35], v98 offset0:28 offset1:30
	v_pk_add_f32 v[36:37], v[36:37], v[38:39]
	s_wait_dscnt 0x1
	v_pk_add_f32 v[28:29], v[36:37], v[28:29]
	s_delay_alu instid0(VALU_DEP_1) | instskip(SKIP_1) | instid1(VALU_DEP_1)
	v_pk_add_f32 v[28:29], v[28:29], v[30:31]
	s_wait_dscnt 0x0
	v_pk_add_f32 v[28:29], v[28:29], v[32:33]
	s_delay_alu instid0(VALU_DEP_1)
	v_pk_add_f32 v[30:31], v[28:29], v[34:35]
	ds_store_b64 v98, v[30:31]
	s_and_b32 exec_lo, exec_lo, s3
	s_cbranch_execz .LBB109_4
; %bb.46:                               ;   in Loop: Header=BB109_6 Depth=1
	v_pk_mul_f32 v[32:33], v[30:31], v[26:27] op_sel:[1,1] op_sel_hi:[1,0]
	v_cmp_neq_f32_e32 vcc_lo, 0, v24
	v_cmp_neq_f32_e64 s7, 0, v25
	s_delay_alu instid0(VALU_DEP_3) | instskip(SKIP_3) | instid1(SALU_CYCLE_1)
	v_pk_fma_f32 v[28:29], v[30:31], v[26:27], v[32:33] op_sel_hi:[0,1,1] neg_lo:[0,0,1] neg_hi:[0,0,1]
	v_pk_fma_f32 v[30:31], v[30:31], v[26:27], v[32:33] op_sel_hi:[0,1,1]
	v_lshl_add_u64 v[26:27], v[4:5], 3, s[48:49]
	s_or_b32 s7, vcc_lo, s7
	s_and_not1_b32 vcc_lo, exec_lo, s7
	s_cbranch_vccnz .LBB109_3
; %bb.47:                               ;   in Loop: Header=BB109_6 Depth=1
	global_load_b64 v[32:33], v[26:27], off
	s_wait_loadcnt 0x0
	v_pk_mul_f32 v[34:35], v[24:25], v[32:33] op_sel:[1,1] op_sel_hi:[0,1]
	s_delay_alu instid0(VALU_DEP_1) | instskip(SKIP_1) | instid1(VALU_DEP_2)
	v_pk_fma_f32 v[36:37], v[24:25], v[32:33], v[34:35] op_sel_hi:[1,0,1]
	v_pk_fma_f32 v[24:25], v[24:25], v[32:33], v[34:35] neg_lo:[0,0,1] neg_hi:[0,0,1]
	v_dual_mov_b32 v29, v31 :: v_dual_mov_b32 v25, v37
	s_delay_alu instid0(VALU_DEP_1) | instskip(NEXT) | instid1(VALU_DEP_1)
	v_pk_add_f32 v[28:29], v[28:29], v[24:25]
	v_mov_b32_e32 v31, v29
	s_branch .LBB109_3
.LBB109_48:
	s_sendmsg sendmsg(MSG_DEALLOC_VGPRS)
	s_endpgm
	.section	.rodata,"a",@progbits
	.p2align	6, 0x0
	.amdhsa_kernel _ZL20rocblas_gemvn_kernelILi32ELi16El19rocblas_complex_numIfEPKS1_S1_EviiT3_lPKT2_lT1_lS7_lS8_lS4_lPT4_lS8_li
		.amdhsa_group_segment_fixed_size 16384
		.amdhsa_private_segment_fixed_size 0
		.amdhsa_kernarg_size 400
		.amdhsa_user_sgpr_count 2
		.amdhsa_user_sgpr_dispatch_ptr 0
		.amdhsa_user_sgpr_queue_ptr 0
		.amdhsa_user_sgpr_kernarg_segment_ptr 1
		.amdhsa_user_sgpr_dispatch_id 0
		.amdhsa_user_sgpr_kernarg_preload_length 0
		.amdhsa_user_sgpr_kernarg_preload_offset 0
		.amdhsa_user_sgpr_private_segment_size 0
		.amdhsa_wavefront_size32 1
		.amdhsa_uses_dynamic_stack 0
		.amdhsa_enable_private_segment 0
		.amdhsa_system_sgpr_workgroup_id_x 1
		.amdhsa_system_sgpr_workgroup_id_y 0
		.amdhsa_system_sgpr_workgroup_id_z 1
		.amdhsa_system_sgpr_workgroup_info 0
		.amdhsa_system_vgpr_workitem_id 1
		.amdhsa_next_free_vgpr 105
		.amdhsa_next_free_sgpr 58
		.amdhsa_named_barrier_count 0
		.amdhsa_reserve_vcc 1
		.amdhsa_float_round_mode_32 0
		.amdhsa_float_round_mode_16_64 0
		.amdhsa_float_denorm_mode_32 3
		.amdhsa_float_denorm_mode_16_64 3
		.amdhsa_fp16_overflow 0
		.amdhsa_memory_ordered 1
		.amdhsa_forward_progress 1
		.amdhsa_inst_pref_size 33
		.amdhsa_round_robin_scheduling 0
		.amdhsa_exception_fp_ieee_invalid_op 0
		.amdhsa_exception_fp_denorm_src 0
		.amdhsa_exception_fp_ieee_div_zero 0
		.amdhsa_exception_fp_ieee_overflow 0
		.amdhsa_exception_fp_ieee_underflow 0
		.amdhsa_exception_fp_ieee_inexact 0
		.amdhsa_exception_int_div_zero 0
	.end_amdhsa_kernel
	.section	.text._ZL20rocblas_gemvn_kernelILi32ELi16El19rocblas_complex_numIfEPKS1_S1_EviiT3_lPKT2_lT1_lS7_lS8_lS4_lPT4_lS8_li,"axG",@progbits,_ZL20rocblas_gemvn_kernelILi32ELi16El19rocblas_complex_numIfEPKS1_S1_EviiT3_lPKT2_lT1_lS7_lS8_lS4_lPT4_lS8_li,comdat
.Lfunc_end109:
	.size	_ZL20rocblas_gemvn_kernelILi32ELi16El19rocblas_complex_numIfEPKS1_S1_EviiT3_lPKT2_lT1_lS7_lS8_lS4_lPT4_lS8_li, .Lfunc_end109-_ZL20rocblas_gemvn_kernelILi32ELi16El19rocblas_complex_numIfEPKS1_S1_EviiT3_lPKT2_lT1_lS7_lS8_lS4_lPT4_lS8_li
                                        ; -- End function
	.set _ZL20rocblas_gemvn_kernelILi32ELi16El19rocblas_complex_numIfEPKS1_S1_EviiT3_lPKT2_lT1_lS7_lS8_lS4_lPT4_lS8_li.num_vgpr, 105
	.set _ZL20rocblas_gemvn_kernelILi32ELi16El19rocblas_complex_numIfEPKS1_S1_EviiT3_lPKT2_lT1_lS7_lS8_lS4_lPT4_lS8_li.num_agpr, 0
	.set _ZL20rocblas_gemvn_kernelILi32ELi16El19rocblas_complex_numIfEPKS1_S1_EviiT3_lPKT2_lT1_lS7_lS8_lS4_lPT4_lS8_li.numbered_sgpr, 58
	.set _ZL20rocblas_gemvn_kernelILi32ELi16El19rocblas_complex_numIfEPKS1_S1_EviiT3_lPKT2_lT1_lS7_lS8_lS4_lPT4_lS8_li.num_named_barrier, 0
	.set _ZL20rocblas_gemvn_kernelILi32ELi16El19rocblas_complex_numIfEPKS1_S1_EviiT3_lPKT2_lT1_lS7_lS8_lS4_lPT4_lS8_li.private_seg_size, 0
	.set _ZL20rocblas_gemvn_kernelILi32ELi16El19rocblas_complex_numIfEPKS1_S1_EviiT3_lPKT2_lT1_lS7_lS8_lS4_lPT4_lS8_li.uses_vcc, 1
	.set _ZL20rocblas_gemvn_kernelILi32ELi16El19rocblas_complex_numIfEPKS1_S1_EviiT3_lPKT2_lT1_lS7_lS8_lS4_lPT4_lS8_li.uses_flat_scratch, 0
	.set _ZL20rocblas_gemvn_kernelILi32ELi16El19rocblas_complex_numIfEPKS1_S1_EviiT3_lPKT2_lT1_lS7_lS8_lS4_lPT4_lS8_li.has_dyn_sized_stack, 0
	.set _ZL20rocblas_gemvn_kernelILi32ELi16El19rocblas_complex_numIfEPKS1_S1_EviiT3_lPKT2_lT1_lS7_lS8_lS4_lPT4_lS8_li.has_recursion, 0
	.set _ZL20rocblas_gemvn_kernelILi32ELi16El19rocblas_complex_numIfEPKS1_S1_EviiT3_lPKT2_lT1_lS7_lS8_lS4_lPT4_lS8_li.has_indirect_call, 0
	.section	.AMDGPU.csdata,"",@progbits
; Kernel info:
; codeLenInByte = 4104
; TotalNumSgprs: 60
; NumVgprs: 105
; ScratchSize: 0
; MemoryBound: 0
; FloatMode: 240
; IeeeMode: 1
; LDSByteSize: 16384 bytes/workgroup (compile time only)
; SGPRBlocks: 0
; VGPRBlocks: 6
; NumSGPRsForWavesPerEU: 60
; NumVGPRsForWavesPerEU: 105
; NamedBarCnt: 0
; Occupancy: 9
; WaveLimiterHint : 1
; COMPUTE_PGM_RSRC2:SCRATCH_EN: 0
; COMPUTE_PGM_RSRC2:USER_SGPR: 2
; COMPUTE_PGM_RSRC2:TRAP_HANDLER: 0
; COMPUTE_PGM_RSRC2:TGID_X_EN: 1
; COMPUTE_PGM_RSRC2:TGID_Y_EN: 0
; COMPUTE_PGM_RSRC2:TGID_Z_EN: 1
; COMPUTE_PGM_RSRC2:TIDIG_COMP_CNT: 1
	.section	.text._ZL20rocblas_gemvn_kernelILi32ELi16Ei19rocblas_complex_numIfES1_S1_EviiT3_lPKT2_lT1_lS5_lS6_lS2_lPT4_lS6_li,"axG",@progbits,_ZL20rocblas_gemvn_kernelILi32ELi16Ei19rocblas_complex_numIfES1_S1_EviiT3_lPKT2_lT1_lS5_lS6_lS2_lPT4_lS6_li,comdat
	.globl	_ZL20rocblas_gemvn_kernelILi32ELi16Ei19rocblas_complex_numIfES1_S1_EviiT3_lPKT2_lT1_lS5_lS6_lS2_lPT4_lS6_li ; -- Begin function _ZL20rocblas_gemvn_kernelILi32ELi16Ei19rocblas_complex_numIfES1_S1_EviiT3_lPKT2_lT1_lS5_lS6_lS2_lPT4_lS6_li
	.p2align	8
	.type	_ZL20rocblas_gemvn_kernelILi32ELi16Ei19rocblas_complex_numIfES1_S1_EviiT3_lPKT2_lT1_lS5_lS6_lS2_lPT4_lS6_li,@function
_ZL20rocblas_gemvn_kernelILi32ELi16Ei19rocblas_complex_numIfES1_S1_EviiT3_lPKT2_lT1_lS5_lS6_lS2_lPT4_lS6_li: ; @_ZL20rocblas_gemvn_kernelILi32ELi16Ei19rocblas_complex_numIfES1_S1_EviiT3_lPKT2_lT1_lS5_lS6_lS2_lPT4_lS6_li
; %bb.0:
	s_load_b64 s[2:3], s[0:1], 0x9c
	s_wait_kmcnt 0x0
	s_lshr_b32 s4, s2, 16
	s_and_b32 s2, s2, 0xffff
	s_and_b32 s3, s3, 0xffff
	s_mul_i32 s2, s4, s2
	s_delay_alu instid0(SALU_CYCLE_1) | instskip(NEXT) | instid1(SALU_CYCLE_1)
	s_mul_i32 s2, s2, s3
	s_cmp_lg_u32 s2, 0x200
	s_cbranch_scc1 .LBB110_48
; %bb.1:
	s_load_b32 s27, s[0:1], 0x88
	s_bfe_u32 s2, ttmp6, 0x40014
	s_lshr_b32 s3, ttmp7, 16
	s_add_co_i32 s2, s2, 1
	s_bfe_u32 s4, ttmp6, 0x40008
	s_mul_i32 s2, s3, s2
	s_getreg_b32 s30, hwreg(HW_REG_IB_STS2, 6, 4)
	s_add_co_i32 s4, s4, s2
	s_cmp_eq_u32 s30, 0
	s_mov_b32 s29, 0
	s_cselect_b32 s28, s3, s4
	s_wait_kmcnt 0x0
	s_cmp_ge_u32 s28, s27
	s_cbranch_scc1 .LBB110_48
; %bb.2:
	s_clause 0x5
	s_load_b128 s[4:7], s[0:1], 0x18
	s_load_b96 s[24:26], s[0:1], 0x40
	s_load_b128 s[20:23], s[0:1], 0x68
	s_load_b32 s2, s[0:1], 0x78
	s_load_b128 s[8:11], s[0:1], 0x0
	s_load_b128 s[12:15], s[0:1], 0x50
	v_and_b32_e32 v4, 0x3ff, v0
	v_bfe_u32 v5, v0, 10, 10
	s_delay_alu instid0(VALU_DEP_2) | instskip(NEXT) | instid1(VALU_DEP_2)
	v_dual_mov_b32 v1, 0 :: v_dual_lshlrev_b32 v0, 3, v4
	v_lshl_add_u32 v2, v5, 5, v4
	s_delay_alu instid0(VALU_DEP_2)
	v_lshl_add_u32 v61, v5, 10, v0
	v_lshl_add_u32 v62, v5, 8, v0
	s_wait_kmcnt 0x0
	s_lshl_b64 s[34:35], s[6:7], 3
	s_lshl_b64 s[36:37], s[24:25], 3
	;; [unrolled: 1-line block ×3, first 2 shown]
	s_ashr_i32 s3, s2, 31
	s_cmp_neq_f32 s10, 0
	s_clause 0x2
	s_load_b32 s33, s[0:1], 0x28
	s_load_b128 s[16:19], s[0:1], 0x30
	s_load_b64 s[22:23], s[0:1], 0x80
	s_mov_b32 s38, s8
	s_add_nc_u64 s[20:21], s[20:21], s[6:7]
	s_cselect_b32 s24, -1, 0
	s_cmp_neq_f32 s11, 0
	s_wait_xcnt 0x0
	s_cselect_b32 s0, -1, 0
	s_delay_alu instid0(SALU_CYCLE_1)
	s_or_b32 s31, s24, s0
	s_cmp_neq_f32 s14, 1.0
	s_add_nc_u64 s[24:25], s[4:5], s[34:35]
	v_cmp_gt_u32_e64 s0, 0x80, v2
	s_mov_b32 s34, s11
	s_cselect_b32 s40, -1, 0
	s_cmp_neq_f32 s15, 0
	s_mov_b32 s35, s10
	s_wait_kmcnt 0x0
	s_add_nc_u64 s[18:19], s[18:19], s[36:37]
	s_cselect_b32 s41, -1, 0
	s_or_b32 s1, s10, s11
	s_delay_alu instid0(SALU_CYCLE_1) | instskip(NEXT) | instid1(SALU_CYCLE_1)
	s_bitset0_b32 s1, 31
	s_cmp_eq_u32 s1, 0
	s_cselect_b32 s42, -1, 0
	s_bfe_u32 s1, ttmp6, 0x4000c
	s_and_b32 s4, ttmp6, 15
	s_add_co_i32 s1, s1, 1
	s_delay_alu instid0(SALU_CYCLE_1) | instskip(NEXT) | instid1(SALU_CYCLE_1)
	s_mul_i32 s1, ttmp9, s1
	s_add_co_i32 s4, s4, s1
	s_cmp_eq_u32 s30, 0
	s_mov_b32 s30, s15
	s_cselect_b32 s1, ttmp9, s4
	s_ashr_i32 s39, s8, 31
	s_lshl_b32 s43, s1, 7
	s_delay_alu instid0(SALU_CYCLE_1) | instskip(SKIP_2) | instid1(VALU_DEP_2)
	v_dual_lshlrev_b32 v60, 2, v5 :: v_dual_add_nc_u32 v0, s43, v2
	v_dual_add_nc_u32 v63, s43, v4 :: v_dual_bitop2_b32 v3, s43, v2 bitop3:0x54
	s_cmp_neq_f32 s14, 0
	v_mul_lo_u32 v6, s33, v60
	s_delay_alu instid0(VALU_DEP_3)
	v_cmp_gt_i64_e32 vcc_lo, s[38:39], v[0:1]
	v_mul_u64_e32 v[0:1], s[2:3], v[0:1]
	v_dual_add_nc_u32 v7, 32, v63 :: v_dual_add_nc_u32 v8, 64, v63
	v_mul_lo_u32 v2, s2, v3
	s_cselect_b32 s1, -1, 0
	s_ashr_i32 s4, s9, 31
	v_add_nc_u32_e32 v9, 0x60, v63
	s_lshr_b32 s3, s4, 26
	v_cmp_gt_i32_e64 s4, s8, v8
	v_mul_lo_u32 v8, v5, s33
	v_mul_lo_u32 v5, v5, s26
	s_add_co_i32 s45, s9, s3
	v_cmp_gt_i32_e64 s2, s8, v3
	v_cmp_gt_i32_e64 s3, s8, v7
	;; [unrolled: 1-line block ×3, first 2 shown]
	v_dual_ashrrev_i32 v3, 31, v2 :: v_dual_bitop2_b32 v7, 2, v60 bitop3:0x54
	v_or_b32_e32 v9, 3, v60
	v_mad_u32 v67, s26, v60, s26
	s_and_not1_b32 s45, s45, 63
	s_or_b32 s44, s1, s41
	v_mad_u32 v65, s33, v7, v4
	v_mul_lo_u32 v68, s26, v7
	v_lshlrev_b32_e32 v71, 2, v5
	v_mad_u32 v66, s33, v9, v4
	v_mul_lo_u32 v69, s26, v9
	s_sub_co_i32 s6, s9, s45
	v_cmp_gt_i32_e64 s1, s8, v63
	s_cmp_gt_i32 s6, 0
	v_cmp_gt_i32_e64 s6, s45, v60
	v_add3_u32 v64, v6, s33, v4
	v_lshl_add_u32 v70, v8, 2, v4
	s_cselect_b32 s8, -1, 0
	s_or_b32 s7, s31, s40
	s_and_b32 s46, s0, vcc_lo
	s_mov_b32 s31, s14
	s_or_b32 s47, s7, s41
	s_lshl_b32 s48, s33, 6
	s_lshl_b32 s49, s26, 6
	s_branch .LBB110_6
.LBB110_3:                              ;   in Loop: Header=BB110_6 Depth=1
	s_delay_alu instid0(VALU_DEP_1)
	v_mov_b32_e32 v5, v9
	global_store_b64 v[6:7], v[4:5], off
.LBB110_4:                              ;   in Loop: Header=BB110_6 Depth=1
	s_wait_xcnt 0x0
	s_or_b32 exec_lo, exec_lo, s7
.LBB110_5:                              ;   in Loop: Header=BB110_6 Depth=1
	s_add_co_i32 s28, s28, 0x10000
	s_delay_alu instid0(SALU_CYCLE_1)
	s_cmp_lt_u32 s28, s27
	s_cbranch_scc0 .LBB110_48
.LBB110_6:                              ; =>This Loop Header: Depth=1
                                        ;     Child Loop BB110_20 Depth 2
	s_and_not1_b32 vcc_lo, exec_lo, s47
	s_cbranch_vccnz .LBB110_5
; %bb.7:                                ;   in Loop: Header=BB110_6 Depth=1
	s_mul_u64 s[36:37], s[22:23], s[28:29]
	s_and_not1_b32 vcc_lo, exec_lo, s42
	s_lshl_b64 s[36:37], s[36:37], 3
	s_mov_b32 s7, -1
	s_add_nc_u64 s[36:37], s[20:21], s[36:37]
	s_cbranch_vccnz .LBB110_13
; %bb.8:                                ;   in Loop: Header=BB110_6 Depth=1
	s_and_saveexec_b32 s7, s46
	s_cbranch_execz .LBB110_12
; %bb.9:                                ;   in Loop: Header=BB110_6 Depth=1
	v_dual_mov_b32 v6, 0 :: v_dual_mov_b32 v7, 0
	v_lshl_add_u64 v[4:5], v[0:1], 3, s[36:37]
	s_and_not1_b32 vcc_lo, exec_lo, s44
	s_cbranch_vccnz .LBB110_11
; %bb.10:                               ;   in Loop: Header=BB110_6 Depth=1
	global_load_b64 v[6:7], v[4:5], off
	v_mov_b64_e32 v[8:9], s[30:31]
	v_mov_b64_e32 v[10:11], s[14:15]
	s_wait_loadcnt 0x0
	s_delay_alu instid0(VALU_DEP_2) | instskip(NEXT) | instid1(VALU_DEP_1)
	v_pk_mul_f32 v[8:9], v[8:9], v[6:7] op_sel:[0,1]
	v_pk_fma_f32 v[12:13], v[10:11], v[6:7], v[8:9] op_sel_hi:[1,0,1]
	v_pk_fma_f32 v[6:7], v[10:11], v[6:7], v[8:9] neg_lo:[0,0,1] neg_hi:[0,0,1]
	s_delay_alu instid0(VALU_DEP_2)
	v_mov_b32_e32 v7, v13
.LBB110_11:                             ;   in Loop: Header=BB110_6 Depth=1
	global_store_b64 v[4:5], v[6:7], off
.LBB110_12:                             ;   in Loop: Header=BB110_6 Depth=1
	s_wait_xcnt 0x0
	s_or_b32 exec_lo, exec_lo, s7
	s_mov_b32 s7, 0
.LBB110_13:                             ;   in Loop: Header=BB110_6 Depth=1
	s_delay_alu instid0(SALU_CYCLE_1)
	s_and_not1_b32 vcc_lo, exec_lo, s7
	s_cbranch_vccnz .LBB110_5
; %bb.14:                               ;   in Loop: Header=BB110_6 Depth=1
	v_mov_b64_e32 v[10:11], 0
	v_mov_b64_e32 v[6:7], 0
	;; [unrolled: 1-line block ×4, first 2 shown]
	s_mul_u64 s[38:39], s[16:17], s[28:29]
	s_mul_u64 s[40:41], s[12:13], s[28:29]
	v_mov_b32_e32 v56, v60
	s_lshl_b64 s[38:39], s[38:39], 3
	s_lshl_b64 s[40:41], s[40:41], 3
	s_add_nc_u64 s[38:39], s[24:25], s[38:39]
	s_add_nc_u64 s[40:41], s[18:19], s[40:41]
	s_and_saveexec_b32 s7, s6
	s_cbranch_execz .LBB110_26
; %bb.15:                               ;   in Loop: Header=BB110_6 Depth=1
	v_mov_b64_e32 v[4:5], 0
	v_mov_b64_e32 v[8:9], 0
	;; [unrolled: 1-line block ×4, first 2 shown]
	v_dual_mov_b32 v57, v70 :: v_dual_mov_b32 v58, v66
	v_dual_mov_b32 v59, v65 :: v_dual_mov_b32 v72, v64
	v_mov_b32_e32 v56, v60
	s_mov_b32 s50, 0
	s_mov_b32 s51, 0
	s_branch .LBB110_20
.LBB110_16:                             ;   in Loop: Header=BB110_20 Depth=2
	s_wait_xcnt 0x0
	s_or_b32 exec_lo, exec_lo, s55
	s_wait_loadcnt 0x3
	v_dual_mul_f32 v48, v23, v47 :: v_dual_mul_f32 v49, v22, v47
	s_wait_loadcnt 0x2
	v_dual_mul_f32 v52, v21, v45 :: v_dual_mul_f32 v47, v20, v45
	s_wait_loadcnt 0x1
	v_pk_mul_f32 v[50:51], v[38:39], v[42:43] op_sel:[0,1]
	v_dual_fma_f32 v48, v22, v46, -v48 :: v_dual_fmac_f32 v49, v23, v46
	s_delay_alu instid0(VALU_DEP_3) | instskip(NEXT) | instid1(VALU_DEP_3)
	v_dual_fma_f32 v46, v20, v44, -v52 :: v_dual_fmac_f32 v47, v21, v44
	v_pk_fma_f32 v[44:45], v[14:15], v[42:43], v[50:51] op_sel_hi:[1,0,1]
	v_pk_fma_f32 v[42:43], v[14:15], v[42:43], v[50:51] neg_lo:[0,0,1] neg_hi:[0,0,1]
	s_delay_alu instid0(VALU_DEP_4) | instskip(SKIP_3) | instid1(VALU_DEP_3)
	v_pk_add_f32 v[6:7], v[6:7], v[48:49]
	s_wait_loadcnt 0x0
	v_pk_mul_f32 v[48:49], v[32:33], v[40:41] op_sel:[0,1]
	v_mov_b32_e32 v43, v45
	v_pk_add_f32 v[6:7], v[46:47], v[6:7]
	s_delay_alu instid0(VALU_DEP_3) | instskip(SKIP_1) | instid1(VALU_DEP_2)
	v_pk_fma_f32 v[44:45], v[12:13], v[40:41], v[48:49] op_sel_hi:[1,0,1]
	v_pk_fma_f32 v[40:41], v[12:13], v[40:41], v[48:49] neg_lo:[0,0,1] neg_hi:[0,0,1]
	v_mov_b32_e32 v41, v45
	s_delay_alu instid0(VALU_DEP_4) | instskip(NEXT) | instid1(VALU_DEP_1)
	v_pk_add_f32 v[6:7], v[42:43], v[6:7]
	v_pk_add_f32 v[6:7], v[40:41], v[6:7]
.LBB110_17:                             ;   in Loop: Header=BB110_20 Depth=2
	s_or_b32 exec_lo, exec_lo, s54
	s_wait_loadcnt 0x3
	v_dual_mul_f32 v40, v23, v37 :: v_dual_mul_f32 v41, v22, v37
	s_wait_loadcnt 0x2
	v_dual_mul_f32 v42, v21, v35 :: v_dual_mul_f32 v37, v20, v35
	s_wait_loadcnt 0x1
	v_pk_mul_f32 v[38:39], v[38:39], v[30:31] op_sel:[0,1]
	v_dual_fma_f32 v40, v22, v36, -v40 :: v_dual_fmac_f32 v41, v23, v36
	s_delay_alu instid0(VALU_DEP_3) | instskip(NEXT) | instid1(VALU_DEP_3)
	v_dual_fma_f32 v36, v20, v34, -v42 :: v_dual_fmac_f32 v37, v21, v34
	v_pk_fma_f32 v[34:35], v[14:15], v[30:31], v[38:39] op_sel_hi:[1,0,1]
	s_wait_loadcnt 0x0
	v_pk_mul_f32 v[32:33], v[32:33], v[28:29] op_sel:[0,1]
	v_pk_add_f32 v[8:9], v[8:9], v[40:41]
	v_pk_fma_f32 v[30:31], v[14:15], v[30:31], v[38:39] neg_lo:[0,0,1] neg_hi:[0,0,1]
	v_mov_b32_e32 v31, v35
	s_delay_alu instid0(VALU_DEP_4) | instskip(NEXT) | instid1(VALU_DEP_4)
	v_pk_fma_f32 v[34:35], v[12:13], v[28:29], v[32:33] op_sel_hi:[1,0,1]
	v_pk_add_f32 v[8:9], v[36:37], v[8:9]
	v_pk_fma_f32 v[28:29], v[12:13], v[28:29], v[32:33] neg_lo:[0,0,1] neg_hi:[0,0,1]
	s_delay_alu instid0(VALU_DEP_3) | instskip(NEXT) | instid1(VALU_DEP_3)
	v_mov_b32_e32 v29, v35
	v_pk_add_f32 v[8:9], v[30:31], v[8:9]
	s_delay_alu instid0(VALU_DEP_1)
	v_pk_add_f32 v[8:9], v[28:29], v[8:9]
.LBB110_18:                             ;   in Loop: Header=BB110_20 Depth=2
	s_or_b32 exec_lo, exec_lo, s53
	s_wait_loadcnt 0x3
	v_dual_mul_f32 v28, v23, v27 :: v_dual_mul_f32 v29, v22, v27
	s_wait_loadcnt 0x2
	v_dual_mul_f32 v32, v21, v25 :: v_dual_mul_f32 v27, v20, v25
	s_wait_loadcnt 0x1
	v_pk_mul_f32 v[30:31], v[14:15], v[18:19] op_sel:[1,1] op_sel_hi:[0,1]
	v_dual_fma_f32 v28, v22, v26, -v28 :: v_dual_fmac_f32 v29, v23, v26
	s_delay_alu instid0(VALU_DEP_3) | instskip(NEXT) | instid1(VALU_DEP_3)
	v_dual_fma_f32 v26, v20, v24, -v32 :: v_dual_fmac_f32 v27, v21, v24
	v_pk_fma_f32 v[20:21], v[14:15], v[18:19], v[30:31] op_sel_hi:[1,0,1]
	s_wait_loadcnt 0x0
	v_pk_mul_f32 v[22:23], v[12:13], v[16:17] op_sel:[1,1] op_sel_hi:[0,1]
	v_pk_add_f32 v[4:5], v[4:5], v[28:29]
	v_pk_fma_f32 v[14:15], v[14:15], v[18:19], v[30:31] neg_lo:[0,0,1] neg_hi:[0,0,1]
	s_delay_alu instid0(VALU_DEP_3) | instskip(SKIP_1) | instid1(VALU_DEP_4)
	v_pk_fma_f32 v[18:19], v[12:13], v[16:17], v[22:23] op_sel_hi:[1,0,1]
	v_mov_b32_e32 v15, v21
	v_pk_add_f32 v[4:5], v[26:27], v[4:5]
	v_pk_fma_f32 v[12:13], v[12:13], v[16:17], v[22:23] neg_lo:[0,0,1] neg_hi:[0,0,1]
	s_delay_alu instid0(VALU_DEP_4) | instskip(NEXT) | instid1(VALU_DEP_3)
	v_mov_b32_e32 v13, v19
	v_pk_add_f32 v[4:5], v[14:15], v[4:5]
	s_delay_alu instid0(VALU_DEP_1)
	v_pk_add_f32 v[4:5], v[12:13], v[4:5]
.LBB110_19:                             ;   in Loop: Header=BB110_20 Depth=2
	s_or_b32 exec_lo, exec_lo, s52
	v_dual_add_nc_u32 v56, 64, v56 :: v_dual_add_nc_u32 v59, s48, v59
	v_dual_add_nc_u32 v72, s48, v72 :: v_dual_add_nc_u32 v58, s48, v58
	v_add_nc_u32_e32 v57, s48, v57
	s_delay_alu instid0(VALU_DEP_3) | instskip(SKIP_2) | instid1(SALU_CYCLE_1)
	v_cmp_le_i32_e32 vcc_lo, s45, v56
	s_add_co_i32 s51, s51, s49
	s_or_b32 s50, vcc_lo, s50
	s_and_not1_b32 exec_lo, exec_lo, s50
	s_cbranch_execz .LBB110_25
.LBB110_20:                             ;   Parent Loop BB110_6 Depth=1
                                        ; =>  This Inner Loop Header: Depth=2
	s_and_saveexec_b32 s52, s1
	s_cbranch_execz .LBB110_19
; %bb.21:                               ;   in Loop: Header=BB110_20 Depth=2
	v_dual_add_nc_u32 v29, s51, v71 :: v_dual_add_nc_u32 v33, s51, v68
	v_dual_add_nc_u32 v31, s51, v67 :: v_dual_add_nc_u32 v35, s51, v69
	;; [unrolled: 1-line block ×4, first 2 shown]
	s_clause 0x3
	global_load_b64 v[22:23], v29, s[40:41] scale_offset
	global_load_b64 v[20:21], v31, s[40:41] scale_offset
	;; [unrolled: 1-line block ×4, first 2 shown]
	s_clause 0x3
	global_load_b64 v[26:27], v28, s[38:39] scale_offset
	global_load_b64 v[24:25], v30, s[38:39] scale_offset
	;; [unrolled: 1-line block ×4, first 2 shown]
	s_wait_xcnt 0x0
	s_and_saveexec_b32 s53, s3
	s_cbranch_execz .LBB110_18
; %bb.22:                               ;   in Loop: Header=BB110_20 Depth=2
	v_dual_ashrrev_i32 v29, 31, v28 :: v_dual_ashrrev_i32 v31, 31, v30
	v_dual_ashrrev_i32 v35, 31, v34 :: v_dual_ashrrev_i32 v33, 31, v32
	s_wait_loadcnt 0x5
	v_dual_mov_b32 v38, v15 :: v_dual_mov_b32 v39, v14
	s_delay_alu instid0(VALU_DEP_3)
	v_lshl_add_u64 v[54:55], v[28:29], 3, s[38:39]
	v_lshl_add_u64 v[52:53], v[30:31], 3, s[38:39]
	;; [unrolled: 1-line block ×4, first 2 shown]
	s_clause 0x3
	global_load_b64 v[36:37], v[54:55], off offset:256
	global_load_b64 v[34:35], v[52:53], off offset:256
	;; [unrolled: 1-line block ×4, first 2 shown]
	s_wait_loadcnt 0x8
	v_dual_mov_b32 v32, v13 :: v_dual_mov_b32 v33, v12
	s_wait_xcnt 0x0
	s_and_saveexec_b32 s54, s4
	s_cbranch_execz .LBB110_17
; %bb.23:                               ;   in Loop: Header=BB110_20 Depth=2
	s_clause 0x3
	global_load_b64 v[46:47], v[54:55], off offset:512
	global_load_b64 v[44:45], v[52:53], off offset:512
	;; [unrolled: 1-line block ×4, first 2 shown]
	s_wait_xcnt 0x0
	s_and_saveexec_b32 s55, s5
	s_cbranch_execz .LBB110_16
; %bb.24:                               ;   in Loop: Header=BB110_20 Depth=2
	s_clause 0x3
	global_load_b64 v[54:55], v[54:55], off offset:768
	global_load_b64 v[52:53], v[52:53], off offset:768
	;; [unrolled: 1-line block ×4, first 2 shown]
	s_wait_loadcnt 0x3
	v_dual_mul_f32 v73, v23, v55 :: v_dual_mul_f32 v75, v22, v55
	s_wait_loadcnt 0x2
	s_wait_xcnt 0x3
	s_delay_alu instid0(VALU_DEP_1) | instskip(NEXT) | instid1(VALU_DEP_2)
	v_dual_mul_f32 v55, v20, v53 :: v_dual_fma_f32 v74, v22, v54, -v73
	v_dual_fmac_f32 v75, v23, v54 :: v_dual_mul_f32 v54, v21, v53
	s_delay_alu instid0(VALU_DEP_2) | instskip(NEXT) | instid1(VALU_DEP_2)
	v_fmac_f32_e32 v55, v21, v52
	v_pk_add_f32 v[10:11], v[10:11], v[74:75]
	s_delay_alu instid0(VALU_DEP_3) | instskip(SKIP_3) | instid1(VALU_DEP_2)
	v_fma_f32 v54, v20, v52, -v54
	s_wait_loadcnt 0x1
	s_wait_xcnt 0x2
	v_pk_mul_f32 v[52:53], v[38:39], v[48:49] op_sel:[0,1]
	v_pk_add_f32 v[10:11], v[54:55], v[10:11]
	s_delay_alu instid0(VALU_DEP_2) | instskip(SKIP_2) | instid1(VALU_DEP_1)
	v_pk_fma_f32 v[54:55], v[14:15], v[48:49], v[52:53] neg_lo:[0,0,1] neg_hi:[0,0,1]
	s_wait_xcnt 0x1
	v_pk_fma_f32 v[48:49], v[14:15], v[48:49], v[52:53] op_sel_hi:[1,0,1]
	v_mov_b32_e32 v55, v49
	s_wait_loadcnt 0x0
	v_pk_mul_f32 v[48:49], v[32:33], v[50:51] op_sel:[0,1]
	s_delay_alu instid0(VALU_DEP_1) | instskip(SKIP_1) | instid1(VALU_DEP_1)
	v_pk_fma_f32 v[52:53], v[12:13], v[50:51], v[48:49] neg_lo:[0,0,1] neg_hi:[0,0,1]
	v_pk_fma_f32 v[48:49], v[12:13], v[50:51], v[48:49] op_sel_hi:[1,0,1]
	v_mov_b32_e32 v53, v49
	v_pk_add_f32 v[10:11], v[54:55], v[10:11]
	s_delay_alu instid0(VALU_DEP_1)
	v_pk_add_f32 v[10:11], v[52:53], v[10:11]
	s_branch .LBB110_16
.LBB110_25:                             ;   in Loop: Header=BB110_6 Depth=1
	s_or_b32 exec_lo, exec_lo, s50
.LBB110_26:                             ;   in Loop: Header=BB110_6 Depth=1
	s_delay_alu instid0(SALU_CYCLE_1) | instskip(NEXT) | instid1(SALU_CYCLE_1)
	s_or_b32 exec_lo, exec_lo, s7
	s_and_not1_b32 vcc_lo, exec_lo, s8
	s_cbranch_vccnz .LBB110_44
; %bb.27:                               ;   in Loop: Header=BB110_6 Depth=1
	v_dual_mov_b32 v14, 0 :: v_dual_bitop2_b32 v20, 1, v56 bitop3:0x54
	v_cmp_gt_i32_e32 vcc_lo, s9, v56
	s_delay_alu instid0(VALU_DEP_2)
	v_dual_mov_b32 v15, v14 :: v_dual_mov_b32 v12, v14
	v_dual_mov_b32 v13, v14 :: v_dual_mov_b32 v16, v14
	;; [unrolled: 1-line block ×3, first 2 shown]
	v_mov_b32_e32 v19, v14
	s_and_saveexec_b32 s50, vcc_lo
	s_cbranch_execz .LBB110_35
; %bb.28:                               ;   in Loop: Header=BB110_6 Depth=1
	v_mul_lo_u32 v12, v56, s26
	v_dual_mov_b32 v17, 0 :: v_dual_mov_b32 v16, 0
	v_dual_mov_b32 v13, 0 :: v_dual_mov_b32 v15, 0
	v_mov_b32_e32 v14, 0
	s_mov_b32 s51, exec_lo
	global_load_b64 v[18:19], v12, s[40:41] scale_offset
	s_wait_xcnt 0x0
	v_mov_b32_e32 v12, 0
	v_cmpx_gt_i32_e64 s9, v20
	s_cbranch_execz .LBB110_34
; %bb.29:                               ;   in Loop: Header=BB110_6 Depth=1
	v_mul_lo_u32 v12, v20, s26
	v_dual_mov_b32 v13, 0 :: v_dual_bitop2_b32 v21, 2, v56 bitop3:0x54
	v_mov_b32_e32 v14, 0
	s_mov_b32 s52, exec_lo
	v_mov_b32_e32 v15, 0
	global_load_b64 v[16:17], v12, s[40:41] scale_offset
	s_wait_xcnt 0x0
	v_mov_b32_e32 v12, 0
	v_cmpx_gt_i32_e64 s9, v21
	s_cbranch_execz .LBB110_33
; %bb.30:                               ;   in Loop: Header=BB110_6 Depth=1
	v_mul_lo_u32 v12, v21, s26
	v_dual_mov_b32 v15, 0 :: v_dual_bitop2_b32 v21, 3, v56 bitop3:0x54
	v_mov_b32_e32 v14, 0
	s_mov_b32 s53, exec_lo
	global_load_b64 v[12:13], v12, s[40:41] scale_offset
	s_wait_xcnt 0x0
	v_cmpx_gt_i32_e64 s9, v21
	s_cbranch_execz .LBB110_32
; %bb.31:                               ;   in Loop: Header=BB110_6 Depth=1
	v_mul_lo_u32 v14, v21, s26
	global_load_b64 v[14:15], v14, s[40:41] scale_offset
.LBB110_32:                             ;   in Loop: Header=BB110_6 Depth=1
	s_wait_xcnt 0x0
	s_or_b32 exec_lo, exec_lo, s53
.LBB110_33:                             ;   in Loop: Header=BB110_6 Depth=1
	s_delay_alu instid0(SALU_CYCLE_1)
	s_or_b32 exec_lo, exec_lo, s52
.LBB110_34:                             ;   in Loop: Header=BB110_6 Depth=1
	s_delay_alu instid0(SALU_CYCLE_1)
	s_or_b32 exec_lo, exec_lo, s51
.LBB110_35:                             ;   in Loop: Header=BB110_6 Depth=1
	s_delay_alu instid0(SALU_CYCLE_1)
	s_or_b32 exec_lo, exec_lo, s50
	s_and_saveexec_b32 s7, s1
	s_cbranch_execz .LBB110_43
; %bb.36:                               ;   in Loop: Header=BB110_6 Depth=1
	v_mul_lo_u32 v22, v56, s33
	v_or_b32_e32 v21, 2, v56
	v_mul_lo_u32 v24, v20, s33
	s_wait_loadcnt 0x0
	v_dual_mov_b32 v34, v19 :: v_dual_mov_b32 v35, v18
	v_dual_mov_b32 v32, v17 :: v_dual_mov_b32 v33, v16
	;; [unrolled: 1-line block ×3, first 2 shown]
	v_dual_mov_b32 v27, v14 :: v_dual_cndmask_b32 v22, 0, v22
	v_mul_lo_u32 v25, v21, s33
	v_cmp_gt_i32_e32 vcc_lo, s9, v20
	v_cndmask_b32_e32 v20, 0, v24, vcc_lo
	v_cmp_gt_i32_e32 vcc_lo, s9, v21
	s_delay_alu instid0(VALU_DEP_4) | instskip(NEXT) | instid1(VALU_DEP_1)
	v_dual_cndmask_b32 v21, 0, v25, vcc_lo :: v_dual_bitop2_b32 v23, 3, v56 bitop3:0x54
	v_mul_lo_u32 v26, v23, s33
	v_cmp_gt_i32_e32 vcc_lo, s9, v23
	s_delay_alu instid0(VALU_DEP_2) | instskip(NEXT) | instid1(VALU_DEP_4)
	v_dual_cndmask_b32 v23, 0, v26 :: v_dual_add_nc_u32 v38, v22, v63
	v_dual_add_nc_u32 v40, v20, v63 :: v_dual_add_nc_u32 v42, v21, v63
	v_mov_b32_e32 v26, v15
	s_delay_alu instid0(VALU_DEP_3)
	v_add_nc_u32_e32 v36, v23, v63
	s_clause 0x3
	global_load_b64 v[28:29], v38, s[38:39] scale_offset
	global_load_b64 v[24:25], v40, s[38:39] scale_offset
	;; [unrolled: 1-line block ×4, first 2 shown]
	s_wait_xcnt 0x0
	s_and_saveexec_b32 s40, s3
	s_cbranch_execz .LBB110_42
; %bb.37:                               ;   in Loop: Header=BB110_6 Depth=1
	v_dual_ashrrev_i32 v39, 31, v38 :: v_dual_ashrrev_i32 v41, 31, v40
	v_dual_ashrrev_i32 v43, 31, v42 :: v_dual_ashrrev_i32 v37, 31, v36
	s_delay_alu instid0(VALU_DEP_2) | instskip(NEXT) | instid1(VALU_DEP_3)
	v_lshl_add_u64 v[54:55], v[38:39], 3, s[38:39]
	v_lshl_add_u64 v[52:53], v[40:41], 3, s[38:39]
	s_delay_alu instid0(VALU_DEP_3) | instskip(NEXT) | instid1(VALU_DEP_4)
	v_lshl_add_u64 v[56:57], v[42:43], 3, s[38:39]
	v_lshl_add_u64 v[58:59], v[36:37], 3, s[38:39]
	s_clause 0x3
	global_load_b64 v[42:43], v[54:55], off offset:256
	global_load_b64 v[40:41], v[52:53], off offset:256
	;; [unrolled: 1-line block ×4, first 2 shown]
	s_wait_xcnt 0x0
	s_and_saveexec_b32 s38, s4
	s_cbranch_execz .LBB110_41
; %bb.38:                               ;   in Loop: Header=BB110_6 Depth=1
	s_clause 0x3
	global_load_b64 v[50:51], v[54:55], off offset:512
	global_load_b64 v[48:49], v[52:53], off offset:512
	;; [unrolled: 1-line block ×4, first 2 shown]
	s_wait_xcnt 0x0
	s_and_saveexec_b32 s39, s5
	s_cbranch_execz .LBB110_40
; %bb.39:                               ;   in Loop: Header=BB110_6 Depth=1
	s_clause 0x3
	global_load_b64 v[72:73], v[54:55], off offset:768
	global_load_b64 v[74:75], v[52:53], off offset:768
	;; [unrolled: 1-line block ×4, first 2 shown]
	s_wait_loadcnt 0x3
	s_wait_xcnt 0x2
	v_pk_mul_f32 v[52:53], v[34:35], v[72:73] op_sel:[0,1]
	s_delay_alu instid0(VALU_DEP_1) | instskip(SKIP_1) | instid1(VALU_DEP_1)
	v_pk_fma_f32 v[54:55], v[18:19], v[72:73], v[52:53] neg_lo:[0,0,1] neg_hi:[0,0,1]
	v_pk_fma_f32 v[52:53], v[18:19], v[72:73], v[52:53] op_sel_hi:[1,0,1]
	v_mov_b32_e32 v55, v53
	s_wait_loadcnt 0x2
	v_pk_mul_f32 v[52:53], v[32:33], v[74:75] op_sel:[0,1]
	s_delay_alu instid0(VALU_DEP_2) | instskip(NEXT) | instid1(VALU_DEP_2)
	v_pk_add_f32 v[10:11], v[10:11], v[54:55]
	v_pk_fma_f32 v[54:55], v[16:17], v[74:75], v[52:53] neg_lo:[0,0,1] neg_hi:[0,0,1]
	v_pk_fma_f32 v[52:53], v[16:17], v[74:75], v[52:53] op_sel_hi:[1,0,1]
	s_delay_alu instid0(VALU_DEP_1) | instskip(SKIP_2) | instid1(VALU_DEP_2)
	v_mov_b32_e32 v55, v53
	s_wait_loadcnt 0x1
	v_pk_mul_f32 v[52:53], v[30:31], v[76:77] op_sel:[0,1]
	v_pk_add_f32 v[10:11], v[54:55], v[10:11]
	s_delay_alu instid0(VALU_DEP_2) | instskip(SKIP_1) | instid1(VALU_DEP_1)
	v_pk_fma_f32 v[54:55], v[12:13], v[76:77], v[52:53] neg_lo:[0,0,1] neg_hi:[0,0,1]
	v_pk_fma_f32 v[52:53], v[12:13], v[76:77], v[52:53] op_sel_hi:[1,0,1]
	v_mov_b32_e32 v55, v53
	s_wait_loadcnt 0x0
	v_pk_mul_f32 v[52:53], v[26:27], v[78:79] op_sel:[0,1]
	s_delay_alu instid0(VALU_DEP_2) | instskip(NEXT) | instid1(VALU_DEP_2)
	v_pk_add_f32 v[10:11], v[54:55], v[10:11]
	v_pk_fma_f32 v[54:55], v[14:15], v[78:79], v[52:53] neg_lo:[0,0,1] neg_hi:[0,0,1]
	v_pk_fma_f32 v[52:53], v[14:15], v[78:79], v[52:53] op_sel_hi:[1,0,1]
	s_delay_alu instid0(VALU_DEP_1) | instskip(NEXT) | instid1(VALU_DEP_1)
	v_mov_b32_e32 v55, v53
	v_pk_add_f32 v[10:11], v[54:55], v[10:11]
.LBB110_40:                             ;   in Loop: Header=BB110_6 Depth=1
	s_wait_xcnt 0x0
	s_or_b32 exec_lo, exec_lo, s39
	s_wait_loadcnt 0x3
	v_pk_mul_f32 v[52:53], v[34:35], v[50:51] op_sel:[0,1]
	s_wait_loadcnt 0x2
	v_pk_mul_f32 v[54:55], v[32:33], v[48:49] op_sel:[0,1]
	;; [unrolled: 2-line block ×3, first 2 shown]
	v_pk_fma_f32 v[56:57], v[18:19], v[50:51], v[52:53] op_sel_hi:[1,0,1]
	v_pk_fma_f32 v[50:51], v[18:19], v[50:51], v[52:53] neg_lo:[0,0,1] neg_hi:[0,0,1]
	v_pk_fma_f32 v[52:53], v[16:17], v[48:49], v[54:55] op_sel_hi:[1,0,1]
	v_pk_fma_f32 v[48:49], v[16:17], v[48:49], v[54:55] neg_lo:[0,0,1] neg_hi:[0,0,1]
	v_pk_fma_f32 v[54:55], v[12:13], v[46:47], v[58:59] op_sel_hi:[1,0,1]
	v_mov_b32_e32 v51, v57
	v_pk_fma_f32 v[46:47], v[12:13], v[46:47], v[58:59] neg_lo:[0,0,1] neg_hi:[0,0,1]
	v_mov_b32_e32 v49, v53
	s_delay_alu instid0(VALU_DEP_3) | instskip(SKIP_2) | instid1(VALU_DEP_2)
	v_pk_add_f32 v[6:7], v[6:7], v[50:51]
	s_wait_loadcnt 0x0
	v_pk_mul_f32 v[50:51], v[26:27], v[44:45] op_sel:[0,1]
	v_pk_add_f32 v[6:7], v[48:49], v[6:7]
	s_delay_alu instid0(VALU_DEP_2) | instskip(SKIP_2) | instid1(VALU_DEP_3)
	v_pk_fma_f32 v[48:49], v[14:15], v[44:45], v[50:51] op_sel_hi:[1,0,1]
	v_mov_b32_e32 v47, v55
	v_pk_fma_f32 v[44:45], v[14:15], v[44:45], v[50:51] neg_lo:[0,0,1] neg_hi:[0,0,1]
	v_mov_b32_e32 v45, v49
	s_delay_alu instid0(VALU_DEP_3) | instskip(NEXT) | instid1(VALU_DEP_1)
	v_pk_add_f32 v[6:7], v[46:47], v[6:7]
	v_pk_add_f32 v[6:7], v[44:45], v[6:7]
.LBB110_41:                             ;   in Loop: Header=BB110_6 Depth=1
	s_or_b32 exec_lo, exec_lo, s38
	s_wait_loadcnt 0x3
	v_pk_mul_f32 v[44:45], v[34:35], v[42:43] op_sel:[0,1]
	s_wait_loadcnt 0x2
	v_pk_mul_f32 v[46:47], v[32:33], v[40:41] op_sel:[0,1]
	s_wait_loadcnt 0x1
	v_pk_mul_f32 v[50:51], v[30:31], v[38:39] op_sel:[0,1]
	v_pk_fma_f32 v[48:49], v[18:19], v[42:43], v[44:45] op_sel_hi:[1,0,1]
	v_pk_fma_f32 v[42:43], v[18:19], v[42:43], v[44:45] neg_lo:[0,0,1] neg_hi:[0,0,1]
	v_pk_fma_f32 v[44:45], v[16:17], v[40:41], v[46:47] op_sel_hi:[1,0,1]
	v_pk_fma_f32 v[40:41], v[16:17], v[40:41], v[46:47] neg_lo:[0,0,1] neg_hi:[0,0,1]
	v_pk_fma_f32 v[46:47], v[12:13], v[38:39], v[50:51] op_sel_hi:[1,0,1]
	v_mov_b32_e32 v43, v49
	v_pk_fma_f32 v[38:39], v[12:13], v[38:39], v[50:51] neg_lo:[0,0,1] neg_hi:[0,0,1]
	v_mov_b32_e32 v41, v45
	s_delay_alu instid0(VALU_DEP_3) | instskip(SKIP_2) | instid1(VALU_DEP_2)
	v_pk_add_f32 v[8:9], v[8:9], v[42:43]
	s_wait_loadcnt 0x0
	v_pk_mul_f32 v[42:43], v[26:27], v[36:37] op_sel:[0,1]
	v_pk_add_f32 v[8:9], v[40:41], v[8:9]
	s_delay_alu instid0(VALU_DEP_2) | instskip(SKIP_2) | instid1(VALU_DEP_3)
	v_pk_fma_f32 v[40:41], v[14:15], v[36:37], v[42:43] op_sel_hi:[1,0,1]
	v_mov_b32_e32 v39, v47
	v_pk_fma_f32 v[36:37], v[14:15], v[36:37], v[42:43] neg_lo:[0,0,1] neg_hi:[0,0,1]
	v_mov_b32_e32 v37, v41
	s_delay_alu instid0(VALU_DEP_3) | instskip(NEXT) | instid1(VALU_DEP_1)
	v_pk_add_f32 v[8:9], v[38:39], v[8:9]
	v_pk_add_f32 v[8:9], v[36:37], v[8:9]
.LBB110_42:                             ;   in Loop: Header=BB110_6 Depth=1
	s_or_b32 exec_lo, exec_lo, s40
	s_wait_loadcnt 0x3
	v_pk_mul_f32 v[34:35], v[34:35], v[28:29] op_sel:[0,1]
	s_wait_loadcnt 0x2
	v_pk_mul_f32 v[32:33], v[32:33], v[24:25] op_sel:[0,1]
	;; [unrolled: 2-line block ×3, first 2 shown]
	v_pk_fma_f32 v[36:37], v[18:19], v[28:29], v[34:35] op_sel_hi:[1,0,1]
	v_pk_fma_f32 v[18:19], v[18:19], v[28:29], v[34:35] neg_lo:[0,0,1] neg_hi:[0,0,1]
	v_pk_fma_f32 v[28:29], v[16:17], v[24:25], v[32:33] op_sel_hi:[1,0,1]
	v_pk_fma_f32 v[16:17], v[16:17], v[24:25], v[32:33] neg_lo:[0,0,1] neg_hi:[0,0,1]
	v_pk_fma_f32 v[24:25], v[12:13], v[22:23], v[30:31] op_sel_hi:[1,0,1]
	v_mov_b32_e32 v19, v37
	v_pk_fma_f32 v[12:13], v[12:13], v[22:23], v[30:31] neg_lo:[0,0,1] neg_hi:[0,0,1]
	v_mov_b32_e32 v17, v29
	s_delay_alu instid0(VALU_DEP_3) | instskip(SKIP_2) | instid1(VALU_DEP_2)
	v_pk_add_f32 v[4:5], v[4:5], v[18:19]
	s_wait_loadcnt 0x0
	v_pk_mul_f32 v[18:19], v[26:27], v[20:21] op_sel:[0,1]
	v_pk_add_f32 v[4:5], v[16:17], v[4:5]
	s_delay_alu instid0(VALU_DEP_2) | instskip(SKIP_2) | instid1(VALU_DEP_3)
	v_pk_fma_f32 v[16:17], v[14:15], v[20:21], v[18:19] op_sel_hi:[1,0,1]
	v_mov_b32_e32 v13, v25
	v_pk_fma_f32 v[14:15], v[14:15], v[20:21], v[18:19] neg_lo:[0,0,1] neg_hi:[0,0,1]
	v_mov_b32_e32 v15, v17
	s_delay_alu instid0(VALU_DEP_3) | instskip(NEXT) | instid1(VALU_DEP_1)
	v_pk_add_f32 v[4:5], v[12:13], v[4:5]
	v_pk_add_f32 v[4:5], v[14:15], v[4:5]
.LBB110_43:                             ;   in Loop: Header=BB110_6 Depth=1
	s_or_b32 exec_lo, exec_lo, s7
.LBB110_44:                             ;   in Loop: Header=BB110_6 Depth=1
	ds_store_2addr_b64 v61, v[4:5], v[8:9] offset1:32
	ds_store_2addr_b64 v61, v[6:7], v[10:11] offset0:64 offset1:96
	s_wait_storecnt 0x0
	s_wait_loadcnt_dscnt 0x0
	s_barrier_signal -1
	s_barrier_wait -1
	s_and_saveexec_b32 s7, s0
	s_cbranch_execz .LBB110_4
; %bb.45:                               ;   in Loop: Header=BB110_6 Depth=1
	ds_load_2addr_stride64_b64 v[4:7], v62 offset1:2
	ds_load_2addr_stride64_b64 v[8:11], v62 offset0:4 offset1:6
	ds_load_2addr_stride64_b64 v[12:15], v62 offset0:8 offset1:10
	s_wait_dscnt 0x2
	v_pk_add_f32 v[16:17], v[4:5], v[6:7]
	ds_load_2addr_stride64_b64 v[4:7], v62 offset0:12 offset1:14
	s_wait_dscnt 0x2
	v_pk_add_f32 v[8:9], v[16:17], v[8:9]
	s_delay_alu instid0(VALU_DEP_1) | instskip(SKIP_3) | instid1(VALU_DEP_1)
	v_pk_add_f32 v[16:17], v[8:9], v[10:11]
	ds_load_2addr_stride64_b64 v[8:11], v62 offset0:16 offset1:18
	s_wait_dscnt 0x2
	v_pk_add_f32 v[12:13], v[16:17], v[12:13]
	v_pk_add_f32 v[16:17], v[12:13], v[14:15]
	ds_load_2addr_stride64_b64 v[12:15], v62 offset0:20 offset1:22
	s_wait_dscnt 0x2
	v_pk_add_f32 v[4:5], v[16:17], v[4:5]
	s_delay_alu instid0(VALU_DEP_1) | instskip(SKIP_1) | instid1(VALU_DEP_1)
	v_pk_add_f32 v[4:5], v[4:5], v[6:7]
	s_wait_dscnt 0x1
	v_pk_add_f32 v[8:9], v[4:5], v[8:9]
	ds_load_2addr_stride64_b64 v[4:7], v62 offset0:24 offset1:26
	v_pk_add_f32 v[8:9], v[8:9], v[10:11]
	s_wait_dscnt 0x1
	s_delay_alu instid0(VALU_DEP_1) | instskip(SKIP_3) | instid1(VALU_DEP_1)
	v_pk_add_f32 v[12:13], v[8:9], v[12:13]
	ds_load_2addr_stride64_b64 v[8:11], v62 offset0:28 offset1:30
	v_pk_add_f32 v[12:13], v[12:13], v[14:15]
	s_wait_dscnt 0x1
	v_pk_add_f32 v[4:5], v[12:13], v[4:5]
	s_delay_alu instid0(VALU_DEP_1) | instskip(SKIP_1) | instid1(VALU_DEP_1)
	v_pk_add_f32 v[4:5], v[4:5], v[6:7]
	s_wait_dscnt 0x0
	v_pk_add_f32 v[4:5], v[4:5], v[8:9]
	s_delay_alu instid0(VALU_DEP_1)
	v_pk_add_f32 v[6:7], v[4:5], v[10:11]
	ds_store_b64 v62, v[6:7]
	s_and_b32 exec_lo, exec_lo, s2
	s_cbranch_execz .LBB110_4
; %bb.46:                               ;   in Loop: Header=BB110_6 Depth=1
	v_mov_b64_e32 v[4:5], s[34:35]
	v_mov_b64_e32 v[8:9], s[10:11]
	s_and_not1_b32 vcc_lo, exec_lo, s44
	s_delay_alu instid0(VALU_DEP_2) | instskip(NEXT) | instid1(VALU_DEP_1)
	v_pk_mul_f32 v[10:11], v[6:7], v[4:5] op_sel:[1,0]
	v_pk_fma_f32 v[4:5], v[6:7], v[8:9], v[10:11] op_sel_hi:[0,1,1] neg_lo:[0,0,1] neg_hi:[0,0,1]
	v_pk_fma_f32 v[8:9], v[6:7], v[8:9], v[10:11] op_sel_hi:[0,1,1]
	v_lshl_add_u64 v[6:7], v[2:3], 3, s[36:37]
	s_cbranch_vccnz .LBB110_3
; %bb.47:                               ;   in Loop: Header=BB110_6 Depth=1
	global_load_b64 v[10:11], v[6:7], off
	v_mov_b64_e32 v[12:13], s[30:31]
	v_mov_b64_e32 v[14:15], s[14:15]
	s_wait_loadcnt 0x0
	s_delay_alu instid0(VALU_DEP_2) | instskip(NEXT) | instid1(VALU_DEP_1)
	v_pk_mul_f32 v[12:13], v[12:13], v[10:11] op_sel:[0,1]
	v_pk_fma_f32 v[16:17], v[14:15], v[10:11], v[12:13] op_sel_hi:[1,0,1]
	v_mov_b32_e32 v5, v9
	v_pk_fma_f32 v[8:9], v[14:15], v[10:11], v[12:13] neg_lo:[0,0,1] neg_hi:[0,0,1]
	s_delay_alu instid0(VALU_DEP_3) | instskip(NEXT) | instid1(VALU_DEP_1)
	v_mov_b32_e32 v9, v17
	v_pk_add_f32 v[4:5], v[4:5], v[8:9]
	s_delay_alu instid0(VALU_DEP_1)
	v_mov_b32_e32 v9, v5
	s_branch .LBB110_3
.LBB110_48:
	s_sendmsg sendmsg(MSG_DEALLOC_VGPRS)
	s_endpgm
	.section	.rodata,"a",@progbits
	.p2align	6, 0x0
	.amdhsa_kernel _ZL20rocblas_gemvn_kernelILi32ELi16Ei19rocblas_complex_numIfES1_S1_EviiT3_lPKT2_lT1_lS5_lS6_lS2_lPT4_lS6_li
		.amdhsa_group_segment_fixed_size 16384
		.amdhsa_private_segment_fixed_size 0
		.amdhsa_kernarg_size 400
		.amdhsa_user_sgpr_count 2
		.amdhsa_user_sgpr_dispatch_ptr 0
		.amdhsa_user_sgpr_queue_ptr 0
		.amdhsa_user_sgpr_kernarg_segment_ptr 1
		.amdhsa_user_sgpr_dispatch_id 0
		.amdhsa_user_sgpr_kernarg_preload_length 0
		.amdhsa_user_sgpr_kernarg_preload_offset 0
		.amdhsa_user_sgpr_private_segment_size 0
		.amdhsa_wavefront_size32 1
		.amdhsa_uses_dynamic_stack 0
		.amdhsa_enable_private_segment 0
		.amdhsa_system_sgpr_workgroup_id_x 1
		.amdhsa_system_sgpr_workgroup_id_y 0
		.amdhsa_system_sgpr_workgroup_id_z 1
		.amdhsa_system_sgpr_workgroup_info 0
		.amdhsa_system_vgpr_workitem_id 1
		.amdhsa_next_free_vgpr 80
		.amdhsa_next_free_sgpr 56
		.amdhsa_named_barrier_count 0
		.amdhsa_reserve_vcc 1
		.amdhsa_float_round_mode_32 0
		.amdhsa_float_round_mode_16_64 0
		.amdhsa_float_denorm_mode_32 3
		.amdhsa_float_denorm_mode_16_64 3
		.amdhsa_fp16_overflow 0
		.amdhsa_memory_ordered 1
		.amdhsa_forward_progress 1
		.amdhsa_inst_pref_size 33
		.amdhsa_round_robin_scheduling 0
		.amdhsa_exception_fp_ieee_invalid_op 0
		.amdhsa_exception_fp_denorm_src 0
		.amdhsa_exception_fp_ieee_div_zero 0
		.amdhsa_exception_fp_ieee_overflow 0
		.amdhsa_exception_fp_ieee_underflow 0
		.amdhsa_exception_fp_ieee_inexact 0
		.amdhsa_exception_int_div_zero 0
	.end_amdhsa_kernel
	.section	.text._ZL20rocblas_gemvn_kernelILi32ELi16Ei19rocblas_complex_numIfES1_S1_EviiT3_lPKT2_lT1_lS5_lS6_lS2_lPT4_lS6_li,"axG",@progbits,_ZL20rocblas_gemvn_kernelILi32ELi16Ei19rocblas_complex_numIfES1_S1_EviiT3_lPKT2_lT1_lS5_lS6_lS2_lPT4_lS6_li,comdat
.Lfunc_end110:
	.size	_ZL20rocblas_gemvn_kernelILi32ELi16Ei19rocblas_complex_numIfES1_S1_EviiT3_lPKT2_lT1_lS5_lS6_lS2_lPT4_lS6_li, .Lfunc_end110-_ZL20rocblas_gemvn_kernelILi32ELi16Ei19rocblas_complex_numIfES1_S1_EviiT3_lPKT2_lT1_lS5_lS6_lS2_lPT4_lS6_li
                                        ; -- End function
	.set _ZL20rocblas_gemvn_kernelILi32ELi16Ei19rocblas_complex_numIfES1_S1_EviiT3_lPKT2_lT1_lS5_lS6_lS2_lPT4_lS6_li.num_vgpr, 80
	.set _ZL20rocblas_gemvn_kernelILi32ELi16Ei19rocblas_complex_numIfES1_S1_EviiT3_lPKT2_lT1_lS5_lS6_lS2_lPT4_lS6_li.num_agpr, 0
	.set _ZL20rocblas_gemvn_kernelILi32ELi16Ei19rocblas_complex_numIfES1_S1_EviiT3_lPKT2_lT1_lS5_lS6_lS2_lPT4_lS6_li.numbered_sgpr, 56
	.set _ZL20rocblas_gemvn_kernelILi32ELi16Ei19rocblas_complex_numIfES1_S1_EviiT3_lPKT2_lT1_lS5_lS6_lS2_lPT4_lS6_li.num_named_barrier, 0
	.set _ZL20rocblas_gemvn_kernelILi32ELi16Ei19rocblas_complex_numIfES1_S1_EviiT3_lPKT2_lT1_lS5_lS6_lS2_lPT4_lS6_li.private_seg_size, 0
	.set _ZL20rocblas_gemvn_kernelILi32ELi16Ei19rocblas_complex_numIfES1_S1_EviiT3_lPKT2_lT1_lS5_lS6_lS2_lPT4_lS6_li.uses_vcc, 1
	.set _ZL20rocblas_gemvn_kernelILi32ELi16Ei19rocblas_complex_numIfES1_S1_EviiT3_lPKT2_lT1_lS5_lS6_lS2_lPT4_lS6_li.uses_flat_scratch, 0
	.set _ZL20rocblas_gemvn_kernelILi32ELi16Ei19rocblas_complex_numIfES1_S1_EviiT3_lPKT2_lT1_lS5_lS6_lS2_lPT4_lS6_li.has_dyn_sized_stack, 0
	.set _ZL20rocblas_gemvn_kernelILi32ELi16Ei19rocblas_complex_numIfES1_S1_EviiT3_lPKT2_lT1_lS5_lS6_lS2_lPT4_lS6_li.has_recursion, 0
	.set _ZL20rocblas_gemvn_kernelILi32ELi16Ei19rocblas_complex_numIfES1_S1_EviiT3_lPKT2_lT1_lS5_lS6_lS2_lPT4_lS6_li.has_indirect_call, 0
	.section	.AMDGPU.csdata,"",@progbits
; Kernel info:
; codeLenInByte = 4132
; TotalNumSgprs: 58
; NumVgprs: 80
; ScratchSize: 0
; MemoryBound: 0
; FloatMode: 240
; IeeeMode: 1
; LDSByteSize: 16384 bytes/workgroup (compile time only)
; SGPRBlocks: 0
; VGPRBlocks: 4
; NumSGPRsForWavesPerEU: 58
; NumVGPRsForWavesPerEU: 80
; NamedBarCnt: 0
; Occupancy: 12
; WaveLimiterHint : 0
; COMPUTE_PGM_RSRC2:SCRATCH_EN: 0
; COMPUTE_PGM_RSRC2:USER_SGPR: 2
; COMPUTE_PGM_RSRC2:TRAP_HANDLER: 0
; COMPUTE_PGM_RSRC2:TGID_X_EN: 1
; COMPUTE_PGM_RSRC2:TGID_Y_EN: 0
; COMPUTE_PGM_RSRC2:TGID_Z_EN: 1
; COMPUTE_PGM_RSRC2:TIDIG_COMP_CNT: 1
	.section	.text._ZL20rocblas_gemvn_kernelILi32ELi16El19rocblas_complex_numIfES1_S1_EviiT3_lPKT2_lT1_lS5_lS6_lS2_lPT4_lS6_li,"axG",@progbits,_ZL20rocblas_gemvn_kernelILi32ELi16El19rocblas_complex_numIfES1_S1_EviiT3_lPKT2_lT1_lS5_lS6_lS2_lPT4_lS6_li,comdat
	.globl	_ZL20rocblas_gemvn_kernelILi32ELi16El19rocblas_complex_numIfES1_S1_EviiT3_lPKT2_lT1_lS5_lS6_lS2_lPT4_lS6_li ; -- Begin function _ZL20rocblas_gemvn_kernelILi32ELi16El19rocblas_complex_numIfES1_S1_EviiT3_lPKT2_lT1_lS5_lS6_lS2_lPT4_lS6_li
	.p2align	8
	.type	_ZL20rocblas_gemvn_kernelILi32ELi16El19rocblas_complex_numIfES1_S1_EviiT3_lPKT2_lT1_lS5_lS6_lS2_lPT4_lS6_li,@function
_ZL20rocblas_gemvn_kernelILi32ELi16El19rocblas_complex_numIfES1_S1_EviiT3_lPKT2_lT1_lS5_lS6_lS2_lPT4_lS6_li: ; @_ZL20rocblas_gemvn_kernelILi32ELi16El19rocblas_complex_numIfES1_S1_EviiT3_lPKT2_lT1_lS5_lS6_lS2_lPT4_lS6_li
; %bb.0:
	s_load_b64 s[2:3], s[0:1], 0x9c
	s_wait_kmcnt 0x0
	s_lshr_b32 s4, s2, 16
	s_and_b32 s2, s2, 0xffff
	s_and_b32 s3, s3, 0xffff
	s_mul_i32 s2, s4, s2
	s_delay_alu instid0(SALU_CYCLE_1) | instskip(NEXT) | instid1(SALU_CYCLE_1)
	s_mul_i32 s2, s2, s3
	s_cmp_lg_u32 s2, 0x200
	s_cbranch_scc1 .LBB111_48
; %bb.1:
	s_load_b32 s33, s[0:1], 0x88
	s_bfe_u32 s2, ttmp6, 0x40014
	s_lshr_b32 s3, ttmp7, 16
	s_add_co_i32 s2, s2, 1
	s_bfe_u32 s4, ttmp6, 0x40008
	s_mul_i32 s2, s3, s2
	s_getreg_b32 s6, hwreg(HW_REG_IB_STS2, 6, 4)
	s_add_co_i32 s4, s4, s2
	s_cmp_eq_u32 s6, 0
	s_mov_b32 s35, 0
	s_cselect_b32 s34, s3, s4
	s_wait_kmcnt 0x0
	s_cmp_ge_u32 s34, s33
	s_cbranch_scc1 .LBB111_48
; %bb.2:
	s_clause 0x3
	s_load_b512 s[8:23], s[0:1], 0x18
	s_load_b256 s[24:31], s[0:1], 0x68
	s_load_b128 s[36:39], s[0:1], 0x0
	s_load_b64 s[40:41], s[0:1], 0x58
	v_and_b32_e32 v12, 0x3ff, v0
	v_bfe_u32 v2, v0, 10, 10
	s_delay_alu instid0(VALU_DEP_2) | instskip(NEXT) | instid1(VALU_DEP_2)
	v_dual_mov_b32 v1, 0 :: v_dual_lshlrev_b32 v0, 3, v12
	v_lshl_add_u32 v13, v2, 5, v12
	s_delay_alu instid0(VALU_DEP_2) | instskip(NEXT) | instid1(VALU_DEP_3)
	v_dual_mov_b32 v3, v1 :: v_dual_lshlrev_b32 v92, 2, v2
	v_lshl_add_u32 v93, v2, 10, v0
	v_lshl_add_u32 v94, v2, 8, v0
	s_wait_kmcnt 0x0
	s_lshl_b64 s[4:5], s[10:11], 3
	s_lshl_b64 s[10:11], s[18:19], 3
	;; [unrolled: 1-line block ×3, first 2 shown]
	s_cmp_neq_f32 s38, 0
	s_mov_b32 s46, s36
	v_mul_u64_e32 v[8:9], s[20:21], v[2:3]
	v_mul_u64_e32 v[10:11], s[12:13], v[2:3]
	s_cselect_b32 s0, -1, 0
	s_cmp_neq_f32 s39, 0
	v_mad_nc_u64_u32 v[2:3], s20, v92, s[20:21]
	v_mad_nc_u64_u32 v[6:7], s12, v92, s[12:13]
	s_add_nc_u64 s[24:25], s[24:25], s[2:3]
	s_cselect_b32 s1, -1, 0
	s_add_nc_u64 s[42:43], s[8:9], s[4:5]
	s_or_b32 s7, s0, s1
	s_cmp_neq_f32 s40, 1.0
	v_cmp_gt_u32_e64 s0, 0x80, v13
	s_mov_b32 s18, s41
	s_mov_b32 s19, s40
	s_cselect_b32 s48, -1, 0
	s_cmp_neq_f32 s41, 0
	v_mad_u32 v3, s21, v92, v3
	v_mad_u32 v7, s13, v92, v7
	s_mov_b32 s26, s39
	s_cselect_b32 s49, -1, 0
	s_or_b32 s1, s38, s39
	s_add_nc_u64 s[44:45], s[16:17], s[10:11]
	s_bitset0_b32 s1, 31
	s_delay_alu instid0(SALU_CYCLE_1)
	s_cmp_eq_u32 s1, 0
	s_cselect_b32 s52, -1, 0
	s_bfe_u32 s1, ttmp6, 0x4000c
	s_and_b32 s27, ttmp6, 15
	s_add_co_i32 s1, s1, 1
	v_lshl_add_u64 v[2:3], v[2:3], 3, s[16:17]
	s_mul_i32 s1, ttmp9, s1
	v_lshlrev_b64_e32 v[8:9], 5, v[8:9]
	s_add_co_i32 s1, s27, s1
	s_cmp_eq_u32 s6, 0
	v_lshlrev_b64_e32 v[10:11], 5, v[10:11]
	s_cselect_b32 s1, ttmp9, s1
	s_ashr_i32 s47, s36, 31
	s_lshl_b32 s1, s1, 7
	s_cmp_neq_f32 s40, 0
	v_dual_add_nc_u32 v0, s1, v13 :: v_dual_bitop2_b32 v14, s1, v13 bitop3:0x54
	v_add_nc_u32_e32 v20, s1, v12
	s_cselect_b32 s1, -1, 0
	s_ashr_i32 s2, s37, 31
	s_delay_alu instid0(VALU_DEP_2)
	v_cmp_gt_i64_e32 vcc_lo, s[46:47], v[0:1]
	v_mul_u64_e32 v[4:5], s[28:29], v[0:1]
	v_dual_ashrrev_i32 v15, 31, v14 :: v_dual_bitop2_b32 v0, 3, v92 bitop3:0x54
	s_lshr_b32 s2, s2, 26
	v_ashrrev_i32_e32 v21, 31, v20
	s_add_co_i32 s54, s37, s2
	s_delay_alu instid0(VALU_DEP_2)
	v_mul_u64_e32 v[16:17], s[12:13], v[0:1]
	v_mul_u64_e32 v[18:19], s[20:21], v[0:1]
	v_or_b32_e32 v0, 2, v92
	v_mul_u64_e32 v[12:13], s[28:29], v[14:15]
	v_add_nc_u32_e32 v15, 64, v20
	v_add_nc_u32_e32 v26, 0x60, v20
	s_and_not1_b32 s54, s54, 63
	v_mul_u64_e32 v[22:23], s[12:13], v[0:1]
	v_mul_u64_e32 v[24:25], s[20:21], v[0:1]
	v_add_nc_u32_e32 v0, 32, v20
	s_sub_co_i32 s6, s37, s54
	v_add_nc_u64_e32 v[8:9], s[16:17], v[8:9]
	v_add_nc_u64_e32 v[10:11], s[42:43], v[10:11]
	s_or_b32 s53, s1, s49
	v_cmp_gt_i32_e64 s2, s36, v14
	v_cmp_gt_i32_e64 s4, s36, v15
	v_lshlrev_b64_e32 v[14:15], 3, v[20:21]
	s_cmp_gt_i32 s6, 0
	v_lshl_add_u64 v[6:7], v[6:7], 3, s[42:43]
	v_cmp_gt_i32_e64 s1, s36, v20
	v_cmp_gt_i32_e64 s3, s36, v0
	;; [unrolled: 1-line block ×4, first 2 shown]
	s_cselect_b32 s36, -1, 0
	s_or_b32 s7, s7, s48
	s_mov_b32 s27, s38
	s_and_b32 s55, s0, vcc_lo
	s_lshl_b64 s[28:29], s[22:23], 3
	s_or_b32 s56, s7, s49
	s_lshl_b64 s[46:47], s[14:15], 3
	s_lshl_b64 s[48:49], s[12:13], 9
	v_lshl_add_u64 v[16:17], v[16:17], 3, s[42:43]
	v_lshl_add_u64 v[18:19], v[18:19], 3, s[16:17]
	;; [unrolled: 1-line block ×4, first 2 shown]
	s_lshl_b64 s[16:17], s[20:21], 9
	s_branch .LBB111_6
.LBB111_3:                              ;   in Loop: Header=BB111_6 Depth=1
	s_delay_alu instid0(VALU_DEP_1)
	v_mov_b32_e32 v25, v29
	global_store_b64 v[26:27], v[24:25], off
.LBB111_4:                              ;   in Loop: Header=BB111_6 Depth=1
	s_wait_xcnt 0x0
	s_or_b32 exec_lo, exec_lo, s7
.LBB111_5:                              ;   in Loop: Header=BB111_6 Depth=1
	s_add_co_i32 s34, s34, 0x10000
	s_delay_alu instid0(SALU_CYCLE_1)
	s_cmp_lt_u32 s34, s33
	s_cbranch_scc0 .LBB111_48
.LBB111_6:                              ; =>This Loop Header: Depth=1
                                        ;     Child Loop BB111_20 Depth 2
	s_and_not1_b32 vcc_lo, exec_lo, s56
	s_cbranch_vccnz .LBB111_5
; %bb.7:                                ;   in Loop: Header=BB111_6 Depth=1
	s_mul_u64 s[8:9], s[30:31], s[34:35]
	s_and_not1_b32 vcc_lo, exec_lo, s52
	s_lshl_b64 s[8:9], s[8:9], 3
	s_mov_b32 s7, -1
	s_add_nc_u64 s[50:51], s[24:25], s[8:9]
	s_cbranch_vccnz .LBB111_13
; %bb.8:                                ;   in Loop: Header=BB111_6 Depth=1
	s_and_saveexec_b32 s7, s55
	s_cbranch_execz .LBB111_12
; %bb.9:                                ;   in Loop: Header=BB111_6 Depth=1
	v_dual_mov_b32 v26, 0 :: v_dual_mov_b32 v27, 0
	v_lshl_add_u64 v[24:25], v[4:5], 3, s[50:51]
	s_and_not1_b32 vcc_lo, exec_lo, s53
	s_cbranch_vccnz .LBB111_11
; %bb.10:                               ;   in Loop: Header=BB111_6 Depth=1
	global_load_b64 v[26:27], v[24:25], off
	v_mov_b64_e32 v[28:29], s[18:19]
	v_mov_b64_e32 v[30:31], s[40:41]
	s_wait_loadcnt 0x0
	s_delay_alu instid0(VALU_DEP_2) | instskip(NEXT) | instid1(VALU_DEP_1)
	v_pk_mul_f32 v[28:29], v[28:29], v[26:27] op_sel:[0,1]
	v_pk_fma_f32 v[32:33], v[30:31], v[26:27], v[28:29] op_sel_hi:[1,0,1]
	v_pk_fma_f32 v[26:27], v[30:31], v[26:27], v[28:29] neg_lo:[0,0,1] neg_hi:[0,0,1]
	s_delay_alu instid0(VALU_DEP_2)
	v_mov_b32_e32 v27, v33
.LBB111_11:                             ;   in Loop: Header=BB111_6 Depth=1
	global_store_b64 v[24:25], v[26:27], off
.LBB111_12:                             ;   in Loop: Header=BB111_6 Depth=1
	s_wait_xcnt 0x0
	s_or_b32 exec_lo, exec_lo, s7
	s_mov_b32 s7, 0
.LBB111_13:                             ;   in Loop: Header=BB111_6 Depth=1
	s_delay_alu instid0(SALU_CYCLE_1)
	s_and_not1_b32 vcc_lo, exec_lo, s7
	s_cbranch_vccnz .LBB111_5
; %bb.14:                               ;   in Loop: Header=BB111_6 Depth=1
	v_mov_b64_e32 v[26:27], 0
	v_mov_b64_e32 v[28:29], 0
	;; [unrolled: 1-line block ×4, first 2 shown]
	v_mov_b32_e32 v0, v92
	s_and_saveexec_b32 s7, s6
	s_cbranch_execz .LBB111_26
; %bb.15:                               ;   in Loop: Header=BB111_6 Depth=1
	s_mul_u64 s[8:9], s[28:29], s[34:35]
	s_mul_u64 s[58:59], s[46:47], s[34:35]
	v_add_nc_u64_e32 v[32:33], s[8:9], v[8:9]
	v_add_nc_u64_e32 v[34:35], s[58:59], v[16:17]
	;; [unrolled: 1-line block ×8, first 2 shown]
	v_mov_b64_e32 v[24:25], 0
	v_mov_b64_e32 v[30:31], 0
	;; [unrolled: 1-line block ×4, first 2 shown]
	v_mov_b32_e32 v0, v92
	s_mov_b32 s8, 0
	s_branch .LBB111_20
.LBB111_16:                             ;   in Loop: Header=BB111_20 Depth=2
	s_or_b32 exec_lo, exec_lo, s59
	s_wait_loadcnt 0x3
	v_dual_mul_f32 v84, v57, v83 :: v_dual_mul_f32 v85, v56, v83
	s_wait_loadcnt 0x2
	v_dual_mul_f32 v88, v59, v81 :: v_dual_mul_f32 v83, v58, v81
	s_wait_loadcnt 0x1
	v_pk_mul_f32 v[86:87], v[74:75], v[78:79] op_sel:[0,1]
	v_dual_fma_f32 v84, v56, v82, -v84 :: v_dual_fmac_f32 v85, v57, v82
	s_delay_alu instid0(VALU_DEP_3) | instskip(NEXT) | instid1(VALU_DEP_3)
	v_dual_fma_f32 v82, v58, v80, -v88 :: v_dual_fmac_f32 v83, v59, v80
	v_pk_fma_f32 v[80:81], v[50:51], v[78:79], v[86:87] op_sel_hi:[1,0,1]
	v_pk_fma_f32 v[78:79], v[50:51], v[78:79], v[86:87] neg_lo:[0,0,1] neg_hi:[0,0,1]
	s_delay_alu instid0(VALU_DEP_4) | instskip(SKIP_3) | instid1(VALU_DEP_3)
	v_pk_add_f32 v[28:29], v[28:29], v[84:85]
	s_wait_loadcnt 0x0
	v_pk_mul_f32 v[84:85], v[68:69], v[76:77] op_sel:[0,1]
	v_mov_b32_e32 v79, v81
	v_pk_add_f32 v[28:29], v[82:83], v[28:29]
	s_delay_alu instid0(VALU_DEP_3) | instskip(SKIP_1) | instid1(VALU_DEP_2)
	v_pk_fma_f32 v[80:81], v[48:49], v[76:77], v[84:85] op_sel_hi:[1,0,1]
	v_pk_fma_f32 v[76:77], v[48:49], v[76:77], v[84:85] neg_lo:[0,0,1] neg_hi:[0,0,1]
	v_mov_b32_e32 v77, v81
	s_delay_alu instid0(VALU_DEP_4) | instskip(NEXT) | instid1(VALU_DEP_1)
	v_pk_add_f32 v[28:29], v[78:79], v[28:29]
	v_pk_add_f32 v[28:29], v[76:77], v[28:29]
.LBB111_17:                             ;   in Loop: Header=BB111_20 Depth=2
	s_or_b32 exec_lo, exec_lo, s58
	s_wait_loadcnt 0x3
	v_dual_mul_f32 v76, v57, v73 :: v_dual_mul_f32 v77, v56, v73
	s_wait_loadcnt 0x2
	v_dual_mul_f32 v78, v59, v71 :: v_dual_mul_f32 v73, v58, v71
	s_wait_loadcnt 0x1
	v_pk_mul_f32 v[74:75], v[74:75], v[66:67] op_sel:[0,1]
	v_dual_fma_f32 v76, v56, v72, -v76 :: v_dual_fmac_f32 v77, v57, v72
	s_delay_alu instid0(VALU_DEP_3) | instskip(NEXT) | instid1(VALU_DEP_3)
	v_dual_fma_f32 v72, v58, v70, -v78 :: v_dual_fmac_f32 v73, v59, v70
	v_pk_fma_f32 v[70:71], v[50:51], v[66:67], v[74:75] op_sel_hi:[1,0,1]
	s_wait_loadcnt 0x0
	v_pk_mul_f32 v[68:69], v[68:69], v[64:65] op_sel:[0,1]
	v_pk_add_f32 v[30:31], v[30:31], v[76:77]
	v_pk_fma_f32 v[66:67], v[50:51], v[66:67], v[74:75] neg_lo:[0,0,1] neg_hi:[0,0,1]
	v_mov_b32_e32 v67, v71
	s_delay_alu instid0(VALU_DEP_4) | instskip(NEXT) | instid1(VALU_DEP_4)
	v_pk_fma_f32 v[70:71], v[48:49], v[64:65], v[68:69] op_sel_hi:[1,0,1]
	v_pk_add_f32 v[30:31], v[72:73], v[30:31]
	v_pk_fma_f32 v[64:65], v[48:49], v[64:65], v[68:69] neg_lo:[0,0,1] neg_hi:[0,0,1]
	s_delay_alu instid0(VALU_DEP_3) | instskip(NEXT) | instid1(VALU_DEP_3)
	v_mov_b32_e32 v65, v71
	v_pk_add_f32 v[30:31], v[66:67], v[30:31]
	s_delay_alu instid0(VALU_DEP_1)
	v_pk_add_f32 v[30:31], v[64:65], v[30:31]
.LBB111_18:                             ;   in Loop: Header=BB111_20 Depth=2
	s_or_b32 exec_lo, exec_lo, s57
	s_wait_loadcnt 0x3
	v_dual_mul_f32 v64, v57, v63 :: v_dual_mul_f32 v65, v56, v63
	s_wait_loadcnt 0x2
	v_dual_mul_f32 v68, v59, v61 :: v_dual_mul_f32 v63, v58, v61
	s_wait_loadcnt 0x1
	v_pk_mul_f32 v[66:67], v[50:51], v[54:55] op_sel:[1,1] op_sel_hi:[0,1]
	v_dual_fma_f32 v64, v56, v62, -v64 :: v_dual_fmac_f32 v65, v57, v62
	s_delay_alu instid0(VALU_DEP_3) | instskip(NEXT) | instid1(VALU_DEP_3)
	v_dual_fma_f32 v62, v58, v60, -v68 :: v_dual_fmac_f32 v63, v59, v60
	v_pk_fma_f32 v[56:57], v[50:51], v[54:55], v[66:67] op_sel_hi:[1,0,1]
	s_wait_loadcnt 0x0
	v_pk_mul_f32 v[58:59], v[48:49], v[52:53] op_sel:[1,1] op_sel_hi:[0,1]
	v_pk_add_f32 v[24:25], v[24:25], v[64:65]
	v_pk_fma_f32 v[50:51], v[50:51], v[54:55], v[66:67] neg_lo:[0,0,1] neg_hi:[0,0,1]
	s_delay_alu instid0(VALU_DEP_3) | instskip(SKIP_1) | instid1(VALU_DEP_4)
	v_pk_fma_f32 v[54:55], v[48:49], v[52:53], v[58:59] op_sel_hi:[1,0,1]
	v_mov_b32_e32 v51, v57
	v_pk_add_f32 v[24:25], v[62:63], v[24:25]
	v_pk_fma_f32 v[48:49], v[48:49], v[52:53], v[58:59] neg_lo:[0,0,1] neg_hi:[0,0,1]
	s_delay_alu instid0(VALU_DEP_4) | instskip(NEXT) | instid1(VALU_DEP_3)
	v_mov_b32_e32 v49, v55
	v_pk_add_f32 v[24:25], v[50:51], v[24:25]
	s_delay_alu instid0(VALU_DEP_1)
	v_pk_add_f32 v[24:25], v[48:49], v[24:25]
.LBB111_19:                             ;   in Loop: Header=BB111_20 Depth=2
	s_or_b32 exec_lo, exec_lo, s9
	v_add_nc_u32_e32 v0, 64, v0
	v_add_nc_u64_e32 v[32:33], s[16:17], v[32:33]
	v_add_nc_u64_e32 v[34:35], s[48:49], v[34:35]
	;; [unrolled: 1-line block ×7, first 2 shown]
	v_cmp_le_i32_e32 vcc_lo, s54, v0
	v_add_nc_u64_e32 v[46:47], s[48:49], v[46:47]
	s_or_b32 s8, vcc_lo, s8
	s_delay_alu instid0(SALU_CYCLE_1)
	s_and_not1_b32 exec_lo, exec_lo, s8
	s_cbranch_execz .LBB111_25
.LBB111_20:                             ;   Parent Loop BB111_6 Depth=1
                                        ; =>  This Inner Loop Header: Depth=2
	s_and_saveexec_b32 s9, s1
	s_cbranch_execz .LBB111_19
; %bb.21:                               ;   in Loop: Header=BB111_20 Depth=2
	v_add_nc_u64_e32 v[48:49], s[10:11], v[32:33]
	v_add_nc_u64_e32 v[50:51], s[10:11], v[44:45]
	;; [unrolled: 1-line block ×8, first 2 shown]
	global_load_b64 v[56:57], v[48:49], off
	global_load_b64 v[58:59], v[50:51], off
	;; [unrolled: 1-line block ×8, first 2 shown]
	s_wait_xcnt 0x0
	s_and_saveexec_b32 s57, s3
	s_cbranch_execz .LBB111_18
; %bb.22:                               ;   in Loop: Header=BB111_20 Depth=2
	global_load_b64 v[72:73], v[90:91], off offset:256
	global_load_b64 v[70:71], v[88:89], off offset:256
	;; [unrolled: 1-line block ×4, first 2 shown]
	s_wait_loadcnt 0x9
	v_dual_mov_b32 v74, v51 :: v_dual_mov_b32 v75, v50
	s_wait_loadcnt 0x8
	v_dual_mov_b32 v68, v49 :: v_dual_mov_b32 v69, v48
	s_wait_xcnt 0x0
	s_and_saveexec_b32 s58, s4
	s_cbranch_execz .LBB111_17
; %bb.23:                               ;   in Loop: Header=BB111_20 Depth=2
	global_load_b64 v[82:83], v[90:91], off offset:512
	global_load_b64 v[80:81], v[88:89], off offset:512
	;; [unrolled: 1-line block ×4, first 2 shown]
	s_wait_xcnt 0x0
	s_and_saveexec_b32 s59, s5
	s_cbranch_execz .LBB111_16
; %bb.24:                               ;   in Loop: Header=BB111_20 Depth=2
	global_load_b64 v[90:91], v[90:91], off offset:768
	global_load_b64 v[88:89], v[88:89], off offset:768
	;; [unrolled: 1-line block ×4, first 2 shown]
	s_wait_loadcnt 0x3
	v_dual_mul_f32 v95, v57, v91 :: v_dual_mul_f32 v97, v56, v91
	s_wait_loadcnt 0x2
	s_wait_xcnt 0x3
	v_dual_mul_f32 v100, v59, v89 :: v_dual_mul_f32 v91, v58, v89
	s_wait_loadcnt 0x1
	v_pk_mul_f32 v[98:99], v[74:75], v[84:85] op_sel:[0,1]
	v_dual_fma_f32 v96, v56, v90, -v95 :: v_dual_fmac_f32 v97, v57, v90
	s_delay_alu instid0(VALU_DEP_3) | instskip(SKIP_1) | instid1(VALU_DEP_3)
	v_dual_fma_f32 v90, v58, v88, -v100 :: v_dual_fmac_f32 v91, v59, v88
	s_wait_xcnt 0x2
	v_pk_fma_f32 v[88:89], v[50:51], v[84:85], v[98:99] op_sel_hi:[1,0,1]
	s_wait_xcnt 0x1
	v_pk_fma_f32 v[84:85], v[50:51], v[84:85], v[98:99] neg_lo:[0,0,1] neg_hi:[0,0,1]
	v_pk_add_f32 v[26:27], v[26:27], v[96:97]
	s_wait_loadcnt 0x0
	v_pk_mul_f32 v[96:97], v[68:69], v[86:87] op_sel:[0,1]
	v_mov_b32_e32 v85, v89
	s_delay_alu instid0(VALU_DEP_3) | instskip(NEXT) | instid1(VALU_DEP_3)
	v_pk_add_f32 v[26:27], v[90:91], v[26:27]
	v_pk_fma_f32 v[88:89], v[48:49], v[86:87], v[96:97] op_sel_hi:[1,0,1]
	s_wait_xcnt 0x0
	v_pk_fma_f32 v[86:87], v[48:49], v[86:87], v[96:97] neg_lo:[0,0,1] neg_hi:[0,0,1]
	s_delay_alu instid0(VALU_DEP_2) | instskip(SKIP_1) | instid1(VALU_DEP_1)
	v_mov_b32_e32 v87, v89
	v_pk_add_f32 v[26:27], v[84:85], v[26:27]
	v_pk_add_f32 v[26:27], v[86:87], v[26:27]
	s_branch .LBB111_16
.LBB111_25:                             ;   in Loop: Header=BB111_6 Depth=1
	s_or_b32 exec_lo, exec_lo, s8
.LBB111_26:                             ;   in Loop: Header=BB111_6 Depth=1
	s_delay_alu instid0(SALU_CYCLE_1) | instskip(NEXT) | instid1(SALU_CYCLE_1)
	s_or_b32 exec_lo, exec_lo, s7
	s_and_not1_b32 vcc_lo, exec_lo, s36
	s_cbranch_vccnz .LBB111_44
; %bb.27:                               ;   in Loop: Header=BB111_6 Depth=1
	v_dual_mov_b32 v38, 0 :: v_dual_bitop2_b32 v40, 1, v0 bitop3:0x54
	v_cmp_gt_i32_e32 vcc_lo, s37, v0
	s_delay_alu instid0(VALU_DEP_2)
	v_dual_mov_b32 v39, v38 :: v_dual_mov_b32 v36, v38
	v_dual_mov_b32 v37, v38 :: v_dual_mov_b32 v34, v38
	;; [unrolled: 1-line block ×3, first 2 shown]
	v_mov_b32_e32 v33, v38
	s_and_saveexec_b32 s57, vcc_lo
	s_cbranch_execz .LBB111_35
; %bb.28:                               ;   in Loop: Header=BB111_6 Depth=1
	v_mul_u64_e32 v[32:33], s[20:21], v[0:1]
	s_mul_u64 s[8:9], s[22:23], s[34:35]
	v_dual_mov_b32 v35, 0 :: v_dual_mov_b32 v34, 0
	s_lshl_b64 s[8:9], s[8:9], 3
	v_dual_mov_b32 v37, 0 :: v_dual_mov_b32 v36, 0
	s_add_nc_u64 s[8:9], s[44:45], s[8:9]
	v_dual_mov_b32 v39, 0 :: v_dual_mov_b32 v38, 0
	s_mov_b32 s58, exec_lo
	s_delay_alu instid0(VALU_DEP_4)
	v_lshl_add_u64 v[32:33], v[32:33], 3, s[8:9]
	global_load_b64 v[32:33], v[32:33], off
	s_wait_xcnt 0x0
	v_cmpx_gt_i32_e64 s37, v40
	s_cbranch_execz .LBB111_34
; %bb.29:                               ;   in Loop: Header=BB111_6 Depth=1
	v_dual_mov_b32 v41, v1 :: v_dual_bitop2_b32 v42, 2, v0 bitop3:0x54
	v_dual_mov_b32 v37, 0 :: v_dual_mov_b32 v36, 0
	v_dual_mov_b32 v39, 0 :: v_dual_mov_b32 v38, 0
	s_delay_alu instid0(VALU_DEP_3) | instskip(SKIP_1) | instid1(VALU_DEP_1)
	v_mul_u64_e32 v[34:35], s[20:21], v[40:41]
	s_mov_b32 s59, exec_lo
	v_lshl_add_u64 v[34:35], v[34:35], 3, s[8:9]
	global_load_b64 v[34:35], v[34:35], off
	s_wait_xcnt 0x0
	v_cmpx_gt_i32_e64 s37, v42
	s_cbranch_execz .LBB111_33
; %bb.30:                               ;   in Loop: Header=BB111_6 Depth=1
	v_dual_mov_b32 v43, v1 :: v_dual_mov_b32 v39, 0
	v_mov_b32_e32 v38, 0
	s_mov_b32 s60, exec_lo
	s_delay_alu instid0(VALU_DEP_2) | instskip(SKIP_1) | instid1(VALU_DEP_2)
	v_mul_u64_e32 v[36:37], s[20:21], v[42:43]
	v_or_b32_e32 v42, 3, v0
	v_lshl_add_u64 v[36:37], v[36:37], 3, s[8:9]
	global_load_b64 v[36:37], v[36:37], off
	s_wait_xcnt 0x0
	v_cmpx_gt_i32_e64 s37, v42
	s_cbranch_execz .LBB111_32
; %bb.31:                               ;   in Loop: Header=BB111_6 Depth=1
	v_mov_b32_e32 v43, v1
	s_delay_alu instid0(VALU_DEP_1) | instskip(NEXT) | instid1(VALU_DEP_1)
	v_mul_u64_e32 v[38:39], s[20:21], v[42:43]
	v_lshl_add_u64 v[38:39], v[38:39], 3, s[8:9]
	global_load_b64 v[38:39], v[38:39], off
.LBB111_32:                             ;   in Loop: Header=BB111_6 Depth=1
	s_wait_xcnt 0x0
	s_or_b32 exec_lo, exec_lo, s60
.LBB111_33:                             ;   in Loop: Header=BB111_6 Depth=1
	s_delay_alu instid0(SALU_CYCLE_1)
	s_or_b32 exec_lo, exec_lo, s59
.LBB111_34:                             ;   in Loop: Header=BB111_6 Depth=1
	s_delay_alu instid0(SALU_CYCLE_1)
	s_or_b32 exec_lo, exec_lo, s58
.LBB111_35:                             ;   in Loop: Header=BB111_6 Depth=1
	s_delay_alu instid0(SALU_CYCLE_1)
	s_or_b32 exec_lo, exec_lo, s57
	s_and_saveexec_b32 s57, s1
	s_cbranch_execz .LBB111_43
; %bb.36:                               ;   in Loop: Header=BB111_6 Depth=1
	v_dual_mov_b32 v41, v1 :: v_dual_bitop2_b32 v42, 2, v0 bitop3:0x54
	v_mov_b32_e32 v43, v1
	v_mul_u64_e32 v[44:45], s[12:13], v[0:1]
	v_or_b32_e32 v0, 3, v0
	s_delay_alu instid0(VALU_DEP_4)
	v_mul_u64_e32 v[46:47], s[12:13], v[40:41]
	s_mul_u64 s[8:9], s[14:15], s[34:35]
	v_mul_u64_e32 v[48:49], s[12:13], v[42:43]
	v_cmp_gt_i32_e64 s7, s37, v40
	v_mul_u64_e32 v[50:51], s[12:13], v[0:1]
	s_lshl_b64 s[58:59], s[8:9], 3
	v_cmp_gt_i32_e64 s8, s37, v42
	v_cmp_gt_i32_e64 s9, s37, v0
	s_wait_loadcnt 0x0
	v_dual_mov_b32 v54, v33 :: v_dual_mov_b32 v55, v32
	v_dual_mov_b32 v52, v35 :: v_dual_mov_b32 v53, v34
	v_dual_cndmask_b32 v41, 0, v45 :: v_dual_cndmask_b32 v40, 0, v44
	v_dual_cndmask_b32 v43, 0, v47, s7 :: v_dual_cndmask_b32 v42, 0, v46, s7
	v_dual_cndmask_b32 v45, 0, v49, s8 :: v_dual_cndmask_b32 v44, 0, v48, s8
	;; [unrolled: 1-line block ×3, first 2 shown]
	s_add_nc_u64 s[8:9], s[42:43], s[58:59]
	v_dual_mov_b32 v50, v37 :: v_dual_mov_b32 v51, v36
	v_lshl_add_u64 v[40:41], v[40:41], 3, s[8:9]
	v_lshl_add_u64 v[42:43], v[42:43], 3, s[8:9]
	;; [unrolled: 1-line block ×4, first 2 shown]
	s_delay_alu instid0(VALU_DEP_4) | instskip(NEXT) | instid1(VALU_DEP_4)
	v_add_nc_u64_e32 v[72:73], v[40:41], v[14:15]
	v_add_nc_u64_e32 v[74:75], v[42:43], v[14:15]
	s_delay_alu instid0(VALU_DEP_4) | instskip(NEXT) | instid1(VALU_DEP_4)
	v_add_nc_u64_e32 v[76:77], v[44:45], v[14:15]
	v_add_nc_u64_e32 v[78:79], v[46:47], v[14:15]
	s_clause 0x3
	global_load_b64 v[48:49], v[72:73], off
	global_load_b64 v[44:45], v[74:75], off
	;; [unrolled: 1-line block ×4, first 2 shown]
	v_dual_mov_b32 v46, v39 :: v_dual_mov_b32 v47, v38
	s_wait_xcnt 0x0
	s_and_saveexec_b32 s7, s3
	s_cbranch_execz .LBB111_42
; %bb.37:                               ;   in Loop: Header=BB111_6 Depth=1
	s_clause 0x3
	global_load_b64 v[62:63], v[72:73], off offset:256
	global_load_b64 v[60:61], v[74:75], off offset:256
	global_load_b64 v[58:59], v[76:77], off offset:256
	global_load_b64 v[56:57], v[78:79], off offset:256
	s_wait_xcnt 0x0
	s_and_saveexec_b32 s8, s4
	s_cbranch_execz .LBB111_41
; %bb.38:                               ;   in Loop: Header=BB111_6 Depth=1
	s_clause 0x3
	global_load_b64 v[70:71], v[72:73], off offset:512
	global_load_b64 v[68:69], v[74:75], off offset:512
	global_load_b64 v[66:67], v[76:77], off offset:512
	global_load_b64 v[64:65], v[78:79], off offset:512
	;; [unrolled: 9-line block ×3, first 2 shown]
	s_wait_loadcnt 0x3
	v_pk_mul_f32 v[80:81], v[54:55], v[72:73] op_sel:[0,1]
	s_wait_loadcnt 0x2
	v_pk_mul_f32 v[82:83], v[52:53], v[74:75] op_sel:[0,1]
	;; [unrolled: 2-line block ×3, first 2 shown]
	v_pk_fma_f32 v[84:85], v[32:33], v[72:73], v[80:81] op_sel_hi:[1,0,1]
	s_wait_xcnt 0x3
	v_pk_fma_f32 v[72:73], v[32:33], v[72:73], v[80:81] neg_lo:[0,0,1] neg_hi:[0,0,1]
	v_pk_fma_f32 v[80:81], v[34:35], v[74:75], v[82:83] op_sel_hi:[1,0,1]
	s_wait_xcnt 0x2
	v_pk_fma_f32 v[74:75], v[34:35], v[74:75], v[82:83] neg_lo:[0,0,1] neg_hi:[0,0,1]
	v_pk_fma_f32 v[82:83], v[36:37], v[76:77], v[86:87] op_sel_hi:[1,0,1]
	v_mov_b32_e32 v73, v85
	s_wait_xcnt 0x1
	v_pk_fma_f32 v[76:77], v[36:37], v[76:77], v[86:87] neg_lo:[0,0,1] neg_hi:[0,0,1]
	v_mov_b32_e32 v75, v81
	s_delay_alu instid0(VALU_DEP_3) | instskip(SKIP_2) | instid1(VALU_DEP_2)
	v_pk_add_f32 v[26:27], v[26:27], v[72:73]
	s_wait_loadcnt 0x0
	v_pk_mul_f32 v[72:73], v[46:47], v[78:79] op_sel:[0,1]
	v_pk_add_f32 v[26:27], v[74:75], v[26:27]
	s_delay_alu instid0(VALU_DEP_2) | instskip(SKIP_2) | instid1(VALU_DEP_3)
	v_pk_fma_f32 v[74:75], v[38:39], v[78:79], v[72:73] op_sel_hi:[1,0,1]
	v_mov_b32_e32 v77, v83
	v_pk_fma_f32 v[72:73], v[38:39], v[78:79], v[72:73] neg_lo:[0,0,1] neg_hi:[0,0,1]
	v_mov_b32_e32 v73, v75
	s_delay_alu instid0(VALU_DEP_3) | instskip(NEXT) | instid1(VALU_DEP_1)
	v_pk_add_f32 v[26:27], v[76:77], v[26:27]
	v_pk_add_f32 v[26:27], v[72:73], v[26:27]
.LBB111_40:                             ;   in Loop: Header=BB111_6 Depth=1
	s_wait_xcnt 0x0
	s_or_b32 exec_lo, exec_lo, s9
	s_wait_loadcnt 0x3
	v_pk_mul_f32 v[72:73], v[54:55], v[70:71] op_sel:[0,1]
	s_wait_loadcnt 0x2
	v_pk_mul_f32 v[74:75], v[52:53], v[68:69] op_sel:[0,1]
	;; [unrolled: 2-line block ×3, first 2 shown]
	v_pk_fma_f32 v[76:77], v[32:33], v[70:71], v[72:73] op_sel_hi:[1,0,1]
	v_pk_fma_f32 v[70:71], v[32:33], v[70:71], v[72:73] neg_lo:[0,0,1] neg_hi:[0,0,1]
	v_pk_fma_f32 v[72:73], v[34:35], v[68:69], v[74:75] op_sel_hi:[1,0,1]
	v_pk_fma_f32 v[68:69], v[34:35], v[68:69], v[74:75] neg_lo:[0,0,1] neg_hi:[0,0,1]
	v_pk_fma_f32 v[74:75], v[36:37], v[66:67], v[78:79] op_sel_hi:[1,0,1]
	v_mov_b32_e32 v71, v77
	v_pk_fma_f32 v[66:67], v[36:37], v[66:67], v[78:79] neg_lo:[0,0,1] neg_hi:[0,0,1]
	v_mov_b32_e32 v69, v73
	s_delay_alu instid0(VALU_DEP_3) | instskip(SKIP_2) | instid1(VALU_DEP_2)
	v_pk_add_f32 v[28:29], v[28:29], v[70:71]
	s_wait_loadcnt 0x0
	v_pk_mul_f32 v[70:71], v[46:47], v[64:65] op_sel:[0,1]
	v_pk_add_f32 v[28:29], v[68:69], v[28:29]
	s_delay_alu instid0(VALU_DEP_2) | instskip(SKIP_2) | instid1(VALU_DEP_3)
	v_pk_fma_f32 v[68:69], v[38:39], v[64:65], v[70:71] op_sel_hi:[1,0,1]
	v_mov_b32_e32 v67, v75
	v_pk_fma_f32 v[64:65], v[38:39], v[64:65], v[70:71] neg_lo:[0,0,1] neg_hi:[0,0,1]
	v_mov_b32_e32 v65, v69
	s_delay_alu instid0(VALU_DEP_3) | instskip(NEXT) | instid1(VALU_DEP_1)
	v_pk_add_f32 v[28:29], v[66:67], v[28:29]
	v_pk_add_f32 v[28:29], v[64:65], v[28:29]
.LBB111_41:                             ;   in Loop: Header=BB111_6 Depth=1
	s_or_b32 exec_lo, exec_lo, s8
	s_wait_loadcnt 0x3
	v_pk_mul_f32 v[64:65], v[54:55], v[62:63] op_sel:[0,1]
	s_wait_loadcnt 0x2
	v_pk_mul_f32 v[66:67], v[52:53], v[60:61] op_sel:[0,1]
	;; [unrolled: 2-line block ×3, first 2 shown]
	v_pk_fma_f32 v[68:69], v[32:33], v[62:63], v[64:65] op_sel_hi:[1,0,1]
	v_pk_fma_f32 v[62:63], v[32:33], v[62:63], v[64:65] neg_lo:[0,0,1] neg_hi:[0,0,1]
	v_pk_fma_f32 v[64:65], v[34:35], v[60:61], v[66:67] op_sel_hi:[1,0,1]
	v_pk_fma_f32 v[60:61], v[34:35], v[60:61], v[66:67] neg_lo:[0,0,1] neg_hi:[0,0,1]
	v_pk_fma_f32 v[66:67], v[36:37], v[58:59], v[70:71] op_sel_hi:[1,0,1]
	v_mov_b32_e32 v63, v69
	v_pk_fma_f32 v[58:59], v[36:37], v[58:59], v[70:71] neg_lo:[0,0,1] neg_hi:[0,0,1]
	v_mov_b32_e32 v61, v65
	s_delay_alu instid0(VALU_DEP_3) | instskip(SKIP_2) | instid1(VALU_DEP_2)
	v_pk_add_f32 v[30:31], v[30:31], v[62:63]
	s_wait_loadcnt 0x0
	v_pk_mul_f32 v[62:63], v[46:47], v[56:57] op_sel:[0,1]
	v_pk_add_f32 v[30:31], v[60:61], v[30:31]
	s_delay_alu instid0(VALU_DEP_2) | instskip(SKIP_2) | instid1(VALU_DEP_3)
	v_pk_fma_f32 v[60:61], v[38:39], v[56:57], v[62:63] op_sel_hi:[1,0,1]
	v_mov_b32_e32 v59, v67
	v_pk_fma_f32 v[56:57], v[38:39], v[56:57], v[62:63] neg_lo:[0,0,1] neg_hi:[0,0,1]
	v_mov_b32_e32 v57, v61
	s_delay_alu instid0(VALU_DEP_3) | instskip(NEXT) | instid1(VALU_DEP_1)
	v_pk_add_f32 v[30:31], v[58:59], v[30:31]
	v_pk_add_f32 v[30:31], v[56:57], v[30:31]
.LBB111_42:                             ;   in Loop: Header=BB111_6 Depth=1
	s_or_b32 exec_lo, exec_lo, s7
	s_wait_loadcnt 0x3
	v_pk_mul_f32 v[54:55], v[54:55], v[48:49] op_sel:[0,1]
	s_wait_loadcnt 0x2
	v_pk_mul_f32 v[52:53], v[52:53], v[44:45] op_sel:[0,1]
	;; [unrolled: 2-line block ×3, first 2 shown]
	v_pk_fma_f32 v[56:57], v[32:33], v[48:49], v[54:55] op_sel_hi:[1,0,1]
	v_pk_fma_f32 v[32:33], v[32:33], v[48:49], v[54:55] neg_lo:[0,0,1] neg_hi:[0,0,1]
	v_pk_fma_f32 v[48:49], v[34:35], v[44:45], v[52:53] op_sel_hi:[1,0,1]
	v_pk_fma_f32 v[34:35], v[34:35], v[44:45], v[52:53] neg_lo:[0,0,1] neg_hi:[0,0,1]
	v_pk_fma_f32 v[44:45], v[36:37], v[42:43], v[50:51] op_sel_hi:[1,0,1]
	v_mov_b32_e32 v33, v57
	v_pk_fma_f32 v[36:37], v[36:37], v[42:43], v[50:51] neg_lo:[0,0,1] neg_hi:[0,0,1]
	v_mov_b32_e32 v35, v49
	s_delay_alu instid0(VALU_DEP_3) | instskip(SKIP_2) | instid1(VALU_DEP_2)
	v_pk_add_f32 v[24:25], v[24:25], v[32:33]
	s_wait_loadcnt 0x0
	v_pk_mul_f32 v[32:33], v[46:47], v[40:41] op_sel:[0,1]
	v_pk_add_f32 v[24:25], v[34:35], v[24:25]
	s_delay_alu instid0(VALU_DEP_2) | instskip(SKIP_2) | instid1(VALU_DEP_3)
	v_pk_fma_f32 v[34:35], v[38:39], v[40:41], v[32:33] op_sel_hi:[1,0,1]
	v_mov_b32_e32 v37, v45
	v_pk_fma_f32 v[32:33], v[38:39], v[40:41], v[32:33] neg_lo:[0,0,1] neg_hi:[0,0,1]
	v_mov_b32_e32 v33, v35
	s_delay_alu instid0(VALU_DEP_3) | instskip(NEXT) | instid1(VALU_DEP_1)
	v_pk_add_f32 v[24:25], v[36:37], v[24:25]
	v_pk_add_f32 v[24:25], v[32:33], v[24:25]
.LBB111_43:                             ;   in Loop: Header=BB111_6 Depth=1
	s_or_b32 exec_lo, exec_lo, s57
.LBB111_44:                             ;   in Loop: Header=BB111_6 Depth=1
	ds_store_2addr_b64 v93, v[24:25], v[30:31] offset1:32
	ds_store_2addr_b64 v93, v[28:29], v[26:27] offset0:64 offset1:96
	s_wait_storecnt 0x0
	s_wait_loadcnt_dscnt 0x0
	s_barrier_signal -1
	s_barrier_wait -1
	s_and_saveexec_b32 s7, s0
	s_cbranch_execz .LBB111_4
; %bb.45:                               ;   in Loop: Header=BB111_6 Depth=1
	ds_load_2addr_stride64_b64 v[24:27], v94 offset1:2
	ds_load_2addr_stride64_b64 v[28:31], v94 offset0:4 offset1:6
	ds_load_2addr_stride64_b64 v[32:35], v94 offset0:8 offset1:10
	s_wait_dscnt 0x2
	v_pk_add_f32 v[36:37], v[24:25], v[26:27]
	ds_load_2addr_stride64_b64 v[24:27], v94 offset0:12 offset1:14
	s_wait_dscnt 0x2
	v_pk_add_f32 v[28:29], v[36:37], v[28:29]
	s_delay_alu instid0(VALU_DEP_1) | instskip(SKIP_3) | instid1(VALU_DEP_1)
	v_pk_add_f32 v[36:37], v[28:29], v[30:31]
	ds_load_2addr_stride64_b64 v[28:31], v94 offset0:16 offset1:18
	s_wait_dscnt 0x2
	v_pk_add_f32 v[32:33], v[36:37], v[32:33]
	v_pk_add_f32 v[36:37], v[32:33], v[34:35]
	ds_load_2addr_stride64_b64 v[32:35], v94 offset0:20 offset1:22
	s_wait_dscnt 0x2
	v_pk_add_f32 v[24:25], v[36:37], v[24:25]
	s_delay_alu instid0(VALU_DEP_1) | instskip(SKIP_1) | instid1(VALU_DEP_1)
	v_pk_add_f32 v[24:25], v[24:25], v[26:27]
	s_wait_dscnt 0x1
	v_pk_add_f32 v[28:29], v[24:25], v[28:29]
	ds_load_2addr_stride64_b64 v[24:27], v94 offset0:24 offset1:26
	v_pk_add_f32 v[28:29], v[28:29], v[30:31]
	s_wait_dscnt 0x1
	s_delay_alu instid0(VALU_DEP_1) | instskip(SKIP_3) | instid1(VALU_DEP_1)
	v_pk_add_f32 v[32:33], v[28:29], v[32:33]
	ds_load_2addr_stride64_b64 v[28:31], v94 offset0:28 offset1:30
	v_pk_add_f32 v[32:33], v[32:33], v[34:35]
	s_wait_dscnt 0x1
	v_pk_add_f32 v[24:25], v[32:33], v[24:25]
	s_delay_alu instid0(VALU_DEP_1) | instskip(SKIP_1) | instid1(VALU_DEP_1)
	v_pk_add_f32 v[24:25], v[24:25], v[26:27]
	s_wait_dscnt 0x0
	v_pk_add_f32 v[24:25], v[24:25], v[28:29]
	s_delay_alu instid0(VALU_DEP_1)
	v_pk_add_f32 v[26:27], v[24:25], v[30:31]
	ds_store_b64 v94, v[26:27]
	s_and_b32 exec_lo, exec_lo, s2
	s_cbranch_execz .LBB111_4
; %bb.46:                               ;   in Loop: Header=BB111_6 Depth=1
	v_mov_b64_e32 v[24:25], s[26:27]
	v_mov_b64_e32 v[28:29], s[38:39]
	s_and_not1_b32 vcc_lo, exec_lo, s53
	s_delay_alu instid0(VALU_DEP_2) | instskip(NEXT) | instid1(VALU_DEP_1)
	v_pk_mul_f32 v[30:31], v[26:27], v[24:25] op_sel:[1,0]
	v_pk_fma_f32 v[24:25], v[26:27], v[28:29], v[30:31] op_sel_hi:[0,1,1] neg_lo:[0,0,1] neg_hi:[0,0,1]
	v_pk_fma_f32 v[28:29], v[26:27], v[28:29], v[30:31] op_sel_hi:[0,1,1]
	v_lshl_add_u64 v[26:27], v[12:13], 3, s[50:51]
	s_cbranch_vccnz .LBB111_3
; %bb.47:                               ;   in Loop: Header=BB111_6 Depth=1
	global_load_b64 v[30:31], v[26:27], off
	v_mov_b64_e32 v[32:33], s[18:19]
	v_mov_b64_e32 v[34:35], s[40:41]
	s_wait_loadcnt 0x0
	s_delay_alu instid0(VALU_DEP_2) | instskip(NEXT) | instid1(VALU_DEP_1)
	v_pk_mul_f32 v[32:33], v[32:33], v[30:31] op_sel:[0,1]
	v_pk_fma_f32 v[36:37], v[34:35], v[30:31], v[32:33] op_sel_hi:[1,0,1]
	v_mov_b32_e32 v25, v29
	v_pk_fma_f32 v[28:29], v[34:35], v[30:31], v[32:33] neg_lo:[0,0,1] neg_hi:[0,0,1]
	s_delay_alu instid0(VALU_DEP_3) | instskip(NEXT) | instid1(VALU_DEP_1)
	v_mov_b32_e32 v29, v37
	v_pk_add_f32 v[24:25], v[24:25], v[28:29]
	s_delay_alu instid0(VALU_DEP_1)
	v_mov_b32_e32 v29, v25
	s_branch .LBB111_3
.LBB111_48:
	s_sendmsg sendmsg(MSG_DEALLOC_VGPRS)
	s_endpgm
	.section	.rodata,"a",@progbits
	.p2align	6, 0x0
	.amdhsa_kernel _ZL20rocblas_gemvn_kernelILi32ELi16El19rocblas_complex_numIfES1_S1_EviiT3_lPKT2_lT1_lS5_lS6_lS2_lPT4_lS6_li
		.amdhsa_group_segment_fixed_size 16384
		.amdhsa_private_segment_fixed_size 0
		.amdhsa_kernarg_size 400
		.amdhsa_user_sgpr_count 2
		.amdhsa_user_sgpr_dispatch_ptr 0
		.amdhsa_user_sgpr_queue_ptr 0
		.amdhsa_user_sgpr_kernarg_segment_ptr 1
		.amdhsa_user_sgpr_dispatch_id 0
		.amdhsa_user_sgpr_kernarg_preload_length 0
		.amdhsa_user_sgpr_kernarg_preload_offset 0
		.amdhsa_user_sgpr_private_segment_size 0
		.amdhsa_wavefront_size32 1
		.amdhsa_uses_dynamic_stack 0
		.amdhsa_enable_private_segment 0
		.amdhsa_system_sgpr_workgroup_id_x 1
		.amdhsa_system_sgpr_workgroup_id_y 0
		.amdhsa_system_sgpr_workgroup_id_z 1
		.amdhsa_system_sgpr_workgroup_info 0
		.amdhsa_system_vgpr_workitem_id 1
		.amdhsa_next_free_vgpr 101
		.amdhsa_next_free_sgpr 61
		.amdhsa_named_barrier_count 0
		.amdhsa_reserve_vcc 1
		.amdhsa_float_round_mode_32 0
		.amdhsa_float_round_mode_16_64 0
		.amdhsa_float_denorm_mode_32 3
		.amdhsa_float_denorm_mode_16_64 3
		.amdhsa_fp16_overflow 0
		.amdhsa_memory_ordered 1
		.amdhsa_forward_progress 1
		.amdhsa_inst_pref_size 32
		.amdhsa_round_robin_scheduling 0
		.amdhsa_exception_fp_ieee_invalid_op 0
		.amdhsa_exception_fp_denorm_src 0
		.amdhsa_exception_fp_ieee_div_zero 0
		.amdhsa_exception_fp_ieee_overflow 0
		.amdhsa_exception_fp_ieee_underflow 0
		.amdhsa_exception_fp_ieee_inexact 0
		.amdhsa_exception_int_div_zero 0
	.end_amdhsa_kernel
	.section	.text._ZL20rocblas_gemvn_kernelILi32ELi16El19rocblas_complex_numIfES1_S1_EviiT3_lPKT2_lT1_lS5_lS6_lS2_lPT4_lS6_li,"axG",@progbits,_ZL20rocblas_gemvn_kernelILi32ELi16El19rocblas_complex_numIfES1_S1_EviiT3_lPKT2_lT1_lS5_lS6_lS2_lPT4_lS6_li,comdat
.Lfunc_end111:
	.size	_ZL20rocblas_gemvn_kernelILi32ELi16El19rocblas_complex_numIfES1_S1_EviiT3_lPKT2_lT1_lS5_lS6_lS2_lPT4_lS6_li, .Lfunc_end111-_ZL20rocblas_gemvn_kernelILi32ELi16El19rocblas_complex_numIfES1_S1_EviiT3_lPKT2_lT1_lS5_lS6_lS2_lPT4_lS6_li
                                        ; -- End function
	.set _ZL20rocblas_gemvn_kernelILi32ELi16El19rocblas_complex_numIfES1_S1_EviiT3_lPKT2_lT1_lS5_lS6_lS2_lPT4_lS6_li.num_vgpr, 101
	.set _ZL20rocblas_gemvn_kernelILi32ELi16El19rocblas_complex_numIfES1_S1_EviiT3_lPKT2_lT1_lS5_lS6_lS2_lPT4_lS6_li.num_agpr, 0
	.set _ZL20rocblas_gemvn_kernelILi32ELi16El19rocblas_complex_numIfES1_S1_EviiT3_lPKT2_lT1_lS5_lS6_lS2_lPT4_lS6_li.numbered_sgpr, 61
	.set _ZL20rocblas_gemvn_kernelILi32ELi16El19rocblas_complex_numIfES1_S1_EviiT3_lPKT2_lT1_lS5_lS6_lS2_lPT4_lS6_li.num_named_barrier, 0
	.set _ZL20rocblas_gemvn_kernelILi32ELi16El19rocblas_complex_numIfES1_S1_EviiT3_lPKT2_lT1_lS5_lS6_lS2_lPT4_lS6_li.private_seg_size, 0
	.set _ZL20rocblas_gemvn_kernelILi32ELi16El19rocblas_complex_numIfES1_S1_EviiT3_lPKT2_lT1_lS5_lS6_lS2_lPT4_lS6_li.uses_vcc, 1
	.set _ZL20rocblas_gemvn_kernelILi32ELi16El19rocblas_complex_numIfES1_S1_EviiT3_lPKT2_lT1_lS5_lS6_lS2_lPT4_lS6_li.uses_flat_scratch, 0
	.set _ZL20rocblas_gemvn_kernelILi32ELi16El19rocblas_complex_numIfES1_S1_EviiT3_lPKT2_lT1_lS5_lS6_lS2_lPT4_lS6_li.has_dyn_sized_stack, 0
	.set _ZL20rocblas_gemvn_kernelILi32ELi16El19rocblas_complex_numIfES1_S1_EviiT3_lPKT2_lT1_lS5_lS6_lS2_lPT4_lS6_li.has_recursion, 0
	.set _ZL20rocblas_gemvn_kernelILi32ELi16El19rocblas_complex_numIfES1_S1_EviiT3_lPKT2_lT1_lS5_lS6_lS2_lPT4_lS6_li.has_indirect_call, 0
	.section	.AMDGPU.csdata,"",@progbits
; Kernel info:
; codeLenInByte = 4060
; TotalNumSgprs: 63
; NumVgprs: 101
; ScratchSize: 0
; MemoryBound: 0
; FloatMode: 240
; IeeeMode: 1
; LDSByteSize: 16384 bytes/workgroup (compile time only)
; SGPRBlocks: 0
; VGPRBlocks: 6
; NumSGPRsForWavesPerEU: 63
; NumVGPRsForWavesPerEU: 101
; NamedBarCnt: 0
; Occupancy: 9
; WaveLimiterHint : 1
; COMPUTE_PGM_RSRC2:SCRATCH_EN: 0
; COMPUTE_PGM_RSRC2:USER_SGPR: 2
; COMPUTE_PGM_RSRC2:TRAP_HANDLER: 0
; COMPUTE_PGM_RSRC2:TGID_X_EN: 1
; COMPUTE_PGM_RSRC2:TGID_Y_EN: 0
; COMPUTE_PGM_RSRC2:TGID_Z_EN: 1
; COMPUTE_PGM_RSRC2:TIDIG_COMP_CNT: 1
	.section	.text._ZL20rocblas_gemvn_kernelILi64ELi16Ei19rocblas_complex_numIfEPKS1_S1_EviiT3_lPKT2_lT1_lS7_lS8_lS4_lPT4_lS8_li,"axG",@progbits,_ZL20rocblas_gemvn_kernelILi64ELi16Ei19rocblas_complex_numIfEPKS1_S1_EviiT3_lPKT2_lT1_lS7_lS8_lS4_lPT4_lS8_li,comdat
	.globl	_ZL20rocblas_gemvn_kernelILi64ELi16Ei19rocblas_complex_numIfEPKS1_S1_EviiT3_lPKT2_lT1_lS7_lS8_lS4_lPT4_lS8_li ; -- Begin function _ZL20rocblas_gemvn_kernelILi64ELi16Ei19rocblas_complex_numIfEPKS1_S1_EviiT3_lPKT2_lT1_lS7_lS8_lS4_lPT4_lS8_li
	.p2align	8
	.type	_ZL20rocblas_gemvn_kernelILi64ELi16Ei19rocblas_complex_numIfEPKS1_S1_EviiT3_lPKT2_lT1_lS7_lS8_lS4_lPT4_lS8_li,@function
_ZL20rocblas_gemvn_kernelILi64ELi16Ei19rocblas_complex_numIfEPKS1_S1_EviiT3_lPKT2_lT1_lS7_lS8_lS4_lPT4_lS8_li: ; @_ZL20rocblas_gemvn_kernelILi64ELi16Ei19rocblas_complex_numIfEPKS1_S1_EviiT3_lPKT2_lT1_lS7_lS8_lS4_lPT4_lS8_li
; %bb.0:
	s_load_b64 s[2:3], s[0:1], 0x9c
	s_wait_kmcnt 0x0
	s_lshr_b32 s4, s2, 16
	s_and_b32 s2, s2, 0xffff
	s_and_b32 s3, s3, 0xffff
	s_mul_i32 s2, s4, s2
	s_delay_alu instid0(SALU_CYCLE_1) | instskip(NEXT) | instid1(SALU_CYCLE_1)
	s_mul_i32 s2, s2, s3
	s_cmp_lg_u32 s2, 0x400
	s_cbranch_scc1 .LBB112_48
; %bb.1:
	s_load_b32 s11, s[0:1], 0x88
	s_bfe_u32 s2, ttmp6, 0x40014
	s_lshr_b32 s3, ttmp7, 16
	s_add_co_i32 s2, s2, 1
	s_bfe_u32 s5, ttmp6, 0x40008
	s_mul_i32 s4, s3, s2
	s_getreg_b32 s2, hwreg(HW_REG_IB_STS2, 6, 4)
	s_add_co_i32 s5, s5, s4
	s_cmp_eq_u32 s2, 0
	s_mov_b32 s35, 0
	s_cselect_b32 s34, s3, s5
	s_wait_kmcnt 0x0
	s_cmp_ge_u32 s34, s11
	s_cbranch_scc1 .LBB112_48
; %bb.2:
	s_clause 0x7
	s_load_b256 s[12:19], s[0:1], 0x8
	s_load_b96 s[8:10], s[0:1], 0x40
	s_load_b96 s[4:6], s[0:1], 0x70
	s_load_b64 s[36:37], s[0:1], 0x0
	s_load_b32 s33, s[0:1], 0x28
	s_load_b128 s[28:31], s[0:1], 0x30
	s_load_b256 s[20:27], s[0:1], 0x50
	s_load_b64 s[38:39], s[0:1], 0x80
	s_wait_xcnt 0x0
	s_bfe_u32 s0, ttmp6, 0x4000c
	v_and_b32_e32 v6, 0x3ff, v0
	s_add_co_i32 s0, s0, 1
	v_bfe_u32 v5, v0, 10, 10
	s_and_b32 s1, ttmp6, 15
	s_mul_i32 s0, ttmp9, s0
	s_delay_alu instid0(SALU_CYCLE_1) | instskip(NEXT) | instid1(VALU_DEP_1)
	s_add_co_i32 s7, s1, s0
	v_lshl_add_u32 v4, v5, 6, v6
	s_wait_kmcnt 0x0
	s_lshl_b64 s[0:1], s[18:19], 3
	s_lshl_b64 s[8:9], s[8:9], 3
	;; [unrolled: 1-line block ×3, first 2 shown]
	s_ashr_i32 s3, s6, 31
	s_cmp_eq_u32 s2, 0
	s_mov_b32 s2, s6
	s_cselect_b32 s7, ttmp9, s7
	s_mov_b32 s40, s36
	s_lshl_b32 s42, s7, 8
	s_delay_alu instid0(SALU_CYCLE_1)
	v_dual_mov_b32 v1, 0 :: v_dual_add_nc_u32 v0, s42, v4
	v_add_nc_u32_e32 v66, s42, v6
	s_ashr_i32 s41, s36, 31
	s_add_nc_u64 s[16:17], s[16:17], s[0:1]
	s_ashr_i32 s0, s37, 31
	v_mul_u64_e32 v[2:3], s[2:3], v[0:1]
	v_cmp_gt_i64_e32 vcc_lo, s[40:41], v[0:1]
	v_dual_lshlrev_b32 v0, 2, v5 :: v_dual_add_nc_u32 v7, 64, v66
	v_or_b32_e32 v9, s42, v4
	s_lshr_b32 s0, s0, 26
	v_mul_lo_u32 v13, v5, s10
	s_add_co_i32 s43, s37, s0
	v_add_nc_u32_e32 v8, 0x80, v66
	v_cmp_gt_i32_e64 s2, s36, v7
	v_add_nc_u32_e32 v7, 0xc0, v66
	s_and_not1_b32 s43, s43, 63
	s_add_nc_u64 s[26:27], s[26:27], s[4:5]
	s_sub_co_i32 s4, s37, s43
	v_cmp_gt_i32_e64 s3, s36, v8
	v_lshlrev_b32_e32 v8, 3, v6
	s_cmp_gt_i32 s4, 0
	v_cmp_gt_i32_e64 s4, s36, v7
	v_cmp_gt_u32_e64 s5, 0x100, v4
	v_mul_lo_u32 v4, s6, v9
	v_or_b32_e32 v7, 2, v0
	v_dual_lshlrev_b32 v76, 2, v13 :: v_dual_bitop2_b32 v10, 3, v0 bitop3:0x54
	v_mul_lo_u32 v11, s33, v0
	v_mul_lo_u32 v12, v5, s33
	s_delay_alu instid0(VALU_DEP_4) | instskip(NEXT) | instid1(VALU_DEP_4)
	v_mad_u32 v68, s33, v7, v6
	v_mad_u32 v69, s33, v10, v6
	;; [unrolled: 1-line block ×3, first 2 shown]
	v_mul_lo_u32 v71, s10, v7
	v_mul_lo_u32 v72, s10, v10
	v_cmp_gt_i32_e64 s0, s43, v0
	v_cmp_gt_i32_e64 s1, s36, v66
	v_lshl_add_u32 v67, v5, 11, v8
	v_lshl_add_u32 v73, v5, 9, v8
	v_cmp_gt_i32_e64 s6, s36, v9
	v_ashrrev_i32_e32 v5, 31, v4
	v_add3_u32 v74, v11, s33, v6
	v_lshl_add_u32 v75, v12, 2, v6
	s_add_nc_u64 s[18:19], s[30:31], s[8:9]
	s_cselect_b32 s44, -1, 0
	s_and_b32 s36, s5, vcc_lo
	s_lshl_b32 s45, s33, 6
	s_lshl_b32 s46, s10, 6
	s_branch .LBB112_6
.LBB112_3:                              ;   in Loop: Header=BB112_6 Depth=1
	s_delay_alu instid0(VALU_DEP_1)
	v_mov_b32_e32 v11, v13
	global_store_b64 v[8:9], v[10:11], off
.LBB112_4:                              ;   in Loop: Header=BB112_6 Depth=1
	s_wait_xcnt 0x0
	s_or_b32 exec_lo, exec_lo, s30
.LBB112_5:                              ;   in Loop: Header=BB112_6 Depth=1
	s_add_co_i32 s34, s34, 0x10000
	s_delay_alu instid0(SALU_CYCLE_1)
	s_cmp_lt_u32 s34, s11
	s_cbranch_scc0 .LBB112_48
.LBB112_6:                              ; =>This Loop Header: Depth=1
                                        ;     Child Loop BB112_20 Depth 2
	s_mul_u64 s[8:9], s[14:15], s[34:35]
	s_wait_xcnt 0x0
	s_mul_u64 s[30:31], s[24:25], s[34:35]
	s_lshl_b64 s[8:9], s[8:9], 3
	s_lshl_b64 s[30:31], s[30:31], 3
	s_add_nc_u64 s[8:9], s[12:13], s[8:9]
	s_add_nc_u64 s[30:31], s[22:23], s[30:31]
	s_clause 0x1
	global_load_b64 v[8:9], v1, s[8:9]
	global_load_b64 v[6:7], v1, s[30:31]
	s_wait_loadcnt 0x1
	v_cmp_eq_f32_e32 vcc_lo, 0, v8
	v_cmp_eq_f32_e64 s7, 0, v9
	s_wait_loadcnt 0x0
	s_wait_xcnt 0x1
	v_cmp_eq_f32_e64 s8, 1.0, v6
	v_cmp_eq_f32_e64 s9, 0, v7
	s_and_b32 s7, vcc_lo, s7
	s_and_b32 s8, s8, s9
	s_delay_alu instid0(SALU_CYCLE_1) | instskip(NEXT) | instid1(SALU_CYCLE_1)
	s_and_b32 s7, s7, s8
	s_and_b32 vcc_lo, exec_lo, s7
	s_cbranch_vccnz .LBB112_5
; %bb.7:                                ;   in Loop: Header=BB112_6 Depth=1
	v_or_b32_e32 v10, v8, v9
	s_mul_u64 s[8:9], s[38:39], s[34:35]
	s_mov_b32 s7, -1
	s_lshl_b64 s[8:9], s[8:9], 3
	s_delay_alu instid0(SALU_CYCLE_1) | instskip(SKIP_1) | instid1(VALU_DEP_1)
	s_add_nc_u64 s[8:9], s[26:27], s[8:9]
	v_and_b32_e32 v10, 0x7fffffff, v10
	v_cmp_ne_u32_e32 vcc_lo, 0, v10
	s_cbranch_vccnz .LBB112_13
; %bb.8:                                ;   in Loop: Header=BB112_6 Depth=1
	s_wait_xcnt 0x0
	s_and_saveexec_b32 s30, s36
	s_cbranch_execz .LBB112_12
; %bb.9:                                ;   in Loop: Header=BB112_6 Depth=1
	v_cmp_neq_f32_e32 vcc_lo, 0, v6
	v_cmp_neq_f32_e64 s7, 0, v7
	v_dual_mov_b32 v12, 0 :: v_dual_mov_b32 v13, 0
	v_lshl_add_u64 v[10:11], v[2:3], 3, s[8:9]
	s_or_b32 s7, vcc_lo, s7
	s_delay_alu instid0(SALU_CYCLE_1)
	s_and_not1_b32 vcc_lo, exec_lo, s7
	s_cbranch_vccnz .LBB112_11
; %bb.10:                               ;   in Loop: Header=BB112_6 Depth=1
	global_load_b64 v[12:13], v[10:11], off
	s_wait_loadcnt 0x0
	v_pk_mul_f32 v[14:15], v[6:7], v[12:13] op_sel:[1,1] op_sel_hi:[0,1]
	s_delay_alu instid0(VALU_DEP_1) | instskip(SKIP_1) | instid1(VALU_DEP_2)
	v_pk_fma_f32 v[16:17], v[6:7], v[12:13], v[14:15] op_sel_hi:[1,0,1]
	v_pk_fma_f32 v[12:13], v[6:7], v[12:13], v[14:15] neg_lo:[0,0,1] neg_hi:[0,0,1]
	v_mov_b32_e32 v13, v17
.LBB112_11:                             ;   in Loop: Header=BB112_6 Depth=1
	global_store_b64 v[10:11], v[12:13], off
.LBB112_12:                             ;   in Loop: Header=BB112_6 Depth=1
	s_wait_xcnt 0x0
	s_or_b32 exec_lo, exec_lo, s30
	s_mov_b32 s7, 0
.LBB112_13:                             ;   in Loop: Header=BB112_6 Depth=1
	s_delay_alu instid0(SALU_CYCLE_1)
	s_and_not1_b32 vcc_lo, exec_lo, s7
	s_cbranch_vccnz .LBB112_5
; %bb.14:                               ;   in Loop: Header=BB112_6 Depth=1
	v_mov_b64_e32 v[12:13], 0
	v_mov_b64_e32 v[14:15], 0
	;; [unrolled: 1-line block ×4, first 2 shown]
	s_wait_xcnt 0x0
	s_mul_u64 s[30:31], s[28:29], s[34:35]
	s_mul_u64 s[40:41], s[20:21], s[34:35]
	v_mov_b32_e32 v62, v0
	s_lshl_b64 s[30:31], s[30:31], 3
	s_lshl_b64 s[40:41], s[40:41], 3
	s_add_nc_u64 s[30:31], s[16:17], s[30:31]
	s_add_nc_u64 s[40:41], s[18:19], s[40:41]
	s_and_saveexec_b32 s7, s0
	s_cbranch_execz .LBB112_26
; %bb.15:                               ;   in Loop: Header=BB112_6 Depth=1
	v_mov_b64_e32 v[10:11], 0
	v_mov_b64_e32 v[16:17], 0
	v_mov_b64_e32 v[14:15], 0
	v_mov_b64_e32 v[12:13], 0
	v_dual_mov_b32 v63, v75 :: v_dual_mov_b32 v64, v69
	v_dual_mov_b32 v65, v68 :: v_dual_mov_b32 v77, v74
	v_mov_b32_e32 v62, v0
	s_mov_b32 s47, 0
	s_mov_b32 s48, 0
	s_branch .LBB112_20
.LBB112_16:                             ;   in Loop: Header=BB112_20 Depth=2
	s_or_b32 exec_lo, exec_lo, s52
	s_wait_loadcnt 0x3
	v_dual_mul_f32 v54, v29, v53 :: v_dual_mul_f32 v55, v28, v53
	s_wait_loadcnt 0x2
	v_dual_mul_f32 v58, v27, v51 :: v_dual_mul_f32 v53, v26, v51
	s_wait_loadcnt 0x1
	v_pk_mul_f32 v[56:57], v[44:45], v[48:49] op_sel:[0,1]
	v_dual_fma_f32 v54, v28, v52, -v54 :: v_dual_fmac_f32 v55, v29, v52
	s_delay_alu instid0(VALU_DEP_3) | instskip(NEXT) | instid1(VALU_DEP_3)
	v_dual_fma_f32 v52, v26, v50, -v58 :: v_dual_fmac_f32 v53, v27, v50
	v_pk_fma_f32 v[50:51], v[20:21], v[48:49], v[56:57] op_sel_hi:[1,0,1]
	v_pk_fma_f32 v[48:49], v[20:21], v[48:49], v[56:57] neg_lo:[0,0,1] neg_hi:[0,0,1]
	s_delay_alu instid0(VALU_DEP_4) | instskip(SKIP_3) | instid1(VALU_DEP_3)
	v_pk_add_f32 v[14:15], v[14:15], v[54:55]
	s_wait_loadcnt 0x0
	v_pk_mul_f32 v[54:55], v[38:39], v[46:47] op_sel:[0,1]
	v_mov_b32_e32 v49, v51
	v_pk_add_f32 v[14:15], v[52:53], v[14:15]
	s_delay_alu instid0(VALU_DEP_3) | instskip(SKIP_1) | instid1(VALU_DEP_2)
	v_pk_fma_f32 v[50:51], v[18:19], v[46:47], v[54:55] op_sel_hi:[1,0,1]
	v_pk_fma_f32 v[46:47], v[18:19], v[46:47], v[54:55] neg_lo:[0,0,1] neg_hi:[0,0,1]
	v_mov_b32_e32 v47, v51
	s_delay_alu instid0(VALU_DEP_4) | instskip(NEXT) | instid1(VALU_DEP_1)
	v_pk_add_f32 v[14:15], v[48:49], v[14:15]
	v_pk_add_f32 v[14:15], v[46:47], v[14:15]
.LBB112_17:                             ;   in Loop: Header=BB112_20 Depth=2
	s_or_b32 exec_lo, exec_lo, s51
	s_wait_loadcnt 0x3
	v_dual_mul_f32 v46, v29, v43 :: v_dual_mul_f32 v47, v28, v43
	s_wait_loadcnt 0x2
	v_dual_mul_f32 v48, v27, v41 :: v_dual_mul_f32 v43, v26, v41
	s_wait_loadcnt 0x1
	v_pk_mul_f32 v[44:45], v[44:45], v[36:37] op_sel:[0,1]
	v_dual_fma_f32 v46, v28, v42, -v46 :: v_dual_fmac_f32 v47, v29, v42
	s_delay_alu instid0(VALU_DEP_3) | instskip(NEXT) | instid1(VALU_DEP_3)
	v_dual_fma_f32 v42, v26, v40, -v48 :: v_dual_fmac_f32 v43, v27, v40
	v_pk_fma_f32 v[40:41], v[20:21], v[36:37], v[44:45] op_sel_hi:[1,0,1]
	s_wait_loadcnt 0x0
	v_pk_mul_f32 v[38:39], v[38:39], v[34:35] op_sel:[0,1]
	v_pk_add_f32 v[16:17], v[16:17], v[46:47]
	v_pk_fma_f32 v[36:37], v[20:21], v[36:37], v[44:45] neg_lo:[0,0,1] neg_hi:[0,0,1]
	v_mov_b32_e32 v37, v41
	s_delay_alu instid0(VALU_DEP_4) | instskip(NEXT) | instid1(VALU_DEP_4)
	v_pk_fma_f32 v[40:41], v[18:19], v[34:35], v[38:39] op_sel_hi:[1,0,1]
	v_pk_add_f32 v[16:17], v[42:43], v[16:17]
	v_pk_fma_f32 v[34:35], v[18:19], v[34:35], v[38:39] neg_lo:[0,0,1] neg_hi:[0,0,1]
	s_delay_alu instid0(VALU_DEP_3) | instskip(NEXT) | instid1(VALU_DEP_3)
	v_mov_b32_e32 v35, v41
	v_pk_add_f32 v[16:17], v[36:37], v[16:17]
	s_delay_alu instid0(VALU_DEP_1)
	v_pk_add_f32 v[16:17], v[34:35], v[16:17]
.LBB112_18:                             ;   in Loop: Header=BB112_20 Depth=2
	s_or_b32 exec_lo, exec_lo, s50
	s_wait_loadcnt 0x3
	v_dual_mul_f32 v34, v29, v33 :: v_dual_mul_f32 v35, v28, v33
	s_wait_loadcnt 0x2
	v_dual_mul_f32 v38, v27, v31 :: v_dual_mul_f32 v33, v26, v31
	s_wait_loadcnt 0x1
	v_pk_mul_f32 v[36:37], v[20:21], v[24:25] op_sel:[1,1] op_sel_hi:[0,1]
	v_dual_fma_f32 v34, v28, v32, -v34 :: v_dual_fmac_f32 v35, v29, v32
	s_delay_alu instid0(VALU_DEP_3) | instskip(NEXT) | instid1(VALU_DEP_3)
	v_dual_fma_f32 v32, v26, v30, -v38 :: v_dual_fmac_f32 v33, v27, v30
	v_pk_fma_f32 v[26:27], v[20:21], v[24:25], v[36:37] op_sel_hi:[1,0,1]
	s_wait_loadcnt 0x0
	v_pk_mul_f32 v[28:29], v[18:19], v[22:23] op_sel:[1,1] op_sel_hi:[0,1]
	v_pk_add_f32 v[10:11], v[10:11], v[34:35]
	v_pk_fma_f32 v[20:21], v[20:21], v[24:25], v[36:37] neg_lo:[0,0,1] neg_hi:[0,0,1]
	s_delay_alu instid0(VALU_DEP_3) | instskip(SKIP_1) | instid1(VALU_DEP_4)
	v_pk_fma_f32 v[24:25], v[18:19], v[22:23], v[28:29] op_sel_hi:[1,0,1]
	v_mov_b32_e32 v21, v27
	v_pk_add_f32 v[10:11], v[32:33], v[10:11]
	v_pk_fma_f32 v[18:19], v[18:19], v[22:23], v[28:29] neg_lo:[0,0,1] neg_hi:[0,0,1]
	s_delay_alu instid0(VALU_DEP_4) | instskip(NEXT) | instid1(VALU_DEP_3)
	v_mov_b32_e32 v19, v25
	v_pk_add_f32 v[10:11], v[20:21], v[10:11]
	s_delay_alu instid0(VALU_DEP_1)
	v_pk_add_f32 v[10:11], v[18:19], v[10:11]
.LBB112_19:                             ;   in Loop: Header=BB112_20 Depth=2
	s_or_b32 exec_lo, exec_lo, s49
	v_dual_add_nc_u32 v62, 64, v62 :: v_dual_add_nc_u32 v77, s45, v77
	v_dual_add_nc_u32 v65, s45, v65 :: v_dual_add_nc_u32 v64, s45, v64
	v_add_nc_u32_e32 v63, s45, v63
	s_delay_alu instid0(VALU_DEP_3) | instskip(SKIP_2) | instid1(SALU_CYCLE_1)
	v_cmp_le_i32_e32 vcc_lo, s43, v62
	s_add_co_i32 s48, s48, s46
	s_or_b32 s47, vcc_lo, s47
	s_and_not1_b32 exec_lo, exec_lo, s47
	s_cbranch_execz .LBB112_25
.LBB112_20:                             ;   Parent Loop BB112_6 Depth=1
                                        ; =>  This Inner Loop Header: Depth=2
	s_and_saveexec_b32 s49, s1
	s_cbranch_execz .LBB112_19
; %bb.21:                               ;   in Loop: Header=BB112_20 Depth=2
	v_dual_add_nc_u32 v35, s48, v76 :: v_dual_add_nc_u32 v37, s48, v70
	v_dual_add_nc_u32 v39, s48, v71 :: v_dual_add_nc_u32 v41, s48, v72
	;; [unrolled: 1-line block ×4, first 2 shown]
	s_clause 0x3
	global_load_b64 v[28:29], v35, s[40:41] scale_offset
	global_load_b64 v[26:27], v37, s[40:41] scale_offset
	;; [unrolled: 1-line block ×4, first 2 shown]
	s_clause 0x3
	global_load_b64 v[32:33], v34, s[30:31] scale_offset
	global_load_b64 v[30:31], v36, s[30:31] scale_offset
	;; [unrolled: 1-line block ×4, first 2 shown]
	s_wait_xcnt 0x0
	s_and_saveexec_b32 s50, s2
	s_cbranch_execz .LBB112_18
; %bb.22:                               ;   in Loop: Header=BB112_20 Depth=2
	v_dual_ashrrev_i32 v35, 31, v34 :: v_dual_ashrrev_i32 v37, 31, v36
	v_dual_ashrrev_i32 v41, 31, v40 :: v_dual_ashrrev_i32 v39, 31, v38
	s_wait_loadcnt 0x5
	v_dual_mov_b32 v44, v21 :: v_dual_mov_b32 v45, v20
	s_delay_alu instid0(VALU_DEP_3)
	v_lshl_add_u64 v[60:61], v[34:35], 3, s[30:31]
	v_lshl_add_u64 v[58:59], v[36:37], 3, s[30:31]
	;; [unrolled: 1-line block ×4, first 2 shown]
	s_clause 0x3
	global_load_b64 v[42:43], v[60:61], off offset:512
	global_load_b64 v[40:41], v[58:59], off offset:512
	;; [unrolled: 1-line block ×4, first 2 shown]
	s_wait_loadcnt 0x8
	v_dual_mov_b32 v38, v19 :: v_dual_mov_b32 v39, v18
	s_wait_xcnt 0x0
	s_and_saveexec_b32 s51, s3
	s_cbranch_execz .LBB112_17
; %bb.23:                               ;   in Loop: Header=BB112_20 Depth=2
	s_clause 0x3
	global_load_b64 v[52:53], v[60:61], off offset:1024
	global_load_b64 v[50:51], v[58:59], off offset:1024
	;; [unrolled: 1-line block ×4, first 2 shown]
	s_wait_xcnt 0x0
	s_and_saveexec_b32 s52, s4
	s_cbranch_execz .LBB112_16
; %bb.24:                               ;   in Loop: Header=BB112_20 Depth=2
	s_clause 0x3
	global_load_b64 v[60:61], v[60:61], off offset:1536
	global_load_b64 v[58:59], v[58:59], off offset:1536
	;; [unrolled: 1-line block ×4, first 2 shown]
	s_wait_loadcnt 0x3
	v_dual_mul_f32 v78, v29, v61 :: v_dual_mul_f32 v79, v28, v61
	s_wait_loadcnt 0x2
	s_wait_xcnt 0x3
	v_dual_mul_f32 v82, v27, v59 :: v_dual_mul_f32 v61, v26, v59
	s_wait_loadcnt 0x1
	v_pk_mul_f32 v[80:81], v[44:45], v[54:55] op_sel:[0,1]
	v_dual_fma_f32 v78, v28, v60, -v78 :: v_dual_fmac_f32 v79, v29, v60
	s_delay_alu instid0(VALU_DEP_3) | instskip(SKIP_1) | instid1(VALU_DEP_3)
	v_dual_fma_f32 v60, v26, v58, -v82 :: v_dual_fmac_f32 v61, v27, v58
	s_wait_xcnt 0x2
	v_pk_fma_f32 v[58:59], v[20:21], v[54:55], v[80:81] op_sel_hi:[1,0,1]
	s_wait_xcnt 0x1
	v_pk_fma_f32 v[54:55], v[20:21], v[54:55], v[80:81] neg_lo:[0,0,1] neg_hi:[0,0,1]
	v_pk_add_f32 v[12:13], v[12:13], v[78:79]
	s_wait_loadcnt 0x0
	v_pk_mul_f32 v[78:79], v[38:39], v[56:57] op_sel:[0,1]
	v_mov_b32_e32 v55, v59
	s_delay_alu instid0(VALU_DEP_3) | instskip(NEXT) | instid1(VALU_DEP_3)
	v_pk_add_f32 v[12:13], v[60:61], v[12:13]
	v_pk_fma_f32 v[58:59], v[18:19], v[56:57], v[78:79] op_sel_hi:[1,0,1]
	s_wait_xcnt 0x0
	v_pk_fma_f32 v[56:57], v[18:19], v[56:57], v[78:79] neg_lo:[0,0,1] neg_hi:[0,0,1]
	s_delay_alu instid0(VALU_DEP_2) | instskip(SKIP_1) | instid1(VALU_DEP_1)
	v_mov_b32_e32 v57, v59
	v_pk_add_f32 v[12:13], v[54:55], v[12:13]
	v_pk_add_f32 v[12:13], v[56:57], v[12:13]
	s_branch .LBB112_16
.LBB112_25:                             ;   in Loop: Header=BB112_6 Depth=1
	s_or_b32 exec_lo, exec_lo, s47
.LBB112_26:                             ;   in Loop: Header=BB112_6 Depth=1
	s_delay_alu instid0(SALU_CYCLE_1) | instskip(NEXT) | instid1(SALU_CYCLE_1)
	s_or_b32 exec_lo, exec_lo, s7
	s_and_not1_b32 vcc_lo, exec_lo, s44
	s_cbranch_vccnz .LBB112_44
; %bb.27:                               ;   in Loop: Header=BB112_6 Depth=1
	v_dual_mov_b32 v20, 0 :: v_dual_bitop2_b32 v26, 1, v62 bitop3:0x54
	v_cmp_gt_i32_e32 vcc_lo, s37, v62
	s_delay_alu instid0(VALU_DEP_2)
	v_dual_mov_b32 v21, v20 :: v_dual_mov_b32 v18, v20
	v_dual_mov_b32 v19, v20 :: v_dual_mov_b32 v22, v20
	;; [unrolled: 1-line block ×3, first 2 shown]
	v_mov_b32_e32 v25, v20
	s_and_saveexec_b32 s47, vcc_lo
	s_cbranch_execz .LBB112_35
; %bb.28:                               ;   in Loop: Header=BB112_6 Depth=1
	v_mul_lo_u32 v18, v62, s10
	v_dual_mov_b32 v23, 0 :: v_dual_mov_b32 v22, 0
	v_dual_mov_b32 v19, 0 :: v_dual_mov_b32 v21, 0
	v_mov_b32_e32 v20, 0
	s_mov_b32 s48, exec_lo
	global_load_b64 v[24:25], v18, s[40:41] scale_offset
	s_wait_xcnt 0x0
	v_mov_b32_e32 v18, 0
	v_cmpx_gt_i32_e64 s37, v26
	s_cbranch_execz .LBB112_34
; %bb.29:                               ;   in Loop: Header=BB112_6 Depth=1
	v_mul_lo_u32 v18, v26, s10
	v_dual_mov_b32 v19, 0 :: v_dual_bitop2_b32 v27, 2, v62 bitop3:0x54
	v_mov_b32_e32 v20, 0
	s_mov_b32 s49, exec_lo
	v_mov_b32_e32 v21, 0
	global_load_b64 v[22:23], v18, s[40:41] scale_offset
	s_wait_xcnt 0x0
	v_mov_b32_e32 v18, 0
	v_cmpx_gt_i32_e64 s37, v27
	s_cbranch_execz .LBB112_33
; %bb.30:                               ;   in Loop: Header=BB112_6 Depth=1
	v_mul_lo_u32 v18, v27, s10
	v_dual_mov_b32 v21, 0 :: v_dual_bitop2_b32 v27, 3, v62 bitop3:0x54
	v_mov_b32_e32 v20, 0
	s_mov_b32 s50, exec_lo
	global_load_b64 v[18:19], v18, s[40:41] scale_offset
	s_wait_xcnt 0x0
	v_cmpx_gt_i32_e64 s37, v27
	s_cbranch_execz .LBB112_32
; %bb.31:                               ;   in Loop: Header=BB112_6 Depth=1
	v_mul_lo_u32 v20, v27, s10
	global_load_b64 v[20:21], v20, s[40:41] scale_offset
.LBB112_32:                             ;   in Loop: Header=BB112_6 Depth=1
	s_wait_xcnt 0x0
	s_or_b32 exec_lo, exec_lo, s50
.LBB112_33:                             ;   in Loop: Header=BB112_6 Depth=1
	s_delay_alu instid0(SALU_CYCLE_1)
	s_or_b32 exec_lo, exec_lo, s49
.LBB112_34:                             ;   in Loop: Header=BB112_6 Depth=1
	s_delay_alu instid0(SALU_CYCLE_1)
	s_or_b32 exec_lo, exec_lo, s48
.LBB112_35:                             ;   in Loop: Header=BB112_6 Depth=1
	s_delay_alu instid0(SALU_CYCLE_1)
	s_or_b32 exec_lo, exec_lo, s47
	s_and_saveexec_b32 s7, s1
	s_cbranch_execz .LBB112_43
; %bb.36:                               ;   in Loop: Header=BB112_6 Depth=1
	v_mul_lo_u32 v28, v62, s33
	v_or_b32_e32 v27, 2, v62
	v_mul_lo_u32 v30, v26, s33
	s_wait_loadcnt 0x0
	v_dual_mov_b32 v40, v25 :: v_dual_mov_b32 v41, v24
	v_dual_mov_b32 v38, v23 :: v_dual_mov_b32 v39, v22
	;; [unrolled: 1-line block ×3, first 2 shown]
	v_dual_mov_b32 v33, v20 :: v_dual_cndmask_b32 v28, 0, v28
	v_mul_lo_u32 v31, v27, s33
	v_cmp_gt_i32_e32 vcc_lo, s37, v26
	v_cndmask_b32_e32 v26, 0, v30, vcc_lo
	v_cmp_gt_i32_e32 vcc_lo, s37, v27
	s_delay_alu instid0(VALU_DEP_4) | instskip(NEXT) | instid1(VALU_DEP_1)
	v_dual_cndmask_b32 v27, 0, v31, vcc_lo :: v_dual_bitop2_b32 v29, 3, v62 bitop3:0x54
	v_mul_lo_u32 v32, v29, s33
	v_cmp_gt_i32_e32 vcc_lo, s37, v29
	s_delay_alu instid0(VALU_DEP_2) | instskip(NEXT) | instid1(VALU_DEP_4)
	v_dual_cndmask_b32 v29, 0, v32 :: v_dual_add_nc_u32 v44, v28, v66
	v_dual_add_nc_u32 v46, v26, v66 :: v_dual_add_nc_u32 v48, v27, v66
	v_mov_b32_e32 v32, v21
	s_delay_alu instid0(VALU_DEP_3)
	v_add_nc_u32_e32 v42, v29, v66
	s_clause 0x3
	global_load_b64 v[34:35], v44, s[30:31] scale_offset
	global_load_b64 v[30:31], v46, s[30:31] scale_offset
	;; [unrolled: 1-line block ×4, first 2 shown]
	s_wait_xcnt 0x0
	s_and_saveexec_b32 s40, s2
	s_cbranch_execz .LBB112_42
; %bb.37:                               ;   in Loop: Header=BB112_6 Depth=1
	v_dual_ashrrev_i32 v45, 31, v44 :: v_dual_ashrrev_i32 v47, 31, v46
	v_dual_ashrrev_i32 v49, 31, v48 :: v_dual_ashrrev_i32 v43, 31, v42
	s_delay_alu instid0(VALU_DEP_2) | instskip(NEXT) | instid1(VALU_DEP_3)
	v_lshl_add_u64 v[58:59], v[44:45], 3, s[30:31]
	v_lshl_add_u64 v[60:61], v[46:47], 3, s[30:31]
	s_delay_alu instid0(VALU_DEP_3) | instskip(NEXT) | instid1(VALU_DEP_4)
	v_lshl_add_u64 v[62:63], v[48:49], 3, s[30:31]
	v_lshl_add_u64 v[64:65], v[42:43], 3, s[30:31]
	s_clause 0x3
	global_load_b64 v[48:49], v[58:59], off offset:512
	global_load_b64 v[46:47], v[60:61], off offset:512
	;; [unrolled: 1-line block ×4, first 2 shown]
	s_wait_xcnt 0x0
	s_and_saveexec_b32 s30, s3
	s_cbranch_execz .LBB112_41
; %bb.38:                               ;   in Loop: Header=BB112_6 Depth=1
	s_clause 0x3
	global_load_b64 v[56:57], v[58:59], off offset:1024
	global_load_b64 v[54:55], v[60:61], off offset:1024
	;; [unrolled: 1-line block ×4, first 2 shown]
	s_wait_xcnt 0x0
	s_and_saveexec_b32 s31, s4
	s_cbranch_execz .LBB112_40
; %bb.39:                               ;   in Loop: Header=BB112_6 Depth=1
	s_clause 0x3
	global_load_b64 v[58:59], v[58:59], off offset:1536
	global_load_b64 v[60:61], v[60:61], off offset:1536
	;; [unrolled: 1-line block ×4, first 2 shown]
	s_wait_loadcnt 0x3
	v_pk_mul_f32 v[78:79], v[40:41], v[58:59] op_sel:[0,1]
	s_wait_loadcnt 0x2
	v_pk_mul_f32 v[80:81], v[38:39], v[60:61] op_sel:[0,1]
	s_wait_loadcnt 0x1
	v_pk_mul_f32 v[84:85], v[36:37], v[62:63] op_sel:[0,1]
	v_pk_fma_f32 v[82:83], v[24:25], v[58:59], v[78:79] op_sel_hi:[1,0,1]
	s_wait_xcnt 0x3
	v_pk_fma_f32 v[58:59], v[24:25], v[58:59], v[78:79] neg_lo:[0,0,1] neg_hi:[0,0,1]
	v_pk_fma_f32 v[78:79], v[22:23], v[60:61], v[80:81] op_sel_hi:[1,0,1]
	s_wait_xcnt 0x2
	v_pk_fma_f32 v[60:61], v[22:23], v[60:61], v[80:81] neg_lo:[0,0,1] neg_hi:[0,0,1]
	v_pk_fma_f32 v[80:81], v[18:19], v[62:63], v[84:85] op_sel_hi:[1,0,1]
	v_mov_b32_e32 v59, v83
	s_wait_xcnt 0x1
	v_pk_fma_f32 v[62:63], v[18:19], v[62:63], v[84:85] neg_lo:[0,0,1] neg_hi:[0,0,1]
	v_mov_b32_e32 v61, v79
	s_delay_alu instid0(VALU_DEP_3) | instskip(SKIP_2) | instid1(VALU_DEP_2)
	v_pk_add_f32 v[12:13], v[12:13], v[58:59]
	s_wait_loadcnt 0x0
	v_pk_mul_f32 v[58:59], v[32:33], v[64:65] op_sel:[0,1]
	v_pk_add_f32 v[12:13], v[60:61], v[12:13]
	s_delay_alu instid0(VALU_DEP_2) | instskip(SKIP_2) | instid1(VALU_DEP_3)
	v_pk_fma_f32 v[60:61], v[20:21], v[64:65], v[58:59] op_sel_hi:[1,0,1]
	v_mov_b32_e32 v63, v81
	v_pk_fma_f32 v[58:59], v[20:21], v[64:65], v[58:59] neg_lo:[0,0,1] neg_hi:[0,0,1]
	v_mov_b32_e32 v59, v61
	s_delay_alu instid0(VALU_DEP_3) | instskip(NEXT) | instid1(VALU_DEP_1)
	v_pk_add_f32 v[12:13], v[62:63], v[12:13]
	v_pk_add_f32 v[12:13], v[58:59], v[12:13]
.LBB112_40:                             ;   in Loop: Header=BB112_6 Depth=1
	s_wait_xcnt 0x0
	s_or_b32 exec_lo, exec_lo, s31
	s_wait_loadcnt 0x3
	v_pk_mul_f32 v[58:59], v[40:41], v[56:57] op_sel:[0,1]
	s_wait_loadcnt 0x2
	v_pk_mul_f32 v[60:61], v[38:39], v[54:55] op_sel:[0,1]
	;; [unrolled: 2-line block ×3, first 2 shown]
	v_pk_fma_f32 v[62:63], v[24:25], v[56:57], v[58:59] op_sel_hi:[1,0,1]
	v_pk_fma_f32 v[56:57], v[24:25], v[56:57], v[58:59] neg_lo:[0,0,1] neg_hi:[0,0,1]
	v_pk_fma_f32 v[58:59], v[22:23], v[54:55], v[60:61] op_sel_hi:[1,0,1]
	v_pk_fma_f32 v[54:55], v[22:23], v[54:55], v[60:61] neg_lo:[0,0,1] neg_hi:[0,0,1]
	v_pk_fma_f32 v[60:61], v[18:19], v[52:53], v[64:65] op_sel_hi:[1,0,1]
	v_mov_b32_e32 v57, v63
	v_pk_fma_f32 v[52:53], v[18:19], v[52:53], v[64:65] neg_lo:[0,0,1] neg_hi:[0,0,1]
	v_mov_b32_e32 v55, v59
	s_delay_alu instid0(VALU_DEP_3) | instskip(SKIP_2) | instid1(VALU_DEP_2)
	v_pk_add_f32 v[14:15], v[14:15], v[56:57]
	s_wait_loadcnt 0x0
	v_pk_mul_f32 v[56:57], v[32:33], v[50:51] op_sel:[0,1]
	v_pk_add_f32 v[14:15], v[54:55], v[14:15]
	s_delay_alu instid0(VALU_DEP_2) | instskip(SKIP_2) | instid1(VALU_DEP_3)
	v_pk_fma_f32 v[54:55], v[20:21], v[50:51], v[56:57] op_sel_hi:[1,0,1]
	v_mov_b32_e32 v53, v61
	v_pk_fma_f32 v[50:51], v[20:21], v[50:51], v[56:57] neg_lo:[0,0,1] neg_hi:[0,0,1]
	v_mov_b32_e32 v51, v55
	s_delay_alu instid0(VALU_DEP_3) | instskip(NEXT) | instid1(VALU_DEP_1)
	v_pk_add_f32 v[14:15], v[52:53], v[14:15]
	v_pk_add_f32 v[14:15], v[50:51], v[14:15]
.LBB112_41:                             ;   in Loop: Header=BB112_6 Depth=1
	s_or_b32 exec_lo, exec_lo, s30
	s_wait_loadcnt 0x3
	v_pk_mul_f32 v[50:51], v[40:41], v[48:49] op_sel:[0,1]
	s_wait_loadcnt 0x2
	v_pk_mul_f32 v[52:53], v[38:39], v[46:47] op_sel:[0,1]
	;; [unrolled: 2-line block ×3, first 2 shown]
	v_pk_fma_f32 v[54:55], v[24:25], v[48:49], v[50:51] op_sel_hi:[1,0,1]
	v_pk_fma_f32 v[48:49], v[24:25], v[48:49], v[50:51] neg_lo:[0,0,1] neg_hi:[0,0,1]
	v_pk_fma_f32 v[50:51], v[22:23], v[46:47], v[52:53] op_sel_hi:[1,0,1]
	v_pk_fma_f32 v[46:47], v[22:23], v[46:47], v[52:53] neg_lo:[0,0,1] neg_hi:[0,0,1]
	v_pk_fma_f32 v[52:53], v[18:19], v[44:45], v[56:57] op_sel_hi:[1,0,1]
	v_mov_b32_e32 v49, v55
	v_pk_fma_f32 v[44:45], v[18:19], v[44:45], v[56:57] neg_lo:[0,0,1] neg_hi:[0,0,1]
	v_mov_b32_e32 v47, v51
	s_delay_alu instid0(VALU_DEP_3) | instskip(SKIP_2) | instid1(VALU_DEP_2)
	v_pk_add_f32 v[16:17], v[16:17], v[48:49]
	s_wait_loadcnt 0x0
	v_pk_mul_f32 v[48:49], v[32:33], v[42:43] op_sel:[0,1]
	v_pk_add_f32 v[16:17], v[46:47], v[16:17]
	s_delay_alu instid0(VALU_DEP_2) | instskip(SKIP_2) | instid1(VALU_DEP_3)
	v_pk_fma_f32 v[46:47], v[20:21], v[42:43], v[48:49] op_sel_hi:[1,0,1]
	v_mov_b32_e32 v45, v53
	v_pk_fma_f32 v[42:43], v[20:21], v[42:43], v[48:49] neg_lo:[0,0,1] neg_hi:[0,0,1]
	v_mov_b32_e32 v43, v47
	s_delay_alu instid0(VALU_DEP_3) | instskip(NEXT) | instid1(VALU_DEP_1)
	v_pk_add_f32 v[16:17], v[44:45], v[16:17]
	v_pk_add_f32 v[16:17], v[42:43], v[16:17]
.LBB112_42:                             ;   in Loop: Header=BB112_6 Depth=1
	s_or_b32 exec_lo, exec_lo, s40
	s_wait_loadcnt 0x3
	v_pk_mul_f32 v[40:41], v[40:41], v[34:35] op_sel:[0,1]
	s_wait_loadcnt 0x2
	v_pk_mul_f32 v[38:39], v[38:39], v[30:31] op_sel:[0,1]
	;; [unrolled: 2-line block ×3, first 2 shown]
	v_pk_fma_f32 v[42:43], v[24:25], v[34:35], v[40:41] op_sel_hi:[1,0,1]
	v_pk_fma_f32 v[24:25], v[24:25], v[34:35], v[40:41] neg_lo:[0,0,1] neg_hi:[0,0,1]
	v_pk_fma_f32 v[34:35], v[22:23], v[30:31], v[38:39] op_sel_hi:[1,0,1]
	v_pk_fma_f32 v[22:23], v[22:23], v[30:31], v[38:39] neg_lo:[0,0,1] neg_hi:[0,0,1]
	v_pk_fma_f32 v[30:31], v[18:19], v[28:29], v[36:37] op_sel_hi:[1,0,1]
	v_mov_b32_e32 v25, v43
	v_pk_fma_f32 v[18:19], v[18:19], v[28:29], v[36:37] neg_lo:[0,0,1] neg_hi:[0,0,1]
	v_mov_b32_e32 v23, v35
	s_delay_alu instid0(VALU_DEP_3) | instskip(SKIP_2) | instid1(VALU_DEP_2)
	v_pk_add_f32 v[10:11], v[10:11], v[24:25]
	s_wait_loadcnt 0x0
	v_pk_mul_f32 v[24:25], v[32:33], v[26:27] op_sel:[0,1]
	v_pk_add_f32 v[10:11], v[22:23], v[10:11]
	s_delay_alu instid0(VALU_DEP_2) | instskip(SKIP_2) | instid1(VALU_DEP_3)
	v_pk_fma_f32 v[22:23], v[20:21], v[26:27], v[24:25] op_sel_hi:[1,0,1]
	v_mov_b32_e32 v19, v31
	v_pk_fma_f32 v[20:21], v[20:21], v[26:27], v[24:25] neg_lo:[0,0,1] neg_hi:[0,0,1]
	v_mov_b32_e32 v21, v23
	s_delay_alu instid0(VALU_DEP_3) | instskip(NEXT) | instid1(VALU_DEP_1)
	v_pk_add_f32 v[10:11], v[18:19], v[10:11]
	v_pk_add_f32 v[10:11], v[20:21], v[10:11]
.LBB112_43:                             ;   in Loop: Header=BB112_6 Depth=1
	s_or_b32 exec_lo, exec_lo, s7
.LBB112_44:                             ;   in Loop: Header=BB112_6 Depth=1
	ds_store_2addr_stride64_b64 v67, v[10:11], v[16:17] offset1:1
	ds_store_2addr_stride64_b64 v67, v[14:15], v[12:13] offset0:2 offset1:3
	s_wait_storecnt 0x0
	s_wait_loadcnt_dscnt 0x0
	s_barrier_signal -1
	s_barrier_wait -1
	s_and_saveexec_b32 s30, s5
	s_cbranch_execz .LBB112_4
; %bb.45:                               ;   in Loop: Header=BB112_6 Depth=1
	ds_load_2addr_stride64_b64 v[10:13], v73 offset1:4
	ds_load_2addr_stride64_b64 v[14:17], v73 offset0:8 offset1:12
	ds_load_2addr_stride64_b64 v[18:21], v73 offset0:16 offset1:20
	s_wait_dscnt 0x2
	v_pk_add_f32 v[22:23], v[10:11], v[12:13]
	ds_load_2addr_stride64_b64 v[10:13], v73 offset0:24 offset1:28
	s_wait_dscnt 0x2
	v_pk_add_f32 v[14:15], v[22:23], v[14:15]
	s_delay_alu instid0(VALU_DEP_1) | instskip(SKIP_3) | instid1(VALU_DEP_1)
	v_pk_add_f32 v[22:23], v[14:15], v[16:17]
	ds_load_2addr_stride64_b64 v[14:17], v73 offset0:32 offset1:36
	s_wait_dscnt 0x2
	v_pk_add_f32 v[18:19], v[22:23], v[18:19]
	v_pk_add_f32 v[22:23], v[18:19], v[20:21]
	ds_load_2addr_stride64_b64 v[18:21], v73 offset0:40 offset1:44
	s_wait_dscnt 0x2
	v_pk_add_f32 v[10:11], v[22:23], v[10:11]
	s_delay_alu instid0(VALU_DEP_1) | instskip(SKIP_1) | instid1(VALU_DEP_1)
	v_pk_add_f32 v[10:11], v[10:11], v[12:13]
	s_wait_dscnt 0x1
	v_pk_add_f32 v[14:15], v[10:11], v[14:15]
	ds_load_2addr_stride64_b64 v[10:13], v73 offset0:48 offset1:52
	v_pk_add_f32 v[14:15], v[14:15], v[16:17]
	s_wait_dscnt 0x1
	s_delay_alu instid0(VALU_DEP_1) | instskip(SKIP_3) | instid1(VALU_DEP_1)
	v_pk_add_f32 v[18:19], v[14:15], v[18:19]
	ds_load_2addr_stride64_b64 v[14:17], v73 offset0:56 offset1:60
	v_pk_add_f32 v[18:19], v[18:19], v[20:21]
	s_wait_dscnt 0x1
	v_pk_add_f32 v[10:11], v[18:19], v[10:11]
	s_delay_alu instid0(VALU_DEP_1) | instskip(SKIP_1) | instid1(VALU_DEP_1)
	v_pk_add_f32 v[10:11], v[10:11], v[12:13]
	s_wait_dscnt 0x0
	v_pk_add_f32 v[10:11], v[10:11], v[14:15]
	s_delay_alu instid0(VALU_DEP_1)
	v_pk_add_f32 v[12:13], v[10:11], v[16:17]
	ds_store_b64 v73, v[12:13]
	s_and_b32 exec_lo, exec_lo, s6
	s_cbranch_execz .LBB112_4
; %bb.46:                               ;   in Loop: Header=BB112_6 Depth=1
	v_pk_mul_f32 v[14:15], v[12:13], v[8:9] op_sel:[1,1] op_sel_hi:[1,0]
	v_cmp_neq_f32_e32 vcc_lo, 0, v6
	v_cmp_neq_f32_e64 s7, 0, v7
	s_delay_alu instid0(VALU_DEP_3) | instskip(SKIP_3) | instid1(SALU_CYCLE_1)
	v_pk_fma_f32 v[10:11], v[12:13], v[8:9], v[14:15] op_sel_hi:[0,1,1] neg_lo:[0,0,1] neg_hi:[0,0,1]
	v_pk_fma_f32 v[12:13], v[12:13], v[8:9], v[14:15] op_sel_hi:[0,1,1]
	v_lshl_add_u64 v[8:9], v[4:5], 3, s[8:9]
	s_or_b32 s7, vcc_lo, s7
	s_and_not1_b32 vcc_lo, exec_lo, s7
	s_cbranch_vccnz .LBB112_3
; %bb.47:                               ;   in Loop: Header=BB112_6 Depth=1
	global_load_b64 v[14:15], v[8:9], off
	s_wait_loadcnt 0x0
	v_pk_mul_f32 v[16:17], v[6:7], v[14:15] op_sel:[1,1] op_sel_hi:[0,1]
	s_delay_alu instid0(VALU_DEP_1) | instskip(SKIP_1) | instid1(VALU_DEP_2)
	v_pk_fma_f32 v[18:19], v[6:7], v[14:15], v[16:17] op_sel_hi:[1,0,1]
	v_pk_fma_f32 v[6:7], v[6:7], v[14:15], v[16:17] neg_lo:[0,0,1] neg_hi:[0,0,1]
	v_dual_mov_b32 v11, v13 :: v_dual_mov_b32 v7, v19
	s_delay_alu instid0(VALU_DEP_1) | instskip(NEXT) | instid1(VALU_DEP_1)
	v_pk_add_f32 v[10:11], v[10:11], v[6:7]
	v_mov_b32_e32 v13, v11
	s_branch .LBB112_3
.LBB112_48:
	s_sendmsg sendmsg(MSG_DEALLOC_VGPRS)
	s_endpgm
	.section	.rodata,"a",@progbits
	.p2align	6, 0x0
	.amdhsa_kernel _ZL20rocblas_gemvn_kernelILi64ELi16Ei19rocblas_complex_numIfEPKS1_S1_EviiT3_lPKT2_lT1_lS7_lS8_lS4_lPT4_lS8_li
		.amdhsa_group_segment_fixed_size 32768
		.amdhsa_private_segment_fixed_size 0
		.amdhsa_kernarg_size 400
		.amdhsa_user_sgpr_count 2
		.amdhsa_user_sgpr_dispatch_ptr 0
		.amdhsa_user_sgpr_queue_ptr 0
		.amdhsa_user_sgpr_kernarg_segment_ptr 1
		.amdhsa_user_sgpr_dispatch_id 0
		.amdhsa_user_sgpr_kernarg_preload_length 0
		.amdhsa_user_sgpr_kernarg_preload_offset 0
		.amdhsa_user_sgpr_private_segment_size 0
		.amdhsa_wavefront_size32 1
		.amdhsa_uses_dynamic_stack 0
		.amdhsa_enable_private_segment 0
		.amdhsa_system_sgpr_workgroup_id_x 1
		.amdhsa_system_sgpr_workgroup_id_y 0
		.amdhsa_system_sgpr_workgroup_id_z 1
		.amdhsa_system_sgpr_workgroup_info 0
		.amdhsa_system_vgpr_workitem_id 1
		.amdhsa_next_free_vgpr 86
		.amdhsa_next_free_sgpr 53
		.amdhsa_named_barrier_count 0
		.amdhsa_reserve_vcc 1
		.amdhsa_float_round_mode_32 0
		.amdhsa_float_round_mode_16_64 0
		.amdhsa_float_denorm_mode_32 3
		.amdhsa_float_denorm_mode_16_64 3
		.amdhsa_fp16_overflow 0
		.amdhsa_memory_ordered 1
		.amdhsa_forward_progress 1
		.amdhsa_inst_pref_size 33
		.amdhsa_round_robin_scheduling 0
		.amdhsa_exception_fp_ieee_invalid_op 0
		.amdhsa_exception_fp_denorm_src 0
		.amdhsa_exception_fp_ieee_div_zero 0
		.amdhsa_exception_fp_ieee_overflow 0
		.amdhsa_exception_fp_ieee_underflow 0
		.amdhsa_exception_fp_ieee_inexact 0
		.amdhsa_exception_int_div_zero 0
	.end_amdhsa_kernel
	.section	.text._ZL20rocblas_gemvn_kernelILi64ELi16Ei19rocblas_complex_numIfEPKS1_S1_EviiT3_lPKT2_lT1_lS7_lS8_lS4_lPT4_lS8_li,"axG",@progbits,_ZL20rocblas_gemvn_kernelILi64ELi16Ei19rocblas_complex_numIfEPKS1_S1_EviiT3_lPKT2_lT1_lS7_lS8_lS4_lPT4_lS8_li,comdat
.Lfunc_end112:
	.size	_ZL20rocblas_gemvn_kernelILi64ELi16Ei19rocblas_complex_numIfEPKS1_S1_EviiT3_lPKT2_lT1_lS7_lS8_lS4_lPT4_lS8_li, .Lfunc_end112-_ZL20rocblas_gemvn_kernelILi64ELi16Ei19rocblas_complex_numIfEPKS1_S1_EviiT3_lPKT2_lT1_lS7_lS8_lS4_lPT4_lS8_li
                                        ; -- End function
	.set _ZL20rocblas_gemvn_kernelILi64ELi16Ei19rocblas_complex_numIfEPKS1_S1_EviiT3_lPKT2_lT1_lS7_lS8_lS4_lPT4_lS8_li.num_vgpr, 86
	.set _ZL20rocblas_gemvn_kernelILi64ELi16Ei19rocblas_complex_numIfEPKS1_S1_EviiT3_lPKT2_lT1_lS7_lS8_lS4_lPT4_lS8_li.num_agpr, 0
	.set _ZL20rocblas_gemvn_kernelILi64ELi16Ei19rocblas_complex_numIfEPKS1_S1_EviiT3_lPKT2_lT1_lS7_lS8_lS4_lPT4_lS8_li.numbered_sgpr, 53
	.set _ZL20rocblas_gemvn_kernelILi64ELi16Ei19rocblas_complex_numIfEPKS1_S1_EviiT3_lPKT2_lT1_lS7_lS8_lS4_lPT4_lS8_li.num_named_barrier, 0
	.set _ZL20rocblas_gemvn_kernelILi64ELi16Ei19rocblas_complex_numIfEPKS1_S1_EviiT3_lPKT2_lT1_lS7_lS8_lS4_lPT4_lS8_li.private_seg_size, 0
	.set _ZL20rocblas_gemvn_kernelILi64ELi16Ei19rocblas_complex_numIfEPKS1_S1_EviiT3_lPKT2_lT1_lS7_lS8_lS4_lPT4_lS8_li.uses_vcc, 1
	.set _ZL20rocblas_gemvn_kernelILi64ELi16Ei19rocblas_complex_numIfEPKS1_S1_EviiT3_lPKT2_lT1_lS7_lS8_lS4_lPT4_lS8_li.uses_flat_scratch, 0
	.set _ZL20rocblas_gemvn_kernelILi64ELi16Ei19rocblas_complex_numIfEPKS1_S1_EviiT3_lPKT2_lT1_lS7_lS8_lS4_lPT4_lS8_li.has_dyn_sized_stack, 0
	.set _ZL20rocblas_gemvn_kernelILi64ELi16Ei19rocblas_complex_numIfEPKS1_S1_EviiT3_lPKT2_lT1_lS7_lS8_lS4_lPT4_lS8_li.has_recursion, 0
	.set _ZL20rocblas_gemvn_kernelILi64ELi16Ei19rocblas_complex_numIfEPKS1_S1_EviiT3_lPKT2_lT1_lS7_lS8_lS4_lPT4_lS8_li.has_indirect_call, 0
	.section	.AMDGPU.csdata,"",@progbits
; Kernel info:
; codeLenInByte = 4140
; TotalNumSgprs: 55
; NumVgprs: 86
; ScratchSize: 0
; MemoryBound: 0
; FloatMode: 240
; IeeeMode: 1
; LDSByteSize: 32768 bytes/workgroup (compile time only)
; SGPRBlocks: 0
; VGPRBlocks: 5
; NumSGPRsForWavesPerEU: 55
; NumVGPRsForWavesPerEU: 86
; NamedBarCnt: 0
; Occupancy: 10
; WaveLimiterHint : 1
; COMPUTE_PGM_RSRC2:SCRATCH_EN: 0
; COMPUTE_PGM_RSRC2:USER_SGPR: 2
; COMPUTE_PGM_RSRC2:TRAP_HANDLER: 0
; COMPUTE_PGM_RSRC2:TGID_X_EN: 1
; COMPUTE_PGM_RSRC2:TGID_Y_EN: 0
; COMPUTE_PGM_RSRC2:TGID_Z_EN: 1
; COMPUTE_PGM_RSRC2:TIDIG_COMP_CNT: 1
	.section	.text._ZL20rocblas_gemvn_kernelILi64ELi16El19rocblas_complex_numIfEPKS1_S1_EviiT3_lPKT2_lT1_lS7_lS8_lS4_lPT4_lS8_li,"axG",@progbits,_ZL20rocblas_gemvn_kernelILi64ELi16El19rocblas_complex_numIfEPKS1_S1_EviiT3_lPKT2_lT1_lS7_lS8_lS4_lPT4_lS8_li,comdat
	.globl	_ZL20rocblas_gemvn_kernelILi64ELi16El19rocblas_complex_numIfEPKS1_S1_EviiT3_lPKT2_lT1_lS7_lS8_lS4_lPT4_lS8_li ; -- Begin function _ZL20rocblas_gemvn_kernelILi64ELi16El19rocblas_complex_numIfEPKS1_S1_EviiT3_lPKT2_lT1_lS7_lS8_lS4_lPT4_lS8_li
	.p2align	8
	.type	_ZL20rocblas_gemvn_kernelILi64ELi16El19rocblas_complex_numIfEPKS1_S1_EviiT3_lPKT2_lT1_lS7_lS8_lS4_lPT4_lS8_li,@function
_ZL20rocblas_gemvn_kernelILi64ELi16El19rocblas_complex_numIfEPKS1_S1_EviiT3_lPKT2_lT1_lS7_lS8_lS4_lPT4_lS8_li: ; @_ZL20rocblas_gemvn_kernelILi64ELi16El19rocblas_complex_numIfEPKS1_S1_EviiT3_lPKT2_lT1_lS7_lS8_lS4_lPT4_lS8_li
; %bb.0:
	s_load_b64 s[2:3], s[0:1], 0x9c
	s_wait_kmcnt 0x0
	s_lshr_b32 s4, s2, 16
	s_and_b32 s2, s2, 0xffff
	s_and_b32 s3, s3, 0xffff
	s_mul_i32 s2, s4, s2
	s_delay_alu instid0(SALU_CYCLE_1) | instskip(NEXT) | instid1(SALU_CYCLE_1)
	s_mul_i32 s2, s2, s3
	s_cmp_lg_u32 s2, 0x400
	s_cbranch_scc1 .LBB113_48
; %bb.1:
	s_load_b32 s33, s[0:1], 0x88
	s_bfe_u32 s2, ttmp6, 0x40014
	s_lshr_b32 s3, ttmp7, 16
	s_add_co_i32 s2, s2, 1
	s_bfe_u32 s5, ttmp6, 0x40008
	s_mul_i32 s4, s3, s2
	s_getreg_b32 s2, hwreg(HW_REG_IB_STS2, 6, 4)
	s_add_co_i32 s5, s5, s4
	s_cmp_eq_u32 s2, 0
	s_mov_b32 s11, 0
	s_cselect_b32 s10, s3, s5
	s_wait_kmcnt 0x0
	s_cmp_ge_u32 s10, s33
	s_cbranch_scc1 .LBB113_48
; %bb.2:
	s_clause 0x2
	s_load_b512 s[12:27], s[0:1], 0x8
	s_load_b512 s[36:51], s[0:1], 0x48
	s_load_b64 s[28:29], s[0:1], 0x0
	s_wait_xcnt 0x0
	s_bfe_u32 s0, ttmp6, 0x4000c
	v_and_b32_e32 v24, 0x3ff, v0
	s_add_co_i32 s0, s0, 1
	v_bfe_u32 v4, v0, 10, 10
	s_and_b32 s1, ttmp6, 15
	s_mul_i32 s0, ttmp9, s0
	v_mov_b32_e32 v1, 0
	s_add_co_i32 s1, s1, s0
	v_lshl_add_u32 v10, v4, 6, v24
	v_lshlrev_b32_e32 v96, 2, v4
	s_delay_alu instid0(VALU_DEP_3) | instskip(NEXT) | instid1(VALU_DEP_1)
	v_dual_mov_b32 v5, v1 :: v_dual_lshlrev_b32 v2, 3, v24
	v_lshl_add_u32 v97, v4, 11, v2
	v_lshl_add_u32 v98, v4, 9, v2
	s_wait_kmcnt 0x0
	s_lshl_b64 s[4:5], s[18:19], 3
	s_lshl_b64 s[18:19], s[26:27], 3
	;; [unrolled: 1-line block ×3, first 2 shown]
	s_cmp_eq_u32 s2, 0
	s_mov_b32 s2, s28
	s_cselect_b32 s0, ttmp9, s1
	s_ashr_i32 s3, s28, 31
	s_lshl_b32 s1, s0, 8
	v_cmp_gt_u32_e64 s0, 0x100, v10
	v_dual_add_nc_u32 v0, s1, v10 :: v_dual_bitop2_b32 v10, s1, v10 bitop3:0x54
	v_mul_u64_e32 v[6:7], s[36:37], v[4:5]
	v_mul_u64_e32 v[8:9], s[20:21], v[4:5]
	v_mad_nc_u64_u32 v[20:21], s36, v96, s[36:37]
	s_delay_alu instid0(VALU_DEP_4)
	v_cmp_gt_i64_e32 vcc_lo, s[2:3], v[0:1]
	v_mul_u64_e32 v[2:3], s[48:49], v[0:1]
	v_dual_ashrrev_i32 v11, 31, v10 :: v_dual_bitop2_b32 v0, 3, v96 bitop3:0x54
	v_mad_nc_u64_u32 v[22:23], s20, v96, s[20:21]
	s_ashr_i32 s2, s29, 31
	v_add_nc_u32_e32 v24, s1, v24
	s_delay_alu instid0(VALU_DEP_3)
	v_mul_u64_e32 v[12:13], s[20:21], v[0:1]
	v_mul_u64_e32 v[14:15], s[36:37], v[0:1]
	v_or_b32_e32 v0, 2, v96
	v_mul_u64_e32 v[4:5], s[48:49], v[10:11]
	s_lshr_b32 s2, s2, 26
	v_mad_u32 v21, s37, v96, v21
	s_add_co_i32 s52, s29, s2
	v_mul_u64_e32 v[16:17], s[20:21], v[0:1]
	v_mul_u64_e32 v[18:19], s[36:37], v[0:1]
	s_and_not1_b32 s52, s52, 63
	v_mad_u32 v23, s21, v96, v23
	s_sub_co_i32 s3, s29, s52
	v_dual_ashrrev_i32 v25, 31, v24 :: v_dual_add_nc_u32 v0, 64, v24
	s_cmp_gt_i32 s3, 0
	v_cmp_gt_i32_e64 s3, s28, v10
	v_add_nc_u32_e32 v28, 0x80, v24
	v_add_nc_u32_e32 v29, 0xc0, v24
	s_add_nc_u64 s[16:17], s[16:17], s[4:5]
	s_add_nc_u64 s[30:31], s[44:45], s[6:7]
	v_cmp_gt_i32_e64 s1, s52, v96
	v_cmp_gt_i32_e64 s2, s28, v24
	v_lshlrev_b64_e32 v[10:11], 5, v[6:7]
	v_lshlrev_b64_e32 v[26:27], 5, v[8:9]
	v_lshlrev_b64_e32 v[6:7], 3, v[24:25]
	v_cmp_gt_i32_e64 s4, s28, v0
	v_cmp_gt_i32_e64 s5, s28, v28
	;; [unrolled: 1-line block ×3, first 2 shown]
	v_lshl_add_u64 v[20:21], v[20:21], 3, s[24:25]
	v_add_nc_u64_e32 v[8:9], s[24:25], v[10:11]
	v_add_nc_u64_e32 v[10:11], s[16:17], v[26:27]
	v_lshl_add_u64 v[22:23], v[22:23], 3, s[16:17]
	v_lshl_add_u64 v[12:13], v[12:13], 3, s[16:17]
	;; [unrolled: 1-line block ×3, first 2 shown]
	s_add_nc_u64 s[26:27], s[24:25], s[18:19]
	s_cselect_b32 s53, -1, 0
	s_lshl_b64 s[34:35], s[38:39], 3
	s_and_b32 s28, s0, vcc_lo
	s_lshl_b64 s[44:45], s[22:23], 3
	v_lshl_add_u64 v[16:17], v[16:17], 3, s[16:17]
	v_lshl_add_u64 v[18:19], v[18:19], 3, s[24:25]
	s_lshl_b64 s[24:25], s[36:37], 9
	s_lshl_b64 s[46:47], s[20:21], 9
	s_branch .LBB113_6
.LBB113_3:                              ;   in Loop: Header=BB113_6 Depth=1
	s_delay_alu instid0(VALU_DEP_1)
	v_mov_b32_e32 v29, v31
	global_store_b64 v[26:27], v[28:29], off
.LBB113_4:                              ;   in Loop: Header=BB113_6 Depth=1
	s_wait_xcnt 0x0
	s_or_b32 exec_lo, exec_lo, s8
.LBB113_5:                              ;   in Loop: Header=BB113_6 Depth=1
	s_add_co_i32 s10, s10, 0x10000
	s_delay_alu instid0(SALU_CYCLE_1)
	s_cmp_lt_u32 s10, s33
	s_cbranch_scc0 .LBB113_48
.LBB113_6:                              ; =>This Loop Header: Depth=1
                                        ;     Child Loop BB113_20 Depth 2
	s_mul_u64 s[8:9], s[14:15], s[10:11]
	s_wait_xcnt 0x0
	s_mul_u64 s[48:49], s[42:43], s[10:11]
	s_lshl_b64 s[8:9], s[8:9], 3
	s_lshl_b64 s[48:49], s[48:49], 3
	s_add_nc_u64 s[8:9], s[12:13], s[8:9]
	s_add_nc_u64 s[48:49], s[40:41], s[48:49]
	s_clause 0x1
	global_load_b64 v[26:27], v1, s[8:9]
	global_load_b64 v[24:25], v1, s[48:49]
	s_wait_loadcnt 0x1
	v_cmp_eq_f32_e32 vcc_lo, 0, v26
	v_cmp_eq_f32_e64 s7, 0, v27
	s_wait_loadcnt 0x0
	s_wait_xcnt 0x1
	v_cmp_eq_f32_e64 s8, 1.0, v24
	v_cmp_eq_f32_e64 s9, 0, v25
	s_and_b32 s7, vcc_lo, s7
	s_and_b32 s8, s8, s9
	s_delay_alu instid0(SALU_CYCLE_1) | instskip(NEXT) | instid1(SALU_CYCLE_1)
	s_and_b32 s7, s7, s8
	s_and_b32 vcc_lo, exec_lo, s7
	s_cbranch_vccnz .LBB113_5
; %bb.7:                                ;   in Loop: Header=BB113_6 Depth=1
	v_or_b32_e32 v0, v26, v27
	s_mul_u64 s[8:9], s[50:51], s[10:11]
	s_mov_b32 s7, -1
	s_lshl_b64 s[8:9], s[8:9], 3
	s_wait_xcnt 0x0
	s_add_nc_u64 s[48:49], s[30:31], s[8:9]
	v_and_b32_e32 v0, 0x7fffffff, v0
	s_delay_alu instid0(VALU_DEP_1)
	v_cmp_ne_u32_e32 vcc_lo, 0, v0
	s_cbranch_vccnz .LBB113_13
; %bb.8:                                ;   in Loop: Header=BB113_6 Depth=1
	s_and_saveexec_b32 s8, s28
	s_cbranch_execz .LBB113_12
; %bb.9:                                ;   in Loop: Header=BB113_6 Depth=1
	v_cmp_neq_f32_e32 vcc_lo, 0, v24
	v_cmp_neq_f32_e64 s7, 0, v25
	v_dual_mov_b32 v30, 0 :: v_dual_mov_b32 v31, 0
	v_lshl_add_u64 v[28:29], v[2:3], 3, s[48:49]
	s_or_b32 s7, vcc_lo, s7
	s_delay_alu instid0(SALU_CYCLE_1)
	s_and_not1_b32 vcc_lo, exec_lo, s7
	s_cbranch_vccnz .LBB113_11
; %bb.10:                               ;   in Loop: Header=BB113_6 Depth=1
	global_load_b64 v[30:31], v[28:29], off
	s_wait_loadcnt 0x0
	v_pk_mul_f32 v[32:33], v[24:25], v[30:31] op_sel:[1,1] op_sel_hi:[0,1]
	s_delay_alu instid0(VALU_DEP_1) | instskip(SKIP_1) | instid1(VALU_DEP_2)
	v_pk_fma_f32 v[34:35], v[24:25], v[30:31], v[32:33] op_sel_hi:[1,0,1]
	v_pk_fma_f32 v[30:31], v[24:25], v[30:31], v[32:33] neg_lo:[0,0,1] neg_hi:[0,0,1]
	v_mov_b32_e32 v31, v35
.LBB113_11:                             ;   in Loop: Header=BB113_6 Depth=1
	global_store_b64 v[28:29], v[30:31], off
.LBB113_12:                             ;   in Loop: Header=BB113_6 Depth=1
	s_wait_xcnt 0x0
	s_or_b32 exec_lo, exec_lo, s8
	s_mov_b32 s7, 0
.LBB113_13:                             ;   in Loop: Header=BB113_6 Depth=1
	s_delay_alu instid0(SALU_CYCLE_1)
	s_and_not1_b32 vcc_lo, exec_lo, s7
	s_cbranch_vccnz .LBB113_5
; %bb.14:                               ;   in Loop: Header=BB113_6 Depth=1
	v_mov_b64_e32 v[30:31], 0
	v_mov_b64_e32 v[32:33], 0
	;; [unrolled: 1-line block ×4, first 2 shown]
	v_mov_b32_e32 v0, v96
	s_and_saveexec_b32 s7, s1
	s_cbranch_execz .LBB113_26
; %bb.15:                               ;   in Loop: Header=BB113_6 Depth=1
	s_mul_u64 s[8:9], s[34:35], s[10:11]
	s_mul_u64 s[54:55], s[44:45], s[10:11]
	v_add_nc_u64_e32 v[36:37], s[8:9], v[8:9]
	v_add_nc_u64_e32 v[38:39], s[54:55], v[12:13]
	;; [unrolled: 1-line block ×8, first 2 shown]
	v_mov_b64_e32 v[28:29], 0
	v_mov_b64_e32 v[34:35], 0
	;; [unrolled: 1-line block ×4, first 2 shown]
	v_mov_b32_e32 v0, v96
	s_mov_b32 s8, 0
	s_branch .LBB113_20
.LBB113_16:                             ;   in Loop: Header=BB113_20 Depth=2
	s_or_b32 exec_lo, exec_lo, s56
	s_wait_loadcnt 0x3
	v_dual_mul_f32 v88, v61, v87 :: v_dual_mul_f32 v89, v60, v87
	s_wait_loadcnt 0x2
	v_dual_mul_f32 v92, v63, v85 :: v_dual_mul_f32 v87, v62, v85
	s_wait_loadcnt 0x1
	v_pk_mul_f32 v[90:91], v[78:79], v[82:83] op_sel:[0,1]
	v_dual_fma_f32 v88, v60, v86, -v88 :: v_dual_fmac_f32 v89, v61, v86
	s_delay_alu instid0(VALU_DEP_3) | instskip(NEXT) | instid1(VALU_DEP_3)
	v_dual_fma_f32 v86, v62, v84, -v92 :: v_dual_fmac_f32 v87, v63, v84
	v_pk_fma_f32 v[84:85], v[54:55], v[82:83], v[90:91] op_sel_hi:[1,0,1]
	v_pk_fma_f32 v[82:83], v[54:55], v[82:83], v[90:91] neg_lo:[0,0,1] neg_hi:[0,0,1]
	s_delay_alu instid0(VALU_DEP_4) | instskip(SKIP_3) | instid1(VALU_DEP_3)
	v_pk_add_f32 v[32:33], v[32:33], v[88:89]
	s_wait_loadcnt 0x0
	v_pk_mul_f32 v[88:89], v[72:73], v[80:81] op_sel:[0,1]
	v_mov_b32_e32 v83, v85
	v_pk_add_f32 v[32:33], v[86:87], v[32:33]
	s_delay_alu instid0(VALU_DEP_3) | instskip(SKIP_1) | instid1(VALU_DEP_2)
	v_pk_fma_f32 v[84:85], v[52:53], v[80:81], v[88:89] op_sel_hi:[1,0,1]
	v_pk_fma_f32 v[80:81], v[52:53], v[80:81], v[88:89] neg_lo:[0,0,1] neg_hi:[0,0,1]
	v_mov_b32_e32 v81, v85
	s_delay_alu instid0(VALU_DEP_4) | instskip(NEXT) | instid1(VALU_DEP_1)
	v_pk_add_f32 v[32:33], v[82:83], v[32:33]
	v_pk_add_f32 v[32:33], v[80:81], v[32:33]
.LBB113_17:                             ;   in Loop: Header=BB113_20 Depth=2
	s_or_b32 exec_lo, exec_lo, s55
	s_wait_loadcnt 0x3
	v_dual_mul_f32 v80, v61, v77 :: v_dual_mul_f32 v81, v60, v77
	s_wait_loadcnt 0x2
	v_dual_mul_f32 v82, v63, v75 :: v_dual_mul_f32 v77, v62, v75
	s_wait_loadcnt 0x1
	v_pk_mul_f32 v[78:79], v[78:79], v[70:71] op_sel:[0,1]
	v_dual_fma_f32 v80, v60, v76, -v80 :: v_dual_fmac_f32 v81, v61, v76
	s_delay_alu instid0(VALU_DEP_3) | instskip(NEXT) | instid1(VALU_DEP_3)
	v_dual_fma_f32 v76, v62, v74, -v82 :: v_dual_fmac_f32 v77, v63, v74
	v_pk_fma_f32 v[74:75], v[54:55], v[70:71], v[78:79] op_sel_hi:[1,0,1]
	s_wait_loadcnt 0x0
	v_pk_mul_f32 v[72:73], v[72:73], v[68:69] op_sel:[0,1]
	v_pk_add_f32 v[34:35], v[34:35], v[80:81]
	v_pk_fma_f32 v[70:71], v[54:55], v[70:71], v[78:79] neg_lo:[0,0,1] neg_hi:[0,0,1]
	v_mov_b32_e32 v71, v75
	s_delay_alu instid0(VALU_DEP_4) | instskip(NEXT) | instid1(VALU_DEP_4)
	v_pk_fma_f32 v[74:75], v[52:53], v[68:69], v[72:73] op_sel_hi:[1,0,1]
	v_pk_add_f32 v[34:35], v[76:77], v[34:35]
	v_pk_fma_f32 v[68:69], v[52:53], v[68:69], v[72:73] neg_lo:[0,0,1] neg_hi:[0,0,1]
	s_delay_alu instid0(VALU_DEP_3) | instskip(NEXT) | instid1(VALU_DEP_3)
	v_mov_b32_e32 v69, v75
	v_pk_add_f32 v[34:35], v[70:71], v[34:35]
	s_delay_alu instid0(VALU_DEP_1)
	v_pk_add_f32 v[34:35], v[68:69], v[34:35]
.LBB113_18:                             ;   in Loop: Header=BB113_20 Depth=2
	s_or_b32 exec_lo, exec_lo, s54
	s_wait_loadcnt 0x3
	v_dual_mul_f32 v68, v61, v67 :: v_dual_mul_f32 v69, v60, v67
	s_wait_loadcnt 0x2
	v_dual_mul_f32 v72, v63, v65 :: v_dual_mul_f32 v67, v62, v65
	s_wait_loadcnt 0x1
	v_pk_mul_f32 v[70:71], v[54:55], v[58:59] op_sel:[1,1] op_sel_hi:[0,1]
	v_dual_fma_f32 v68, v60, v66, -v68 :: v_dual_fmac_f32 v69, v61, v66
	s_delay_alu instid0(VALU_DEP_3) | instskip(NEXT) | instid1(VALU_DEP_3)
	v_dual_fma_f32 v66, v62, v64, -v72 :: v_dual_fmac_f32 v67, v63, v64
	v_pk_fma_f32 v[60:61], v[54:55], v[58:59], v[70:71] op_sel_hi:[1,0,1]
	s_wait_loadcnt 0x0
	v_pk_mul_f32 v[62:63], v[52:53], v[56:57] op_sel:[1,1] op_sel_hi:[0,1]
	v_pk_add_f32 v[28:29], v[28:29], v[68:69]
	v_pk_fma_f32 v[54:55], v[54:55], v[58:59], v[70:71] neg_lo:[0,0,1] neg_hi:[0,0,1]
	s_delay_alu instid0(VALU_DEP_3) | instskip(SKIP_1) | instid1(VALU_DEP_4)
	v_pk_fma_f32 v[58:59], v[52:53], v[56:57], v[62:63] op_sel_hi:[1,0,1]
	v_mov_b32_e32 v55, v61
	v_pk_add_f32 v[28:29], v[66:67], v[28:29]
	v_pk_fma_f32 v[52:53], v[52:53], v[56:57], v[62:63] neg_lo:[0,0,1] neg_hi:[0,0,1]
	s_delay_alu instid0(VALU_DEP_4) | instskip(NEXT) | instid1(VALU_DEP_3)
	v_mov_b32_e32 v53, v59
	v_pk_add_f32 v[28:29], v[54:55], v[28:29]
	s_delay_alu instid0(VALU_DEP_1)
	v_pk_add_f32 v[28:29], v[52:53], v[28:29]
.LBB113_19:                             ;   in Loop: Header=BB113_20 Depth=2
	s_or_b32 exec_lo, exec_lo, s9
	v_add_nc_u32_e32 v0, 64, v0
	v_add_nc_u64_e32 v[36:37], s[24:25], v[36:37]
	v_add_nc_u64_e32 v[38:39], s[46:47], v[38:39]
	;; [unrolled: 1-line block ×7, first 2 shown]
	v_cmp_le_i32_e32 vcc_lo, s52, v0
	v_add_nc_u64_e32 v[50:51], s[46:47], v[50:51]
	s_or_b32 s8, vcc_lo, s8
	s_delay_alu instid0(SALU_CYCLE_1)
	s_and_not1_b32 exec_lo, exec_lo, s8
	s_cbranch_execz .LBB113_25
.LBB113_20:                             ;   Parent Loop BB113_6 Depth=1
                                        ; =>  This Inner Loop Header: Depth=2
	s_and_saveexec_b32 s9, s2
	s_cbranch_execz .LBB113_19
; %bb.21:                               ;   in Loop: Header=BB113_20 Depth=2
	v_add_nc_u64_e32 v[52:53], s[18:19], v[36:37]
	v_add_nc_u64_e32 v[54:55], s[18:19], v[48:49]
	v_add_nc_u64_e32 v[56:57], s[18:19], v[46:47]
	v_add_nc_u64_e32 v[58:59], s[18:19], v[40:41]
	v_add_nc_u64_e32 v[94:95], v[42:43], v[6:7]
	v_add_nc_u64_e32 v[92:93], v[50:51], v[6:7]
	v_add_nc_u64_e32 v[88:89], v[44:45], v[6:7]
	v_add_nc_u64_e32 v[90:91], v[38:39], v[6:7]
	global_load_b64 v[60:61], v[52:53], off
	global_load_b64 v[62:63], v[54:55], off
	;; [unrolled: 1-line block ×8, first 2 shown]
	s_wait_xcnt 0x0
	s_and_saveexec_b32 s54, s4
	s_cbranch_execz .LBB113_18
; %bb.22:                               ;   in Loop: Header=BB113_20 Depth=2
	global_load_b64 v[76:77], v[94:95], off offset:512
	global_load_b64 v[74:75], v[92:93], off offset:512
	global_load_b64 v[70:71], v[88:89], off offset:512
	global_load_b64 v[68:69], v[90:91], off offset:512
	s_wait_loadcnt 0x9
	v_dual_mov_b32 v78, v55 :: v_dual_mov_b32 v79, v54
	s_wait_loadcnt 0x8
	v_dual_mov_b32 v72, v53 :: v_dual_mov_b32 v73, v52
	s_wait_xcnt 0x0
	s_and_saveexec_b32 s55, s5
	s_cbranch_execz .LBB113_17
; %bb.23:                               ;   in Loop: Header=BB113_20 Depth=2
	global_load_b64 v[86:87], v[94:95], off offset:1024
	global_load_b64 v[84:85], v[92:93], off offset:1024
	;; [unrolled: 1-line block ×4, first 2 shown]
	s_wait_xcnt 0x0
	s_and_saveexec_b32 s56, s6
	s_cbranch_execz .LBB113_16
; %bb.24:                               ;   in Loop: Header=BB113_20 Depth=2
	global_load_b64 v[94:95], v[94:95], off offset:1536
	global_load_b64 v[92:93], v[92:93], off offset:1536
	;; [unrolled: 1-line block ×4, first 2 shown]
	s_wait_loadcnt 0x3
	v_dual_mul_f32 v99, v61, v95 :: v_dual_mul_f32 v101, v60, v95
	s_wait_loadcnt 0x2
	s_wait_xcnt 0x3
	v_dual_mul_f32 v104, v63, v93 :: v_dual_mul_f32 v95, v62, v93
	s_wait_loadcnt 0x1
	v_pk_mul_f32 v[102:103], v[78:79], v[88:89] op_sel:[0,1]
	v_dual_fma_f32 v100, v60, v94, -v99 :: v_dual_fmac_f32 v101, v61, v94
	s_delay_alu instid0(VALU_DEP_3) | instskip(SKIP_1) | instid1(VALU_DEP_3)
	v_dual_fma_f32 v94, v62, v92, -v104 :: v_dual_fmac_f32 v95, v63, v92
	s_wait_xcnt 0x2
	v_pk_fma_f32 v[92:93], v[54:55], v[88:89], v[102:103] op_sel_hi:[1,0,1]
	s_wait_xcnt 0x1
	v_pk_fma_f32 v[88:89], v[54:55], v[88:89], v[102:103] neg_lo:[0,0,1] neg_hi:[0,0,1]
	v_pk_add_f32 v[30:31], v[30:31], v[100:101]
	s_wait_loadcnt 0x0
	v_pk_mul_f32 v[100:101], v[72:73], v[90:91] op_sel:[0,1]
	v_mov_b32_e32 v89, v93
	s_delay_alu instid0(VALU_DEP_3) | instskip(NEXT) | instid1(VALU_DEP_3)
	v_pk_add_f32 v[30:31], v[94:95], v[30:31]
	v_pk_fma_f32 v[92:93], v[52:53], v[90:91], v[100:101] op_sel_hi:[1,0,1]
	s_wait_xcnt 0x0
	v_pk_fma_f32 v[90:91], v[52:53], v[90:91], v[100:101] neg_lo:[0,0,1] neg_hi:[0,0,1]
	s_delay_alu instid0(VALU_DEP_2) | instskip(SKIP_1) | instid1(VALU_DEP_1)
	v_mov_b32_e32 v91, v93
	v_pk_add_f32 v[30:31], v[88:89], v[30:31]
	v_pk_add_f32 v[30:31], v[90:91], v[30:31]
	s_branch .LBB113_16
.LBB113_25:                             ;   in Loop: Header=BB113_6 Depth=1
	s_or_b32 exec_lo, exec_lo, s8
.LBB113_26:                             ;   in Loop: Header=BB113_6 Depth=1
	s_delay_alu instid0(SALU_CYCLE_1) | instskip(NEXT) | instid1(SALU_CYCLE_1)
	s_or_b32 exec_lo, exec_lo, s7
	s_and_not1_b32 vcc_lo, exec_lo, s53
	s_cbranch_vccnz .LBB113_44
; %bb.27:                               ;   in Loop: Header=BB113_6 Depth=1
	v_dual_mov_b32 v42, 0 :: v_dual_bitop2_b32 v44, 1, v0 bitop3:0x54
	v_cmp_gt_i32_e32 vcc_lo, s29, v0
	s_delay_alu instid0(VALU_DEP_2)
	v_dual_mov_b32 v43, v42 :: v_dual_mov_b32 v40, v42
	v_dual_mov_b32 v41, v42 :: v_dual_mov_b32 v38, v42
	;; [unrolled: 1-line block ×3, first 2 shown]
	v_mov_b32_e32 v37, v42
	s_and_saveexec_b32 s54, vcc_lo
	s_cbranch_execz .LBB113_35
; %bb.28:                               ;   in Loop: Header=BB113_6 Depth=1
	v_mul_u64_e32 v[36:37], s[36:37], v[0:1]
	s_mul_u64 s[8:9], s[38:39], s[10:11]
	v_dual_mov_b32 v39, 0 :: v_dual_mov_b32 v38, 0
	s_lshl_b64 s[8:9], s[8:9], 3
	v_dual_mov_b32 v41, 0 :: v_dual_mov_b32 v40, 0
	s_add_nc_u64 s[8:9], s[26:27], s[8:9]
	v_dual_mov_b32 v43, 0 :: v_dual_mov_b32 v42, 0
	s_mov_b32 s55, exec_lo
	s_delay_alu instid0(VALU_DEP_4)
	v_lshl_add_u64 v[36:37], v[36:37], 3, s[8:9]
	global_load_b64 v[36:37], v[36:37], off
	s_wait_xcnt 0x0
	v_cmpx_gt_i32_e64 s29, v44
	s_cbranch_execz .LBB113_34
; %bb.29:                               ;   in Loop: Header=BB113_6 Depth=1
	v_dual_mov_b32 v45, v1 :: v_dual_bitop2_b32 v46, 2, v0 bitop3:0x54
	v_dual_mov_b32 v41, 0 :: v_dual_mov_b32 v40, 0
	v_dual_mov_b32 v43, 0 :: v_dual_mov_b32 v42, 0
	s_delay_alu instid0(VALU_DEP_3) | instskip(SKIP_1) | instid1(VALU_DEP_1)
	v_mul_u64_e32 v[38:39], s[36:37], v[44:45]
	s_mov_b32 s56, exec_lo
	v_lshl_add_u64 v[38:39], v[38:39], 3, s[8:9]
	global_load_b64 v[38:39], v[38:39], off
	s_wait_xcnt 0x0
	v_cmpx_gt_i32_e64 s29, v46
	s_cbranch_execz .LBB113_33
; %bb.30:                               ;   in Loop: Header=BB113_6 Depth=1
	v_dual_mov_b32 v47, v1 :: v_dual_mov_b32 v43, 0
	v_mov_b32_e32 v42, 0
	s_mov_b32 s57, exec_lo
	s_delay_alu instid0(VALU_DEP_2) | instskip(SKIP_1) | instid1(VALU_DEP_2)
	v_mul_u64_e32 v[40:41], s[36:37], v[46:47]
	v_or_b32_e32 v46, 3, v0
	v_lshl_add_u64 v[40:41], v[40:41], 3, s[8:9]
	global_load_b64 v[40:41], v[40:41], off
	s_wait_xcnt 0x0
	v_cmpx_gt_i32_e64 s29, v46
	s_cbranch_execz .LBB113_32
; %bb.31:                               ;   in Loop: Header=BB113_6 Depth=1
	v_mov_b32_e32 v47, v1
	s_delay_alu instid0(VALU_DEP_1) | instskip(NEXT) | instid1(VALU_DEP_1)
	v_mul_u64_e32 v[42:43], s[36:37], v[46:47]
	v_lshl_add_u64 v[42:43], v[42:43], 3, s[8:9]
	global_load_b64 v[42:43], v[42:43], off
.LBB113_32:                             ;   in Loop: Header=BB113_6 Depth=1
	s_wait_xcnt 0x0
	s_or_b32 exec_lo, exec_lo, s57
.LBB113_33:                             ;   in Loop: Header=BB113_6 Depth=1
	s_delay_alu instid0(SALU_CYCLE_1)
	s_or_b32 exec_lo, exec_lo, s56
.LBB113_34:                             ;   in Loop: Header=BB113_6 Depth=1
	s_delay_alu instid0(SALU_CYCLE_1)
	s_or_b32 exec_lo, exec_lo, s55
.LBB113_35:                             ;   in Loop: Header=BB113_6 Depth=1
	s_delay_alu instid0(SALU_CYCLE_1)
	s_or_b32 exec_lo, exec_lo, s54
	s_and_saveexec_b32 s54, s2
	s_cbranch_execz .LBB113_43
; %bb.36:                               ;   in Loop: Header=BB113_6 Depth=1
	v_dual_mov_b32 v45, v1 :: v_dual_bitop2_b32 v46, 2, v0 bitop3:0x54
	v_mov_b32_e32 v47, v1
	v_mul_u64_e32 v[48:49], s[20:21], v[0:1]
	v_or_b32_e32 v0, 3, v0
	s_delay_alu instid0(VALU_DEP_4)
	v_mul_u64_e32 v[50:51], s[20:21], v[44:45]
	s_mul_u64 s[8:9], s[22:23], s[10:11]
	v_mul_u64_e32 v[52:53], s[20:21], v[46:47]
	v_cmp_gt_i32_e64 s7, s29, v44
	v_mul_u64_e32 v[54:55], s[20:21], v[0:1]
	s_lshl_b64 s[56:57], s[8:9], 3
	v_cmp_gt_i32_e64 s8, s29, v46
	v_cmp_gt_i32_e64 s9, s29, v0
	s_wait_loadcnt 0x0
	v_dual_mov_b32 v58, v37 :: v_dual_mov_b32 v59, v36
	v_dual_mov_b32 v56, v39 :: v_dual_mov_b32 v57, v38
	v_dual_cndmask_b32 v45, 0, v49 :: v_dual_cndmask_b32 v44, 0, v48
	v_dual_cndmask_b32 v47, 0, v51, s7 :: v_dual_cndmask_b32 v46, 0, v50, s7
	v_dual_cndmask_b32 v49, 0, v53, s8 :: v_dual_cndmask_b32 v48, 0, v52, s8
	;; [unrolled: 1-line block ×3, first 2 shown]
	s_add_nc_u64 s[8:9], s[16:17], s[56:57]
	v_dual_mov_b32 v54, v41 :: v_dual_mov_b32 v55, v40
	v_lshl_add_u64 v[44:45], v[44:45], 3, s[8:9]
	v_lshl_add_u64 v[46:47], v[46:47], 3, s[8:9]
	;; [unrolled: 1-line block ×4, first 2 shown]
	s_delay_alu instid0(VALU_DEP_4) | instskip(NEXT) | instid1(VALU_DEP_4)
	v_add_nc_u64_e32 v[76:77], v[44:45], v[6:7]
	v_add_nc_u64_e32 v[78:79], v[46:47], v[6:7]
	s_delay_alu instid0(VALU_DEP_4) | instskip(NEXT) | instid1(VALU_DEP_4)
	v_add_nc_u64_e32 v[80:81], v[48:49], v[6:7]
	v_add_nc_u64_e32 v[82:83], v[50:51], v[6:7]
	s_clause 0x3
	global_load_b64 v[52:53], v[76:77], off
	global_load_b64 v[48:49], v[78:79], off
	;; [unrolled: 1-line block ×4, first 2 shown]
	v_dual_mov_b32 v50, v43 :: v_dual_mov_b32 v51, v42
	s_wait_xcnt 0x0
	s_and_saveexec_b32 s7, s4
	s_cbranch_execz .LBB113_42
; %bb.37:                               ;   in Loop: Header=BB113_6 Depth=1
	s_clause 0x3
	global_load_b64 v[66:67], v[76:77], off offset:512
	global_load_b64 v[64:65], v[78:79], off offset:512
	global_load_b64 v[62:63], v[80:81], off offset:512
	global_load_b64 v[60:61], v[82:83], off offset:512
	s_wait_xcnt 0x0
	s_and_saveexec_b32 s8, s5
	s_cbranch_execz .LBB113_41
; %bb.38:                               ;   in Loop: Header=BB113_6 Depth=1
	s_clause 0x3
	global_load_b64 v[74:75], v[76:77], off offset:1024
	global_load_b64 v[72:73], v[78:79], off offset:1024
	global_load_b64 v[70:71], v[80:81], off offset:1024
	global_load_b64 v[68:69], v[82:83], off offset:1024
	s_wait_xcnt 0x0
	s_and_saveexec_b32 s9, s6
	s_cbranch_execz .LBB113_40
; %bb.39:                               ;   in Loop: Header=BB113_6 Depth=1
	s_clause 0x3
	global_load_b64 v[76:77], v[76:77], off offset:1536
	global_load_b64 v[78:79], v[78:79], off offset:1536
	global_load_b64 v[80:81], v[80:81], off offset:1536
	global_load_b64 v[82:83], v[82:83], off offset:1536
	s_wait_loadcnt 0x3
	v_pk_mul_f32 v[84:85], v[58:59], v[76:77] op_sel:[0,1]
	s_wait_loadcnt 0x2
	v_pk_mul_f32 v[86:87], v[56:57], v[78:79] op_sel:[0,1]
	;; [unrolled: 2-line block ×3, first 2 shown]
	v_pk_fma_f32 v[88:89], v[36:37], v[76:77], v[84:85] op_sel_hi:[1,0,1]
	s_wait_xcnt 0x3
	v_pk_fma_f32 v[76:77], v[36:37], v[76:77], v[84:85] neg_lo:[0,0,1] neg_hi:[0,0,1]
	v_pk_fma_f32 v[84:85], v[38:39], v[78:79], v[86:87] op_sel_hi:[1,0,1]
	s_wait_xcnt 0x2
	v_pk_fma_f32 v[78:79], v[38:39], v[78:79], v[86:87] neg_lo:[0,0,1] neg_hi:[0,0,1]
	v_pk_fma_f32 v[86:87], v[40:41], v[80:81], v[90:91] op_sel_hi:[1,0,1]
	v_mov_b32_e32 v77, v89
	s_wait_xcnt 0x1
	v_pk_fma_f32 v[80:81], v[40:41], v[80:81], v[90:91] neg_lo:[0,0,1] neg_hi:[0,0,1]
	v_mov_b32_e32 v79, v85
	s_delay_alu instid0(VALU_DEP_3) | instskip(SKIP_2) | instid1(VALU_DEP_2)
	v_pk_add_f32 v[30:31], v[30:31], v[76:77]
	s_wait_loadcnt 0x0
	v_pk_mul_f32 v[76:77], v[50:51], v[82:83] op_sel:[0,1]
	v_pk_add_f32 v[30:31], v[78:79], v[30:31]
	s_delay_alu instid0(VALU_DEP_2) | instskip(SKIP_2) | instid1(VALU_DEP_3)
	v_pk_fma_f32 v[78:79], v[42:43], v[82:83], v[76:77] op_sel_hi:[1,0,1]
	v_mov_b32_e32 v81, v87
	v_pk_fma_f32 v[76:77], v[42:43], v[82:83], v[76:77] neg_lo:[0,0,1] neg_hi:[0,0,1]
	v_mov_b32_e32 v77, v79
	s_delay_alu instid0(VALU_DEP_3) | instskip(NEXT) | instid1(VALU_DEP_1)
	v_pk_add_f32 v[30:31], v[80:81], v[30:31]
	v_pk_add_f32 v[30:31], v[76:77], v[30:31]
.LBB113_40:                             ;   in Loop: Header=BB113_6 Depth=1
	s_wait_xcnt 0x0
	s_or_b32 exec_lo, exec_lo, s9
	s_wait_loadcnt 0x3
	v_pk_mul_f32 v[76:77], v[58:59], v[74:75] op_sel:[0,1]
	s_wait_loadcnt 0x2
	v_pk_mul_f32 v[78:79], v[56:57], v[72:73] op_sel:[0,1]
	;; [unrolled: 2-line block ×3, first 2 shown]
	v_pk_fma_f32 v[80:81], v[36:37], v[74:75], v[76:77] op_sel_hi:[1,0,1]
	v_pk_fma_f32 v[74:75], v[36:37], v[74:75], v[76:77] neg_lo:[0,0,1] neg_hi:[0,0,1]
	v_pk_fma_f32 v[76:77], v[38:39], v[72:73], v[78:79] op_sel_hi:[1,0,1]
	v_pk_fma_f32 v[72:73], v[38:39], v[72:73], v[78:79] neg_lo:[0,0,1] neg_hi:[0,0,1]
	v_pk_fma_f32 v[78:79], v[40:41], v[70:71], v[82:83] op_sel_hi:[1,0,1]
	v_mov_b32_e32 v75, v81
	v_pk_fma_f32 v[70:71], v[40:41], v[70:71], v[82:83] neg_lo:[0,0,1] neg_hi:[0,0,1]
	v_mov_b32_e32 v73, v77
	s_delay_alu instid0(VALU_DEP_3) | instskip(SKIP_2) | instid1(VALU_DEP_2)
	v_pk_add_f32 v[32:33], v[32:33], v[74:75]
	s_wait_loadcnt 0x0
	v_pk_mul_f32 v[74:75], v[50:51], v[68:69] op_sel:[0,1]
	v_pk_add_f32 v[32:33], v[72:73], v[32:33]
	s_delay_alu instid0(VALU_DEP_2) | instskip(SKIP_2) | instid1(VALU_DEP_3)
	v_pk_fma_f32 v[72:73], v[42:43], v[68:69], v[74:75] op_sel_hi:[1,0,1]
	v_mov_b32_e32 v71, v79
	v_pk_fma_f32 v[68:69], v[42:43], v[68:69], v[74:75] neg_lo:[0,0,1] neg_hi:[0,0,1]
	v_mov_b32_e32 v69, v73
	s_delay_alu instid0(VALU_DEP_3) | instskip(NEXT) | instid1(VALU_DEP_1)
	v_pk_add_f32 v[32:33], v[70:71], v[32:33]
	v_pk_add_f32 v[32:33], v[68:69], v[32:33]
.LBB113_41:                             ;   in Loop: Header=BB113_6 Depth=1
	s_or_b32 exec_lo, exec_lo, s8
	s_wait_loadcnt 0x3
	v_pk_mul_f32 v[68:69], v[58:59], v[66:67] op_sel:[0,1]
	s_wait_loadcnt 0x2
	v_pk_mul_f32 v[70:71], v[56:57], v[64:65] op_sel:[0,1]
	;; [unrolled: 2-line block ×3, first 2 shown]
	v_pk_fma_f32 v[72:73], v[36:37], v[66:67], v[68:69] op_sel_hi:[1,0,1]
	v_pk_fma_f32 v[66:67], v[36:37], v[66:67], v[68:69] neg_lo:[0,0,1] neg_hi:[0,0,1]
	v_pk_fma_f32 v[68:69], v[38:39], v[64:65], v[70:71] op_sel_hi:[1,0,1]
	v_pk_fma_f32 v[64:65], v[38:39], v[64:65], v[70:71] neg_lo:[0,0,1] neg_hi:[0,0,1]
	v_pk_fma_f32 v[70:71], v[40:41], v[62:63], v[74:75] op_sel_hi:[1,0,1]
	v_mov_b32_e32 v67, v73
	v_pk_fma_f32 v[62:63], v[40:41], v[62:63], v[74:75] neg_lo:[0,0,1] neg_hi:[0,0,1]
	v_mov_b32_e32 v65, v69
	s_delay_alu instid0(VALU_DEP_3) | instskip(SKIP_2) | instid1(VALU_DEP_2)
	v_pk_add_f32 v[34:35], v[34:35], v[66:67]
	s_wait_loadcnt 0x0
	v_pk_mul_f32 v[66:67], v[50:51], v[60:61] op_sel:[0,1]
	v_pk_add_f32 v[34:35], v[64:65], v[34:35]
	s_delay_alu instid0(VALU_DEP_2) | instskip(SKIP_2) | instid1(VALU_DEP_3)
	v_pk_fma_f32 v[64:65], v[42:43], v[60:61], v[66:67] op_sel_hi:[1,0,1]
	v_mov_b32_e32 v63, v71
	v_pk_fma_f32 v[60:61], v[42:43], v[60:61], v[66:67] neg_lo:[0,0,1] neg_hi:[0,0,1]
	v_mov_b32_e32 v61, v65
	s_delay_alu instid0(VALU_DEP_3) | instskip(NEXT) | instid1(VALU_DEP_1)
	v_pk_add_f32 v[34:35], v[62:63], v[34:35]
	v_pk_add_f32 v[34:35], v[60:61], v[34:35]
.LBB113_42:                             ;   in Loop: Header=BB113_6 Depth=1
	s_or_b32 exec_lo, exec_lo, s7
	s_wait_loadcnt 0x3
	v_pk_mul_f32 v[58:59], v[58:59], v[52:53] op_sel:[0,1]
	s_wait_loadcnt 0x2
	v_pk_mul_f32 v[56:57], v[56:57], v[48:49] op_sel:[0,1]
	;; [unrolled: 2-line block ×3, first 2 shown]
	v_pk_fma_f32 v[60:61], v[36:37], v[52:53], v[58:59] op_sel_hi:[1,0,1]
	v_pk_fma_f32 v[36:37], v[36:37], v[52:53], v[58:59] neg_lo:[0,0,1] neg_hi:[0,0,1]
	v_pk_fma_f32 v[52:53], v[38:39], v[48:49], v[56:57] op_sel_hi:[1,0,1]
	v_pk_fma_f32 v[38:39], v[38:39], v[48:49], v[56:57] neg_lo:[0,0,1] neg_hi:[0,0,1]
	v_pk_fma_f32 v[48:49], v[40:41], v[46:47], v[54:55] op_sel_hi:[1,0,1]
	v_mov_b32_e32 v37, v61
	v_pk_fma_f32 v[40:41], v[40:41], v[46:47], v[54:55] neg_lo:[0,0,1] neg_hi:[0,0,1]
	v_mov_b32_e32 v39, v53
	s_delay_alu instid0(VALU_DEP_3) | instskip(SKIP_2) | instid1(VALU_DEP_2)
	v_pk_add_f32 v[28:29], v[28:29], v[36:37]
	s_wait_loadcnt 0x0
	v_pk_mul_f32 v[36:37], v[50:51], v[44:45] op_sel:[0,1]
	v_pk_add_f32 v[28:29], v[38:39], v[28:29]
	s_delay_alu instid0(VALU_DEP_2) | instskip(SKIP_2) | instid1(VALU_DEP_3)
	v_pk_fma_f32 v[38:39], v[42:43], v[44:45], v[36:37] op_sel_hi:[1,0,1]
	v_mov_b32_e32 v41, v49
	v_pk_fma_f32 v[36:37], v[42:43], v[44:45], v[36:37] neg_lo:[0,0,1] neg_hi:[0,0,1]
	v_mov_b32_e32 v37, v39
	s_delay_alu instid0(VALU_DEP_3) | instskip(NEXT) | instid1(VALU_DEP_1)
	v_pk_add_f32 v[28:29], v[40:41], v[28:29]
	v_pk_add_f32 v[28:29], v[36:37], v[28:29]
.LBB113_43:                             ;   in Loop: Header=BB113_6 Depth=1
	s_or_b32 exec_lo, exec_lo, s54
.LBB113_44:                             ;   in Loop: Header=BB113_6 Depth=1
	ds_store_2addr_stride64_b64 v97, v[28:29], v[34:35] offset1:1
	ds_store_2addr_stride64_b64 v97, v[32:33], v[30:31] offset0:2 offset1:3
	s_wait_storecnt 0x0
	s_wait_loadcnt_dscnt 0x0
	s_barrier_signal -1
	s_barrier_wait -1
	s_and_saveexec_b32 s8, s0
	s_cbranch_execz .LBB113_4
; %bb.45:                               ;   in Loop: Header=BB113_6 Depth=1
	ds_load_2addr_stride64_b64 v[28:31], v98 offset1:4
	ds_load_2addr_stride64_b64 v[32:35], v98 offset0:8 offset1:12
	ds_load_2addr_stride64_b64 v[36:39], v98 offset0:16 offset1:20
	s_wait_dscnt 0x2
	v_pk_add_f32 v[40:41], v[28:29], v[30:31]
	ds_load_2addr_stride64_b64 v[28:31], v98 offset0:24 offset1:28
	s_wait_dscnt 0x2
	v_pk_add_f32 v[32:33], v[40:41], v[32:33]
	s_delay_alu instid0(VALU_DEP_1) | instskip(SKIP_3) | instid1(VALU_DEP_1)
	v_pk_add_f32 v[40:41], v[32:33], v[34:35]
	ds_load_2addr_stride64_b64 v[32:35], v98 offset0:32 offset1:36
	s_wait_dscnt 0x2
	v_pk_add_f32 v[36:37], v[40:41], v[36:37]
	v_pk_add_f32 v[40:41], v[36:37], v[38:39]
	ds_load_2addr_stride64_b64 v[36:39], v98 offset0:40 offset1:44
	s_wait_dscnt 0x2
	v_pk_add_f32 v[28:29], v[40:41], v[28:29]
	s_delay_alu instid0(VALU_DEP_1) | instskip(SKIP_1) | instid1(VALU_DEP_1)
	v_pk_add_f32 v[28:29], v[28:29], v[30:31]
	s_wait_dscnt 0x1
	v_pk_add_f32 v[32:33], v[28:29], v[32:33]
	ds_load_2addr_stride64_b64 v[28:31], v98 offset0:48 offset1:52
	v_pk_add_f32 v[32:33], v[32:33], v[34:35]
	s_wait_dscnt 0x1
	s_delay_alu instid0(VALU_DEP_1) | instskip(SKIP_3) | instid1(VALU_DEP_1)
	v_pk_add_f32 v[36:37], v[32:33], v[36:37]
	ds_load_2addr_stride64_b64 v[32:35], v98 offset0:56 offset1:60
	v_pk_add_f32 v[36:37], v[36:37], v[38:39]
	s_wait_dscnt 0x1
	v_pk_add_f32 v[28:29], v[36:37], v[28:29]
	s_delay_alu instid0(VALU_DEP_1) | instskip(SKIP_1) | instid1(VALU_DEP_1)
	v_pk_add_f32 v[28:29], v[28:29], v[30:31]
	s_wait_dscnt 0x0
	v_pk_add_f32 v[28:29], v[28:29], v[32:33]
	s_delay_alu instid0(VALU_DEP_1)
	v_pk_add_f32 v[30:31], v[28:29], v[34:35]
	ds_store_b64 v98, v[30:31]
	s_and_b32 exec_lo, exec_lo, s3
	s_cbranch_execz .LBB113_4
; %bb.46:                               ;   in Loop: Header=BB113_6 Depth=1
	v_pk_mul_f32 v[32:33], v[30:31], v[26:27] op_sel:[1,1] op_sel_hi:[1,0]
	v_cmp_neq_f32_e32 vcc_lo, 0, v24
	v_cmp_neq_f32_e64 s7, 0, v25
	s_delay_alu instid0(VALU_DEP_3) | instskip(SKIP_3) | instid1(SALU_CYCLE_1)
	v_pk_fma_f32 v[28:29], v[30:31], v[26:27], v[32:33] op_sel_hi:[0,1,1] neg_lo:[0,0,1] neg_hi:[0,0,1]
	v_pk_fma_f32 v[30:31], v[30:31], v[26:27], v[32:33] op_sel_hi:[0,1,1]
	v_lshl_add_u64 v[26:27], v[4:5], 3, s[48:49]
	s_or_b32 s7, vcc_lo, s7
	s_and_not1_b32 vcc_lo, exec_lo, s7
	s_cbranch_vccnz .LBB113_3
; %bb.47:                               ;   in Loop: Header=BB113_6 Depth=1
	global_load_b64 v[32:33], v[26:27], off
	s_wait_loadcnt 0x0
	v_pk_mul_f32 v[34:35], v[24:25], v[32:33] op_sel:[1,1] op_sel_hi:[0,1]
	s_delay_alu instid0(VALU_DEP_1) | instskip(SKIP_1) | instid1(VALU_DEP_2)
	v_pk_fma_f32 v[36:37], v[24:25], v[32:33], v[34:35] op_sel_hi:[1,0,1]
	v_pk_fma_f32 v[24:25], v[24:25], v[32:33], v[34:35] neg_lo:[0,0,1] neg_hi:[0,0,1]
	v_dual_mov_b32 v29, v31 :: v_dual_mov_b32 v25, v37
	s_delay_alu instid0(VALU_DEP_1) | instskip(NEXT) | instid1(VALU_DEP_1)
	v_pk_add_f32 v[28:29], v[28:29], v[24:25]
	v_mov_b32_e32 v31, v29
	s_branch .LBB113_3
.LBB113_48:
	s_sendmsg sendmsg(MSG_DEALLOC_VGPRS)
	s_endpgm
	.section	.rodata,"a",@progbits
	.p2align	6, 0x0
	.amdhsa_kernel _ZL20rocblas_gemvn_kernelILi64ELi16El19rocblas_complex_numIfEPKS1_S1_EviiT3_lPKT2_lT1_lS7_lS8_lS4_lPT4_lS8_li
		.amdhsa_group_segment_fixed_size 32768
		.amdhsa_private_segment_fixed_size 0
		.amdhsa_kernarg_size 400
		.amdhsa_user_sgpr_count 2
		.amdhsa_user_sgpr_dispatch_ptr 0
		.amdhsa_user_sgpr_queue_ptr 0
		.amdhsa_user_sgpr_kernarg_segment_ptr 1
		.amdhsa_user_sgpr_dispatch_id 0
		.amdhsa_user_sgpr_kernarg_preload_length 0
		.amdhsa_user_sgpr_kernarg_preload_offset 0
		.amdhsa_user_sgpr_private_segment_size 0
		.amdhsa_wavefront_size32 1
		.amdhsa_uses_dynamic_stack 0
		.amdhsa_enable_private_segment 0
		.amdhsa_system_sgpr_workgroup_id_x 1
		.amdhsa_system_sgpr_workgroup_id_y 0
		.amdhsa_system_sgpr_workgroup_id_z 1
		.amdhsa_system_sgpr_workgroup_info 0
		.amdhsa_system_vgpr_workitem_id 1
		.amdhsa_next_free_vgpr 105
		.amdhsa_next_free_sgpr 58
		.amdhsa_named_barrier_count 0
		.amdhsa_reserve_vcc 1
		.amdhsa_float_round_mode_32 0
		.amdhsa_float_round_mode_16_64 0
		.amdhsa_float_denorm_mode_32 3
		.amdhsa_float_denorm_mode_16_64 3
		.amdhsa_fp16_overflow 0
		.amdhsa_memory_ordered 1
		.amdhsa_forward_progress 1
		.amdhsa_inst_pref_size 33
		.amdhsa_round_robin_scheduling 0
		.amdhsa_exception_fp_ieee_invalid_op 0
		.amdhsa_exception_fp_denorm_src 0
		.amdhsa_exception_fp_ieee_div_zero 0
		.amdhsa_exception_fp_ieee_overflow 0
		.amdhsa_exception_fp_ieee_underflow 0
		.amdhsa_exception_fp_ieee_inexact 0
		.amdhsa_exception_int_div_zero 0
	.end_amdhsa_kernel
	.section	.text._ZL20rocblas_gemvn_kernelILi64ELi16El19rocblas_complex_numIfEPKS1_S1_EviiT3_lPKT2_lT1_lS7_lS8_lS4_lPT4_lS8_li,"axG",@progbits,_ZL20rocblas_gemvn_kernelILi64ELi16El19rocblas_complex_numIfEPKS1_S1_EviiT3_lPKT2_lT1_lS7_lS8_lS4_lPT4_lS8_li,comdat
.Lfunc_end113:
	.size	_ZL20rocblas_gemvn_kernelILi64ELi16El19rocblas_complex_numIfEPKS1_S1_EviiT3_lPKT2_lT1_lS7_lS8_lS4_lPT4_lS8_li, .Lfunc_end113-_ZL20rocblas_gemvn_kernelILi64ELi16El19rocblas_complex_numIfEPKS1_S1_EviiT3_lPKT2_lT1_lS7_lS8_lS4_lPT4_lS8_li
                                        ; -- End function
	.set _ZL20rocblas_gemvn_kernelILi64ELi16El19rocblas_complex_numIfEPKS1_S1_EviiT3_lPKT2_lT1_lS7_lS8_lS4_lPT4_lS8_li.num_vgpr, 105
	.set _ZL20rocblas_gemvn_kernelILi64ELi16El19rocblas_complex_numIfEPKS1_S1_EviiT3_lPKT2_lT1_lS7_lS8_lS4_lPT4_lS8_li.num_agpr, 0
	.set _ZL20rocblas_gemvn_kernelILi64ELi16El19rocblas_complex_numIfEPKS1_S1_EviiT3_lPKT2_lT1_lS7_lS8_lS4_lPT4_lS8_li.numbered_sgpr, 58
	.set _ZL20rocblas_gemvn_kernelILi64ELi16El19rocblas_complex_numIfEPKS1_S1_EviiT3_lPKT2_lT1_lS7_lS8_lS4_lPT4_lS8_li.num_named_barrier, 0
	.set _ZL20rocblas_gemvn_kernelILi64ELi16El19rocblas_complex_numIfEPKS1_S1_EviiT3_lPKT2_lT1_lS7_lS8_lS4_lPT4_lS8_li.private_seg_size, 0
	.set _ZL20rocblas_gemvn_kernelILi64ELi16El19rocblas_complex_numIfEPKS1_S1_EviiT3_lPKT2_lT1_lS7_lS8_lS4_lPT4_lS8_li.uses_vcc, 1
	.set _ZL20rocblas_gemvn_kernelILi64ELi16El19rocblas_complex_numIfEPKS1_S1_EviiT3_lPKT2_lT1_lS7_lS8_lS4_lPT4_lS8_li.uses_flat_scratch, 0
	.set _ZL20rocblas_gemvn_kernelILi64ELi16El19rocblas_complex_numIfEPKS1_S1_EviiT3_lPKT2_lT1_lS7_lS8_lS4_lPT4_lS8_li.has_dyn_sized_stack, 0
	.set _ZL20rocblas_gemvn_kernelILi64ELi16El19rocblas_complex_numIfEPKS1_S1_EviiT3_lPKT2_lT1_lS7_lS8_lS4_lPT4_lS8_li.has_recursion, 0
	.set _ZL20rocblas_gemvn_kernelILi64ELi16El19rocblas_complex_numIfEPKS1_S1_EviiT3_lPKT2_lT1_lS7_lS8_lS4_lPT4_lS8_li.has_indirect_call, 0
	.section	.AMDGPU.csdata,"",@progbits
; Kernel info:
; codeLenInByte = 4108
; TotalNumSgprs: 60
; NumVgprs: 105
; ScratchSize: 0
; MemoryBound: 0
; FloatMode: 240
; IeeeMode: 1
; LDSByteSize: 32768 bytes/workgroup (compile time only)
; SGPRBlocks: 0
; VGPRBlocks: 6
; NumSGPRsForWavesPerEU: 60
; NumVGPRsForWavesPerEU: 105
; NamedBarCnt: 0
; Occupancy: 9
; WaveLimiterHint : 1
; COMPUTE_PGM_RSRC2:SCRATCH_EN: 0
; COMPUTE_PGM_RSRC2:USER_SGPR: 2
; COMPUTE_PGM_RSRC2:TRAP_HANDLER: 0
; COMPUTE_PGM_RSRC2:TGID_X_EN: 1
; COMPUTE_PGM_RSRC2:TGID_Y_EN: 0
; COMPUTE_PGM_RSRC2:TGID_Z_EN: 1
; COMPUTE_PGM_RSRC2:TIDIG_COMP_CNT: 1
	.section	.text._ZL20rocblas_gemvn_kernelILi64ELi16Ei19rocblas_complex_numIfES1_S1_EviiT3_lPKT2_lT1_lS5_lS6_lS2_lPT4_lS6_li,"axG",@progbits,_ZL20rocblas_gemvn_kernelILi64ELi16Ei19rocblas_complex_numIfES1_S1_EviiT3_lPKT2_lT1_lS5_lS6_lS2_lPT4_lS6_li,comdat
	.globl	_ZL20rocblas_gemvn_kernelILi64ELi16Ei19rocblas_complex_numIfES1_S1_EviiT3_lPKT2_lT1_lS5_lS6_lS2_lPT4_lS6_li ; -- Begin function _ZL20rocblas_gemvn_kernelILi64ELi16Ei19rocblas_complex_numIfES1_S1_EviiT3_lPKT2_lT1_lS5_lS6_lS2_lPT4_lS6_li
	.p2align	8
	.type	_ZL20rocblas_gemvn_kernelILi64ELi16Ei19rocblas_complex_numIfES1_S1_EviiT3_lPKT2_lT1_lS5_lS6_lS2_lPT4_lS6_li,@function
_ZL20rocblas_gemvn_kernelILi64ELi16Ei19rocblas_complex_numIfES1_S1_EviiT3_lPKT2_lT1_lS5_lS6_lS2_lPT4_lS6_li: ; @_ZL20rocblas_gemvn_kernelILi64ELi16Ei19rocblas_complex_numIfES1_S1_EviiT3_lPKT2_lT1_lS5_lS6_lS2_lPT4_lS6_li
; %bb.0:
	s_load_b64 s[2:3], s[0:1], 0x9c
	s_wait_kmcnt 0x0
	s_lshr_b32 s4, s2, 16
	s_and_b32 s2, s2, 0xffff
	s_and_b32 s3, s3, 0xffff
	s_mul_i32 s2, s4, s2
	s_delay_alu instid0(SALU_CYCLE_1) | instskip(NEXT) | instid1(SALU_CYCLE_1)
	s_mul_i32 s2, s2, s3
	s_cmp_lg_u32 s2, 0x400
	s_cbranch_scc1 .LBB114_48
; %bb.1:
	s_load_b32 s27, s[0:1], 0x88
	s_bfe_u32 s2, ttmp6, 0x40014
	s_lshr_b32 s3, ttmp7, 16
	s_add_co_i32 s2, s2, 1
	s_bfe_u32 s4, ttmp6, 0x40008
	s_mul_i32 s2, s3, s2
	s_getreg_b32 s30, hwreg(HW_REG_IB_STS2, 6, 4)
	s_add_co_i32 s4, s4, s2
	s_cmp_eq_u32 s30, 0
	s_mov_b32 s29, 0
	s_cselect_b32 s28, s3, s4
	s_wait_kmcnt 0x0
	s_cmp_ge_u32 s28, s27
	s_cbranch_scc1 .LBB114_48
; %bb.2:
	s_clause 0x5
	s_load_b128 s[4:7], s[0:1], 0x18
	s_load_b96 s[24:26], s[0:1], 0x40
	s_load_b128 s[20:23], s[0:1], 0x68
	s_load_b32 s2, s[0:1], 0x78
	s_load_b128 s[8:11], s[0:1], 0x0
	s_load_b128 s[12:15], s[0:1], 0x50
	v_and_b32_e32 v4, 0x3ff, v0
	v_bfe_u32 v5, v0, 10, 10
	s_delay_alu instid0(VALU_DEP_2) | instskip(NEXT) | instid1(VALU_DEP_2)
	v_dual_mov_b32 v1, 0 :: v_dual_lshlrev_b32 v0, 3, v4
	v_lshl_add_u32 v2, v5, 6, v4
	s_delay_alu instid0(VALU_DEP_2)
	v_lshl_add_u32 v61, v5, 11, v0
	v_lshl_add_u32 v62, v5, 9, v0
	s_wait_kmcnt 0x0
	s_lshl_b64 s[34:35], s[6:7], 3
	s_lshl_b64 s[36:37], s[24:25], 3
	;; [unrolled: 1-line block ×3, first 2 shown]
	s_ashr_i32 s3, s2, 31
	s_cmp_neq_f32 s10, 0
	s_clause 0x2
	s_load_b32 s33, s[0:1], 0x28
	s_load_b128 s[16:19], s[0:1], 0x30
	s_load_b64 s[22:23], s[0:1], 0x80
	s_mov_b32 s38, s8
	s_add_nc_u64 s[20:21], s[20:21], s[6:7]
	s_cselect_b32 s24, -1, 0
	s_cmp_neq_f32 s11, 0
	s_wait_xcnt 0x0
	s_cselect_b32 s0, -1, 0
	s_delay_alu instid0(SALU_CYCLE_1)
	s_or_b32 s31, s24, s0
	s_cmp_neq_f32 s14, 1.0
	s_add_nc_u64 s[24:25], s[4:5], s[34:35]
	v_cmp_gt_u32_e64 s0, 0x100, v2
	s_mov_b32 s34, s11
	s_cselect_b32 s40, -1, 0
	s_cmp_neq_f32 s15, 0
	s_mov_b32 s35, s10
	s_wait_kmcnt 0x0
	s_add_nc_u64 s[18:19], s[18:19], s[36:37]
	s_cselect_b32 s41, -1, 0
	s_or_b32 s1, s10, s11
	s_delay_alu instid0(SALU_CYCLE_1) | instskip(NEXT) | instid1(SALU_CYCLE_1)
	s_bitset0_b32 s1, 31
	s_cmp_eq_u32 s1, 0
	s_cselect_b32 s42, -1, 0
	s_bfe_u32 s1, ttmp6, 0x4000c
	s_and_b32 s4, ttmp6, 15
	s_add_co_i32 s1, s1, 1
	s_delay_alu instid0(SALU_CYCLE_1) | instskip(NEXT) | instid1(SALU_CYCLE_1)
	s_mul_i32 s1, ttmp9, s1
	s_add_co_i32 s4, s4, s1
	s_cmp_eq_u32 s30, 0
	s_mov_b32 s30, s15
	s_cselect_b32 s1, ttmp9, s4
	s_ashr_i32 s39, s8, 31
	s_lshl_b32 s43, s1, 8
	s_delay_alu instid0(SALU_CYCLE_1) | instskip(SKIP_2) | instid1(VALU_DEP_2)
	v_dual_lshlrev_b32 v60, 2, v5 :: v_dual_add_nc_u32 v0, s43, v2
	v_dual_add_nc_u32 v63, s43, v4 :: v_dual_bitop2_b32 v3, s43, v2 bitop3:0x54
	s_cmp_neq_f32 s14, 0
	v_mul_lo_u32 v6, s33, v60
	s_delay_alu instid0(VALU_DEP_3)
	v_cmp_gt_i64_e32 vcc_lo, s[38:39], v[0:1]
	v_mul_u64_e32 v[0:1], s[2:3], v[0:1]
	v_add_nc_u32_e32 v8, 0x80, v63
	v_mul_lo_u32 v2, s2, v3
	s_cselect_b32 s1, -1, 0
	s_ashr_i32 s4, s9, 31
	v_add_nc_u32_e32 v7, 64, v63
	s_lshr_b32 s3, s4, 26
	v_cmp_gt_i32_e64 s4, s8, v8
	v_mul_lo_u32 v8, v5, s33
	v_mul_lo_u32 v5, v5, s26
	v_add_nc_u32_e32 v9, 0xc0, v63
	s_add_co_i32 s45, s9, s3
	v_cmp_gt_i32_e64 s2, s8, v3
	v_ashrrev_i32_e32 v3, 31, v2
	v_cmp_gt_i32_e64 s3, s8, v7
	v_cmp_gt_i32_e64 s5, s8, v9
	v_or_b32_e32 v7, 2, v60
	v_or_b32_e32 v9, 3, v60
	v_mad_u32 v67, s26, v60, s26
	s_and_not1_b32 s45, s45, 63
	v_lshlrev_b32_e32 v71, 2, v5
	v_mad_u32 v65, s33, v7, v4
	v_mad_u32 v66, s33, v9, v4
	v_mul_lo_u32 v68, s26, v7
	v_mul_lo_u32 v69, s26, v9
	s_sub_co_i32 s6, s9, s45
	s_or_b32 s44, s1, s41
	s_cmp_gt_i32 s6, 0
	v_cmp_gt_i32_e64 s1, s8, v63
	v_cmp_gt_i32_e64 s6, s45, v60
	v_add3_u32 v64, v6, s33, v4
	v_lshl_add_u32 v70, v8, 2, v4
	s_cselect_b32 s8, -1, 0
	s_or_b32 s7, s31, s40
	s_and_b32 s46, s0, vcc_lo
	s_mov_b32 s31, s14
	s_or_b32 s47, s7, s41
	s_lshl_b32 s48, s33, 6
	s_lshl_b32 s49, s26, 6
	s_branch .LBB114_6
.LBB114_3:                              ;   in Loop: Header=BB114_6 Depth=1
	s_delay_alu instid0(VALU_DEP_1)
	v_mov_b32_e32 v5, v9
	global_store_b64 v[6:7], v[4:5], off
.LBB114_4:                              ;   in Loop: Header=BB114_6 Depth=1
	s_wait_xcnt 0x0
	s_or_b32 exec_lo, exec_lo, s7
.LBB114_5:                              ;   in Loop: Header=BB114_6 Depth=1
	s_add_co_i32 s28, s28, 0x10000
	s_delay_alu instid0(SALU_CYCLE_1)
	s_cmp_lt_u32 s28, s27
	s_cbranch_scc0 .LBB114_48
.LBB114_6:                              ; =>This Loop Header: Depth=1
                                        ;     Child Loop BB114_20 Depth 2
	s_and_not1_b32 vcc_lo, exec_lo, s47
	s_cbranch_vccnz .LBB114_5
; %bb.7:                                ;   in Loop: Header=BB114_6 Depth=1
	s_mul_u64 s[36:37], s[22:23], s[28:29]
	s_and_not1_b32 vcc_lo, exec_lo, s42
	s_lshl_b64 s[36:37], s[36:37], 3
	s_mov_b32 s7, -1
	s_add_nc_u64 s[36:37], s[20:21], s[36:37]
	s_cbranch_vccnz .LBB114_13
; %bb.8:                                ;   in Loop: Header=BB114_6 Depth=1
	s_and_saveexec_b32 s7, s46
	s_cbranch_execz .LBB114_12
; %bb.9:                                ;   in Loop: Header=BB114_6 Depth=1
	v_dual_mov_b32 v6, 0 :: v_dual_mov_b32 v7, 0
	v_lshl_add_u64 v[4:5], v[0:1], 3, s[36:37]
	s_and_not1_b32 vcc_lo, exec_lo, s44
	s_cbranch_vccnz .LBB114_11
; %bb.10:                               ;   in Loop: Header=BB114_6 Depth=1
	global_load_b64 v[6:7], v[4:5], off
	v_mov_b64_e32 v[8:9], s[30:31]
	v_mov_b64_e32 v[10:11], s[14:15]
	s_wait_loadcnt 0x0
	s_delay_alu instid0(VALU_DEP_2) | instskip(NEXT) | instid1(VALU_DEP_1)
	v_pk_mul_f32 v[8:9], v[8:9], v[6:7] op_sel:[0,1]
	v_pk_fma_f32 v[12:13], v[10:11], v[6:7], v[8:9] op_sel_hi:[1,0,1]
	v_pk_fma_f32 v[6:7], v[10:11], v[6:7], v[8:9] neg_lo:[0,0,1] neg_hi:[0,0,1]
	s_delay_alu instid0(VALU_DEP_2)
	v_mov_b32_e32 v7, v13
.LBB114_11:                             ;   in Loop: Header=BB114_6 Depth=1
	global_store_b64 v[4:5], v[6:7], off
.LBB114_12:                             ;   in Loop: Header=BB114_6 Depth=1
	s_wait_xcnt 0x0
	s_or_b32 exec_lo, exec_lo, s7
	s_mov_b32 s7, 0
.LBB114_13:                             ;   in Loop: Header=BB114_6 Depth=1
	s_delay_alu instid0(SALU_CYCLE_1)
	s_and_not1_b32 vcc_lo, exec_lo, s7
	s_cbranch_vccnz .LBB114_5
; %bb.14:                               ;   in Loop: Header=BB114_6 Depth=1
	v_mov_b64_e32 v[10:11], 0
	v_mov_b64_e32 v[6:7], 0
	;; [unrolled: 1-line block ×4, first 2 shown]
	s_mul_u64 s[38:39], s[16:17], s[28:29]
	s_mul_u64 s[40:41], s[12:13], s[28:29]
	v_mov_b32_e32 v56, v60
	s_lshl_b64 s[38:39], s[38:39], 3
	s_lshl_b64 s[40:41], s[40:41], 3
	s_add_nc_u64 s[38:39], s[24:25], s[38:39]
	s_add_nc_u64 s[40:41], s[18:19], s[40:41]
	s_and_saveexec_b32 s7, s6
	s_cbranch_execz .LBB114_26
; %bb.15:                               ;   in Loop: Header=BB114_6 Depth=1
	v_mov_b64_e32 v[4:5], 0
	v_mov_b64_e32 v[8:9], 0
	;; [unrolled: 1-line block ×4, first 2 shown]
	v_dual_mov_b32 v57, v70 :: v_dual_mov_b32 v58, v66
	v_dual_mov_b32 v59, v65 :: v_dual_mov_b32 v72, v64
	v_mov_b32_e32 v56, v60
	s_mov_b32 s50, 0
	s_mov_b32 s51, 0
	s_branch .LBB114_20
.LBB114_16:                             ;   in Loop: Header=BB114_20 Depth=2
	s_wait_xcnt 0x0
	s_or_b32 exec_lo, exec_lo, s55
	s_wait_loadcnt 0x3
	v_dual_mul_f32 v48, v23, v47 :: v_dual_mul_f32 v49, v22, v47
	s_wait_loadcnt 0x2
	v_dual_mul_f32 v52, v21, v45 :: v_dual_mul_f32 v47, v20, v45
	s_wait_loadcnt 0x1
	v_pk_mul_f32 v[50:51], v[38:39], v[42:43] op_sel:[0,1]
	v_dual_fma_f32 v48, v22, v46, -v48 :: v_dual_fmac_f32 v49, v23, v46
	s_delay_alu instid0(VALU_DEP_3) | instskip(NEXT) | instid1(VALU_DEP_3)
	v_dual_fma_f32 v46, v20, v44, -v52 :: v_dual_fmac_f32 v47, v21, v44
	v_pk_fma_f32 v[44:45], v[14:15], v[42:43], v[50:51] op_sel_hi:[1,0,1]
	v_pk_fma_f32 v[42:43], v[14:15], v[42:43], v[50:51] neg_lo:[0,0,1] neg_hi:[0,0,1]
	s_delay_alu instid0(VALU_DEP_4) | instskip(SKIP_3) | instid1(VALU_DEP_3)
	v_pk_add_f32 v[6:7], v[6:7], v[48:49]
	s_wait_loadcnt 0x0
	v_pk_mul_f32 v[48:49], v[32:33], v[40:41] op_sel:[0,1]
	v_mov_b32_e32 v43, v45
	v_pk_add_f32 v[6:7], v[46:47], v[6:7]
	s_delay_alu instid0(VALU_DEP_3) | instskip(SKIP_1) | instid1(VALU_DEP_2)
	v_pk_fma_f32 v[44:45], v[12:13], v[40:41], v[48:49] op_sel_hi:[1,0,1]
	v_pk_fma_f32 v[40:41], v[12:13], v[40:41], v[48:49] neg_lo:[0,0,1] neg_hi:[0,0,1]
	v_mov_b32_e32 v41, v45
	s_delay_alu instid0(VALU_DEP_4) | instskip(NEXT) | instid1(VALU_DEP_1)
	v_pk_add_f32 v[6:7], v[42:43], v[6:7]
	v_pk_add_f32 v[6:7], v[40:41], v[6:7]
.LBB114_17:                             ;   in Loop: Header=BB114_20 Depth=2
	s_or_b32 exec_lo, exec_lo, s54
	s_wait_loadcnt 0x3
	v_dual_mul_f32 v40, v23, v37 :: v_dual_mul_f32 v41, v22, v37
	s_wait_loadcnt 0x2
	v_dual_mul_f32 v42, v21, v35 :: v_dual_mul_f32 v37, v20, v35
	s_wait_loadcnt 0x1
	v_pk_mul_f32 v[38:39], v[38:39], v[30:31] op_sel:[0,1]
	v_dual_fma_f32 v40, v22, v36, -v40 :: v_dual_fmac_f32 v41, v23, v36
	s_delay_alu instid0(VALU_DEP_3) | instskip(NEXT) | instid1(VALU_DEP_3)
	v_dual_fma_f32 v36, v20, v34, -v42 :: v_dual_fmac_f32 v37, v21, v34
	v_pk_fma_f32 v[34:35], v[14:15], v[30:31], v[38:39] op_sel_hi:[1,0,1]
	s_wait_loadcnt 0x0
	v_pk_mul_f32 v[32:33], v[32:33], v[28:29] op_sel:[0,1]
	v_pk_add_f32 v[8:9], v[8:9], v[40:41]
	v_pk_fma_f32 v[30:31], v[14:15], v[30:31], v[38:39] neg_lo:[0,0,1] neg_hi:[0,0,1]
	v_mov_b32_e32 v31, v35
	s_delay_alu instid0(VALU_DEP_4) | instskip(NEXT) | instid1(VALU_DEP_4)
	v_pk_fma_f32 v[34:35], v[12:13], v[28:29], v[32:33] op_sel_hi:[1,0,1]
	v_pk_add_f32 v[8:9], v[36:37], v[8:9]
	v_pk_fma_f32 v[28:29], v[12:13], v[28:29], v[32:33] neg_lo:[0,0,1] neg_hi:[0,0,1]
	s_delay_alu instid0(VALU_DEP_3) | instskip(NEXT) | instid1(VALU_DEP_3)
	v_mov_b32_e32 v29, v35
	v_pk_add_f32 v[8:9], v[30:31], v[8:9]
	s_delay_alu instid0(VALU_DEP_1)
	v_pk_add_f32 v[8:9], v[28:29], v[8:9]
.LBB114_18:                             ;   in Loop: Header=BB114_20 Depth=2
	s_or_b32 exec_lo, exec_lo, s53
	s_wait_loadcnt 0x3
	v_dual_mul_f32 v28, v23, v27 :: v_dual_mul_f32 v29, v22, v27
	s_wait_loadcnt 0x2
	v_dual_mul_f32 v32, v21, v25 :: v_dual_mul_f32 v27, v20, v25
	s_wait_loadcnt 0x1
	v_pk_mul_f32 v[30:31], v[14:15], v[18:19] op_sel:[1,1] op_sel_hi:[0,1]
	v_dual_fma_f32 v28, v22, v26, -v28 :: v_dual_fmac_f32 v29, v23, v26
	s_delay_alu instid0(VALU_DEP_3) | instskip(NEXT) | instid1(VALU_DEP_3)
	v_dual_fma_f32 v26, v20, v24, -v32 :: v_dual_fmac_f32 v27, v21, v24
	v_pk_fma_f32 v[20:21], v[14:15], v[18:19], v[30:31] op_sel_hi:[1,0,1]
	s_wait_loadcnt 0x0
	v_pk_mul_f32 v[22:23], v[12:13], v[16:17] op_sel:[1,1] op_sel_hi:[0,1]
	v_pk_add_f32 v[4:5], v[4:5], v[28:29]
	v_pk_fma_f32 v[14:15], v[14:15], v[18:19], v[30:31] neg_lo:[0,0,1] neg_hi:[0,0,1]
	s_delay_alu instid0(VALU_DEP_3) | instskip(SKIP_1) | instid1(VALU_DEP_4)
	v_pk_fma_f32 v[18:19], v[12:13], v[16:17], v[22:23] op_sel_hi:[1,0,1]
	v_mov_b32_e32 v15, v21
	v_pk_add_f32 v[4:5], v[26:27], v[4:5]
	v_pk_fma_f32 v[12:13], v[12:13], v[16:17], v[22:23] neg_lo:[0,0,1] neg_hi:[0,0,1]
	s_delay_alu instid0(VALU_DEP_4) | instskip(NEXT) | instid1(VALU_DEP_3)
	v_mov_b32_e32 v13, v19
	v_pk_add_f32 v[4:5], v[14:15], v[4:5]
	s_delay_alu instid0(VALU_DEP_1)
	v_pk_add_f32 v[4:5], v[12:13], v[4:5]
.LBB114_19:                             ;   in Loop: Header=BB114_20 Depth=2
	s_or_b32 exec_lo, exec_lo, s52
	v_dual_add_nc_u32 v56, 64, v56 :: v_dual_add_nc_u32 v59, s48, v59
	v_dual_add_nc_u32 v72, s48, v72 :: v_dual_add_nc_u32 v58, s48, v58
	v_add_nc_u32_e32 v57, s48, v57
	s_delay_alu instid0(VALU_DEP_3) | instskip(SKIP_2) | instid1(SALU_CYCLE_1)
	v_cmp_le_i32_e32 vcc_lo, s45, v56
	s_add_co_i32 s51, s51, s49
	s_or_b32 s50, vcc_lo, s50
	s_and_not1_b32 exec_lo, exec_lo, s50
	s_cbranch_execz .LBB114_25
.LBB114_20:                             ;   Parent Loop BB114_6 Depth=1
                                        ; =>  This Inner Loop Header: Depth=2
	s_and_saveexec_b32 s52, s1
	s_cbranch_execz .LBB114_19
; %bb.21:                               ;   in Loop: Header=BB114_20 Depth=2
	v_dual_add_nc_u32 v29, s51, v71 :: v_dual_add_nc_u32 v33, s51, v68
	v_dual_add_nc_u32 v31, s51, v67 :: v_dual_add_nc_u32 v35, s51, v69
	;; [unrolled: 1-line block ×4, first 2 shown]
	s_clause 0x3
	global_load_b64 v[22:23], v29, s[40:41] scale_offset
	global_load_b64 v[20:21], v31, s[40:41] scale_offset
	;; [unrolled: 1-line block ×4, first 2 shown]
	s_clause 0x3
	global_load_b64 v[26:27], v28, s[38:39] scale_offset
	global_load_b64 v[24:25], v30, s[38:39] scale_offset
	;; [unrolled: 1-line block ×4, first 2 shown]
	s_wait_xcnt 0x0
	s_and_saveexec_b32 s53, s3
	s_cbranch_execz .LBB114_18
; %bb.22:                               ;   in Loop: Header=BB114_20 Depth=2
	v_dual_ashrrev_i32 v29, 31, v28 :: v_dual_ashrrev_i32 v31, 31, v30
	v_dual_ashrrev_i32 v35, 31, v34 :: v_dual_ashrrev_i32 v33, 31, v32
	s_wait_loadcnt 0x5
	v_dual_mov_b32 v38, v15 :: v_dual_mov_b32 v39, v14
	s_delay_alu instid0(VALU_DEP_3)
	v_lshl_add_u64 v[54:55], v[28:29], 3, s[38:39]
	v_lshl_add_u64 v[52:53], v[30:31], 3, s[38:39]
	;; [unrolled: 1-line block ×4, first 2 shown]
	s_clause 0x3
	global_load_b64 v[36:37], v[54:55], off offset:512
	global_load_b64 v[34:35], v[52:53], off offset:512
	;; [unrolled: 1-line block ×4, first 2 shown]
	s_wait_loadcnt 0x8
	v_dual_mov_b32 v32, v13 :: v_dual_mov_b32 v33, v12
	s_wait_xcnt 0x0
	s_and_saveexec_b32 s54, s4
	s_cbranch_execz .LBB114_17
; %bb.23:                               ;   in Loop: Header=BB114_20 Depth=2
	s_clause 0x3
	global_load_b64 v[46:47], v[54:55], off offset:1024
	global_load_b64 v[44:45], v[52:53], off offset:1024
	;; [unrolled: 1-line block ×4, first 2 shown]
	s_wait_xcnt 0x0
	s_and_saveexec_b32 s55, s5
	s_cbranch_execz .LBB114_16
; %bb.24:                               ;   in Loop: Header=BB114_20 Depth=2
	s_clause 0x3
	global_load_b64 v[54:55], v[54:55], off offset:1536
	global_load_b64 v[52:53], v[52:53], off offset:1536
	;; [unrolled: 1-line block ×4, first 2 shown]
	s_wait_loadcnt 0x3
	v_dual_mul_f32 v73, v23, v55 :: v_dual_mul_f32 v75, v22, v55
	s_wait_loadcnt 0x2
	s_wait_xcnt 0x3
	s_delay_alu instid0(VALU_DEP_1) | instskip(NEXT) | instid1(VALU_DEP_2)
	v_dual_mul_f32 v55, v20, v53 :: v_dual_fma_f32 v74, v22, v54, -v73
	v_dual_fmac_f32 v75, v23, v54 :: v_dual_mul_f32 v54, v21, v53
	s_delay_alu instid0(VALU_DEP_2) | instskip(NEXT) | instid1(VALU_DEP_2)
	v_fmac_f32_e32 v55, v21, v52
	v_pk_add_f32 v[10:11], v[10:11], v[74:75]
	s_delay_alu instid0(VALU_DEP_3) | instskip(SKIP_3) | instid1(VALU_DEP_2)
	v_fma_f32 v54, v20, v52, -v54
	s_wait_loadcnt 0x1
	s_wait_xcnt 0x2
	v_pk_mul_f32 v[52:53], v[38:39], v[48:49] op_sel:[0,1]
	v_pk_add_f32 v[10:11], v[54:55], v[10:11]
	s_delay_alu instid0(VALU_DEP_2) | instskip(SKIP_2) | instid1(VALU_DEP_1)
	v_pk_fma_f32 v[54:55], v[14:15], v[48:49], v[52:53] neg_lo:[0,0,1] neg_hi:[0,0,1]
	s_wait_xcnt 0x1
	v_pk_fma_f32 v[48:49], v[14:15], v[48:49], v[52:53] op_sel_hi:[1,0,1]
	v_mov_b32_e32 v55, v49
	s_wait_loadcnt 0x0
	v_pk_mul_f32 v[48:49], v[32:33], v[50:51] op_sel:[0,1]
	s_delay_alu instid0(VALU_DEP_1) | instskip(SKIP_1) | instid1(VALU_DEP_1)
	v_pk_fma_f32 v[52:53], v[12:13], v[50:51], v[48:49] neg_lo:[0,0,1] neg_hi:[0,0,1]
	v_pk_fma_f32 v[48:49], v[12:13], v[50:51], v[48:49] op_sel_hi:[1,0,1]
	v_mov_b32_e32 v53, v49
	v_pk_add_f32 v[10:11], v[54:55], v[10:11]
	s_delay_alu instid0(VALU_DEP_1)
	v_pk_add_f32 v[10:11], v[52:53], v[10:11]
	s_branch .LBB114_16
.LBB114_25:                             ;   in Loop: Header=BB114_6 Depth=1
	s_or_b32 exec_lo, exec_lo, s50
.LBB114_26:                             ;   in Loop: Header=BB114_6 Depth=1
	s_delay_alu instid0(SALU_CYCLE_1) | instskip(NEXT) | instid1(SALU_CYCLE_1)
	s_or_b32 exec_lo, exec_lo, s7
	s_and_not1_b32 vcc_lo, exec_lo, s8
	s_cbranch_vccnz .LBB114_44
; %bb.27:                               ;   in Loop: Header=BB114_6 Depth=1
	v_dual_mov_b32 v14, 0 :: v_dual_bitop2_b32 v20, 1, v56 bitop3:0x54
	v_cmp_gt_i32_e32 vcc_lo, s9, v56
	s_delay_alu instid0(VALU_DEP_2)
	v_dual_mov_b32 v15, v14 :: v_dual_mov_b32 v12, v14
	v_dual_mov_b32 v13, v14 :: v_dual_mov_b32 v16, v14
	;; [unrolled: 1-line block ×3, first 2 shown]
	v_mov_b32_e32 v19, v14
	s_and_saveexec_b32 s50, vcc_lo
	s_cbranch_execz .LBB114_35
; %bb.28:                               ;   in Loop: Header=BB114_6 Depth=1
	v_mul_lo_u32 v12, v56, s26
	v_dual_mov_b32 v17, 0 :: v_dual_mov_b32 v16, 0
	v_dual_mov_b32 v13, 0 :: v_dual_mov_b32 v15, 0
	v_mov_b32_e32 v14, 0
	s_mov_b32 s51, exec_lo
	global_load_b64 v[18:19], v12, s[40:41] scale_offset
	s_wait_xcnt 0x0
	v_mov_b32_e32 v12, 0
	v_cmpx_gt_i32_e64 s9, v20
	s_cbranch_execz .LBB114_34
; %bb.29:                               ;   in Loop: Header=BB114_6 Depth=1
	v_mul_lo_u32 v12, v20, s26
	v_dual_mov_b32 v13, 0 :: v_dual_bitop2_b32 v21, 2, v56 bitop3:0x54
	v_mov_b32_e32 v14, 0
	s_mov_b32 s52, exec_lo
	v_mov_b32_e32 v15, 0
	global_load_b64 v[16:17], v12, s[40:41] scale_offset
	s_wait_xcnt 0x0
	v_mov_b32_e32 v12, 0
	v_cmpx_gt_i32_e64 s9, v21
	s_cbranch_execz .LBB114_33
; %bb.30:                               ;   in Loop: Header=BB114_6 Depth=1
	v_mul_lo_u32 v12, v21, s26
	v_dual_mov_b32 v15, 0 :: v_dual_bitop2_b32 v21, 3, v56 bitop3:0x54
	v_mov_b32_e32 v14, 0
	s_mov_b32 s53, exec_lo
	global_load_b64 v[12:13], v12, s[40:41] scale_offset
	s_wait_xcnt 0x0
	v_cmpx_gt_i32_e64 s9, v21
	s_cbranch_execz .LBB114_32
; %bb.31:                               ;   in Loop: Header=BB114_6 Depth=1
	v_mul_lo_u32 v14, v21, s26
	global_load_b64 v[14:15], v14, s[40:41] scale_offset
.LBB114_32:                             ;   in Loop: Header=BB114_6 Depth=1
	s_wait_xcnt 0x0
	s_or_b32 exec_lo, exec_lo, s53
.LBB114_33:                             ;   in Loop: Header=BB114_6 Depth=1
	s_delay_alu instid0(SALU_CYCLE_1)
	s_or_b32 exec_lo, exec_lo, s52
.LBB114_34:                             ;   in Loop: Header=BB114_6 Depth=1
	s_delay_alu instid0(SALU_CYCLE_1)
	s_or_b32 exec_lo, exec_lo, s51
.LBB114_35:                             ;   in Loop: Header=BB114_6 Depth=1
	s_delay_alu instid0(SALU_CYCLE_1)
	s_or_b32 exec_lo, exec_lo, s50
	s_and_saveexec_b32 s7, s1
	s_cbranch_execz .LBB114_43
; %bb.36:                               ;   in Loop: Header=BB114_6 Depth=1
	v_mul_lo_u32 v22, v56, s33
	v_or_b32_e32 v21, 2, v56
	v_mul_lo_u32 v24, v20, s33
	s_wait_loadcnt 0x0
	v_dual_mov_b32 v34, v19 :: v_dual_mov_b32 v35, v18
	v_dual_mov_b32 v32, v17 :: v_dual_mov_b32 v33, v16
	;; [unrolled: 1-line block ×3, first 2 shown]
	v_dual_mov_b32 v27, v14 :: v_dual_cndmask_b32 v22, 0, v22
	v_mul_lo_u32 v25, v21, s33
	v_cmp_gt_i32_e32 vcc_lo, s9, v20
	v_cndmask_b32_e32 v20, 0, v24, vcc_lo
	v_cmp_gt_i32_e32 vcc_lo, s9, v21
	s_delay_alu instid0(VALU_DEP_4) | instskip(NEXT) | instid1(VALU_DEP_1)
	v_dual_cndmask_b32 v21, 0, v25, vcc_lo :: v_dual_bitop2_b32 v23, 3, v56 bitop3:0x54
	v_mul_lo_u32 v26, v23, s33
	v_cmp_gt_i32_e32 vcc_lo, s9, v23
	s_delay_alu instid0(VALU_DEP_2) | instskip(NEXT) | instid1(VALU_DEP_4)
	v_dual_cndmask_b32 v23, 0, v26 :: v_dual_add_nc_u32 v38, v22, v63
	v_dual_add_nc_u32 v40, v20, v63 :: v_dual_add_nc_u32 v42, v21, v63
	v_mov_b32_e32 v26, v15
	s_delay_alu instid0(VALU_DEP_3)
	v_add_nc_u32_e32 v36, v23, v63
	s_clause 0x3
	global_load_b64 v[28:29], v38, s[38:39] scale_offset
	global_load_b64 v[24:25], v40, s[38:39] scale_offset
	;; [unrolled: 1-line block ×4, first 2 shown]
	s_wait_xcnt 0x0
	s_and_saveexec_b32 s40, s3
	s_cbranch_execz .LBB114_42
; %bb.37:                               ;   in Loop: Header=BB114_6 Depth=1
	v_dual_ashrrev_i32 v39, 31, v38 :: v_dual_ashrrev_i32 v41, 31, v40
	v_dual_ashrrev_i32 v43, 31, v42 :: v_dual_ashrrev_i32 v37, 31, v36
	s_delay_alu instid0(VALU_DEP_2) | instskip(NEXT) | instid1(VALU_DEP_3)
	v_lshl_add_u64 v[52:53], v[38:39], 3, s[38:39]
	v_lshl_add_u64 v[54:55], v[40:41], 3, s[38:39]
	s_delay_alu instid0(VALU_DEP_3) | instskip(NEXT) | instid1(VALU_DEP_4)
	v_lshl_add_u64 v[56:57], v[42:43], 3, s[38:39]
	v_lshl_add_u64 v[58:59], v[36:37], 3, s[38:39]
	s_clause 0x3
	global_load_b64 v[42:43], v[52:53], off offset:512
	global_load_b64 v[40:41], v[54:55], off offset:512
	global_load_b64 v[38:39], v[56:57], off offset:512
	global_load_b64 v[36:37], v[58:59], off offset:512
	s_wait_xcnt 0x0
	s_and_saveexec_b32 s38, s4
	s_cbranch_execz .LBB114_41
; %bb.38:                               ;   in Loop: Header=BB114_6 Depth=1
	s_clause 0x3
	global_load_b64 v[50:51], v[52:53], off offset:1024
	global_load_b64 v[48:49], v[54:55], off offset:1024
	;; [unrolled: 1-line block ×4, first 2 shown]
	s_wait_xcnt 0x0
	s_and_saveexec_b32 s39, s5
	s_cbranch_execz .LBB114_40
; %bb.39:                               ;   in Loop: Header=BB114_6 Depth=1
	s_clause 0x3
	global_load_b64 v[52:53], v[52:53], off offset:1536
	global_load_b64 v[54:55], v[54:55], off offset:1536
	;; [unrolled: 1-line block ×4, first 2 shown]
	s_wait_loadcnt 0x3
	v_pk_mul_f32 v[72:73], v[34:35], v[52:53] op_sel:[0,1]
	s_delay_alu instid0(VALU_DEP_1) | instskip(SKIP_2) | instid1(VALU_DEP_1)
	v_pk_fma_f32 v[74:75], v[18:19], v[52:53], v[72:73] neg_lo:[0,0,1] neg_hi:[0,0,1]
	s_wait_xcnt 0x3
	v_pk_fma_f32 v[52:53], v[18:19], v[52:53], v[72:73] op_sel_hi:[1,0,1]
	v_mov_b32_e32 v75, v53
	s_wait_loadcnt 0x2
	v_pk_mul_f32 v[52:53], v[32:33], v[54:55] op_sel:[0,1]
	s_delay_alu instid0(VALU_DEP_1) | instskip(SKIP_1) | instid1(VALU_DEP_1)
	v_pk_fma_f32 v[72:73], v[16:17], v[54:55], v[52:53] neg_lo:[0,0,1] neg_hi:[0,0,1]
	v_pk_fma_f32 v[52:53], v[16:17], v[54:55], v[52:53] op_sel_hi:[1,0,1]
	v_mov_b32_e32 v73, v53
	s_wait_loadcnt 0x1
	v_pk_mul_f32 v[52:53], v[30:31], v[56:57] op_sel:[0,1]
	v_pk_add_f32 v[10:11], v[10:11], v[74:75]
	s_wait_xcnt 0x2
	s_delay_alu instid0(VALU_DEP_2) | instskip(SKIP_1) | instid1(VALU_DEP_3)
	v_pk_fma_f32 v[54:55], v[12:13], v[56:57], v[52:53] neg_lo:[0,0,1] neg_hi:[0,0,1]
	v_pk_fma_f32 v[52:53], v[12:13], v[56:57], v[52:53] op_sel_hi:[1,0,1]
	v_pk_add_f32 v[10:11], v[72:73], v[10:11]
	s_delay_alu instid0(VALU_DEP_2) | instskip(SKIP_2) | instid1(VALU_DEP_2)
	v_mov_b32_e32 v55, v53
	s_wait_loadcnt 0x0
	v_pk_mul_f32 v[52:53], v[26:27], v[58:59] op_sel:[0,1]
	v_pk_add_f32 v[10:11], v[54:55], v[10:11]
	s_delay_alu instid0(VALU_DEP_2) | instskip(SKIP_1) | instid1(VALU_DEP_1)
	v_pk_fma_f32 v[54:55], v[14:15], v[58:59], v[52:53] neg_lo:[0,0,1] neg_hi:[0,0,1]
	v_pk_fma_f32 v[52:53], v[14:15], v[58:59], v[52:53] op_sel_hi:[1,0,1]
	v_mov_b32_e32 v55, v53
	s_delay_alu instid0(VALU_DEP_1)
	v_pk_add_f32 v[10:11], v[54:55], v[10:11]
.LBB114_40:                             ;   in Loop: Header=BB114_6 Depth=1
	s_wait_xcnt 0x0
	s_or_b32 exec_lo, exec_lo, s39
	s_wait_loadcnt 0x3
	v_pk_mul_f32 v[52:53], v[34:35], v[50:51] op_sel:[0,1]
	s_wait_loadcnt 0x2
	v_pk_mul_f32 v[54:55], v[32:33], v[48:49] op_sel:[0,1]
	;; [unrolled: 2-line block ×3, first 2 shown]
	v_pk_fma_f32 v[56:57], v[18:19], v[50:51], v[52:53] op_sel_hi:[1,0,1]
	v_pk_fma_f32 v[50:51], v[18:19], v[50:51], v[52:53] neg_lo:[0,0,1] neg_hi:[0,0,1]
	v_pk_fma_f32 v[52:53], v[16:17], v[48:49], v[54:55] op_sel_hi:[1,0,1]
	v_pk_fma_f32 v[48:49], v[16:17], v[48:49], v[54:55] neg_lo:[0,0,1] neg_hi:[0,0,1]
	v_pk_fma_f32 v[54:55], v[12:13], v[46:47], v[58:59] op_sel_hi:[1,0,1]
	v_mov_b32_e32 v51, v57
	v_pk_fma_f32 v[46:47], v[12:13], v[46:47], v[58:59] neg_lo:[0,0,1] neg_hi:[0,0,1]
	v_mov_b32_e32 v49, v53
	s_delay_alu instid0(VALU_DEP_3) | instskip(SKIP_2) | instid1(VALU_DEP_2)
	v_pk_add_f32 v[6:7], v[6:7], v[50:51]
	s_wait_loadcnt 0x0
	v_pk_mul_f32 v[50:51], v[26:27], v[44:45] op_sel:[0,1]
	v_pk_add_f32 v[6:7], v[48:49], v[6:7]
	s_delay_alu instid0(VALU_DEP_2) | instskip(SKIP_2) | instid1(VALU_DEP_3)
	v_pk_fma_f32 v[48:49], v[14:15], v[44:45], v[50:51] op_sel_hi:[1,0,1]
	v_mov_b32_e32 v47, v55
	v_pk_fma_f32 v[44:45], v[14:15], v[44:45], v[50:51] neg_lo:[0,0,1] neg_hi:[0,0,1]
	v_mov_b32_e32 v45, v49
	s_delay_alu instid0(VALU_DEP_3) | instskip(NEXT) | instid1(VALU_DEP_1)
	v_pk_add_f32 v[6:7], v[46:47], v[6:7]
	v_pk_add_f32 v[6:7], v[44:45], v[6:7]
.LBB114_41:                             ;   in Loop: Header=BB114_6 Depth=1
	s_or_b32 exec_lo, exec_lo, s38
	s_wait_loadcnt 0x3
	v_pk_mul_f32 v[44:45], v[34:35], v[42:43] op_sel:[0,1]
	s_wait_loadcnt 0x2
	v_pk_mul_f32 v[46:47], v[32:33], v[40:41] op_sel:[0,1]
	;; [unrolled: 2-line block ×3, first 2 shown]
	v_pk_fma_f32 v[48:49], v[18:19], v[42:43], v[44:45] op_sel_hi:[1,0,1]
	v_pk_fma_f32 v[42:43], v[18:19], v[42:43], v[44:45] neg_lo:[0,0,1] neg_hi:[0,0,1]
	v_pk_fma_f32 v[44:45], v[16:17], v[40:41], v[46:47] op_sel_hi:[1,0,1]
	v_pk_fma_f32 v[40:41], v[16:17], v[40:41], v[46:47] neg_lo:[0,0,1] neg_hi:[0,0,1]
	v_pk_fma_f32 v[46:47], v[12:13], v[38:39], v[50:51] op_sel_hi:[1,0,1]
	v_mov_b32_e32 v43, v49
	v_pk_fma_f32 v[38:39], v[12:13], v[38:39], v[50:51] neg_lo:[0,0,1] neg_hi:[0,0,1]
	v_mov_b32_e32 v41, v45
	s_delay_alu instid0(VALU_DEP_3) | instskip(SKIP_2) | instid1(VALU_DEP_2)
	v_pk_add_f32 v[8:9], v[8:9], v[42:43]
	s_wait_loadcnt 0x0
	v_pk_mul_f32 v[42:43], v[26:27], v[36:37] op_sel:[0,1]
	v_pk_add_f32 v[8:9], v[40:41], v[8:9]
	s_delay_alu instid0(VALU_DEP_2) | instskip(SKIP_2) | instid1(VALU_DEP_3)
	v_pk_fma_f32 v[40:41], v[14:15], v[36:37], v[42:43] op_sel_hi:[1,0,1]
	v_mov_b32_e32 v39, v47
	v_pk_fma_f32 v[36:37], v[14:15], v[36:37], v[42:43] neg_lo:[0,0,1] neg_hi:[0,0,1]
	v_mov_b32_e32 v37, v41
	s_delay_alu instid0(VALU_DEP_3) | instskip(NEXT) | instid1(VALU_DEP_1)
	v_pk_add_f32 v[8:9], v[38:39], v[8:9]
	v_pk_add_f32 v[8:9], v[36:37], v[8:9]
.LBB114_42:                             ;   in Loop: Header=BB114_6 Depth=1
	s_or_b32 exec_lo, exec_lo, s40
	s_wait_loadcnt 0x3
	v_pk_mul_f32 v[34:35], v[34:35], v[28:29] op_sel:[0,1]
	s_wait_loadcnt 0x2
	v_pk_mul_f32 v[32:33], v[32:33], v[24:25] op_sel:[0,1]
	;; [unrolled: 2-line block ×3, first 2 shown]
	v_pk_fma_f32 v[36:37], v[18:19], v[28:29], v[34:35] op_sel_hi:[1,0,1]
	v_pk_fma_f32 v[18:19], v[18:19], v[28:29], v[34:35] neg_lo:[0,0,1] neg_hi:[0,0,1]
	v_pk_fma_f32 v[28:29], v[16:17], v[24:25], v[32:33] op_sel_hi:[1,0,1]
	v_pk_fma_f32 v[16:17], v[16:17], v[24:25], v[32:33] neg_lo:[0,0,1] neg_hi:[0,0,1]
	v_pk_fma_f32 v[24:25], v[12:13], v[22:23], v[30:31] op_sel_hi:[1,0,1]
	v_mov_b32_e32 v19, v37
	v_pk_fma_f32 v[12:13], v[12:13], v[22:23], v[30:31] neg_lo:[0,0,1] neg_hi:[0,0,1]
	v_mov_b32_e32 v17, v29
	s_delay_alu instid0(VALU_DEP_3) | instskip(SKIP_2) | instid1(VALU_DEP_2)
	v_pk_add_f32 v[4:5], v[4:5], v[18:19]
	s_wait_loadcnt 0x0
	v_pk_mul_f32 v[18:19], v[26:27], v[20:21] op_sel:[0,1]
	v_pk_add_f32 v[4:5], v[16:17], v[4:5]
	s_delay_alu instid0(VALU_DEP_2) | instskip(SKIP_2) | instid1(VALU_DEP_3)
	v_pk_fma_f32 v[16:17], v[14:15], v[20:21], v[18:19] op_sel_hi:[1,0,1]
	v_mov_b32_e32 v13, v25
	v_pk_fma_f32 v[14:15], v[14:15], v[20:21], v[18:19] neg_lo:[0,0,1] neg_hi:[0,0,1]
	v_mov_b32_e32 v15, v17
	s_delay_alu instid0(VALU_DEP_3) | instskip(NEXT) | instid1(VALU_DEP_1)
	v_pk_add_f32 v[4:5], v[12:13], v[4:5]
	v_pk_add_f32 v[4:5], v[14:15], v[4:5]
.LBB114_43:                             ;   in Loop: Header=BB114_6 Depth=1
	s_or_b32 exec_lo, exec_lo, s7
.LBB114_44:                             ;   in Loop: Header=BB114_6 Depth=1
	ds_store_2addr_stride64_b64 v61, v[4:5], v[8:9] offset1:1
	ds_store_2addr_stride64_b64 v61, v[6:7], v[10:11] offset0:2 offset1:3
	s_wait_storecnt 0x0
	s_wait_loadcnt_dscnt 0x0
	s_barrier_signal -1
	s_barrier_wait -1
	s_and_saveexec_b32 s7, s0
	s_cbranch_execz .LBB114_4
; %bb.45:                               ;   in Loop: Header=BB114_6 Depth=1
	ds_load_2addr_stride64_b64 v[4:7], v62 offset1:4
	ds_load_2addr_stride64_b64 v[8:11], v62 offset0:8 offset1:12
	ds_load_2addr_stride64_b64 v[12:15], v62 offset0:16 offset1:20
	s_wait_dscnt 0x2
	v_pk_add_f32 v[16:17], v[4:5], v[6:7]
	ds_load_2addr_stride64_b64 v[4:7], v62 offset0:24 offset1:28
	s_wait_dscnt 0x2
	v_pk_add_f32 v[8:9], v[16:17], v[8:9]
	s_delay_alu instid0(VALU_DEP_1) | instskip(SKIP_3) | instid1(VALU_DEP_1)
	v_pk_add_f32 v[16:17], v[8:9], v[10:11]
	ds_load_2addr_stride64_b64 v[8:11], v62 offset0:32 offset1:36
	s_wait_dscnt 0x2
	v_pk_add_f32 v[12:13], v[16:17], v[12:13]
	v_pk_add_f32 v[16:17], v[12:13], v[14:15]
	ds_load_2addr_stride64_b64 v[12:15], v62 offset0:40 offset1:44
	s_wait_dscnt 0x2
	v_pk_add_f32 v[4:5], v[16:17], v[4:5]
	s_delay_alu instid0(VALU_DEP_1) | instskip(SKIP_1) | instid1(VALU_DEP_1)
	v_pk_add_f32 v[4:5], v[4:5], v[6:7]
	s_wait_dscnt 0x1
	v_pk_add_f32 v[8:9], v[4:5], v[8:9]
	ds_load_2addr_stride64_b64 v[4:7], v62 offset0:48 offset1:52
	v_pk_add_f32 v[8:9], v[8:9], v[10:11]
	s_wait_dscnt 0x1
	s_delay_alu instid0(VALU_DEP_1) | instskip(SKIP_3) | instid1(VALU_DEP_1)
	v_pk_add_f32 v[12:13], v[8:9], v[12:13]
	ds_load_2addr_stride64_b64 v[8:11], v62 offset0:56 offset1:60
	v_pk_add_f32 v[12:13], v[12:13], v[14:15]
	s_wait_dscnt 0x1
	v_pk_add_f32 v[4:5], v[12:13], v[4:5]
	s_delay_alu instid0(VALU_DEP_1) | instskip(SKIP_1) | instid1(VALU_DEP_1)
	v_pk_add_f32 v[4:5], v[4:5], v[6:7]
	s_wait_dscnt 0x0
	v_pk_add_f32 v[4:5], v[4:5], v[8:9]
	s_delay_alu instid0(VALU_DEP_1)
	v_pk_add_f32 v[6:7], v[4:5], v[10:11]
	ds_store_b64 v62, v[6:7]
	s_and_b32 exec_lo, exec_lo, s2
	s_cbranch_execz .LBB114_4
; %bb.46:                               ;   in Loop: Header=BB114_6 Depth=1
	v_mov_b64_e32 v[4:5], s[34:35]
	v_mov_b64_e32 v[8:9], s[10:11]
	s_and_not1_b32 vcc_lo, exec_lo, s44
	s_delay_alu instid0(VALU_DEP_2) | instskip(NEXT) | instid1(VALU_DEP_1)
	v_pk_mul_f32 v[10:11], v[6:7], v[4:5] op_sel:[1,0]
	v_pk_fma_f32 v[4:5], v[6:7], v[8:9], v[10:11] op_sel_hi:[0,1,1] neg_lo:[0,0,1] neg_hi:[0,0,1]
	v_pk_fma_f32 v[8:9], v[6:7], v[8:9], v[10:11] op_sel_hi:[0,1,1]
	v_lshl_add_u64 v[6:7], v[2:3], 3, s[36:37]
	s_cbranch_vccnz .LBB114_3
; %bb.47:                               ;   in Loop: Header=BB114_6 Depth=1
	global_load_b64 v[10:11], v[6:7], off
	v_mov_b64_e32 v[12:13], s[30:31]
	v_mov_b64_e32 v[14:15], s[14:15]
	s_wait_loadcnt 0x0
	s_delay_alu instid0(VALU_DEP_2) | instskip(NEXT) | instid1(VALU_DEP_1)
	v_pk_mul_f32 v[12:13], v[12:13], v[10:11] op_sel:[0,1]
	v_pk_fma_f32 v[16:17], v[14:15], v[10:11], v[12:13] op_sel_hi:[1,0,1]
	v_mov_b32_e32 v5, v9
	v_pk_fma_f32 v[8:9], v[14:15], v[10:11], v[12:13] neg_lo:[0,0,1] neg_hi:[0,0,1]
	s_delay_alu instid0(VALU_DEP_3) | instskip(NEXT) | instid1(VALU_DEP_1)
	v_mov_b32_e32 v9, v17
	v_pk_add_f32 v[4:5], v[4:5], v[8:9]
	s_delay_alu instid0(VALU_DEP_1)
	v_mov_b32_e32 v9, v5
	s_branch .LBB114_3
.LBB114_48:
	s_sendmsg sendmsg(MSG_DEALLOC_VGPRS)
	s_endpgm
	.section	.rodata,"a",@progbits
	.p2align	6, 0x0
	.amdhsa_kernel _ZL20rocblas_gemvn_kernelILi64ELi16Ei19rocblas_complex_numIfES1_S1_EviiT3_lPKT2_lT1_lS5_lS6_lS2_lPT4_lS6_li
		.amdhsa_group_segment_fixed_size 32768
		.amdhsa_private_segment_fixed_size 0
		.amdhsa_kernarg_size 400
		.amdhsa_user_sgpr_count 2
		.amdhsa_user_sgpr_dispatch_ptr 0
		.amdhsa_user_sgpr_queue_ptr 0
		.amdhsa_user_sgpr_kernarg_segment_ptr 1
		.amdhsa_user_sgpr_dispatch_id 0
		.amdhsa_user_sgpr_kernarg_preload_length 0
		.amdhsa_user_sgpr_kernarg_preload_offset 0
		.amdhsa_user_sgpr_private_segment_size 0
		.amdhsa_wavefront_size32 1
		.amdhsa_uses_dynamic_stack 0
		.amdhsa_enable_private_segment 0
		.amdhsa_system_sgpr_workgroup_id_x 1
		.amdhsa_system_sgpr_workgroup_id_y 0
		.amdhsa_system_sgpr_workgroup_id_z 1
		.amdhsa_system_sgpr_workgroup_info 0
		.amdhsa_system_vgpr_workitem_id 1
		.amdhsa_next_free_vgpr 76
		.amdhsa_next_free_sgpr 56
		.amdhsa_named_barrier_count 0
		.amdhsa_reserve_vcc 1
		.amdhsa_float_round_mode_32 0
		.amdhsa_float_round_mode_16_64 0
		.amdhsa_float_denorm_mode_32 3
		.amdhsa_float_denorm_mode_16_64 3
		.amdhsa_fp16_overflow 0
		.amdhsa_memory_ordered 1
		.amdhsa_forward_progress 1
		.amdhsa_inst_pref_size 33
		.amdhsa_round_robin_scheduling 0
		.amdhsa_exception_fp_ieee_invalid_op 0
		.amdhsa_exception_fp_denorm_src 0
		.amdhsa_exception_fp_ieee_div_zero 0
		.amdhsa_exception_fp_ieee_overflow 0
		.amdhsa_exception_fp_ieee_underflow 0
		.amdhsa_exception_fp_ieee_inexact 0
		.amdhsa_exception_int_div_zero 0
	.end_amdhsa_kernel
	.section	.text._ZL20rocblas_gemvn_kernelILi64ELi16Ei19rocblas_complex_numIfES1_S1_EviiT3_lPKT2_lT1_lS5_lS6_lS2_lPT4_lS6_li,"axG",@progbits,_ZL20rocblas_gemvn_kernelILi64ELi16Ei19rocblas_complex_numIfES1_S1_EviiT3_lPKT2_lT1_lS5_lS6_lS2_lPT4_lS6_li,comdat
.Lfunc_end114:
	.size	_ZL20rocblas_gemvn_kernelILi64ELi16Ei19rocblas_complex_numIfES1_S1_EviiT3_lPKT2_lT1_lS5_lS6_lS2_lPT4_lS6_li, .Lfunc_end114-_ZL20rocblas_gemvn_kernelILi64ELi16Ei19rocblas_complex_numIfES1_S1_EviiT3_lPKT2_lT1_lS5_lS6_lS2_lPT4_lS6_li
                                        ; -- End function
	.set _ZL20rocblas_gemvn_kernelILi64ELi16Ei19rocblas_complex_numIfES1_S1_EviiT3_lPKT2_lT1_lS5_lS6_lS2_lPT4_lS6_li.num_vgpr, 76
	.set _ZL20rocblas_gemvn_kernelILi64ELi16Ei19rocblas_complex_numIfES1_S1_EviiT3_lPKT2_lT1_lS5_lS6_lS2_lPT4_lS6_li.num_agpr, 0
	.set _ZL20rocblas_gemvn_kernelILi64ELi16Ei19rocblas_complex_numIfES1_S1_EviiT3_lPKT2_lT1_lS5_lS6_lS2_lPT4_lS6_li.numbered_sgpr, 56
	.set _ZL20rocblas_gemvn_kernelILi64ELi16Ei19rocblas_complex_numIfES1_S1_EviiT3_lPKT2_lT1_lS5_lS6_lS2_lPT4_lS6_li.num_named_barrier, 0
	.set _ZL20rocblas_gemvn_kernelILi64ELi16Ei19rocblas_complex_numIfES1_S1_EviiT3_lPKT2_lT1_lS5_lS6_lS2_lPT4_lS6_li.private_seg_size, 0
	.set _ZL20rocblas_gemvn_kernelILi64ELi16Ei19rocblas_complex_numIfES1_S1_EviiT3_lPKT2_lT1_lS5_lS6_lS2_lPT4_lS6_li.uses_vcc, 1
	.set _ZL20rocblas_gemvn_kernelILi64ELi16Ei19rocblas_complex_numIfES1_S1_EviiT3_lPKT2_lT1_lS5_lS6_lS2_lPT4_lS6_li.uses_flat_scratch, 0
	.set _ZL20rocblas_gemvn_kernelILi64ELi16Ei19rocblas_complex_numIfES1_S1_EviiT3_lPKT2_lT1_lS5_lS6_lS2_lPT4_lS6_li.has_dyn_sized_stack, 0
	.set _ZL20rocblas_gemvn_kernelILi64ELi16Ei19rocblas_complex_numIfES1_S1_EviiT3_lPKT2_lT1_lS5_lS6_lS2_lPT4_lS6_li.has_recursion, 0
	.set _ZL20rocblas_gemvn_kernelILi64ELi16Ei19rocblas_complex_numIfES1_S1_EviiT3_lPKT2_lT1_lS5_lS6_lS2_lPT4_lS6_li.has_indirect_call, 0
	.section	.AMDGPU.csdata,"",@progbits
; Kernel info:
; codeLenInByte = 4132
; TotalNumSgprs: 58
; NumVgprs: 76
; ScratchSize: 0
; MemoryBound: 0
; FloatMode: 240
; IeeeMode: 1
; LDSByteSize: 32768 bytes/workgroup (compile time only)
; SGPRBlocks: 0
; VGPRBlocks: 4
; NumSGPRsForWavesPerEU: 58
; NumVGPRsForWavesPerEU: 76
; NamedBarCnt: 0
; Occupancy: 12
; WaveLimiterHint : 0
; COMPUTE_PGM_RSRC2:SCRATCH_EN: 0
; COMPUTE_PGM_RSRC2:USER_SGPR: 2
; COMPUTE_PGM_RSRC2:TRAP_HANDLER: 0
; COMPUTE_PGM_RSRC2:TGID_X_EN: 1
; COMPUTE_PGM_RSRC2:TGID_Y_EN: 0
; COMPUTE_PGM_RSRC2:TGID_Z_EN: 1
; COMPUTE_PGM_RSRC2:TIDIG_COMP_CNT: 1
	.section	.text._ZL20rocblas_gemvn_kernelILi64ELi16El19rocblas_complex_numIfES1_S1_EviiT3_lPKT2_lT1_lS5_lS6_lS2_lPT4_lS6_li,"axG",@progbits,_ZL20rocblas_gemvn_kernelILi64ELi16El19rocblas_complex_numIfES1_S1_EviiT3_lPKT2_lT1_lS5_lS6_lS2_lPT4_lS6_li,comdat
	.globl	_ZL20rocblas_gemvn_kernelILi64ELi16El19rocblas_complex_numIfES1_S1_EviiT3_lPKT2_lT1_lS5_lS6_lS2_lPT4_lS6_li ; -- Begin function _ZL20rocblas_gemvn_kernelILi64ELi16El19rocblas_complex_numIfES1_S1_EviiT3_lPKT2_lT1_lS5_lS6_lS2_lPT4_lS6_li
	.p2align	8
	.type	_ZL20rocblas_gemvn_kernelILi64ELi16El19rocblas_complex_numIfES1_S1_EviiT3_lPKT2_lT1_lS5_lS6_lS2_lPT4_lS6_li,@function
_ZL20rocblas_gemvn_kernelILi64ELi16El19rocblas_complex_numIfES1_S1_EviiT3_lPKT2_lT1_lS5_lS6_lS2_lPT4_lS6_li: ; @_ZL20rocblas_gemvn_kernelILi64ELi16El19rocblas_complex_numIfES1_S1_EviiT3_lPKT2_lT1_lS5_lS6_lS2_lPT4_lS6_li
; %bb.0:
	s_load_b64 s[2:3], s[0:1], 0x9c
	s_wait_kmcnt 0x0
	s_lshr_b32 s4, s2, 16
	s_and_b32 s2, s2, 0xffff
	s_and_b32 s3, s3, 0xffff
	s_mul_i32 s2, s4, s2
	s_delay_alu instid0(SALU_CYCLE_1) | instskip(NEXT) | instid1(SALU_CYCLE_1)
	s_mul_i32 s2, s2, s3
	s_cmp_lg_u32 s2, 0x400
	s_cbranch_scc1 .LBB115_48
; %bb.1:
	s_load_b32 s33, s[0:1], 0x88
	s_bfe_u32 s2, ttmp6, 0x40014
	s_lshr_b32 s3, ttmp7, 16
	s_add_co_i32 s2, s2, 1
	s_bfe_u32 s4, ttmp6, 0x40008
	s_mul_i32 s2, s3, s2
	s_getreg_b32 s6, hwreg(HW_REG_IB_STS2, 6, 4)
	s_add_co_i32 s4, s4, s2
	s_cmp_eq_u32 s6, 0
	s_mov_b32 s35, 0
	s_cselect_b32 s34, s3, s4
	s_wait_kmcnt 0x0
	s_cmp_ge_u32 s34, s33
	s_cbranch_scc1 .LBB115_48
; %bb.2:
	s_clause 0x3
	s_load_b512 s[8:23], s[0:1], 0x18
	s_load_b256 s[24:31], s[0:1], 0x68
	s_load_b128 s[36:39], s[0:1], 0x0
	s_load_b64 s[40:41], s[0:1], 0x58
	v_and_b32_e32 v12, 0x3ff, v0
	v_bfe_u32 v2, v0, 10, 10
	s_delay_alu instid0(VALU_DEP_2) | instskip(NEXT) | instid1(VALU_DEP_2)
	v_dual_mov_b32 v1, 0 :: v_dual_lshlrev_b32 v0, 3, v12
	v_lshl_add_u32 v13, v2, 6, v12
	s_delay_alu instid0(VALU_DEP_2) | instskip(NEXT) | instid1(VALU_DEP_3)
	v_dual_mov_b32 v3, v1 :: v_dual_lshlrev_b32 v92, 2, v2
	v_lshl_add_u32 v93, v2, 11, v0
	v_lshl_add_u32 v94, v2, 9, v0
	s_wait_kmcnt 0x0
	s_lshl_b64 s[4:5], s[10:11], 3
	s_lshl_b64 s[10:11], s[18:19], 3
	;; [unrolled: 1-line block ×3, first 2 shown]
	s_cmp_neq_f32 s38, 0
	s_mov_b32 s46, s36
	v_mul_u64_e32 v[8:9], s[20:21], v[2:3]
	v_mul_u64_e32 v[10:11], s[12:13], v[2:3]
	s_cselect_b32 s0, -1, 0
	s_cmp_neq_f32 s39, 0
	v_mad_nc_u64_u32 v[2:3], s20, v92, s[20:21]
	v_mad_nc_u64_u32 v[6:7], s12, v92, s[12:13]
	s_add_nc_u64 s[24:25], s[24:25], s[2:3]
	s_cselect_b32 s1, -1, 0
	s_add_nc_u64 s[42:43], s[8:9], s[4:5]
	s_or_b32 s7, s0, s1
	s_cmp_neq_f32 s40, 1.0
	v_cmp_gt_u32_e64 s0, 0x100, v13
	s_mov_b32 s18, s41
	s_mov_b32 s19, s40
	s_cselect_b32 s48, -1, 0
	s_cmp_neq_f32 s41, 0
	v_mad_u32 v3, s21, v92, v3
	v_mad_u32 v7, s13, v92, v7
	s_mov_b32 s26, s39
	s_cselect_b32 s49, -1, 0
	s_or_b32 s1, s38, s39
	s_add_nc_u64 s[44:45], s[16:17], s[10:11]
	s_bitset0_b32 s1, 31
	s_delay_alu instid0(SALU_CYCLE_1)
	s_cmp_eq_u32 s1, 0
	s_cselect_b32 s52, -1, 0
	s_bfe_u32 s1, ttmp6, 0x4000c
	s_and_b32 s27, ttmp6, 15
	s_add_co_i32 s1, s1, 1
	v_lshl_add_u64 v[2:3], v[2:3], 3, s[16:17]
	s_mul_i32 s1, ttmp9, s1
	v_lshlrev_b64_e32 v[8:9], 5, v[8:9]
	s_add_co_i32 s1, s27, s1
	s_cmp_eq_u32 s6, 0
	v_lshlrev_b64_e32 v[10:11], 5, v[10:11]
	s_cselect_b32 s1, ttmp9, s1
	s_ashr_i32 s47, s36, 31
	s_lshl_b32 s1, s1, 8
	s_cmp_neq_f32 s40, 0
	v_dual_add_nc_u32 v0, s1, v13 :: v_dual_bitop2_b32 v14, s1, v13 bitop3:0x54
	v_add_nc_u32_e32 v20, s1, v12
	s_cselect_b32 s1, -1, 0
	s_ashr_i32 s2, s37, 31
	s_delay_alu instid0(VALU_DEP_2)
	v_cmp_gt_i64_e32 vcc_lo, s[46:47], v[0:1]
	v_mul_u64_e32 v[4:5], s[28:29], v[0:1]
	v_dual_ashrrev_i32 v15, 31, v14 :: v_dual_bitop2_b32 v0, 3, v92 bitop3:0x54
	s_lshr_b32 s2, s2, 26
	v_ashrrev_i32_e32 v21, 31, v20
	s_add_co_i32 s54, s37, s2
	s_delay_alu instid0(VALU_DEP_2)
	v_mul_u64_e32 v[16:17], s[12:13], v[0:1]
	v_mul_u64_e32 v[18:19], s[20:21], v[0:1]
	v_or_b32_e32 v0, 2, v92
	v_mul_u64_e32 v[12:13], s[28:29], v[14:15]
	v_add_nc_u32_e32 v15, 0x80, v20
	v_add_nc_u32_e32 v26, 0xc0, v20
	s_and_not1_b32 s54, s54, 63
	v_mul_u64_e32 v[22:23], s[12:13], v[0:1]
	v_mul_u64_e32 v[24:25], s[20:21], v[0:1]
	v_add_nc_u32_e32 v0, 64, v20
	s_sub_co_i32 s6, s37, s54
	v_add_nc_u64_e32 v[8:9], s[16:17], v[8:9]
	v_add_nc_u64_e32 v[10:11], s[42:43], v[10:11]
	s_or_b32 s53, s1, s49
	v_cmp_gt_i32_e64 s2, s36, v14
	v_cmp_gt_i32_e64 s4, s36, v15
	v_lshlrev_b64_e32 v[14:15], 3, v[20:21]
	s_cmp_gt_i32 s6, 0
	v_lshl_add_u64 v[6:7], v[6:7], 3, s[42:43]
	v_cmp_gt_i32_e64 s1, s36, v20
	v_cmp_gt_i32_e64 s3, s36, v0
	;; [unrolled: 1-line block ×4, first 2 shown]
	s_cselect_b32 s36, -1, 0
	s_or_b32 s7, s7, s48
	s_mov_b32 s27, s38
	s_and_b32 s55, s0, vcc_lo
	s_lshl_b64 s[28:29], s[22:23], 3
	s_or_b32 s56, s7, s49
	s_lshl_b64 s[46:47], s[14:15], 3
	s_lshl_b64 s[48:49], s[12:13], 9
	v_lshl_add_u64 v[16:17], v[16:17], 3, s[42:43]
	v_lshl_add_u64 v[18:19], v[18:19], 3, s[16:17]
	v_lshl_add_u64 v[20:21], v[22:23], 3, s[42:43]
	v_lshl_add_u64 v[22:23], v[24:25], 3, s[16:17]
	s_lshl_b64 s[16:17], s[20:21], 9
	s_branch .LBB115_6
.LBB115_3:                              ;   in Loop: Header=BB115_6 Depth=1
	s_delay_alu instid0(VALU_DEP_1)
	v_mov_b32_e32 v25, v29
	global_store_b64 v[26:27], v[24:25], off
.LBB115_4:                              ;   in Loop: Header=BB115_6 Depth=1
	s_wait_xcnt 0x0
	s_or_b32 exec_lo, exec_lo, s7
.LBB115_5:                              ;   in Loop: Header=BB115_6 Depth=1
	s_add_co_i32 s34, s34, 0x10000
	s_delay_alu instid0(SALU_CYCLE_1)
	s_cmp_lt_u32 s34, s33
	s_cbranch_scc0 .LBB115_48
.LBB115_6:                              ; =>This Loop Header: Depth=1
                                        ;     Child Loop BB115_20 Depth 2
	s_and_not1_b32 vcc_lo, exec_lo, s56
	s_cbranch_vccnz .LBB115_5
; %bb.7:                                ;   in Loop: Header=BB115_6 Depth=1
	s_mul_u64 s[8:9], s[30:31], s[34:35]
	s_and_not1_b32 vcc_lo, exec_lo, s52
	s_lshl_b64 s[8:9], s[8:9], 3
	s_mov_b32 s7, -1
	s_add_nc_u64 s[50:51], s[24:25], s[8:9]
	s_cbranch_vccnz .LBB115_13
; %bb.8:                                ;   in Loop: Header=BB115_6 Depth=1
	s_and_saveexec_b32 s7, s55
	s_cbranch_execz .LBB115_12
; %bb.9:                                ;   in Loop: Header=BB115_6 Depth=1
	v_dual_mov_b32 v26, 0 :: v_dual_mov_b32 v27, 0
	v_lshl_add_u64 v[24:25], v[4:5], 3, s[50:51]
	s_and_not1_b32 vcc_lo, exec_lo, s53
	s_cbranch_vccnz .LBB115_11
; %bb.10:                               ;   in Loop: Header=BB115_6 Depth=1
	global_load_b64 v[26:27], v[24:25], off
	v_mov_b64_e32 v[28:29], s[18:19]
	v_mov_b64_e32 v[30:31], s[40:41]
	s_wait_loadcnt 0x0
	s_delay_alu instid0(VALU_DEP_2) | instskip(NEXT) | instid1(VALU_DEP_1)
	v_pk_mul_f32 v[28:29], v[28:29], v[26:27] op_sel:[0,1]
	v_pk_fma_f32 v[32:33], v[30:31], v[26:27], v[28:29] op_sel_hi:[1,0,1]
	v_pk_fma_f32 v[26:27], v[30:31], v[26:27], v[28:29] neg_lo:[0,0,1] neg_hi:[0,0,1]
	s_delay_alu instid0(VALU_DEP_2)
	v_mov_b32_e32 v27, v33
.LBB115_11:                             ;   in Loop: Header=BB115_6 Depth=1
	global_store_b64 v[24:25], v[26:27], off
.LBB115_12:                             ;   in Loop: Header=BB115_6 Depth=1
	s_wait_xcnt 0x0
	s_or_b32 exec_lo, exec_lo, s7
	s_mov_b32 s7, 0
.LBB115_13:                             ;   in Loop: Header=BB115_6 Depth=1
	s_delay_alu instid0(SALU_CYCLE_1)
	s_and_not1_b32 vcc_lo, exec_lo, s7
	s_cbranch_vccnz .LBB115_5
; %bb.14:                               ;   in Loop: Header=BB115_6 Depth=1
	v_mov_b64_e32 v[26:27], 0
	v_mov_b64_e32 v[28:29], 0
	;; [unrolled: 1-line block ×4, first 2 shown]
	v_mov_b32_e32 v0, v92
	s_and_saveexec_b32 s7, s6
	s_cbranch_execz .LBB115_26
; %bb.15:                               ;   in Loop: Header=BB115_6 Depth=1
	s_mul_u64 s[8:9], s[28:29], s[34:35]
	s_mul_u64 s[58:59], s[46:47], s[34:35]
	v_add_nc_u64_e32 v[32:33], s[8:9], v[8:9]
	v_add_nc_u64_e32 v[34:35], s[58:59], v[16:17]
	;; [unrolled: 1-line block ×8, first 2 shown]
	v_mov_b64_e32 v[24:25], 0
	v_mov_b64_e32 v[30:31], 0
	;; [unrolled: 1-line block ×4, first 2 shown]
	v_mov_b32_e32 v0, v92
	s_mov_b32 s8, 0
	s_branch .LBB115_20
.LBB115_16:                             ;   in Loop: Header=BB115_20 Depth=2
	s_or_b32 exec_lo, exec_lo, s59
	s_wait_loadcnt 0x3
	v_dual_mul_f32 v84, v57, v83 :: v_dual_mul_f32 v85, v56, v83
	s_wait_loadcnt 0x2
	v_dual_mul_f32 v88, v59, v81 :: v_dual_mul_f32 v83, v58, v81
	s_wait_loadcnt 0x1
	v_pk_mul_f32 v[86:87], v[74:75], v[78:79] op_sel:[0,1]
	v_dual_fma_f32 v84, v56, v82, -v84 :: v_dual_fmac_f32 v85, v57, v82
	s_delay_alu instid0(VALU_DEP_3) | instskip(NEXT) | instid1(VALU_DEP_3)
	v_dual_fma_f32 v82, v58, v80, -v88 :: v_dual_fmac_f32 v83, v59, v80
	v_pk_fma_f32 v[80:81], v[50:51], v[78:79], v[86:87] op_sel_hi:[1,0,1]
	v_pk_fma_f32 v[78:79], v[50:51], v[78:79], v[86:87] neg_lo:[0,0,1] neg_hi:[0,0,1]
	s_delay_alu instid0(VALU_DEP_4) | instskip(SKIP_3) | instid1(VALU_DEP_3)
	v_pk_add_f32 v[28:29], v[28:29], v[84:85]
	s_wait_loadcnt 0x0
	v_pk_mul_f32 v[84:85], v[68:69], v[76:77] op_sel:[0,1]
	v_mov_b32_e32 v79, v81
	v_pk_add_f32 v[28:29], v[82:83], v[28:29]
	s_delay_alu instid0(VALU_DEP_3) | instskip(SKIP_1) | instid1(VALU_DEP_2)
	v_pk_fma_f32 v[80:81], v[48:49], v[76:77], v[84:85] op_sel_hi:[1,0,1]
	v_pk_fma_f32 v[76:77], v[48:49], v[76:77], v[84:85] neg_lo:[0,0,1] neg_hi:[0,0,1]
	v_mov_b32_e32 v77, v81
	s_delay_alu instid0(VALU_DEP_4) | instskip(NEXT) | instid1(VALU_DEP_1)
	v_pk_add_f32 v[28:29], v[78:79], v[28:29]
	v_pk_add_f32 v[28:29], v[76:77], v[28:29]
.LBB115_17:                             ;   in Loop: Header=BB115_20 Depth=2
	s_or_b32 exec_lo, exec_lo, s58
	s_wait_loadcnt 0x3
	v_dual_mul_f32 v76, v57, v73 :: v_dual_mul_f32 v77, v56, v73
	s_wait_loadcnt 0x2
	v_dual_mul_f32 v78, v59, v71 :: v_dual_mul_f32 v73, v58, v71
	s_wait_loadcnt 0x1
	v_pk_mul_f32 v[74:75], v[74:75], v[66:67] op_sel:[0,1]
	v_dual_fma_f32 v76, v56, v72, -v76 :: v_dual_fmac_f32 v77, v57, v72
	s_delay_alu instid0(VALU_DEP_3) | instskip(NEXT) | instid1(VALU_DEP_3)
	v_dual_fma_f32 v72, v58, v70, -v78 :: v_dual_fmac_f32 v73, v59, v70
	v_pk_fma_f32 v[70:71], v[50:51], v[66:67], v[74:75] op_sel_hi:[1,0,1]
	s_wait_loadcnt 0x0
	v_pk_mul_f32 v[68:69], v[68:69], v[64:65] op_sel:[0,1]
	v_pk_add_f32 v[30:31], v[30:31], v[76:77]
	v_pk_fma_f32 v[66:67], v[50:51], v[66:67], v[74:75] neg_lo:[0,0,1] neg_hi:[0,0,1]
	v_mov_b32_e32 v67, v71
	s_delay_alu instid0(VALU_DEP_4) | instskip(NEXT) | instid1(VALU_DEP_4)
	v_pk_fma_f32 v[70:71], v[48:49], v[64:65], v[68:69] op_sel_hi:[1,0,1]
	v_pk_add_f32 v[30:31], v[72:73], v[30:31]
	v_pk_fma_f32 v[64:65], v[48:49], v[64:65], v[68:69] neg_lo:[0,0,1] neg_hi:[0,0,1]
	s_delay_alu instid0(VALU_DEP_3) | instskip(NEXT) | instid1(VALU_DEP_3)
	v_mov_b32_e32 v65, v71
	v_pk_add_f32 v[30:31], v[66:67], v[30:31]
	s_delay_alu instid0(VALU_DEP_1)
	v_pk_add_f32 v[30:31], v[64:65], v[30:31]
.LBB115_18:                             ;   in Loop: Header=BB115_20 Depth=2
	s_or_b32 exec_lo, exec_lo, s57
	s_wait_loadcnt 0x3
	v_dual_mul_f32 v64, v57, v63 :: v_dual_mul_f32 v65, v56, v63
	s_wait_loadcnt 0x2
	v_dual_mul_f32 v68, v59, v61 :: v_dual_mul_f32 v63, v58, v61
	s_wait_loadcnt 0x1
	v_pk_mul_f32 v[66:67], v[50:51], v[54:55] op_sel:[1,1] op_sel_hi:[0,1]
	v_dual_fma_f32 v64, v56, v62, -v64 :: v_dual_fmac_f32 v65, v57, v62
	s_delay_alu instid0(VALU_DEP_3) | instskip(NEXT) | instid1(VALU_DEP_3)
	v_dual_fma_f32 v62, v58, v60, -v68 :: v_dual_fmac_f32 v63, v59, v60
	v_pk_fma_f32 v[56:57], v[50:51], v[54:55], v[66:67] op_sel_hi:[1,0,1]
	s_wait_loadcnt 0x0
	v_pk_mul_f32 v[58:59], v[48:49], v[52:53] op_sel:[1,1] op_sel_hi:[0,1]
	v_pk_add_f32 v[24:25], v[24:25], v[64:65]
	v_pk_fma_f32 v[50:51], v[50:51], v[54:55], v[66:67] neg_lo:[0,0,1] neg_hi:[0,0,1]
	s_delay_alu instid0(VALU_DEP_3) | instskip(SKIP_1) | instid1(VALU_DEP_4)
	v_pk_fma_f32 v[54:55], v[48:49], v[52:53], v[58:59] op_sel_hi:[1,0,1]
	v_mov_b32_e32 v51, v57
	v_pk_add_f32 v[24:25], v[62:63], v[24:25]
	v_pk_fma_f32 v[48:49], v[48:49], v[52:53], v[58:59] neg_lo:[0,0,1] neg_hi:[0,0,1]
	s_delay_alu instid0(VALU_DEP_4) | instskip(NEXT) | instid1(VALU_DEP_3)
	v_mov_b32_e32 v49, v55
	v_pk_add_f32 v[24:25], v[50:51], v[24:25]
	s_delay_alu instid0(VALU_DEP_1)
	v_pk_add_f32 v[24:25], v[48:49], v[24:25]
.LBB115_19:                             ;   in Loop: Header=BB115_20 Depth=2
	s_or_b32 exec_lo, exec_lo, s9
	v_add_nc_u32_e32 v0, 64, v0
	v_add_nc_u64_e32 v[32:33], s[16:17], v[32:33]
	v_add_nc_u64_e32 v[34:35], s[48:49], v[34:35]
	;; [unrolled: 1-line block ×7, first 2 shown]
	v_cmp_le_i32_e32 vcc_lo, s54, v0
	v_add_nc_u64_e32 v[46:47], s[48:49], v[46:47]
	s_or_b32 s8, vcc_lo, s8
	s_delay_alu instid0(SALU_CYCLE_1)
	s_and_not1_b32 exec_lo, exec_lo, s8
	s_cbranch_execz .LBB115_25
.LBB115_20:                             ;   Parent Loop BB115_6 Depth=1
                                        ; =>  This Inner Loop Header: Depth=2
	s_and_saveexec_b32 s9, s1
	s_cbranch_execz .LBB115_19
; %bb.21:                               ;   in Loop: Header=BB115_20 Depth=2
	v_add_nc_u64_e32 v[48:49], s[10:11], v[32:33]
	v_add_nc_u64_e32 v[50:51], s[10:11], v[44:45]
	;; [unrolled: 1-line block ×8, first 2 shown]
	global_load_b64 v[56:57], v[48:49], off
	global_load_b64 v[58:59], v[50:51], off
	;; [unrolled: 1-line block ×8, first 2 shown]
	s_wait_xcnt 0x0
	s_and_saveexec_b32 s57, s3
	s_cbranch_execz .LBB115_18
; %bb.22:                               ;   in Loop: Header=BB115_20 Depth=2
	global_load_b64 v[72:73], v[90:91], off offset:512
	global_load_b64 v[70:71], v[88:89], off offset:512
	;; [unrolled: 1-line block ×4, first 2 shown]
	s_wait_loadcnt 0x9
	v_dual_mov_b32 v74, v51 :: v_dual_mov_b32 v75, v50
	s_wait_loadcnt 0x8
	v_dual_mov_b32 v68, v49 :: v_dual_mov_b32 v69, v48
	s_wait_xcnt 0x0
	s_and_saveexec_b32 s58, s4
	s_cbranch_execz .LBB115_17
; %bb.23:                               ;   in Loop: Header=BB115_20 Depth=2
	global_load_b64 v[82:83], v[90:91], off offset:1024
	global_load_b64 v[80:81], v[88:89], off offset:1024
	;; [unrolled: 1-line block ×4, first 2 shown]
	s_wait_xcnt 0x0
	s_and_saveexec_b32 s59, s5
	s_cbranch_execz .LBB115_16
; %bb.24:                               ;   in Loop: Header=BB115_20 Depth=2
	global_load_b64 v[90:91], v[90:91], off offset:1536
	global_load_b64 v[88:89], v[88:89], off offset:1536
	;; [unrolled: 1-line block ×4, first 2 shown]
	s_wait_loadcnt 0x3
	v_dual_mul_f32 v95, v57, v91 :: v_dual_mul_f32 v97, v56, v91
	s_wait_loadcnt 0x2
	s_wait_xcnt 0x3
	v_dual_mul_f32 v100, v59, v89 :: v_dual_mul_f32 v91, v58, v89
	s_wait_loadcnt 0x1
	v_pk_mul_f32 v[98:99], v[74:75], v[84:85] op_sel:[0,1]
	v_dual_fma_f32 v96, v56, v90, -v95 :: v_dual_fmac_f32 v97, v57, v90
	s_delay_alu instid0(VALU_DEP_3) | instskip(SKIP_1) | instid1(VALU_DEP_3)
	v_dual_fma_f32 v90, v58, v88, -v100 :: v_dual_fmac_f32 v91, v59, v88
	s_wait_xcnt 0x2
	v_pk_fma_f32 v[88:89], v[50:51], v[84:85], v[98:99] op_sel_hi:[1,0,1]
	s_wait_xcnt 0x1
	v_pk_fma_f32 v[84:85], v[50:51], v[84:85], v[98:99] neg_lo:[0,0,1] neg_hi:[0,0,1]
	v_pk_add_f32 v[26:27], v[26:27], v[96:97]
	s_wait_loadcnt 0x0
	v_pk_mul_f32 v[96:97], v[68:69], v[86:87] op_sel:[0,1]
	v_mov_b32_e32 v85, v89
	s_delay_alu instid0(VALU_DEP_3) | instskip(NEXT) | instid1(VALU_DEP_3)
	v_pk_add_f32 v[26:27], v[90:91], v[26:27]
	v_pk_fma_f32 v[88:89], v[48:49], v[86:87], v[96:97] op_sel_hi:[1,0,1]
	s_wait_xcnt 0x0
	v_pk_fma_f32 v[86:87], v[48:49], v[86:87], v[96:97] neg_lo:[0,0,1] neg_hi:[0,0,1]
	s_delay_alu instid0(VALU_DEP_2) | instskip(SKIP_1) | instid1(VALU_DEP_1)
	v_mov_b32_e32 v87, v89
	v_pk_add_f32 v[26:27], v[84:85], v[26:27]
	v_pk_add_f32 v[26:27], v[86:87], v[26:27]
	s_branch .LBB115_16
.LBB115_25:                             ;   in Loop: Header=BB115_6 Depth=1
	s_or_b32 exec_lo, exec_lo, s8
.LBB115_26:                             ;   in Loop: Header=BB115_6 Depth=1
	s_delay_alu instid0(SALU_CYCLE_1) | instskip(NEXT) | instid1(SALU_CYCLE_1)
	s_or_b32 exec_lo, exec_lo, s7
	s_and_not1_b32 vcc_lo, exec_lo, s36
	s_cbranch_vccnz .LBB115_44
; %bb.27:                               ;   in Loop: Header=BB115_6 Depth=1
	v_dual_mov_b32 v38, 0 :: v_dual_bitop2_b32 v40, 1, v0 bitop3:0x54
	v_cmp_gt_i32_e32 vcc_lo, s37, v0
	s_delay_alu instid0(VALU_DEP_2)
	v_dual_mov_b32 v39, v38 :: v_dual_mov_b32 v36, v38
	v_dual_mov_b32 v37, v38 :: v_dual_mov_b32 v34, v38
	;; [unrolled: 1-line block ×3, first 2 shown]
	v_mov_b32_e32 v33, v38
	s_and_saveexec_b32 s57, vcc_lo
	s_cbranch_execz .LBB115_35
; %bb.28:                               ;   in Loop: Header=BB115_6 Depth=1
	v_mul_u64_e32 v[32:33], s[20:21], v[0:1]
	s_mul_u64 s[8:9], s[22:23], s[34:35]
	v_dual_mov_b32 v35, 0 :: v_dual_mov_b32 v34, 0
	s_lshl_b64 s[8:9], s[8:9], 3
	v_dual_mov_b32 v37, 0 :: v_dual_mov_b32 v36, 0
	s_add_nc_u64 s[8:9], s[44:45], s[8:9]
	v_dual_mov_b32 v39, 0 :: v_dual_mov_b32 v38, 0
	s_mov_b32 s58, exec_lo
	s_delay_alu instid0(VALU_DEP_4)
	v_lshl_add_u64 v[32:33], v[32:33], 3, s[8:9]
	global_load_b64 v[32:33], v[32:33], off
	s_wait_xcnt 0x0
	v_cmpx_gt_i32_e64 s37, v40
	s_cbranch_execz .LBB115_34
; %bb.29:                               ;   in Loop: Header=BB115_6 Depth=1
	v_dual_mov_b32 v41, v1 :: v_dual_bitop2_b32 v42, 2, v0 bitop3:0x54
	v_dual_mov_b32 v37, 0 :: v_dual_mov_b32 v36, 0
	v_dual_mov_b32 v39, 0 :: v_dual_mov_b32 v38, 0
	s_delay_alu instid0(VALU_DEP_3) | instskip(SKIP_1) | instid1(VALU_DEP_1)
	v_mul_u64_e32 v[34:35], s[20:21], v[40:41]
	s_mov_b32 s59, exec_lo
	v_lshl_add_u64 v[34:35], v[34:35], 3, s[8:9]
	global_load_b64 v[34:35], v[34:35], off
	s_wait_xcnt 0x0
	v_cmpx_gt_i32_e64 s37, v42
	s_cbranch_execz .LBB115_33
; %bb.30:                               ;   in Loop: Header=BB115_6 Depth=1
	v_dual_mov_b32 v43, v1 :: v_dual_mov_b32 v39, 0
	v_mov_b32_e32 v38, 0
	s_mov_b32 s60, exec_lo
	s_delay_alu instid0(VALU_DEP_2) | instskip(SKIP_1) | instid1(VALU_DEP_2)
	v_mul_u64_e32 v[36:37], s[20:21], v[42:43]
	v_or_b32_e32 v42, 3, v0
	v_lshl_add_u64 v[36:37], v[36:37], 3, s[8:9]
	global_load_b64 v[36:37], v[36:37], off
	s_wait_xcnt 0x0
	v_cmpx_gt_i32_e64 s37, v42
	s_cbranch_execz .LBB115_32
; %bb.31:                               ;   in Loop: Header=BB115_6 Depth=1
	v_mov_b32_e32 v43, v1
	s_delay_alu instid0(VALU_DEP_1) | instskip(NEXT) | instid1(VALU_DEP_1)
	v_mul_u64_e32 v[38:39], s[20:21], v[42:43]
	v_lshl_add_u64 v[38:39], v[38:39], 3, s[8:9]
	global_load_b64 v[38:39], v[38:39], off
.LBB115_32:                             ;   in Loop: Header=BB115_6 Depth=1
	s_wait_xcnt 0x0
	s_or_b32 exec_lo, exec_lo, s60
.LBB115_33:                             ;   in Loop: Header=BB115_6 Depth=1
	s_delay_alu instid0(SALU_CYCLE_1)
	s_or_b32 exec_lo, exec_lo, s59
.LBB115_34:                             ;   in Loop: Header=BB115_6 Depth=1
	s_delay_alu instid0(SALU_CYCLE_1)
	s_or_b32 exec_lo, exec_lo, s58
.LBB115_35:                             ;   in Loop: Header=BB115_6 Depth=1
	s_delay_alu instid0(SALU_CYCLE_1)
	s_or_b32 exec_lo, exec_lo, s57
	s_and_saveexec_b32 s57, s1
	s_cbranch_execz .LBB115_43
; %bb.36:                               ;   in Loop: Header=BB115_6 Depth=1
	v_dual_mov_b32 v41, v1 :: v_dual_bitop2_b32 v42, 2, v0 bitop3:0x54
	v_mov_b32_e32 v43, v1
	v_mul_u64_e32 v[44:45], s[12:13], v[0:1]
	v_or_b32_e32 v0, 3, v0
	s_delay_alu instid0(VALU_DEP_4)
	v_mul_u64_e32 v[46:47], s[12:13], v[40:41]
	s_mul_u64 s[8:9], s[14:15], s[34:35]
	v_mul_u64_e32 v[48:49], s[12:13], v[42:43]
	v_cmp_gt_i32_e64 s7, s37, v40
	v_mul_u64_e32 v[50:51], s[12:13], v[0:1]
	s_lshl_b64 s[58:59], s[8:9], 3
	v_cmp_gt_i32_e64 s8, s37, v42
	v_cmp_gt_i32_e64 s9, s37, v0
	s_wait_loadcnt 0x0
	v_dual_mov_b32 v54, v33 :: v_dual_mov_b32 v55, v32
	v_dual_mov_b32 v52, v35 :: v_dual_mov_b32 v53, v34
	v_dual_cndmask_b32 v41, 0, v45 :: v_dual_cndmask_b32 v40, 0, v44
	v_dual_cndmask_b32 v43, 0, v47, s7 :: v_dual_cndmask_b32 v42, 0, v46, s7
	v_dual_cndmask_b32 v45, 0, v49, s8 :: v_dual_cndmask_b32 v44, 0, v48, s8
	v_dual_cndmask_b32 v47, 0, v51, s9 :: v_dual_cndmask_b32 v46, 0, v50, s9
	s_add_nc_u64 s[8:9], s[42:43], s[58:59]
	v_dual_mov_b32 v50, v37 :: v_dual_mov_b32 v51, v36
	v_lshl_add_u64 v[40:41], v[40:41], 3, s[8:9]
	v_lshl_add_u64 v[42:43], v[42:43], 3, s[8:9]
	;; [unrolled: 1-line block ×4, first 2 shown]
	s_delay_alu instid0(VALU_DEP_4) | instskip(NEXT) | instid1(VALU_DEP_4)
	v_add_nc_u64_e32 v[72:73], v[40:41], v[14:15]
	v_add_nc_u64_e32 v[74:75], v[42:43], v[14:15]
	s_delay_alu instid0(VALU_DEP_4) | instskip(NEXT) | instid1(VALU_DEP_4)
	v_add_nc_u64_e32 v[76:77], v[44:45], v[14:15]
	v_add_nc_u64_e32 v[78:79], v[46:47], v[14:15]
	s_clause 0x3
	global_load_b64 v[48:49], v[72:73], off
	global_load_b64 v[44:45], v[74:75], off
	;; [unrolled: 1-line block ×4, first 2 shown]
	v_dual_mov_b32 v46, v39 :: v_dual_mov_b32 v47, v38
	s_wait_xcnt 0x0
	s_and_saveexec_b32 s7, s3
	s_cbranch_execz .LBB115_42
; %bb.37:                               ;   in Loop: Header=BB115_6 Depth=1
	s_clause 0x3
	global_load_b64 v[62:63], v[72:73], off offset:512
	global_load_b64 v[60:61], v[74:75], off offset:512
	global_load_b64 v[58:59], v[76:77], off offset:512
	global_load_b64 v[56:57], v[78:79], off offset:512
	s_wait_xcnt 0x0
	s_and_saveexec_b32 s8, s4
	s_cbranch_execz .LBB115_41
; %bb.38:                               ;   in Loop: Header=BB115_6 Depth=1
	s_clause 0x3
	global_load_b64 v[70:71], v[72:73], off offset:1024
	global_load_b64 v[68:69], v[74:75], off offset:1024
	global_load_b64 v[66:67], v[76:77], off offset:1024
	global_load_b64 v[64:65], v[78:79], off offset:1024
	;; [unrolled: 9-line block ×3, first 2 shown]
	s_wait_loadcnt 0x3
	v_pk_mul_f32 v[80:81], v[54:55], v[72:73] op_sel:[0,1]
	s_wait_loadcnt 0x2
	v_pk_mul_f32 v[82:83], v[52:53], v[74:75] op_sel:[0,1]
	;; [unrolled: 2-line block ×3, first 2 shown]
	v_pk_fma_f32 v[84:85], v[32:33], v[72:73], v[80:81] op_sel_hi:[1,0,1]
	s_wait_xcnt 0x3
	v_pk_fma_f32 v[72:73], v[32:33], v[72:73], v[80:81] neg_lo:[0,0,1] neg_hi:[0,0,1]
	v_pk_fma_f32 v[80:81], v[34:35], v[74:75], v[82:83] op_sel_hi:[1,0,1]
	s_wait_xcnt 0x2
	v_pk_fma_f32 v[74:75], v[34:35], v[74:75], v[82:83] neg_lo:[0,0,1] neg_hi:[0,0,1]
	v_pk_fma_f32 v[82:83], v[36:37], v[76:77], v[86:87] op_sel_hi:[1,0,1]
	v_mov_b32_e32 v73, v85
	s_wait_xcnt 0x1
	v_pk_fma_f32 v[76:77], v[36:37], v[76:77], v[86:87] neg_lo:[0,0,1] neg_hi:[0,0,1]
	v_mov_b32_e32 v75, v81
	s_delay_alu instid0(VALU_DEP_3) | instskip(SKIP_2) | instid1(VALU_DEP_2)
	v_pk_add_f32 v[26:27], v[26:27], v[72:73]
	s_wait_loadcnt 0x0
	v_pk_mul_f32 v[72:73], v[46:47], v[78:79] op_sel:[0,1]
	v_pk_add_f32 v[26:27], v[74:75], v[26:27]
	s_delay_alu instid0(VALU_DEP_2) | instskip(SKIP_2) | instid1(VALU_DEP_3)
	v_pk_fma_f32 v[74:75], v[38:39], v[78:79], v[72:73] op_sel_hi:[1,0,1]
	v_mov_b32_e32 v77, v83
	v_pk_fma_f32 v[72:73], v[38:39], v[78:79], v[72:73] neg_lo:[0,0,1] neg_hi:[0,0,1]
	v_mov_b32_e32 v73, v75
	s_delay_alu instid0(VALU_DEP_3) | instskip(NEXT) | instid1(VALU_DEP_1)
	v_pk_add_f32 v[26:27], v[76:77], v[26:27]
	v_pk_add_f32 v[26:27], v[72:73], v[26:27]
.LBB115_40:                             ;   in Loop: Header=BB115_6 Depth=1
	s_wait_xcnt 0x0
	s_or_b32 exec_lo, exec_lo, s9
	s_wait_loadcnt 0x3
	v_pk_mul_f32 v[72:73], v[54:55], v[70:71] op_sel:[0,1]
	s_wait_loadcnt 0x2
	v_pk_mul_f32 v[74:75], v[52:53], v[68:69] op_sel:[0,1]
	;; [unrolled: 2-line block ×3, first 2 shown]
	v_pk_fma_f32 v[76:77], v[32:33], v[70:71], v[72:73] op_sel_hi:[1,0,1]
	v_pk_fma_f32 v[70:71], v[32:33], v[70:71], v[72:73] neg_lo:[0,0,1] neg_hi:[0,0,1]
	v_pk_fma_f32 v[72:73], v[34:35], v[68:69], v[74:75] op_sel_hi:[1,0,1]
	v_pk_fma_f32 v[68:69], v[34:35], v[68:69], v[74:75] neg_lo:[0,0,1] neg_hi:[0,0,1]
	v_pk_fma_f32 v[74:75], v[36:37], v[66:67], v[78:79] op_sel_hi:[1,0,1]
	v_mov_b32_e32 v71, v77
	v_pk_fma_f32 v[66:67], v[36:37], v[66:67], v[78:79] neg_lo:[0,0,1] neg_hi:[0,0,1]
	v_mov_b32_e32 v69, v73
	s_delay_alu instid0(VALU_DEP_3) | instskip(SKIP_2) | instid1(VALU_DEP_2)
	v_pk_add_f32 v[28:29], v[28:29], v[70:71]
	s_wait_loadcnt 0x0
	v_pk_mul_f32 v[70:71], v[46:47], v[64:65] op_sel:[0,1]
	v_pk_add_f32 v[28:29], v[68:69], v[28:29]
	s_delay_alu instid0(VALU_DEP_2) | instskip(SKIP_2) | instid1(VALU_DEP_3)
	v_pk_fma_f32 v[68:69], v[38:39], v[64:65], v[70:71] op_sel_hi:[1,0,1]
	v_mov_b32_e32 v67, v75
	v_pk_fma_f32 v[64:65], v[38:39], v[64:65], v[70:71] neg_lo:[0,0,1] neg_hi:[0,0,1]
	v_mov_b32_e32 v65, v69
	s_delay_alu instid0(VALU_DEP_3) | instskip(NEXT) | instid1(VALU_DEP_1)
	v_pk_add_f32 v[28:29], v[66:67], v[28:29]
	v_pk_add_f32 v[28:29], v[64:65], v[28:29]
.LBB115_41:                             ;   in Loop: Header=BB115_6 Depth=1
	s_or_b32 exec_lo, exec_lo, s8
	s_wait_loadcnt 0x3
	v_pk_mul_f32 v[64:65], v[54:55], v[62:63] op_sel:[0,1]
	s_wait_loadcnt 0x2
	v_pk_mul_f32 v[66:67], v[52:53], v[60:61] op_sel:[0,1]
	;; [unrolled: 2-line block ×3, first 2 shown]
	v_pk_fma_f32 v[68:69], v[32:33], v[62:63], v[64:65] op_sel_hi:[1,0,1]
	v_pk_fma_f32 v[62:63], v[32:33], v[62:63], v[64:65] neg_lo:[0,0,1] neg_hi:[0,0,1]
	v_pk_fma_f32 v[64:65], v[34:35], v[60:61], v[66:67] op_sel_hi:[1,0,1]
	v_pk_fma_f32 v[60:61], v[34:35], v[60:61], v[66:67] neg_lo:[0,0,1] neg_hi:[0,0,1]
	v_pk_fma_f32 v[66:67], v[36:37], v[58:59], v[70:71] op_sel_hi:[1,0,1]
	v_mov_b32_e32 v63, v69
	v_pk_fma_f32 v[58:59], v[36:37], v[58:59], v[70:71] neg_lo:[0,0,1] neg_hi:[0,0,1]
	v_mov_b32_e32 v61, v65
	s_delay_alu instid0(VALU_DEP_3) | instskip(SKIP_2) | instid1(VALU_DEP_2)
	v_pk_add_f32 v[30:31], v[30:31], v[62:63]
	s_wait_loadcnt 0x0
	v_pk_mul_f32 v[62:63], v[46:47], v[56:57] op_sel:[0,1]
	v_pk_add_f32 v[30:31], v[60:61], v[30:31]
	s_delay_alu instid0(VALU_DEP_2) | instskip(SKIP_2) | instid1(VALU_DEP_3)
	v_pk_fma_f32 v[60:61], v[38:39], v[56:57], v[62:63] op_sel_hi:[1,0,1]
	v_mov_b32_e32 v59, v67
	v_pk_fma_f32 v[56:57], v[38:39], v[56:57], v[62:63] neg_lo:[0,0,1] neg_hi:[0,0,1]
	v_mov_b32_e32 v57, v61
	s_delay_alu instid0(VALU_DEP_3) | instskip(NEXT) | instid1(VALU_DEP_1)
	v_pk_add_f32 v[30:31], v[58:59], v[30:31]
	v_pk_add_f32 v[30:31], v[56:57], v[30:31]
.LBB115_42:                             ;   in Loop: Header=BB115_6 Depth=1
	s_or_b32 exec_lo, exec_lo, s7
	s_wait_loadcnt 0x3
	v_pk_mul_f32 v[54:55], v[54:55], v[48:49] op_sel:[0,1]
	s_wait_loadcnt 0x2
	v_pk_mul_f32 v[52:53], v[52:53], v[44:45] op_sel:[0,1]
	;; [unrolled: 2-line block ×3, first 2 shown]
	v_pk_fma_f32 v[56:57], v[32:33], v[48:49], v[54:55] op_sel_hi:[1,0,1]
	v_pk_fma_f32 v[32:33], v[32:33], v[48:49], v[54:55] neg_lo:[0,0,1] neg_hi:[0,0,1]
	v_pk_fma_f32 v[48:49], v[34:35], v[44:45], v[52:53] op_sel_hi:[1,0,1]
	v_pk_fma_f32 v[34:35], v[34:35], v[44:45], v[52:53] neg_lo:[0,0,1] neg_hi:[0,0,1]
	v_pk_fma_f32 v[44:45], v[36:37], v[42:43], v[50:51] op_sel_hi:[1,0,1]
	v_mov_b32_e32 v33, v57
	v_pk_fma_f32 v[36:37], v[36:37], v[42:43], v[50:51] neg_lo:[0,0,1] neg_hi:[0,0,1]
	v_mov_b32_e32 v35, v49
	s_delay_alu instid0(VALU_DEP_3) | instskip(SKIP_2) | instid1(VALU_DEP_2)
	v_pk_add_f32 v[24:25], v[24:25], v[32:33]
	s_wait_loadcnt 0x0
	v_pk_mul_f32 v[32:33], v[46:47], v[40:41] op_sel:[0,1]
	v_pk_add_f32 v[24:25], v[34:35], v[24:25]
	s_delay_alu instid0(VALU_DEP_2) | instskip(SKIP_2) | instid1(VALU_DEP_3)
	v_pk_fma_f32 v[34:35], v[38:39], v[40:41], v[32:33] op_sel_hi:[1,0,1]
	v_mov_b32_e32 v37, v45
	v_pk_fma_f32 v[32:33], v[38:39], v[40:41], v[32:33] neg_lo:[0,0,1] neg_hi:[0,0,1]
	v_mov_b32_e32 v33, v35
	s_delay_alu instid0(VALU_DEP_3) | instskip(NEXT) | instid1(VALU_DEP_1)
	v_pk_add_f32 v[24:25], v[36:37], v[24:25]
	v_pk_add_f32 v[24:25], v[32:33], v[24:25]
.LBB115_43:                             ;   in Loop: Header=BB115_6 Depth=1
	s_or_b32 exec_lo, exec_lo, s57
.LBB115_44:                             ;   in Loop: Header=BB115_6 Depth=1
	ds_store_2addr_stride64_b64 v93, v[24:25], v[30:31] offset1:1
	ds_store_2addr_stride64_b64 v93, v[28:29], v[26:27] offset0:2 offset1:3
	s_wait_storecnt 0x0
	s_wait_loadcnt_dscnt 0x0
	s_barrier_signal -1
	s_barrier_wait -1
	s_and_saveexec_b32 s7, s0
	s_cbranch_execz .LBB115_4
; %bb.45:                               ;   in Loop: Header=BB115_6 Depth=1
	ds_load_2addr_stride64_b64 v[24:27], v94 offset1:4
	ds_load_2addr_stride64_b64 v[28:31], v94 offset0:8 offset1:12
	ds_load_2addr_stride64_b64 v[32:35], v94 offset0:16 offset1:20
	s_wait_dscnt 0x2
	v_pk_add_f32 v[36:37], v[24:25], v[26:27]
	ds_load_2addr_stride64_b64 v[24:27], v94 offset0:24 offset1:28
	s_wait_dscnt 0x2
	v_pk_add_f32 v[28:29], v[36:37], v[28:29]
	s_delay_alu instid0(VALU_DEP_1) | instskip(SKIP_3) | instid1(VALU_DEP_1)
	v_pk_add_f32 v[36:37], v[28:29], v[30:31]
	ds_load_2addr_stride64_b64 v[28:31], v94 offset0:32 offset1:36
	s_wait_dscnt 0x2
	v_pk_add_f32 v[32:33], v[36:37], v[32:33]
	v_pk_add_f32 v[36:37], v[32:33], v[34:35]
	ds_load_2addr_stride64_b64 v[32:35], v94 offset0:40 offset1:44
	s_wait_dscnt 0x2
	v_pk_add_f32 v[24:25], v[36:37], v[24:25]
	s_delay_alu instid0(VALU_DEP_1) | instskip(SKIP_1) | instid1(VALU_DEP_1)
	v_pk_add_f32 v[24:25], v[24:25], v[26:27]
	s_wait_dscnt 0x1
	v_pk_add_f32 v[28:29], v[24:25], v[28:29]
	ds_load_2addr_stride64_b64 v[24:27], v94 offset0:48 offset1:52
	v_pk_add_f32 v[28:29], v[28:29], v[30:31]
	s_wait_dscnt 0x1
	s_delay_alu instid0(VALU_DEP_1) | instskip(SKIP_3) | instid1(VALU_DEP_1)
	v_pk_add_f32 v[32:33], v[28:29], v[32:33]
	ds_load_2addr_stride64_b64 v[28:31], v94 offset0:56 offset1:60
	v_pk_add_f32 v[32:33], v[32:33], v[34:35]
	s_wait_dscnt 0x1
	v_pk_add_f32 v[24:25], v[32:33], v[24:25]
	s_delay_alu instid0(VALU_DEP_1) | instskip(SKIP_1) | instid1(VALU_DEP_1)
	v_pk_add_f32 v[24:25], v[24:25], v[26:27]
	s_wait_dscnt 0x0
	v_pk_add_f32 v[24:25], v[24:25], v[28:29]
	s_delay_alu instid0(VALU_DEP_1)
	v_pk_add_f32 v[26:27], v[24:25], v[30:31]
	ds_store_b64 v94, v[26:27]
	s_and_b32 exec_lo, exec_lo, s2
	s_cbranch_execz .LBB115_4
; %bb.46:                               ;   in Loop: Header=BB115_6 Depth=1
	v_mov_b64_e32 v[24:25], s[26:27]
	v_mov_b64_e32 v[28:29], s[38:39]
	s_and_not1_b32 vcc_lo, exec_lo, s53
	s_delay_alu instid0(VALU_DEP_2) | instskip(NEXT) | instid1(VALU_DEP_1)
	v_pk_mul_f32 v[30:31], v[26:27], v[24:25] op_sel:[1,0]
	v_pk_fma_f32 v[24:25], v[26:27], v[28:29], v[30:31] op_sel_hi:[0,1,1] neg_lo:[0,0,1] neg_hi:[0,0,1]
	v_pk_fma_f32 v[28:29], v[26:27], v[28:29], v[30:31] op_sel_hi:[0,1,1]
	v_lshl_add_u64 v[26:27], v[12:13], 3, s[50:51]
	s_cbranch_vccnz .LBB115_3
; %bb.47:                               ;   in Loop: Header=BB115_6 Depth=1
	global_load_b64 v[30:31], v[26:27], off
	v_mov_b64_e32 v[32:33], s[18:19]
	v_mov_b64_e32 v[34:35], s[40:41]
	s_wait_loadcnt 0x0
	s_delay_alu instid0(VALU_DEP_2) | instskip(NEXT) | instid1(VALU_DEP_1)
	v_pk_mul_f32 v[32:33], v[32:33], v[30:31] op_sel:[0,1]
	v_pk_fma_f32 v[36:37], v[34:35], v[30:31], v[32:33] op_sel_hi:[1,0,1]
	v_mov_b32_e32 v25, v29
	v_pk_fma_f32 v[28:29], v[34:35], v[30:31], v[32:33] neg_lo:[0,0,1] neg_hi:[0,0,1]
	s_delay_alu instid0(VALU_DEP_3) | instskip(NEXT) | instid1(VALU_DEP_1)
	v_mov_b32_e32 v29, v37
	v_pk_add_f32 v[24:25], v[24:25], v[28:29]
	s_delay_alu instid0(VALU_DEP_1)
	v_mov_b32_e32 v29, v25
	s_branch .LBB115_3
.LBB115_48:
	s_sendmsg sendmsg(MSG_DEALLOC_VGPRS)
	s_endpgm
	.section	.rodata,"a",@progbits
	.p2align	6, 0x0
	.amdhsa_kernel _ZL20rocblas_gemvn_kernelILi64ELi16El19rocblas_complex_numIfES1_S1_EviiT3_lPKT2_lT1_lS5_lS6_lS2_lPT4_lS6_li
		.amdhsa_group_segment_fixed_size 32768
		.amdhsa_private_segment_fixed_size 0
		.amdhsa_kernarg_size 400
		.amdhsa_user_sgpr_count 2
		.amdhsa_user_sgpr_dispatch_ptr 0
		.amdhsa_user_sgpr_queue_ptr 0
		.amdhsa_user_sgpr_kernarg_segment_ptr 1
		.amdhsa_user_sgpr_dispatch_id 0
		.amdhsa_user_sgpr_kernarg_preload_length 0
		.amdhsa_user_sgpr_kernarg_preload_offset 0
		.amdhsa_user_sgpr_private_segment_size 0
		.amdhsa_wavefront_size32 1
		.amdhsa_uses_dynamic_stack 0
		.amdhsa_enable_private_segment 0
		.amdhsa_system_sgpr_workgroup_id_x 1
		.amdhsa_system_sgpr_workgroup_id_y 0
		.amdhsa_system_sgpr_workgroup_id_z 1
		.amdhsa_system_sgpr_workgroup_info 0
		.amdhsa_system_vgpr_workitem_id 1
		.amdhsa_next_free_vgpr 101
		.amdhsa_next_free_sgpr 61
		.amdhsa_named_barrier_count 0
		.amdhsa_reserve_vcc 1
		.amdhsa_float_round_mode_32 0
		.amdhsa_float_round_mode_16_64 0
		.amdhsa_float_denorm_mode_32 3
		.amdhsa_float_denorm_mode_16_64 3
		.amdhsa_fp16_overflow 0
		.amdhsa_memory_ordered 1
		.amdhsa_forward_progress 1
		.amdhsa_inst_pref_size 32
		.amdhsa_round_robin_scheduling 0
		.amdhsa_exception_fp_ieee_invalid_op 0
		.amdhsa_exception_fp_denorm_src 0
		.amdhsa_exception_fp_ieee_div_zero 0
		.amdhsa_exception_fp_ieee_overflow 0
		.amdhsa_exception_fp_ieee_underflow 0
		.amdhsa_exception_fp_ieee_inexact 0
		.amdhsa_exception_int_div_zero 0
	.end_amdhsa_kernel
	.section	.text._ZL20rocblas_gemvn_kernelILi64ELi16El19rocblas_complex_numIfES1_S1_EviiT3_lPKT2_lT1_lS5_lS6_lS2_lPT4_lS6_li,"axG",@progbits,_ZL20rocblas_gemvn_kernelILi64ELi16El19rocblas_complex_numIfES1_S1_EviiT3_lPKT2_lT1_lS5_lS6_lS2_lPT4_lS6_li,comdat
.Lfunc_end115:
	.size	_ZL20rocblas_gemvn_kernelILi64ELi16El19rocblas_complex_numIfES1_S1_EviiT3_lPKT2_lT1_lS5_lS6_lS2_lPT4_lS6_li, .Lfunc_end115-_ZL20rocblas_gemvn_kernelILi64ELi16El19rocblas_complex_numIfES1_S1_EviiT3_lPKT2_lT1_lS5_lS6_lS2_lPT4_lS6_li
                                        ; -- End function
	.set _ZL20rocblas_gemvn_kernelILi64ELi16El19rocblas_complex_numIfES1_S1_EviiT3_lPKT2_lT1_lS5_lS6_lS2_lPT4_lS6_li.num_vgpr, 101
	.set _ZL20rocblas_gemvn_kernelILi64ELi16El19rocblas_complex_numIfES1_S1_EviiT3_lPKT2_lT1_lS5_lS6_lS2_lPT4_lS6_li.num_agpr, 0
	.set _ZL20rocblas_gemvn_kernelILi64ELi16El19rocblas_complex_numIfES1_S1_EviiT3_lPKT2_lT1_lS5_lS6_lS2_lPT4_lS6_li.numbered_sgpr, 61
	.set _ZL20rocblas_gemvn_kernelILi64ELi16El19rocblas_complex_numIfES1_S1_EviiT3_lPKT2_lT1_lS5_lS6_lS2_lPT4_lS6_li.num_named_barrier, 0
	.set _ZL20rocblas_gemvn_kernelILi64ELi16El19rocblas_complex_numIfES1_S1_EviiT3_lPKT2_lT1_lS5_lS6_lS2_lPT4_lS6_li.private_seg_size, 0
	.set _ZL20rocblas_gemvn_kernelILi64ELi16El19rocblas_complex_numIfES1_S1_EviiT3_lPKT2_lT1_lS5_lS6_lS2_lPT4_lS6_li.uses_vcc, 1
	.set _ZL20rocblas_gemvn_kernelILi64ELi16El19rocblas_complex_numIfES1_S1_EviiT3_lPKT2_lT1_lS5_lS6_lS2_lPT4_lS6_li.uses_flat_scratch, 0
	.set _ZL20rocblas_gemvn_kernelILi64ELi16El19rocblas_complex_numIfES1_S1_EviiT3_lPKT2_lT1_lS5_lS6_lS2_lPT4_lS6_li.has_dyn_sized_stack, 0
	.set _ZL20rocblas_gemvn_kernelILi64ELi16El19rocblas_complex_numIfES1_S1_EviiT3_lPKT2_lT1_lS5_lS6_lS2_lPT4_lS6_li.has_recursion, 0
	.set _ZL20rocblas_gemvn_kernelILi64ELi16El19rocblas_complex_numIfES1_S1_EviiT3_lPKT2_lT1_lS5_lS6_lS2_lPT4_lS6_li.has_indirect_call, 0
	.section	.AMDGPU.csdata,"",@progbits
; Kernel info:
; codeLenInByte = 4064
; TotalNumSgprs: 63
; NumVgprs: 101
; ScratchSize: 0
; MemoryBound: 0
; FloatMode: 240
; IeeeMode: 1
; LDSByteSize: 32768 bytes/workgroup (compile time only)
; SGPRBlocks: 0
; VGPRBlocks: 6
; NumSGPRsForWavesPerEU: 63
; NumVGPRsForWavesPerEU: 101
; NamedBarCnt: 0
; Occupancy: 9
; WaveLimiterHint : 1
; COMPUTE_PGM_RSRC2:SCRATCH_EN: 0
; COMPUTE_PGM_RSRC2:USER_SGPR: 2
; COMPUTE_PGM_RSRC2:TRAP_HANDLER: 0
; COMPUTE_PGM_RSRC2:TGID_X_EN: 1
; COMPUTE_PGM_RSRC2:TGID_Y_EN: 0
; COMPUTE_PGM_RSRC2:TGID_Z_EN: 1
; COMPUTE_PGM_RSRC2:TIDIG_COMP_CNT: 1
	.section	.text._ZL22rocblas_gemvtsm_kernelILb0ELi256E19rocblas_complex_numIfEPKS1_S1_EviiT2_lPKT1_lilS7_lilS4_lPT3_lil,"axG",@progbits,_ZL22rocblas_gemvtsm_kernelILb0ELi256E19rocblas_complex_numIfEPKS1_S1_EviiT2_lPKT1_lilS7_lilS4_lPT3_lil,comdat
	.globl	_ZL22rocblas_gemvtsm_kernelILb0ELi256E19rocblas_complex_numIfEPKS1_S1_EviiT2_lPKT1_lilS7_lilS4_lPT3_lil ; -- Begin function _ZL22rocblas_gemvtsm_kernelILb0ELi256E19rocblas_complex_numIfEPKS1_S1_EviiT2_lPKT1_lilS7_lilS4_lPT3_lil
	.p2align	8
	.type	_ZL22rocblas_gemvtsm_kernelILb0ELi256E19rocblas_complex_numIfEPKS1_S1_EviiT2_lPKT1_lilS7_lilS4_lPT3_lil,@function
_ZL22rocblas_gemvtsm_kernelILb0ELi256E19rocblas_complex_numIfEPKS1_S1_EviiT2_lPKT1_lilS7_lilS4_lPT3_lil: ; @_ZL22rocblas_gemvtsm_kernelILb0ELi256E19rocblas_complex_numIfEPKS1_S1_EviiT2_lPKT1_lilS7_lilS4_lPT3_lil
; %bb.0:
	s_load_b256 s[4:11], s[0:1], 0x8
	s_bfe_u32 s2, ttmp6, 0x4000c
	s_load_b256 s[12:19], s[0:1], 0x50
	s_add_co_i32 s2, s2, 1
	s_and_b32 s3, ttmp6, 15
	s_mul_i32 s2, ttmp9, s2
	s_getreg_b32 s20, hwreg(HW_REG_IB_STS2, 6, 4)
	s_add_co_i32 s3, s3, s2
	s_cmp_eq_u32 s20, 0
	s_mov_b32 s25, 0
	s_cselect_b32 s24, ttmp9, s3
	s_wait_kmcnt 0x0
	s_mul_u64 s[2:3], s[6:7], s[24:25]
	s_delay_alu instid0(SALU_CYCLE_1) | instskip(NEXT) | instid1(SALU_CYCLE_1)
	s_lshl_b64 s[2:3], s[2:3], 3
	s_add_nc_u64 s[2:3], s[4:5], s[2:3]
	s_load_b64 s[26:27], s[2:3], 0x0
	s_wait_xcnt 0x0
	s_mul_u64 s[2:3], s[16:17], s[24:25]
	s_delay_alu instid0(SALU_CYCLE_1) | instskip(NEXT) | instid1(SALU_CYCLE_1)
	s_lshl_b64 s[2:3], s[2:3], 3
	s_add_nc_u64 s[4:5], s[14:15], s[2:3]
	s_load_b64 s[2:3], s[4:5], 0x0
	s_wait_kmcnt 0x0
	s_cmp_eq_f32 s27, 0
	s_cselect_b32 s4, -1, 0
	s_cmp_eq_f32 s26, 0
	s_cselect_b32 s5, -1, 0
	s_delay_alu instid0(SALU_CYCLE_1) | instskip(SKIP_4) | instid1(SALU_CYCLE_1)
	s_and_b32 s4, s5, s4
	s_cmp_eq_f32 s2, 1.0
	s_cselect_b32 s5, -1, 0
	s_cmp_eq_f32 s3, 0
	s_cselect_b32 s6, -1, 0
	s_and_b32 s5, s5, s6
	s_delay_alu instid0(SALU_CYCLE_1) | instskip(NEXT) | instid1(SALU_CYCLE_1)
	s_and_b32 s4, s4, s5
	s_and_b32 vcc_lo, exec_lo, s4
	s_cbranch_vccnz .LBB116_34
; %bb.1:
	s_clause 0x2
	s_load_b64 s[4:5], s[0:1], 0x80
	s_load_b96 s[20:22], s[0:1], 0x70
	s_load_b64 s[14:15], s[0:1], 0x0
	s_or_b32 s6, s26, s27
	s_delay_alu instid0(SALU_CYCLE_1) | instskip(NEXT) | instid1(SALU_CYCLE_1)
	s_bitset0_b32 s6, 31
	s_cmp_lg_u32 s6, 0
	s_wait_kmcnt 0x0
	s_mul_u64 s[16:17], s[4:5], s[24:25]
	s_mov_b32 s4, -1
	s_cbranch_scc1 .LBB116_16
; %bb.2:
	s_cmp_neq_f32 s2, 0
	s_cselect_b32 s4, -1, 0
	s_cmp_neq_f32 s3, 0
	s_cselect_b32 s5, -1, 0
	s_delay_alu instid0(SALU_CYCLE_1)
	s_or_b32 s4, s4, s5
	s_cmp_gt_i32 s15, 0
	s_cselect_b32 s6, -1, 0
	s_and_b32 vcc_lo, exec_lo, s4
	s_mov_b32 s4, -1
	s_cbranch_vccnz .LBB116_9
; %bb.3:
	s_and_not1_b32 vcc_lo, exec_lo, s6
	s_cbranch_vccnz .LBB116_8
; %bb.4:
	v_mov_b32_e32 v1, 0
	s_ashr_i32 s5, s22, 31
	s_mov_b32 s4, s22
	s_lshl_b64 s[28:29], s[20:21], 3
	s_lshl_b64 s[30:31], s[16:17], 3
	v_mul_u64_e32 v[4:5], s[4:5], v[0:1]
	s_add_nc_u64 s[28:29], s[18:19], s[28:29]
	v_mov_b64_e32 v[2:3], 0
	s_add_nc_u64 s[28:29], s[28:29], s[30:31]
	s_lshl_b64 s[4:5], s[4:5], 11
	s_mov_b32 s7, 0
	s_delay_alu instid0(VALU_DEP_2)
	v_lshl_add_u64 v[4:5], v[4:5], 3, s[28:29]
	s_branch .LBB116_6
.LBB116_5:                              ;   in Loop: Header=BB116_6 Depth=1
	s_wait_xcnt 0x0
	s_or_b32 exec_lo, exec_lo, s23
	v_add_nc_u64_e32 v[4:5], s[4:5], v[4:5]
	s_addk_co_i32 s7, 0x100
	s_delay_alu instid0(SALU_CYCLE_1)
	s_cmp_ge_i32 s7, s15
	s_cbranch_scc1 .LBB116_8
.LBB116_6:                              ; =>This Inner Loop Header: Depth=1
	v_add_nc_u32_e32 v1, s7, v0
	s_mov_b32 s23, exec_lo
	s_delay_alu instid0(VALU_DEP_1)
	v_cmpx_gt_i32_e64 s15, v1
	s_cbranch_execz .LBB116_5
; %bb.7:                                ;   in Loop: Header=BB116_6 Depth=1
	global_store_b64 v[4:5], v[2:3], off
	s_branch .LBB116_5
.LBB116_8:
	s_mov_b32 s4, 0
.LBB116_9:
	s_delay_alu instid0(SALU_CYCLE_1)
	s_and_not1_b32 vcc_lo, exec_lo, s4
	s_cbranch_vccnz .LBB116_15
; %bb.10:
	s_and_not1_b32 vcc_lo, exec_lo, s6
	s_cbranch_vccnz .LBB116_15
; %bb.11:
	v_mov_b32_e32 v1, 0
	s_ashr_i32 s7, s22, 31
	s_mov_b32 s6, s22
	s_lshl_b64 s[4:5], s[20:21], 3
	s_lshl_b64 s[28:29], s[16:17], 3
	v_mul_u64_e32 v[2:3], s[6:7], v[0:1]
	s_add_nc_u64 s[4:5], s[18:19], s[4:5]
	s_lshl_b64 s[6:7], s[6:7], 11
	s_add_nc_u64 s[28:29], s[4:5], s[28:29]
	s_mov_b32 s4, s3
	s_mov_b32 s5, s2
	;; [unrolled: 1-line block ×3, first 2 shown]
	s_delay_alu instid0(VALU_DEP_1)
	v_lshl_add_u64 v[2:3], v[2:3], 3, s[28:29]
	s_branch .LBB116_13
.LBB116_12:                             ;   in Loop: Header=BB116_13 Depth=1
	s_wait_xcnt 0x0
	s_or_b32 exec_lo, exec_lo, s28
	v_add_nc_u64_e32 v[2:3], s[6:7], v[2:3]
	s_addk_co_i32 s23, 0x100
	s_delay_alu instid0(SALU_CYCLE_1)
	s_cmp_ge_i32 s23, s15
	s_cbranch_scc1 .LBB116_15
.LBB116_13:                             ; =>This Inner Loop Header: Depth=1
	v_add_nc_u32_e32 v1, s23, v0
	s_mov_b32 s28, exec_lo
	s_delay_alu instid0(VALU_DEP_1)
	v_cmpx_gt_i32_e64 s15, v1
	s_cbranch_execz .LBB116_12
; %bb.14:                               ;   in Loop: Header=BB116_13 Depth=1
	global_load_b64 v[4:5], v[2:3], off
	v_mov_b64_e32 v[6:7], s[4:5]
	v_mov_b64_e32 v[8:9], s[2:3]
	s_wait_loadcnt 0x0
	s_delay_alu instid0(VALU_DEP_2) | instskip(NEXT) | instid1(VALU_DEP_1)
	v_pk_mul_f32 v[6:7], v[6:7], v[4:5] op_sel:[0,1]
	v_pk_fma_f32 v[10:11], v[8:9], v[4:5], v[6:7] op_sel_hi:[1,0,1]
	v_pk_fma_f32 v[4:5], v[8:9], v[4:5], v[6:7] neg_lo:[0,0,1] neg_hi:[0,0,1]
	s_delay_alu instid0(VALU_DEP_2)
	v_mov_b32_e32 v5, v11
	global_store_b64 v[2:3], v[4:5], off
	s_branch .LBB116_12
.LBB116_15:
	s_mov_b32 s4, 0
.LBB116_16:
	s_delay_alu instid0(SALU_CYCLE_1)
	s_and_not1_b32 vcc_lo, exec_lo, s4
	s_cbranch_vccnz .LBB116_34
; %bb.17:
	s_clause 0x1
	s_load_b128 s[4:7], s[0:1], 0x30
	s_load_b64 s[28:29], s[0:1], 0x40
	s_mov_b32 s23, exec_lo
	v_cmpx_gt_i32_e64 s14, v0
	s_cbranch_execz .LBB116_19
; %bb.18:
	s_load_b32 s30, s[0:1], 0x48
	v_mov_b32_e32 v1, 0
	s_mul_u64 s[12:13], s[12:13], s[24:25]
	v_mov_b64_e32 v[4:5], s[26:27]
	s_lshl_b64 s[12:13], s[12:13], 3
	s_wait_kmcnt 0x0
	s_add_nc_u64 s[6:7], s[6:7], s[12:13]
	s_lshl_b64 s[12:13], s[28:29], 3
	s_delay_alu instid0(SALU_CYCLE_1) | instskip(SKIP_1) | instid1(SALU_CYCLE_1)
	s_add_nc_u64 s[6:7], s[6:7], s[12:13]
	s_ashr_i32 s31, s30, 31
	v_mul_u64_e32 v[2:3], s[30:31], v[0:1]
	v_lshlrev_b32_e32 v1, 3, v0
	s_delay_alu instid0(VALU_DEP_2) | instskip(SKIP_3) | instid1(VALU_DEP_1)
	v_lshl_add_u64 v[2:3], v[2:3], 3, s[6:7]
	global_load_b64 v[2:3], v[2:3], off
	s_wait_loadcnt 0x0
	v_pk_mul_f32 v[6:7], v[2:3], v[4:5] op_sel:[1,1] op_sel_hi:[0,1]
	v_pk_fma_f32 v[8:9], v[2:3], s[26:27], v[6:7] op_sel_hi:[1,0,1]
	s_wait_xcnt 0x0
	v_pk_fma_f32 v[2:3], v[2:3], v[4:5], v[6:7] neg_lo:[0,0,1] neg_hi:[0,0,1]
	s_delay_alu instid0(VALU_DEP_2)
	v_mov_b32_e32 v3, v9
	ds_store_b64 v1, v[2:3]
.LBB116_19:
	s_or_b32 exec_lo, exec_lo, s23
	s_cmp_lt_i32 s15, 1
	s_wait_storecnt_dscnt 0x0
	s_barrier_signal -1
	s_barrier_wait -1
	s_cbranch_scc1 .LBB116_34
; %bb.20:
	s_load_b32 s26, s[0:1], 0x28
	v_mov_b32_e32 v3, 0
	s_wait_kmcnt 0x0
	s_lshl_b64 s[6:7], s[16:17], 3
	s_lshl_b64 s[28:29], s[20:21], 3
	s_ashr_i32 s1, s22, 31
	s_mul_u64 s[4:5], s[4:5], s[24:25]
	v_mov_b32_e32 v1, v3
	s_ashr_i32 s27, s26, 31
	s_cmp_neq_f32 s2, 0
	s_delay_alu instid0(VALU_DEP_1) | instskip(SKIP_3) | instid1(SALU_CYCLE_1)
	v_mul_u64_e32 v[4:5], s[26:27], v[0:1]
	s_cselect_b32 s0, -1, 0
	s_cmp_neq_f32 s3, 0
	s_cselect_b32 s12, -1, 0
	s_or_b32 s12, s0, s12
	s_cmp_gt_i32 s14, 0
	s_mov_b32 s0, s22
	s_cselect_b32 s13, -1, 0
	s_and_b32 s16, s14, 7
	s_cmp_gt_u32 s14, 7
	s_cselect_b32 s17, -1, 0
	s_and_b32 s14, s14, 0x7ffffff8
	s_cmp_lg_u32 s16, 0
	s_cselect_b32 s20, -1, 0
	s_lshl_b64 s[10:11], s[10:11], 3
	s_lshl_b64 s[4:5], s[4:5], 3
	s_add_nc_u64 s[8:9], s[8:9], s[10:11]
	s_lshl_b64 s[10:11], s[26:27], 11
	s_add_nc_u64 s[4:5], s[8:9], s[4:5]
	s_add_nc_u64 s[8:9], s[18:19], s[6:7]
	s_mov_b32 s6, s3
	s_add_nc_u64 s[8:9], s[8:9], s[28:29]
	s_mov_b32 s7, s2
	s_mov_b32 s18, 0
	s_delay_alu instid0(VALU_DEP_1) | instskip(SKIP_1) | instid1(VALU_DEP_1)
	v_lshl_add_u64 v[4:5], v[4:5], 3, s[4:5]
	s_mov_b32 s5, 0
	v_add_nc_u64_e32 v[6:7], 56, v[4:5]
	s_branch .LBB116_23
.LBB116_21:                             ;   in Loop: Header=BB116_23 Depth=1
	global_store_b64 v[8:9], v[10:11], off
.LBB116_22:                             ;   in Loop: Header=BB116_23 Depth=1
	s_wait_xcnt 0x0
	s_or_b32 exec_lo, exec_lo, s19
	v_add_nc_u64_e32 v[6:7], s[10:11], v[6:7]
	v_add_nc_u64_e32 v[4:5], s[10:11], v[4:5]
	s_addk_co_i32 s18, 0x100
	s_delay_alu instid0(SALU_CYCLE_1)
	s_cmp_ge_i32 s18, s15
	s_cbranch_scc1 .LBB116_34
.LBB116_23:                             ; =>This Loop Header: Depth=1
                                        ;     Child Loop BB116_29 Depth 2
                                        ;     Child Loop BB116_33 Depth 2
	v_add_nc_u32_e32 v2, s18, v0
	s_mov_b32 s19, exec_lo
	s_delay_alu instid0(VALU_DEP_1)
	v_cmpx_gt_i32_e64 s15, v2
	s_cbranch_execz .LBB116_22
; %bb.24:                               ;   in Loop: Header=BB116_23 Depth=1
	v_mul_u64_e32 v[8:9], s[0:1], v[2:3]
	s_and_not1_b32 vcc_lo, exec_lo, s12
	s_delay_alu instid0(VALU_DEP_1)
	v_lshl_add_u64 v[8:9], v[8:9], 3, s[8:9]
	s_cbranch_vccnz .LBB116_26
; %bb.25:                               ;   in Loop: Header=BB116_23 Depth=1
	global_load_b64 v[10:11], v[8:9], off
	v_mov_b64_e32 v[12:13], s[6:7]
	v_mov_b64_e32 v[14:15], s[2:3]
	s_wait_loadcnt 0x0
	s_delay_alu instid0(VALU_DEP_2) | instskip(NEXT) | instid1(VALU_DEP_1)
	v_pk_mul_f32 v[12:13], v[12:13], v[10:11] op_sel:[0,1]
	v_pk_fma_f32 v[16:17], v[14:15], v[10:11], v[12:13] op_sel_hi:[1,0,1]
	v_pk_fma_f32 v[10:11], v[14:15], v[10:11], v[12:13] neg_lo:[0,0,1] neg_hi:[0,0,1]
	s_delay_alu instid0(VALU_DEP_2)
	v_mov_b32_e32 v11, v17
	s_and_not1_b32 vcc_lo, exec_lo, s13
	s_cbranch_vccz .LBB116_27
	s_branch .LBB116_21
.LBB116_26:                             ;   in Loop: Header=BB116_23 Depth=1
	v_mov_b64_e32 v[10:11], 0
	s_and_not1_b32 vcc_lo, exec_lo, s13
	s_cbranch_vccnz .LBB116_21
.LBB116_27:                             ;   in Loop: Header=BB116_23 Depth=1
	s_and_not1_b32 vcc_lo, exec_lo, s17
	s_mov_b32 s4, 0
	s_cbranch_vccnz .LBB116_31
; %bb.28:                               ;   in Loop: Header=BB116_23 Depth=1
	v_mov_b64_e32 v[12:13], v[6:7]
	s_mov_b32 s21, 0
.LBB116_29:                             ;   Parent Loop BB116_23 Depth=1
                                        ; =>  This Inner Loop Header: Depth=2
	s_clause 0x3
	global_load_b128 v[14:17], v[12:13], off offset:-56
	global_load_b128 v[18:21], v[12:13], off offset:-40
	;; [unrolled: 1-line block ×4, first 2 shown]
	v_mov_b32_e32 v1, s4
	s_wait_xcnt 0x0
	v_add_nc_u64_e32 v[12:13], 64, v[12:13]
	s_add_co_i32 s21, s21, 8
	s_add_co_i32 s4, s4, 64
	ds_load_b128 v[30:33], v1
	ds_load_b128 v[34:37], v1 offset:16
	ds_load_b128 v[38:41], v1 offset:32
	;; [unrolled: 1-line block ×3, first 2 shown]
	s_cmp_eq_u32 s14, s21
	s_wait_dscnt 0x2
	v_dual_mov_b32 v2, v33 :: v_dual_mov_b32 v46, v37
	s_wait_dscnt 0x0
	v_dual_mov_b32 v48, v41 :: v_dual_mov_b32 v50, v45
	s_wait_loadcnt 0x3
	v_dual_mov_b32 v52, v17 :: v_dual_mov_b32 v53, v16
	s_wait_loadcnt 0x2
	v_mov_b32_e32 v58, v21
	v_pk_mul_f32 v[54:55], v[14:15], v[30:31] op_sel:[1,1] op_sel_hi:[0,1]
	v_pk_mul_f32 v[56:57], v[18:19], v[34:35] op_sel:[1,1] op_sel_hi:[0,1]
	s_wait_loadcnt 0x1
	v_dual_mov_b32 v59, v20 :: v_dual_mov_b32 v62, v25
	v_pk_mul_f32 v[52:53], v[52:53], v[2:3] op_sel_hi:[1,0]
	v_pk_fma_f32 v[64:65], v[14:15], v[30:31], v[54:55] op_sel_hi:[1,0,1]
	v_pk_fma_f32 v[14:15], v[14:15], v[30:31], v[54:55] neg_lo:[0,0,1] neg_hi:[0,0,1]
	v_mov_b32_e32 v63, v24
	v_pk_fma_f32 v[54:55], v[18:19], v[34:35], v[56:57] op_sel_hi:[1,0,1]
	v_pk_fma_f32 v[30:31], v[16:17], v[32:33], v[52:53] op_sel_hi:[1,0,1]
	v_mov_b32_e32 v15, v65
	v_pk_fma_f32 v[16:17], v[16:17], v[32:33], v[52:53] neg_lo:[0,0,1] neg_hi:[0,0,1]
	v_pk_mul_f32 v[46:47], v[58:59], v[46:47] op_sel_hi:[1,0]
	v_pk_fma_f32 v[18:19], v[18:19], v[34:35], v[56:57] neg_lo:[0,0,1] neg_hi:[0,0,1]
	v_mov_b32_e32 v17, v31
	v_pk_add_f32 v[10:11], v[10:11], v[14:15]
	v_pk_mul_f32 v[60:61], v[22:23], v[38:39] op_sel:[1,1] op_sel_hi:[0,1]
	s_wait_loadcnt 0x0
	v_mov_b32_e32 v14, v29
	v_pk_fma_f32 v[30:31], v[20:21], v[36:37], v[46:47] op_sel_hi:[1,0,1]
	v_mov_b32_e32 v19, v55
	v_pk_add_f32 v[10:11], v[10:11], v[16:17]
	v_pk_fma_f32 v[20:21], v[20:21], v[36:37], v[46:47] neg_lo:[0,0,1] neg_hi:[0,0,1]
	v_pk_fma_f32 v[16:17], v[22:23], v[38:39], v[60:61] op_sel_hi:[1,0,1]
	v_pk_mul_f32 v[32:33], v[62:63], v[48:49] op_sel_hi:[1,0]
	v_mov_b32_e32 v21, v31
	v_pk_add_f32 v[10:11], v[10:11], v[18:19]
	v_pk_fma_f32 v[18:19], v[22:23], v[38:39], v[60:61] neg_lo:[0,0,1] neg_hi:[0,0,1]
	v_pk_mul_f32 v[66:67], v[26:27], v[42:43] op_sel:[1,1] op_sel_hi:[0,1]
	v_dual_mov_b32 v15, v28 :: v_dual_mov_b32 v19, v17
	v_pk_fma_f32 v[16:17], v[24:25], v[40:41], v[32:33] op_sel_hi:[1,0,1]
	v_pk_add_f32 v[10:11], v[10:11], v[20:21]
	v_pk_fma_f32 v[22:23], v[24:25], v[40:41], v[32:33] neg_lo:[0,0,1] neg_hi:[0,0,1]
	v_pk_fma_f32 v[20:21], v[26:27], v[42:43], v[66:67] op_sel_hi:[1,0,1]
	v_pk_mul_f32 v[14:15], v[14:15], v[50:51] op_sel_hi:[1,0]
	v_mov_b32_e32 v23, v17
	v_pk_add_f32 v[10:11], v[10:11], v[18:19]
	v_pk_fma_f32 v[16:17], v[26:27], v[42:43], v[66:67] neg_lo:[0,0,1] neg_hi:[0,0,1]
	v_mov_b32_e32 v17, v21
	v_pk_fma_f32 v[18:19], v[28:29], v[44:45], v[14:15] op_sel_hi:[1,0,1]
	v_pk_fma_f32 v[14:15], v[28:29], v[44:45], v[14:15] neg_lo:[0,0,1] neg_hi:[0,0,1]
	v_pk_add_f32 v[10:11], v[10:11], v[22:23]
	s_delay_alu instid0(VALU_DEP_3) | instskip(NEXT) | instid1(VALU_DEP_2)
	v_mov_b32_e32 v15, v19
	v_pk_add_f32 v[10:11], v[10:11], v[16:17]
	s_delay_alu instid0(VALU_DEP_1)
	v_pk_add_f32 v[10:11], v[10:11], v[14:15]
	s_cbranch_scc0 .LBB116_29
; %bb.30:                               ;   in Loop: Header=BB116_23 Depth=1
	s_mov_b32 s4, s14
.LBB116_31:                             ;   in Loop: Header=BB116_23 Depth=1
	s_and_not1_b32 vcc_lo, exec_lo, s20
	s_cbranch_vccnz .LBB116_21
; %bb.32:                               ;   in Loop: Header=BB116_23 Depth=1
	v_lshl_add_u64 v[12:13], s[4:5], 3, v[4:5]
	s_lshl_b32 s4, s4, 3
	s_mov_b32 s21, s16
.LBB116_33:                             ;   Parent Loop BB116_23 Depth=1
                                        ; =>  This Inner Loop Header: Depth=2
	global_load_b64 v[14:15], v[12:13], off
	v_mov_b32_e32 v1, s4
	s_wait_xcnt 0x0
	v_add_nc_u64_e32 v[12:13], 8, v[12:13]
	s_add_co_i32 s21, s21, -1
	s_add_co_i32 s4, s4, 8
	s_cmp_lg_u32 s21, 0
	ds_load_b64 v[16:17], v1
	s_wait_loadcnt_dscnt 0x0
	v_pk_mul_f32 v[18:19], v[14:15], v[16:17] op_sel:[1,1] op_sel_hi:[0,1]
	s_delay_alu instid0(VALU_DEP_1) | instskip(SKIP_1) | instid1(VALU_DEP_2)
	v_pk_fma_f32 v[20:21], v[14:15], v[16:17], v[18:19] op_sel_hi:[1,0,1]
	v_pk_fma_f32 v[14:15], v[14:15], v[16:17], v[18:19] neg_lo:[0,0,1] neg_hi:[0,0,1]
	v_mov_b32_e32 v15, v21
	s_delay_alu instid0(VALU_DEP_1)
	v_pk_add_f32 v[10:11], v[10:11], v[14:15]
	s_cbranch_scc1 .LBB116_33
	s_branch .LBB116_21
.LBB116_34:
	s_sendmsg sendmsg(MSG_DEALLOC_VGPRS)
	s_endpgm
	.section	.rodata,"a",@progbits
	.p2align	6, 0x0
	.amdhsa_kernel _ZL22rocblas_gemvtsm_kernelILb0ELi256E19rocblas_complex_numIfEPKS1_S1_EviiT2_lPKT1_lilS7_lilS4_lPT3_lil
		.amdhsa_group_segment_fixed_size 512
		.amdhsa_private_segment_fixed_size 0
		.amdhsa_kernarg_size 136
		.amdhsa_user_sgpr_count 2
		.amdhsa_user_sgpr_dispatch_ptr 0
		.amdhsa_user_sgpr_queue_ptr 0
		.amdhsa_user_sgpr_kernarg_segment_ptr 1
		.amdhsa_user_sgpr_dispatch_id 0
		.amdhsa_user_sgpr_kernarg_preload_length 0
		.amdhsa_user_sgpr_kernarg_preload_offset 0
		.amdhsa_user_sgpr_private_segment_size 0
		.amdhsa_wavefront_size32 1
		.amdhsa_uses_dynamic_stack 0
		.amdhsa_enable_private_segment 0
		.amdhsa_system_sgpr_workgroup_id_x 1
		.amdhsa_system_sgpr_workgroup_id_y 0
		.amdhsa_system_sgpr_workgroup_id_z 0
		.amdhsa_system_sgpr_workgroup_info 0
		.amdhsa_system_vgpr_workitem_id 0
		.amdhsa_next_free_vgpr 68
		.amdhsa_next_free_sgpr 32
		.amdhsa_named_barrier_count 0
		.amdhsa_reserve_vcc 1
		.amdhsa_float_round_mode_32 0
		.amdhsa_float_round_mode_16_64 0
		.amdhsa_float_denorm_mode_32 3
		.amdhsa_float_denorm_mode_16_64 3
		.amdhsa_fp16_overflow 0
		.amdhsa_memory_ordered 1
		.amdhsa_forward_progress 1
		.amdhsa_inst_pref_size 15
		.amdhsa_round_robin_scheduling 0
		.amdhsa_exception_fp_ieee_invalid_op 0
		.amdhsa_exception_fp_denorm_src 0
		.amdhsa_exception_fp_ieee_div_zero 0
		.amdhsa_exception_fp_ieee_overflow 0
		.amdhsa_exception_fp_ieee_underflow 0
		.amdhsa_exception_fp_ieee_inexact 0
		.amdhsa_exception_int_div_zero 0
	.end_amdhsa_kernel
	.section	.text._ZL22rocblas_gemvtsm_kernelILb0ELi256E19rocblas_complex_numIfEPKS1_S1_EviiT2_lPKT1_lilS7_lilS4_lPT3_lil,"axG",@progbits,_ZL22rocblas_gemvtsm_kernelILb0ELi256E19rocblas_complex_numIfEPKS1_S1_EviiT2_lPKT1_lilS7_lilS4_lPT3_lil,comdat
.Lfunc_end116:
	.size	_ZL22rocblas_gemvtsm_kernelILb0ELi256E19rocblas_complex_numIfEPKS1_S1_EviiT2_lPKT1_lilS7_lilS4_lPT3_lil, .Lfunc_end116-_ZL22rocblas_gemvtsm_kernelILb0ELi256E19rocblas_complex_numIfEPKS1_S1_EviiT2_lPKT1_lilS7_lilS4_lPT3_lil
                                        ; -- End function
	.set _ZL22rocblas_gemvtsm_kernelILb0ELi256E19rocblas_complex_numIfEPKS1_S1_EviiT2_lPKT1_lilS7_lilS4_lPT3_lil.num_vgpr, 68
	.set _ZL22rocblas_gemvtsm_kernelILb0ELi256E19rocblas_complex_numIfEPKS1_S1_EviiT2_lPKT1_lilS7_lilS4_lPT3_lil.num_agpr, 0
	.set _ZL22rocblas_gemvtsm_kernelILb0ELi256E19rocblas_complex_numIfEPKS1_S1_EviiT2_lPKT1_lilS7_lilS4_lPT3_lil.numbered_sgpr, 32
	.set _ZL22rocblas_gemvtsm_kernelILb0ELi256E19rocblas_complex_numIfEPKS1_S1_EviiT2_lPKT1_lilS7_lilS4_lPT3_lil.num_named_barrier, 0
	.set _ZL22rocblas_gemvtsm_kernelILb0ELi256E19rocblas_complex_numIfEPKS1_S1_EviiT2_lPKT1_lilS7_lilS4_lPT3_lil.private_seg_size, 0
	.set _ZL22rocblas_gemvtsm_kernelILb0ELi256E19rocblas_complex_numIfEPKS1_S1_EviiT2_lPKT1_lilS7_lilS4_lPT3_lil.uses_vcc, 1
	.set _ZL22rocblas_gemvtsm_kernelILb0ELi256E19rocblas_complex_numIfEPKS1_S1_EviiT2_lPKT1_lilS7_lilS4_lPT3_lil.uses_flat_scratch, 0
	.set _ZL22rocblas_gemvtsm_kernelILb0ELi256E19rocblas_complex_numIfEPKS1_S1_EviiT2_lPKT1_lilS7_lilS4_lPT3_lil.has_dyn_sized_stack, 0
	.set _ZL22rocblas_gemvtsm_kernelILb0ELi256E19rocblas_complex_numIfEPKS1_S1_EviiT2_lPKT1_lilS7_lilS4_lPT3_lil.has_recursion, 0
	.set _ZL22rocblas_gemvtsm_kernelILb0ELi256E19rocblas_complex_numIfEPKS1_S1_EviiT2_lPKT1_lilS7_lilS4_lPT3_lil.has_indirect_call, 0
	.section	.AMDGPU.csdata,"",@progbits
; Kernel info:
; codeLenInByte = 1832
; TotalNumSgprs: 34
; NumVgprs: 68
; ScratchSize: 0
; MemoryBound: 0
; FloatMode: 240
; IeeeMode: 1
; LDSByteSize: 512 bytes/workgroup (compile time only)
; SGPRBlocks: 0
; VGPRBlocks: 4
; NumSGPRsForWavesPerEU: 34
; NumVGPRsForWavesPerEU: 68
; NamedBarCnt: 0
; Occupancy: 12
; WaveLimiterHint : 1
; COMPUTE_PGM_RSRC2:SCRATCH_EN: 0
; COMPUTE_PGM_RSRC2:USER_SGPR: 2
; COMPUTE_PGM_RSRC2:TRAP_HANDLER: 0
; COMPUTE_PGM_RSRC2:TGID_X_EN: 1
; COMPUTE_PGM_RSRC2:TGID_Y_EN: 0
; COMPUTE_PGM_RSRC2:TGID_Z_EN: 0
; COMPUTE_PGM_RSRC2:TIDIG_COMP_CNT: 0
	.section	.text._ZL22rocblas_gemvtsm_kernelILb0ELi256E19rocblas_complex_numIfES1_S1_EviiT2_lPKT1_lilS5_lilS2_lPT3_lil,"axG",@progbits,_ZL22rocblas_gemvtsm_kernelILb0ELi256E19rocblas_complex_numIfES1_S1_EviiT2_lPKT1_lilS5_lilS2_lPT3_lil,comdat
	.globl	_ZL22rocblas_gemvtsm_kernelILb0ELi256E19rocblas_complex_numIfES1_S1_EviiT2_lPKT1_lilS5_lilS2_lPT3_lil ; -- Begin function _ZL22rocblas_gemvtsm_kernelILb0ELi256E19rocblas_complex_numIfES1_S1_EviiT2_lPKT1_lilS5_lilS2_lPT3_lil
	.p2align	8
	.type	_ZL22rocblas_gemvtsm_kernelILb0ELi256E19rocblas_complex_numIfES1_S1_EviiT2_lPKT1_lilS5_lilS2_lPT3_lil,@function
_ZL22rocblas_gemvtsm_kernelILb0ELi256E19rocblas_complex_numIfES1_S1_EviiT2_lPKT1_lilS5_lilS2_lPT3_lil: ; @_ZL22rocblas_gemvtsm_kernelILb0ELi256E19rocblas_complex_numIfES1_S1_EviiT2_lPKT1_lilS5_lilS2_lPT3_lil
; %bb.0:
	s_clause 0x1
	s_load_b128 s[4:7], s[0:1], 0x0
	s_load_b64 s[2:3], s[0:1], 0x58
	s_mov_b32 s19, 0
	s_wait_kmcnt 0x0
	s_cmp_eq_f32 s7, 0
	s_cselect_b32 s8, -1, 0
	s_cmp_eq_f32 s6, 0
	s_cselect_b32 s9, -1, 0
	s_delay_alu instid0(SALU_CYCLE_1) | instskip(SKIP_4) | instid1(SALU_CYCLE_1)
	s_and_b32 s8, s9, s8
	s_cmp_eq_f32 s2, 1.0
	s_cselect_b32 s9, -1, 0
	s_cmp_eq_f32 s3, 0
	s_cselect_b32 s10, -1, 0
	s_and_b32 s9, s9, s10
	s_delay_alu instid0(SALU_CYCLE_1) | instskip(NEXT) | instid1(SALU_CYCLE_1)
	s_and_b32 s8, s8, s9
	s_and_b32 vcc_lo, exec_lo, s8
	s_cbranch_vccnz .LBB117_34
; %bb.1:
	s_clause 0x2
	s_load_b64 s[12:13], s[0:1], 0x80
	s_load_b128 s[8:11], s[0:1], 0x68
	s_load_b32 s16, s[0:1], 0x78
	s_bfe_u32 s14, ttmp6, 0x4000c
	s_and_b32 s15, ttmp6, 15
	s_add_co_i32 s14, s14, 1
	s_getreg_b32 s17, hwreg(HW_REG_IB_STS2, 6, 4)
	s_mul_i32 s14, ttmp9, s14
	s_delay_alu instid0(SALU_CYCLE_1) | instskip(SKIP_3) | instid1(SALU_CYCLE_1)
	s_add_co_i32 s15, s15, s14
	s_cmp_eq_u32 s17, 0
	s_cselect_b32 s18, ttmp9, s15
	s_or_b32 s14, s6, s7
	s_bitset0_b32 s14, 31
	s_delay_alu instid0(SALU_CYCLE_1)
	s_cmp_lg_u32 s14, 0
	s_wait_kmcnt 0x0
	s_mul_u64 s[20:21], s[12:13], s[18:19]
	s_mov_b32 s12, -1
	s_cbranch_scc1 .LBB117_16
; %bb.2:
	s_cmp_neq_f32 s2, 0
	s_cselect_b32 s12, -1, 0
	s_cmp_neq_f32 s3, 0
	s_cselect_b32 s13, -1, 0
	s_delay_alu instid0(SALU_CYCLE_1)
	s_or_b32 s12, s12, s13
	s_cmp_gt_i32 s5, 0
	s_cselect_b32 s14, -1, 0
	s_and_b32 vcc_lo, exec_lo, s12
	s_mov_b32 s12, -1
	s_cbranch_vccnz .LBB117_9
; %bb.3:
	s_and_not1_b32 vcc_lo, exec_lo, s14
	s_cbranch_vccnz .LBB117_8
; %bb.4:
	v_mov_b32_e32 v1, 0
	s_ashr_i32 s17, s16, 31
	s_lshl_b64 s[12:13], s[10:11], 3
	s_lshl_b64 s[22:23], s[20:21], 3
	s_add_nc_u64 s[12:13], s[8:9], s[12:13]
	v_mul_u64_e32 v[4:5], s[16:17], v[0:1]
	s_add_nc_u64 s[12:13], s[12:13], s[22:23]
	v_mov_b64_e32 v[2:3], 0
	s_mov_b32 s15, 0
	s_delay_alu instid0(VALU_DEP_2)
	v_lshl_add_u64 v[4:5], v[4:5], 3, s[12:13]
	s_lshl_b64 s[12:13], s[16:17], 11
	s_branch .LBB117_6
.LBB117_5:                              ;   in Loop: Header=BB117_6 Depth=1
	s_wait_xcnt 0x0
	s_or_b32 exec_lo, exec_lo, s17
	v_add_nc_u64_e32 v[4:5], s[12:13], v[4:5]
	s_addk_co_i32 s15, 0x100
	s_delay_alu instid0(SALU_CYCLE_1)
	s_cmp_ge_i32 s15, s5
	s_cbranch_scc1 .LBB117_8
.LBB117_6:                              ; =>This Inner Loop Header: Depth=1
	v_add_nc_u32_e32 v1, s15, v0
	s_mov_b32 s17, exec_lo
	s_delay_alu instid0(VALU_DEP_1)
	v_cmpx_gt_i32_e64 s5, v1
	s_cbranch_execz .LBB117_5
; %bb.7:                                ;   in Loop: Header=BB117_6 Depth=1
	global_store_b64 v[4:5], v[2:3], off
	s_branch .LBB117_5
.LBB117_8:
	s_mov_b32 s12, 0
.LBB117_9:
	s_delay_alu instid0(SALU_CYCLE_1)
	s_and_not1_b32 vcc_lo, exec_lo, s12
	s_cbranch_vccnz .LBB117_15
; %bb.10:
	s_and_not1_b32 vcc_lo, exec_lo, s14
	s_cbranch_vccnz .LBB117_15
; %bb.11:
	v_mov_b32_e32 v1, 0
	s_ashr_i32 s17, s16, 31
	s_lshl_b64 s[12:13], s[10:11], 3
	s_lshl_b64 s[14:15], s[20:21], 3
	s_add_nc_u64 s[12:13], s[8:9], s[12:13]
	v_mul_u64_e32 v[2:3], s[16:17], v[0:1]
	s_add_nc_u64 s[14:15], s[12:13], s[14:15]
	s_mov_b32 s12, s3
	s_mov_b32 s13, s2
	s_delay_alu instid0(VALU_DEP_1)
	v_lshl_add_u64 v[2:3], v[2:3], 3, s[14:15]
	s_lshl_b64 s[14:15], s[16:17], 11
	s_mov_b32 s17, 0
	s_branch .LBB117_13
.LBB117_12:                             ;   in Loop: Header=BB117_13 Depth=1
	s_wait_xcnt 0x0
	s_or_b32 exec_lo, exec_lo, s22
	v_add_nc_u64_e32 v[2:3], s[14:15], v[2:3]
	s_addk_co_i32 s17, 0x100
	s_delay_alu instid0(SALU_CYCLE_1)
	s_cmp_ge_i32 s17, s5
	s_cbranch_scc1 .LBB117_15
.LBB117_13:                             ; =>This Inner Loop Header: Depth=1
	v_add_nc_u32_e32 v1, s17, v0
	s_mov_b32 s22, exec_lo
	s_delay_alu instid0(VALU_DEP_1)
	v_cmpx_gt_i32_e64 s5, v1
	s_cbranch_execz .LBB117_12
; %bb.14:                               ;   in Loop: Header=BB117_13 Depth=1
	global_load_b64 v[4:5], v[2:3], off
	v_mov_b64_e32 v[6:7], s[12:13]
	v_mov_b64_e32 v[8:9], s[2:3]
	s_wait_loadcnt 0x0
	s_delay_alu instid0(VALU_DEP_2) | instskip(NEXT) | instid1(VALU_DEP_1)
	v_pk_mul_f32 v[6:7], v[6:7], v[4:5] op_sel:[0,1]
	v_pk_fma_f32 v[10:11], v[8:9], v[4:5], v[6:7] op_sel_hi:[1,0,1]
	v_pk_fma_f32 v[4:5], v[8:9], v[4:5], v[6:7] neg_lo:[0,0,1] neg_hi:[0,0,1]
	s_delay_alu instid0(VALU_DEP_2)
	v_mov_b32_e32 v5, v11
	global_store_b64 v[2:3], v[4:5], off
	s_branch .LBB117_12
.LBB117_15:
	s_mov_b32 s12, 0
.LBB117_16:
	s_delay_alu instid0(SALU_CYCLE_1)
	s_and_not1_b32 vcc_lo, exec_lo, s12
	s_cbranch_vccnz .LBB117_34
; %bb.17:
	s_clause 0x1
	s_load_b128 s[12:15], s[0:1], 0x30
	s_load_b64 s[22:23], s[0:1], 0x40
	s_mov_b32 s17, exec_lo
	v_cmpx_gt_i32_e64 s4, v0
	s_cbranch_execz .LBB117_19
; %bb.18:
	s_clause 0x1
	s_load_b32 s24, s[0:1], 0x48
	s_load_b64 s[26:27], s[0:1], 0x50
	v_mov_b32_e32 v1, 0
	s_wait_kmcnt 0x0
	s_lshl_b64 s[22:23], s[22:23], 3
	v_mov_b64_e32 v[4:5], s[6:7]
	s_ashr_i32 s25, s24, 31
	s_delay_alu instid0(SALU_CYCLE_1) | instskip(SKIP_3) | instid1(SALU_CYCLE_1)
	v_mul_u64_e32 v[2:3], s[24:25], v[0:1]
	s_mul_u64 s[24:25], s[26:27], s[18:19]
	v_lshlrev_b32_e32 v1, 3, v0
	s_lshl_b64 s[24:25], s[24:25], 3
	s_add_nc_u64 s[14:15], s[14:15], s[24:25]
	s_delay_alu instid0(SALU_CYCLE_1)
	s_add_nc_u64 s[14:15], s[14:15], s[22:23]
	s_delay_alu instid0(VALU_DEP_2) | instid1(SALU_CYCLE_1)
	v_lshl_add_u64 v[2:3], v[2:3], 3, s[14:15]
	global_load_b64 v[2:3], v[2:3], off
	s_wait_loadcnt 0x0
	v_pk_mul_f32 v[6:7], v[2:3], v[4:5] op_sel:[1,1] op_sel_hi:[0,1]
	s_delay_alu instid0(VALU_DEP_1) | instskip(SKIP_2) | instid1(VALU_DEP_2)
	v_pk_fma_f32 v[8:9], v[2:3], s[6:7], v[6:7] op_sel_hi:[1,0,1]
	s_wait_xcnt 0x0
	v_pk_fma_f32 v[2:3], v[2:3], v[4:5], v[6:7] neg_lo:[0,0,1] neg_hi:[0,0,1]
	v_mov_b32_e32 v3, v9
	ds_store_b64 v1, v[2:3]
.LBB117_19:
	s_or_b32 exec_lo, exec_lo, s17
	s_cmp_lt_i32 s5, 1
	s_wait_storecnt_dscnt 0x0
	s_barrier_signal -1
	s_barrier_wait -1
	s_cbranch_scc1 .LBB117_34
; %bb.20:
	s_wait_kmcnt 0x0
	s_clause 0x1
	s_load_b32 s22, s[0:1], 0x28
	s_load_b128 s[24:27], s[0:1], 0x18
	v_mov_b32_e32 v3, 0
	s_lshl_b64 s[6:7], s[20:21], 3
	s_lshl_b64 s[10:11], s[10:11], 3
	s_ashr_i32 s17, s16, 31
	s_add_nc_u64 s[8:9], s[8:9], s[6:7]
	v_mov_b32_e32 v1, v3
	s_mov_b32 s6, s3
	s_add_nc_u64 s[8:9], s[8:9], s[10:11]
	s_mov_b32 s7, s2
	s_wait_kmcnt 0x0
	s_ashr_i32 s23, s22, 31
	s_cmp_neq_f32 s2, 0
	v_mul_u64_e32 v[4:5], s[22:23], v[0:1]
	s_cselect_b32 s0, -1, 0
	s_cmp_neq_f32 s3, 0
	s_cselect_b32 s1, -1, 0
	s_delay_alu instid0(SALU_CYCLE_1)
	s_or_b32 s14, s0, s1
	s_cmp_gt_i32 s4, 0
	s_mul_u64 s[0:1], s[12:13], s[18:19]
	s_cselect_b32 s15, -1, 0
	s_and_b32 s20, s4, 7
	s_cmp_gt_u32 s4, 7
	s_mov_b32 s13, 0
	s_cselect_b32 s21, -1, 0
	s_and_b32 s4, s4, 0x7ffffff8
	s_cmp_lg_u32 s20, 0
	s_cselect_b32 s12, -1, 0
	s_lshl_b64 s[18:19], s[26:27], 3
	s_lshl_b64 s[0:1], s[0:1], 3
	s_add_nc_u64 s[18:19], s[24:25], s[18:19]
	s_lshl_b64 s[10:11], s[22:23], 11
	s_add_nc_u64 s[0:1], s[18:19], s[0:1]
	s_delay_alu instid0(VALU_DEP_1) | instid1(SALU_CYCLE_1)
	v_lshl_add_u64 v[4:5], v[4:5], 3, s[0:1]
	s_mov_b32 s1, 0
	s_delay_alu instid0(VALU_DEP_1)
	v_add_nc_u64_e32 v[6:7], 56, v[4:5]
	s_branch .LBB117_23
.LBB117_21:                             ;   in Loop: Header=BB117_23 Depth=1
	global_store_b64 v[8:9], v[10:11], off
.LBB117_22:                             ;   in Loop: Header=BB117_23 Depth=1
	s_wait_xcnt 0x0
	s_or_b32 exec_lo, exec_lo, s18
	v_add_nc_u64_e32 v[6:7], s[10:11], v[6:7]
	v_add_nc_u64_e32 v[4:5], s[10:11], v[4:5]
	s_addk_co_i32 s13, 0x100
	s_delay_alu instid0(SALU_CYCLE_1)
	s_cmp_ge_i32 s13, s5
	s_cbranch_scc1 .LBB117_34
.LBB117_23:                             ; =>This Loop Header: Depth=1
                                        ;     Child Loop BB117_29 Depth 2
                                        ;     Child Loop BB117_33 Depth 2
	v_add_nc_u32_e32 v2, s13, v0
	s_mov_b32 s18, exec_lo
	s_delay_alu instid0(VALU_DEP_1)
	v_cmpx_gt_i32_e64 s5, v2
	s_cbranch_execz .LBB117_22
; %bb.24:                               ;   in Loop: Header=BB117_23 Depth=1
	v_mul_u64_e32 v[8:9], s[16:17], v[2:3]
	s_and_not1_b32 vcc_lo, exec_lo, s14
	s_delay_alu instid0(VALU_DEP_1)
	v_lshl_add_u64 v[8:9], v[8:9], 3, s[8:9]
	s_cbranch_vccnz .LBB117_26
; %bb.25:                               ;   in Loop: Header=BB117_23 Depth=1
	global_load_b64 v[10:11], v[8:9], off
	v_mov_b64_e32 v[12:13], s[6:7]
	v_mov_b64_e32 v[14:15], s[2:3]
	s_wait_loadcnt 0x0
	s_delay_alu instid0(VALU_DEP_2) | instskip(NEXT) | instid1(VALU_DEP_1)
	v_pk_mul_f32 v[12:13], v[12:13], v[10:11] op_sel:[0,1]
	v_pk_fma_f32 v[16:17], v[14:15], v[10:11], v[12:13] op_sel_hi:[1,0,1]
	v_pk_fma_f32 v[10:11], v[14:15], v[10:11], v[12:13] neg_lo:[0,0,1] neg_hi:[0,0,1]
	s_delay_alu instid0(VALU_DEP_2)
	v_mov_b32_e32 v11, v17
	s_and_not1_b32 vcc_lo, exec_lo, s15
	s_cbranch_vccz .LBB117_27
	s_branch .LBB117_21
.LBB117_26:                             ;   in Loop: Header=BB117_23 Depth=1
	v_mov_b64_e32 v[10:11], 0
	s_and_not1_b32 vcc_lo, exec_lo, s15
	s_cbranch_vccnz .LBB117_21
.LBB117_27:                             ;   in Loop: Header=BB117_23 Depth=1
	s_and_not1_b32 vcc_lo, exec_lo, s21
	s_mov_b32 s0, 0
	s_cbranch_vccnz .LBB117_31
; %bb.28:                               ;   in Loop: Header=BB117_23 Depth=1
	v_mov_b64_e32 v[12:13], v[6:7]
	s_mov_b32 s19, 0
.LBB117_29:                             ;   Parent Loop BB117_23 Depth=1
                                        ; =>  This Inner Loop Header: Depth=2
	s_clause 0x3
	global_load_b128 v[14:17], v[12:13], off offset:-56
	global_load_b128 v[18:21], v[12:13], off offset:-40
	;; [unrolled: 1-line block ×4, first 2 shown]
	v_mov_b32_e32 v1, s0
	s_wait_xcnt 0x0
	v_add_nc_u64_e32 v[12:13], 64, v[12:13]
	s_add_co_i32 s19, s19, 8
	s_add_co_i32 s0, s0, 64
	ds_load_b128 v[30:33], v1
	ds_load_b128 v[34:37], v1 offset:16
	ds_load_b128 v[38:41], v1 offset:32
	;; [unrolled: 1-line block ×3, first 2 shown]
	s_cmp_eq_u32 s4, s19
	s_wait_dscnt 0x2
	v_dual_mov_b32 v2, v33 :: v_dual_mov_b32 v46, v37
	s_wait_dscnt 0x0
	v_dual_mov_b32 v48, v41 :: v_dual_mov_b32 v50, v45
	s_wait_loadcnt 0x3
	v_dual_mov_b32 v52, v17 :: v_dual_mov_b32 v53, v16
	s_wait_loadcnt 0x2
	v_mov_b32_e32 v58, v21
	v_pk_mul_f32 v[54:55], v[14:15], v[30:31] op_sel:[1,1] op_sel_hi:[0,1]
	v_pk_mul_f32 v[56:57], v[18:19], v[34:35] op_sel:[1,1] op_sel_hi:[0,1]
	s_wait_loadcnt 0x1
	v_dual_mov_b32 v59, v20 :: v_dual_mov_b32 v62, v25
	v_pk_mul_f32 v[52:53], v[52:53], v[2:3] op_sel_hi:[1,0]
	v_pk_fma_f32 v[64:65], v[14:15], v[30:31], v[54:55] op_sel_hi:[1,0,1]
	v_pk_fma_f32 v[14:15], v[14:15], v[30:31], v[54:55] neg_lo:[0,0,1] neg_hi:[0,0,1]
	v_mov_b32_e32 v63, v24
	v_pk_fma_f32 v[54:55], v[18:19], v[34:35], v[56:57] op_sel_hi:[1,0,1]
	v_pk_fma_f32 v[30:31], v[16:17], v[32:33], v[52:53] op_sel_hi:[1,0,1]
	v_mov_b32_e32 v15, v65
	v_pk_fma_f32 v[16:17], v[16:17], v[32:33], v[52:53] neg_lo:[0,0,1] neg_hi:[0,0,1]
	v_pk_mul_f32 v[46:47], v[58:59], v[46:47] op_sel_hi:[1,0]
	v_pk_fma_f32 v[18:19], v[18:19], v[34:35], v[56:57] neg_lo:[0,0,1] neg_hi:[0,0,1]
	v_mov_b32_e32 v17, v31
	v_pk_add_f32 v[10:11], v[10:11], v[14:15]
	v_pk_mul_f32 v[60:61], v[22:23], v[38:39] op_sel:[1,1] op_sel_hi:[0,1]
	s_wait_loadcnt 0x0
	v_mov_b32_e32 v14, v29
	v_pk_fma_f32 v[30:31], v[20:21], v[36:37], v[46:47] op_sel_hi:[1,0,1]
	v_mov_b32_e32 v19, v55
	v_pk_add_f32 v[10:11], v[10:11], v[16:17]
	v_pk_fma_f32 v[20:21], v[20:21], v[36:37], v[46:47] neg_lo:[0,0,1] neg_hi:[0,0,1]
	v_pk_fma_f32 v[16:17], v[22:23], v[38:39], v[60:61] op_sel_hi:[1,0,1]
	v_pk_mul_f32 v[32:33], v[62:63], v[48:49] op_sel_hi:[1,0]
	v_mov_b32_e32 v21, v31
	v_pk_add_f32 v[10:11], v[10:11], v[18:19]
	v_pk_fma_f32 v[18:19], v[22:23], v[38:39], v[60:61] neg_lo:[0,0,1] neg_hi:[0,0,1]
	v_pk_mul_f32 v[66:67], v[26:27], v[42:43] op_sel:[1,1] op_sel_hi:[0,1]
	v_dual_mov_b32 v15, v28 :: v_dual_mov_b32 v19, v17
	v_pk_fma_f32 v[16:17], v[24:25], v[40:41], v[32:33] op_sel_hi:[1,0,1]
	v_pk_add_f32 v[10:11], v[10:11], v[20:21]
	v_pk_fma_f32 v[22:23], v[24:25], v[40:41], v[32:33] neg_lo:[0,0,1] neg_hi:[0,0,1]
	v_pk_fma_f32 v[20:21], v[26:27], v[42:43], v[66:67] op_sel_hi:[1,0,1]
	v_pk_mul_f32 v[14:15], v[14:15], v[50:51] op_sel_hi:[1,0]
	v_mov_b32_e32 v23, v17
	v_pk_add_f32 v[10:11], v[10:11], v[18:19]
	v_pk_fma_f32 v[16:17], v[26:27], v[42:43], v[66:67] neg_lo:[0,0,1] neg_hi:[0,0,1]
	v_mov_b32_e32 v17, v21
	v_pk_fma_f32 v[18:19], v[28:29], v[44:45], v[14:15] op_sel_hi:[1,0,1]
	v_pk_fma_f32 v[14:15], v[28:29], v[44:45], v[14:15] neg_lo:[0,0,1] neg_hi:[0,0,1]
	v_pk_add_f32 v[10:11], v[10:11], v[22:23]
	s_delay_alu instid0(VALU_DEP_3) | instskip(NEXT) | instid1(VALU_DEP_2)
	v_mov_b32_e32 v15, v19
	v_pk_add_f32 v[10:11], v[10:11], v[16:17]
	s_delay_alu instid0(VALU_DEP_1)
	v_pk_add_f32 v[10:11], v[10:11], v[14:15]
	s_cbranch_scc0 .LBB117_29
; %bb.30:                               ;   in Loop: Header=BB117_23 Depth=1
	s_mov_b32 s0, s4
.LBB117_31:                             ;   in Loop: Header=BB117_23 Depth=1
	s_and_not1_b32 vcc_lo, exec_lo, s12
	s_cbranch_vccnz .LBB117_21
; %bb.32:                               ;   in Loop: Header=BB117_23 Depth=1
	v_lshl_add_u64 v[12:13], s[0:1], 3, v[4:5]
	s_lshl_b32 s0, s0, 3
	s_mov_b32 s19, s20
.LBB117_33:                             ;   Parent Loop BB117_23 Depth=1
                                        ; =>  This Inner Loop Header: Depth=2
	global_load_b64 v[14:15], v[12:13], off
	v_mov_b32_e32 v1, s0
	s_wait_xcnt 0x0
	v_add_nc_u64_e32 v[12:13], 8, v[12:13]
	s_add_co_i32 s19, s19, -1
	s_add_co_i32 s0, s0, 8
	s_cmp_lg_u32 s19, 0
	ds_load_b64 v[16:17], v1
	s_wait_loadcnt_dscnt 0x0
	v_pk_mul_f32 v[18:19], v[14:15], v[16:17] op_sel:[1,1] op_sel_hi:[0,1]
	s_delay_alu instid0(VALU_DEP_1) | instskip(SKIP_1) | instid1(VALU_DEP_2)
	v_pk_fma_f32 v[20:21], v[14:15], v[16:17], v[18:19] op_sel_hi:[1,0,1]
	v_pk_fma_f32 v[14:15], v[14:15], v[16:17], v[18:19] neg_lo:[0,0,1] neg_hi:[0,0,1]
	v_mov_b32_e32 v15, v21
	s_delay_alu instid0(VALU_DEP_1)
	v_pk_add_f32 v[10:11], v[10:11], v[14:15]
	s_cbranch_scc1 .LBB117_33
	s_branch .LBB117_21
.LBB117_34:
	s_sendmsg sendmsg(MSG_DEALLOC_VGPRS)
	s_endpgm
	.section	.rodata,"a",@progbits
	.p2align	6, 0x0
	.amdhsa_kernel _ZL22rocblas_gemvtsm_kernelILb0ELi256E19rocblas_complex_numIfES1_S1_EviiT2_lPKT1_lilS5_lilS2_lPT3_lil
		.amdhsa_group_segment_fixed_size 512
		.amdhsa_private_segment_fixed_size 0
		.amdhsa_kernarg_size 136
		.amdhsa_user_sgpr_count 2
		.amdhsa_user_sgpr_dispatch_ptr 0
		.amdhsa_user_sgpr_queue_ptr 0
		.amdhsa_user_sgpr_kernarg_segment_ptr 1
		.amdhsa_user_sgpr_dispatch_id 0
		.amdhsa_user_sgpr_kernarg_preload_length 0
		.amdhsa_user_sgpr_kernarg_preload_offset 0
		.amdhsa_user_sgpr_private_segment_size 0
		.amdhsa_wavefront_size32 1
		.amdhsa_uses_dynamic_stack 0
		.amdhsa_enable_private_segment 0
		.amdhsa_system_sgpr_workgroup_id_x 1
		.amdhsa_system_sgpr_workgroup_id_y 0
		.amdhsa_system_sgpr_workgroup_id_z 0
		.amdhsa_system_sgpr_workgroup_info 0
		.amdhsa_system_vgpr_workitem_id 0
		.amdhsa_next_free_vgpr 68
		.amdhsa_next_free_sgpr 28
		.amdhsa_named_barrier_count 0
		.amdhsa_reserve_vcc 1
		.amdhsa_float_round_mode_32 0
		.amdhsa_float_round_mode_16_64 0
		.amdhsa_float_denorm_mode_32 3
		.amdhsa_float_denorm_mode_16_64 3
		.amdhsa_fp16_overflow 0
		.amdhsa_memory_ordered 1
		.amdhsa_forward_progress 1
		.amdhsa_inst_pref_size 15
		.amdhsa_round_robin_scheduling 0
		.amdhsa_exception_fp_ieee_invalid_op 0
		.amdhsa_exception_fp_denorm_src 0
		.amdhsa_exception_fp_ieee_div_zero 0
		.amdhsa_exception_fp_ieee_overflow 0
		.amdhsa_exception_fp_ieee_underflow 0
		.amdhsa_exception_fp_ieee_inexact 0
		.amdhsa_exception_int_div_zero 0
	.end_amdhsa_kernel
	.section	.text._ZL22rocblas_gemvtsm_kernelILb0ELi256E19rocblas_complex_numIfES1_S1_EviiT2_lPKT1_lilS5_lilS2_lPT3_lil,"axG",@progbits,_ZL22rocblas_gemvtsm_kernelILb0ELi256E19rocblas_complex_numIfES1_S1_EviiT2_lPKT1_lilS5_lilS2_lPT3_lil,comdat
.Lfunc_end117:
	.size	_ZL22rocblas_gemvtsm_kernelILb0ELi256E19rocblas_complex_numIfES1_S1_EviiT2_lPKT1_lilS5_lilS2_lPT3_lil, .Lfunc_end117-_ZL22rocblas_gemvtsm_kernelILb0ELi256E19rocblas_complex_numIfES1_S1_EviiT2_lPKT1_lilS5_lilS2_lPT3_lil
                                        ; -- End function
	.set _ZL22rocblas_gemvtsm_kernelILb0ELi256E19rocblas_complex_numIfES1_S1_EviiT2_lPKT1_lilS5_lilS2_lPT3_lil.num_vgpr, 68
	.set _ZL22rocblas_gemvtsm_kernelILb0ELi256E19rocblas_complex_numIfES1_S1_EviiT2_lPKT1_lilS5_lilS2_lPT3_lil.num_agpr, 0
	.set _ZL22rocblas_gemvtsm_kernelILb0ELi256E19rocblas_complex_numIfES1_S1_EviiT2_lPKT1_lilS5_lilS2_lPT3_lil.numbered_sgpr, 28
	.set _ZL22rocblas_gemvtsm_kernelILb0ELi256E19rocblas_complex_numIfES1_S1_EviiT2_lPKT1_lilS5_lilS2_lPT3_lil.num_named_barrier, 0
	.set _ZL22rocblas_gemvtsm_kernelILb0ELi256E19rocblas_complex_numIfES1_S1_EviiT2_lPKT1_lilS5_lilS2_lPT3_lil.private_seg_size, 0
	.set _ZL22rocblas_gemvtsm_kernelILb0ELi256E19rocblas_complex_numIfES1_S1_EviiT2_lPKT1_lilS5_lilS2_lPT3_lil.uses_vcc, 1
	.set _ZL22rocblas_gemvtsm_kernelILb0ELi256E19rocblas_complex_numIfES1_S1_EviiT2_lPKT1_lilS5_lilS2_lPT3_lil.uses_flat_scratch, 0
	.set _ZL22rocblas_gemvtsm_kernelILb0ELi256E19rocblas_complex_numIfES1_S1_EviiT2_lPKT1_lilS5_lilS2_lPT3_lil.has_dyn_sized_stack, 0
	.set _ZL22rocblas_gemvtsm_kernelILb0ELi256E19rocblas_complex_numIfES1_S1_EviiT2_lPKT1_lilS5_lilS2_lPT3_lil.has_recursion, 0
	.set _ZL22rocblas_gemvtsm_kernelILb0ELi256E19rocblas_complex_numIfES1_S1_EviiT2_lPKT1_lilS5_lilS2_lPT3_lil.has_indirect_call, 0
	.section	.AMDGPU.csdata,"",@progbits
; Kernel info:
; codeLenInByte = 1808
; TotalNumSgprs: 30
; NumVgprs: 68
; ScratchSize: 0
; MemoryBound: 0
; FloatMode: 240
; IeeeMode: 1
; LDSByteSize: 512 bytes/workgroup (compile time only)
; SGPRBlocks: 0
; VGPRBlocks: 4
; NumSGPRsForWavesPerEU: 30
; NumVGPRsForWavesPerEU: 68
; NamedBarCnt: 0
; Occupancy: 12
; WaveLimiterHint : 1
; COMPUTE_PGM_RSRC2:SCRATCH_EN: 0
; COMPUTE_PGM_RSRC2:USER_SGPR: 2
; COMPUTE_PGM_RSRC2:TRAP_HANDLER: 0
; COMPUTE_PGM_RSRC2:TGID_X_EN: 1
; COMPUTE_PGM_RSRC2:TGID_Y_EN: 0
; COMPUTE_PGM_RSRC2:TGID_Z_EN: 0
; COMPUTE_PGM_RSRC2:TIDIG_COMP_CNT: 0
	.section	.text._ZL23rocblas_gemvt_sn_kernelILb0ELi256ELi4Ei19rocblas_complex_numIfEPKS1_S1_EviiT4_lPKT3_lilS7_lilPT5_i,"axG",@progbits,_ZL23rocblas_gemvt_sn_kernelILb0ELi256ELi4Ei19rocblas_complex_numIfEPKS1_S1_EviiT4_lPKT3_lilS7_lilPT5_i,comdat
	.globl	_ZL23rocblas_gemvt_sn_kernelILb0ELi256ELi4Ei19rocblas_complex_numIfEPKS1_S1_EviiT4_lPKT3_lilS7_lilPT5_i ; -- Begin function _ZL23rocblas_gemvt_sn_kernelILb0ELi256ELi4Ei19rocblas_complex_numIfEPKS1_S1_EviiT4_lPKT3_lilS7_lilPT5_i
	.p2align	8
	.type	_ZL23rocblas_gemvt_sn_kernelILb0ELi256ELi4Ei19rocblas_complex_numIfEPKS1_S1_EviiT4_lPKT3_lilS7_lilPT5_i,@function
_ZL23rocblas_gemvt_sn_kernelILb0ELi256ELi4Ei19rocblas_complex_numIfEPKS1_S1_EviiT4_lPKT3_lilS7_lilPT5_i: ; @_ZL23rocblas_gemvt_sn_kernelILb0ELi256ELi4Ei19rocblas_complex_numIfEPKS1_S1_EviiT4_lPKT3_lilS7_lilPT5_i
; %bb.0:
	s_load_b32 s11, s[2:3], 0x60
	s_bfe_u32 s4, ttmp6, 0x40014
	s_lshr_b32 s5, ttmp7, 16
	s_add_co_i32 s4, s4, 1
	s_bfe_u32 s7, ttmp6, 0x40008
	s_mul_i32 s6, s5, s4
	s_getreg_b32 s4, hwreg(HW_REG_IB_STS2, 6, 4)
	s_add_co_i32 s7, s7, s6
	s_cmp_eq_u32 s4, 0
	s_mov_b32 s31, 0
	s_cselect_b32 s28, s5, s7
	s_wait_kmcnt 0x0
	s_cmp_ge_u32 s28, s11
	s_cbranch_scc1 .LBB118_84
; %bb.1:
	s_load_b64 s[6:7], s[0:1], 0x4
	s_clause 0x5
	s_load_b96 s[8:10], s[2:3], 0x40
	s_load_b256 s[12:19], s[2:3], 0x8
	s_load_b64 s[34:35], s[2:3], 0x0
	s_load_b32 s33, s[2:3], 0x28
	s_load_b128 s[20:23], s[2:3], 0x30
	s_load_b128 s[24:27], s[2:3], 0x50
	v_and_b32_e32 v1, 0x3ff, v0
	s_load_b32 s36, s[2:3], 0x68
	v_bfe_u32 v2, v0, 10, 10
	v_bfe_u32 v3, v0, 20, 10
	v_mbcnt_lo_u32_b32 v41, -1, 0
	s_wait_xcnt 0x0
	v_cmp_eq_u32_e64 s0, 0, v1
	v_mov_b64_e32 v[10:11], 0
	s_mov_b32 s39, s31
	v_mov_b32_e32 v42, 0
	v_lshl_or_b32 v43, v41, 2, 64
	s_mov_b32 s37, s31
	s_wait_kmcnt 0x0
	s_lshr_b32 s1, s6, 16
	s_lshl_b64 s[2:3], s[8:9], 3
	s_lshl_b64 s[8:9], s[18:19], 3
	s_ashr_i32 s43, s35, 31
	s_cmp_gt_i32 s35, 0
	s_mul_i32 s1, s1, s7
	s_cselect_b32 s5, -1, 0
	s_bfe_u32 s6, ttmp6, 0x4000c
	v_mul_u32_u24_e32 v2, s7, v2
	s_add_co_i32 s6, s6, 1
	s_and_b32 s7, ttmp6, 15
	v_mul_lo_u32 v4, s1, v1
	s_mul_i32 s1, ttmp9, s6
	s_and_b32 s56, s0, s5
	s_add_co_i32 s7, s7, s1
	s_cmp_eq_u32 s4, 0
	s_add_nc_u64 s[18:19], s[22:23], s[2:3]
	s_cselect_b32 s38, ttmp9, s7
	s_add_nc_u64 s[2:3], s[16:17], s[8:9]
	s_lshl_b32 s1, s38, 10
	s_lshr_b32 s4, s43, 30
	v_lshl_or_b32 v6, v1, 2, s1
	s_ashr_i32 s1, s34, 31
	v_add3_u32 v2, v4, v2, v3
	s_lshr_b32 s1, s1, 30
	s_add_co_i32 s4, s35, s4
	s_add_co_i32 s1, s34, s1
	v_mul_lo_u32 v4, s10, v6
	v_dual_ashrrev_i32 v7, 31, v6 :: v_dual_add_nc_u32 v5, 4, v6
	s_and_b32 s1, s1, -4
	v_lshl_add_u32 v38, v2, 5, 0x100
	s_sub_co_i32 s58, s34, s1
	s_delay_alu instid0(VALU_DEP_2)
	v_lshl_add_u64 v[2:3], v[6:7], 3, s[2:3]
	v_add_nc_u32_e32 v6, s58, v6
	v_cmp_ge_i32_e64 s1, s34, v5
	v_and_b32_e32 v5, 31, v0
	s_and_b32 s57, s4, -4
	v_cmp_gt_u32_e64 s3, 32, v1
	s_cmp_gt_i32 s57, 0
	v_cmp_ge_i32_e64 s2, s34, v6
	v_dual_lshrrev_b32 v6, 2, v0 :: v_dual_lshlrev_b32 v39, 3, v5
	v_add_nc_u32_e32 v0, s10, v4
	s_cselect_b32 s59, -1, 0
	s_cmp_gt_i32 s58, 0
	s_delay_alu instid0(VALU_DEP_2)
	v_and_b32_e32 v40, 56, v6
	s_cselect_b32 s34, -1, 0
	v_add_nc_u32_e32 v6, s10, v0
	s_and_b32 s60, s34, s2
	s_cmp_gt_u32 s35, 1
	v_cmp_eq_u32_e64 s4, 0, v5
	s_cselect_b32 s6, -1, 0
	s_cmp_eq_u32 s36, 1
	v_cmp_gt_u32_e64 s5, 8, v1
	v_ashrrev_i32_e32 v1, 31, v0
	v_dual_ashrrev_i32 v5, 31, v4 :: v_dual_add_nc_u32 v8, s10, v6
	s_cselect_b32 s7, -1, 0
	s_and_b32 s61, s35, 0x7ffffffe
	s_and_b32 s62, s6, s7
	s_cmp_lg_u32 s35, s61
	v_dual_ashrrev_i32 v7, 31, v6 :: v_dual_ashrrev_i32 v9, 31, v8
	s_mov_b32 s42, s35
	s_cselect_b32 s63, -1, 0
	s_lshl_b64 s[22:23], s[38:39], 3
	s_mul_u64 s[16:17], s[42:43], s[36:37]
	s_add_nc_u64 s[40:41], s[26:27], s[22:23]
	s_lshl_b64 s[42:43], s[42:43], 3
	s_lshl_b64 s[44:45], s[36:37], 3
	s_lshl_b32 s39, s33, 2
	s_lshl_b32 s64, s33, 1
	s_mul_i32 s65, s33, 3
	s_lshl_b64 s[46:47], s[20:21], 3
	s_branch .LBB118_3
.LBB118_2:                              ;   in Loop: Header=BB118_3 Depth=1
	s_add_co_i32 s28, s28, 0x10000
	s_delay_alu instid0(SALU_CYCLE_1)
	s_cmp_lt_u32 s28, s11
	s_cbranch_scc0 .LBB118_84
.LBB118_3:                              ; =>This Loop Header: Depth=1
                                        ;     Child Loop BB118_7 Depth 2
                                        ;     Child Loop BB118_11 Depth 2
	;; [unrolled: 1-line block ×3, first 2 shown]
                                        ;       Child Loop BB118_47 Depth 3
                                        ;       Child Loop BB118_49 Depth 3
                                        ;     Child Loop BB118_65 Depth 2
                                        ;       Child Loop BB118_77 Depth 3
                                        ;       Child Loop BB118_79 Depth 3
	s_mov_b32 s29, s31
	s_delay_alu instid0(SALU_CYCLE_1) | instskip(NEXT) | instid1(SALU_CYCLE_1)
	s_mul_u64 s[6:7], s[14:15], s[28:29]
	s_lshl_b64 s[6:7], s[6:7], 3
	s_delay_alu instid0(SALU_CYCLE_1) | instskip(SKIP_3) | instid1(SALU_CYCLE_1)
	s_add_nc_u64 s[6:7], s[12:13], s[6:7]
	global_load_b64 v[12:13], v42, s[6:7]
	s_wait_xcnt 0x0
	s_mul_u64 s[6:7], s[16:17], s[28:29]
	s_lshl_b64 s[6:7], s[6:7], 3
	s_delay_alu instid0(SALU_CYCLE_1) | instskip(SKIP_3) | instid1(VALU_DEP_1)
	s_add_nc_u64 s[50:51], s[26:27], s[6:7]
	s_mov_b32 s6, -1
	s_wait_loadcnt 0x0
	v_or_b32_e32 v14, v12, v13
	v_and_b32_e32 v14, 0x7fffffff, v14
	s_delay_alu instid0(VALU_DEP_1)
	v_cmp_ne_u32_e32 vcc_lo, 0, v14
	s_cbranch_vccnz .LBB118_13
; %bb.4:                                ;   in Loop: Header=BB118_3 Depth=1
	s_and_saveexec_b32 s52, s56
	s_cbranch_execz .LBB118_12
; %bb.5:                                ;   in Loop: Header=BB118_3 Depth=1
	s_and_not1_b32 vcc_lo, exec_lo, s62
	s_cbranch_vccnz .LBB118_9
; %bb.6:                                ;   in Loop: Header=BB118_3 Depth=1
	s_add_nc_u64 s[6:7], s[50:51], s[22:23]
	s_mov_b32 s8, 1
	s_mov_b32 s30, 0
	;; [unrolled: 1-line block ×3, first 2 shown]
.LBB118_7:                              ;   Parent Loop BB118_3 Depth=1
                                        ; =>  This Inner Loop Header: Depth=2
	s_mov_b32 s9, s31
	s_wait_xcnt 0x1
	s_lshl_b64 s[54:55], s[30:31], 3
	s_add_co_i32 s49, s49, -2
	s_add_co_i32 s30, s30, 2
	s_wait_xcnt 0x0
	s_lshl_b64 s[66:67], s[8:9], 3
	s_add_co_i32 s8, s8, 2
	s_mov_b32 s48, s61
	s_mov_b32 s53, s63
	s_add_nc_u64 s[54:55], s[6:7], s[54:55]
	s_cmp_lg_u32 s49, 0
	s_add_nc_u64 s[66:67], s[6:7], s[66:67]
	s_clause 0x1
	global_store_b64 v42, v[10:11], s[54:55]
	global_store_b64 v42, v[10:11], s[66:67]
	s_cbranch_scc1 .LBB118_7
; %bb.8:                                ;   in Loop: Header=BB118_3 Depth=1
	s_and_b32 vcc_lo, exec_lo, s53
	s_cbranch_vccnz .LBB118_10
	s_branch .LBB118_12
.LBB118_9:                              ;   in Loop: Header=BB118_3 Depth=1
	s_mov_b32 s48, 0
	s_cbranch_execz .LBB118_12
.LBB118_10:                             ;   in Loop: Header=BB118_3 Depth=1
	s_mov_b32 s49, s31
	s_mul_u64 s[6:7], s[42:43], s[28:29]
	s_lshl_b64 s[8:9], s[48:49], 3
	s_delay_alu instid0(SALU_CYCLE_1) | instskip(SKIP_2) | instid1(SALU_CYCLE_1)
	s_add_nc_u64 s[6:7], s[6:7], s[8:9]
	s_sub_co_i32 s8, s35, s48
	s_mul_u64 s[6:7], s[36:37], s[6:7]
	s_add_nc_u64 s[6:7], s[40:41], s[6:7]
.LBB118_11:                             ;   Parent Loop BB118_3 Depth=1
                                        ; =>  This Inner Loop Header: Depth=2
	s_add_co_i32 s8, s8, -1
	global_store_b64 v42, v[10:11], s[6:7]
	s_cmp_eq_u32 s8, 0
	s_wait_xcnt 0x0
	s_add_nc_u64 s[6:7], s[6:7], s[44:45]
	s_cbranch_scc0 .LBB118_11
.LBB118_12:                             ;   in Loop: Header=BB118_3 Depth=1
	s_wait_xcnt 0x0
	s_or_b32 exec_lo, exec_lo, s52
	s_mov_b32 s6, 0
.LBB118_13:                             ;   in Loop: Header=BB118_3 Depth=1
	s_delay_alu instid0(SALU_CYCLE_1)
	s_and_not1_b32 vcc_lo, exec_lo, s6
	s_cbranch_vccnz .LBB118_2
; %bb.14:                               ;   in Loop: Header=BB118_3 Depth=1
	s_mul_u64 s[6:7], s[24:25], s[28:29]
	s_mul_u64 s[8:9], s[46:47], s[28:29]
	s_lshl_b64 s[6:7], s[6:7], 3
	s_mul_u64 s[52:53], s[20:21], s[28:29]
	s_add_nc_u64 s[48:49], s[18:19], s[6:7]
	v_add_nc_u64_e32 v[24:25], s[8:9], v[2:3]
	v_lshl_add_u64 v[14:15], s[52:53], 3, v[2:3]
	v_lshl_add_u64 v[16:17], v[4:5], 3, s[48:49]
	;; [unrolled: 1-line block ×5, first 2 shown]
	v_cmp_gt_u32_e64 s9, 24, v41
	v_cmp_gt_u32_e64 s8, 28, v41
	;; [unrolled: 1-line block ×3, first 2 shown]
	v_cmp_ne_u32_e64 s6, 31, v41
	s_and_not1_b32 vcc_lo, exec_lo, s59
	s_cbranch_vccnz .LBB118_61
; %bb.15:                               ;   in Loop: Header=BB118_3 Depth=1
	v_cndmask_b32_e64 v26, 0, 8, s9
	v_cndmask_b32_e64 v27, 0, 4, s8
	s_wait_dscnt 0x0
	v_cndmask_b32_e64 v28, 0, 2, s7
	v_add_co_ci_u32_e64 v29, null, 0, v41, s6
	v_add_lshl_u32 v44, v26, v41, 2
	v_add_lshl_u32 v45, v27, v41, 2
	s_delay_alu instid0(VALU_DEP_4) | instskip(NEXT) | instid1(VALU_DEP_4)
	v_add_lshl_u32 v46, v28, v41, 2
	v_dual_mov_b32 v26, v13 :: v_dual_lshlrev_b32 v47, 2, v29
	v_mov_b32_e32 v27, v12
	s_mov_b32 s6, 0
	s_mov_b32 s29, s65
	;; [unrolled: 1-line block ×5, first 2 shown]
	s_branch .LBB118_17
.LBB118_16:                             ;   in Loop: Header=BB118_17 Depth=2
	s_wait_xcnt 0x0
	s_or_b32 exec_lo, exec_lo, s7
	s_add_co_i32 s30, s30, 4
	s_add_co_i32 s67, s67, s39
	;; [unrolled: 1-line block ×5, first 2 shown]
	s_cmp_ge_i32 s30, s57
	s_cbranch_scc1 .LBB118_62
.LBB118_17:                             ;   Parent Loop BB118_3 Depth=1
                                        ; =>  This Loop Header: Depth=2
                                        ;       Child Loop BB118_47 Depth 3
                                        ;       Child Loop BB118_49 Depth 3
                                        ; implicit-def: $vgpr35
                                        ; implicit-def: $vgpr33
                                        ; implicit-def: $vgpr31
                                        ; implicit-def: $vgpr29
	s_and_saveexec_b32 s7, s1
	s_delay_alu instid0(SALU_CYCLE_1)
	s_xor_b32 s7, exec_lo, s7
	s_cbranch_execnz .LBB118_44
; %bb.18:                               ;   in Loop: Header=BB118_17 Depth=2
	s_and_not1_saveexec_b32 s68, s7
	s_cbranch_execnz .LBB118_45
.LBB118_19:                             ;   in Loop: Header=BB118_17 Depth=2
	s_or_b32 exec_lo, exec_lo, s68
	s_and_saveexec_b32 s7, s3
.LBB118_20:                             ;   in Loop: Header=BB118_17 Depth=2
	ds_store_b64 v39, v[10:11]
.LBB118_21:                             ;   in Loop: Header=BB118_17 Depth=2
	s_or_b32 exec_lo, exec_lo, s7
	ds_bpermute_b32 v36, v43, v34
	ds_bpermute_b32 v37, v43, v35
	s_wait_storecnt_dscnt 0x0
	s_barrier_signal -1
	s_barrier_wait -1
	v_pk_add_f32 v[34:35], v[34:35], v[36:37]
	ds_bpermute_b32 v36, v44, v34
	ds_bpermute_b32 v37, v44, v35
	s_wait_dscnt 0x0
	v_pk_add_f32 v[34:35], v[34:35], v[36:37]
	ds_bpermute_b32 v36, v45, v34
	ds_bpermute_b32 v37, v45, v35
	s_wait_dscnt 0x0
	;; [unrolled: 4-line block ×3, first 2 shown]
	v_pk_add_f32 v[34:35], v[34:35], v[36:37]
	ds_bpermute_b32 v36, v47, v34
	ds_bpermute_b32 v37, v47, v35
	s_and_saveexec_b32 s7, s4
	s_cbranch_execz .LBB118_23
; %bb.22:                               ;   in Loop: Header=BB118_17 Depth=2
	s_wait_dscnt 0x0
	v_pk_add_f32 v[34:35], v[34:35], v[36:37]
	ds_store_b64 v40, v[34:35]
.LBB118_23:                             ;   in Loop: Header=BB118_17 Depth=2
	s_or_b32 exec_lo, exec_lo, s7
	v_mov_b64_e32 v[34:35], 0
	s_wait_dscnt 0x0
	s_barrier_signal -1
	s_barrier_wait -1
	s_and_saveexec_b32 s7, s5
	s_cbranch_execnz .LBB118_50
; %bb.24:                               ;   in Loop: Header=BB118_17 Depth=2
	s_or_b32 exec_lo, exec_lo, s7
	s_and_saveexec_b32 s7, s3
	s_cbranch_execnz .LBB118_51
.LBB118_25:                             ;   in Loop: Header=BB118_17 Depth=2
	s_or_b32 exec_lo, exec_lo, s7
	s_and_saveexec_b32 s7, s3
.LBB118_26:                             ;   in Loop: Header=BB118_17 Depth=2
	ds_store_b64 v39, v[10:11]
.LBB118_27:                             ;   in Loop: Header=BB118_17 Depth=2
	s_or_b32 exec_lo, exec_lo, s7
	ds_bpermute_b32 v36, v43, v32
	ds_bpermute_b32 v37, v43, v33
	s_wait_dscnt 0x0
	s_barrier_signal -1
	s_barrier_wait -1
	v_pk_add_f32 v[32:33], v[32:33], v[36:37]
	ds_bpermute_b32 v36, v44, v32
	ds_bpermute_b32 v37, v44, v33
	s_wait_dscnt 0x0
	v_pk_add_f32 v[32:33], v[32:33], v[36:37]
	ds_bpermute_b32 v36, v45, v32
	ds_bpermute_b32 v37, v45, v33
	s_wait_dscnt 0x0
	v_pk_add_f32 v[32:33], v[32:33], v[36:37]
	ds_bpermute_b32 v36, v46, v32
	ds_bpermute_b32 v37, v46, v33
	s_wait_dscnt 0x0
	v_pk_add_f32 v[32:33], v[32:33], v[36:37]
	ds_bpermute_b32 v36, v47, v32
	ds_bpermute_b32 v37, v47, v33
	s_and_saveexec_b32 s7, s4
	s_cbranch_execz .LBB118_29
; %bb.28:                               ;   in Loop: Header=BB118_17 Depth=2
	s_wait_dscnt 0x0
	v_pk_add_f32 v[32:33], v[32:33], v[36:37]
	ds_store_b64 v40, v[32:33]
.LBB118_29:                             ;   in Loop: Header=BB118_17 Depth=2
	s_or_b32 exec_lo, exec_lo, s7
	v_mov_b64_e32 v[32:33], 0
	s_wait_dscnt 0x0
	s_barrier_signal -1
	s_barrier_wait -1
	s_and_saveexec_b32 s7, s5
	s_cbranch_execnz .LBB118_52
; %bb.30:                               ;   in Loop: Header=BB118_17 Depth=2
	s_or_b32 exec_lo, exec_lo, s7
	s_and_saveexec_b32 s7, s3
	s_cbranch_execnz .LBB118_53
.LBB118_31:                             ;   in Loop: Header=BB118_17 Depth=2
	s_or_b32 exec_lo, exec_lo, s7
	s_and_saveexec_b32 s7, s3
.LBB118_32:                             ;   in Loop: Header=BB118_17 Depth=2
	ds_store_b64 v39, v[10:11]
.LBB118_33:                             ;   in Loop: Header=BB118_17 Depth=2
	s_or_b32 exec_lo, exec_lo, s7
	ds_bpermute_b32 v36, v43, v30
	ds_bpermute_b32 v37, v43, v31
	s_wait_dscnt 0x0
	s_barrier_signal -1
	s_barrier_wait -1
	v_pk_add_f32 v[30:31], v[30:31], v[36:37]
	ds_bpermute_b32 v36, v44, v30
	ds_bpermute_b32 v37, v44, v31
	s_wait_dscnt 0x0
	v_pk_add_f32 v[30:31], v[30:31], v[36:37]
	ds_bpermute_b32 v36, v45, v30
	ds_bpermute_b32 v37, v45, v31
	s_wait_dscnt 0x0
	;; [unrolled: 4-line block ×3, first 2 shown]
	v_pk_add_f32 v[30:31], v[30:31], v[36:37]
	ds_bpermute_b32 v36, v47, v30
	ds_bpermute_b32 v37, v47, v31
	s_and_saveexec_b32 s7, s4
	s_cbranch_execz .LBB118_35
; %bb.34:                               ;   in Loop: Header=BB118_17 Depth=2
	s_wait_dscnt 0x0
	v_pk_add_f32 v[30:31], v[30:31], v[36:37]
	ds_store_b64 v40, v[30:31]
.LBB118_35:                             ;   in Loop: Header=BB118_17 Depth=2
	s_or_b32 exec_lo, exec_lo, s7
	v_mov_b64_e32 v[30:31], 0
	s_wait_dscnt 0x0
	s_barrier_signal -1
	s_barrier_wait -1
	s_and_saveexec_b32 s7, s5
	s_cbranch_execnz .LBB118_54
; %bb.36:                               ;   in Loop: Header=BB118_17 Depth=2
	s_or_b32 exec_lo, exec_lo, s7
	s_and_saveexec_b32 s7, s3
	s_cbranch_execnz .LBB118_55
.LBB118_37:                             ;   in Loop: Header=BB118_17 Depth=2
	s_or_b32 exec_lo, exec_lo, s7
	s_and_saveexec_b32 s7, s3
.LBB118_38:                             ;   in Loop: Header=BB118_17 Depth=2
	ds_store_b64 v39, v[10:11]
.LBB118_39:                             ;   in Loop: Header=BB118_17 Depth=2
	s_or_b32 exec_lo, exec_lo, s7
	ds_bpermute_b32 v36, v43, v28
	ds_bpermute_b32 v37, v43, v29
	s_wait_dscnt 0x0
	s_barrier_signal -1
	s_barrier_wait -1
	v_pk_add_f32 v[28:29], v[28:29], v[36:37]
	ds_bpermute_b32 v36, v44, v28
	ds_bpermute_b32 v37, v44, v29
	s_wait_dscnt 0x0
	v_pk_add_f32 v[28:29], v[28:29], v[36:37]
	ds_bpermute_b32 v36, v45, v28
	ds_bpermute_b32 v37, v45, v29
	s_wait_dscnt 0x0
	;; [unrolled: 4-line block ×3, first 2 shown]
	v_pk_add_f32 v[28:29], v[28:29], v[36:37]
	ds_bpermute_b32 v36, v47, v28
	ds_bpermute_b32 v37, v47, v29
	s_and_saveexec_b32 s7, s4
	s_cbranch_execz .LBB118_41
; %bb.40:                               ;   in Loop: Header=BB118_17 Depth=2
	s_wait_dscnt 0x0
	v_pk_add_f32 v[28:29], v[28:29], v[36:37]
	ds_store_b64 v40, v[28:29]
.LBB118_41:                             ;   in Loop: Header=BB118_17 Depth=2
	s_or_b32 exec_lo, exec_lo, s7
	v_mov_b64_e32 v[28:29], 0
	s_wait_dscnt 0x0
	s_barrier_signal -1
	s_barrier_wait -1
	s_and_saveexec_b32 s7, s5
	s_cbranch_execnz .LBB118_56
; %bb.42:                               ;   in Loop: Header=BB118_17 Depth=2
	s_or_b32 exec_lo, exec_lo, s7
	s_and_saveexec_b32 s7, s3
	s_cbranch_execnz .LBB118_57
.LBB118_43:                             ;   in Loop: Header=BB118_17 Depth=2
	s_or_b32 exec_lo, exec_lo, s7
	s_and_saveexec_b32 s7, s0
	s_cbranch_execz .LBB118_16
	s_branch .LBB118_58
.LBB118_44:                             ;   in Loop: Header=BB118_17 Depth=2
	s_mul_i32 s8, s30, s33
	s_clause 0x1
	global_load_b64 v[48:49], v[16:17], off
	global_load_b64 v[50:51], v[18:19], off
	s_ashr_i32 s9, s8, 31
	s_add_co_i32 s52, s8, s33
	v_lshl_add_u64 v[32:33], s[8:9], 3, v[14:15]
	s_ashr_i32 s53, s52, 31
	s_add_co_i32 s8, s52, s33
	v_lshl_add_u64 v[36:37], s[52:53], 3, v[14:15]
	s_ashr_i32 s9, s8, 31
	s_wait_dscnt 0x0
	global_load_b128 v[28:31], v[32:33], off
	global_load_b64 v[52:53], v[20:21], off
	v_lshl_add_u64 v[72:73], s[8:9], 3, v[14:15]
	s_add_co_i32 s8, s8, s33
	global_load_b128 v[32:35], v[32:33], off offset:16
	s_ashr_i32 s9, s8, 31
	s_clause 0x2
	global_load_b128 v[56:59], v[36:37], off
	global_load_b128 v[60:63], v[36:37], off offset:16
	global_load_b128 v[64:67], v[72:73], off
	s_wait_xcnt 0x1
	v_lshl_add_u64 v[36:37], s[8:9], 3, v[14:15]
	global_load_b64 v[54:55], v[22:23], off
	s_clause 0x1
	global_load_b128 v[68:71], v[36:37], off
	global_load_b128 v[72:75], v[72:73], off offset:16
	s_wait_loadcnt 0x8
	v_dual_mul_f32 v76, v49, v29 :: v_dual_mul_f32 v77, v48, v29
	v_pk_mul_f32 v[78:79], v[50:51], v[30:31] op_sel:[1,0]
	s_wait_loadcnt 0x5
	v_dual_mov_b32 v80, v35 :: v_dual_mul_f32 v87, v49, v57
	v_pk_mul_f32 v[82:83], v[52:53], v[32:33] op_sel:[1,1] op_sel_hi:[0,1]
	s_wait_loadcnt 0x4
	v_dual_mul_f32 v81, v48, v57 :: v_dual_mov_b32 v86, v63
	v_pk_mul_f32 v[84:85], v[50:51], v[58:59] op_sel:[1,0]
	s_wait_loadcnt 0x3
	v_dual_mul_f32 v92, v49, v65 :: v_dual_mul_f32 v57, v48, v65
	v_dual_fma_f32 v76, v48, v28, -v76 :: v_dual_fmac_f32 v77, v49, v28
	v_pk_fma_f32 v[88:89], v[50:51], v[30:31], v[78:79] op_sel:[0,0,1] op_sel_hi:[1,1,0] neg_lo:[0,0,1] neg_hi:[0,0,1]
	v_pk_fma_f32 v[28:29], v[50:51], v[30:31], v[78:79] op_sel:[0,0,1] op_sel_hi:[0,1,0]
	v_pk_mul_f32 v[30:31], v[50:51], v[66:67] op_sel:[1,0]
	s_wait_loadcnt 0x2
	v_pk_mul_f32 v[78:79], v[54:55], v[80:81] op_sel:[1,0] op_sel_hi:[0,0]
	v_dual_fma_f32 v80, v48, v56, -v87 :: v_dual_fmac_f32 v81, v49, v56
	v_pk_fma_f32 v[90:91], v[50:51], v[58:59], v[84:85] op_sel:[0,0,1] op_sel_hi:[1,1,0] neg_lo:[0,0,1] neg_hi:[0,0,1]
	v_pk_fma_f32 v[58:59], v[50:51], v[58:59], v[84:85] op_sel:[0,0,1] op_sel_hi:[0,1,0]
	v_pk_fma_f32 v[84:85], v[52:53], v[32:33], v[82:83] neg_lo:[0,0,1] neg_hi:[0,0,1]
	v_pk_fma_f32 v[32:33], v[52:53], v[32:33], v[82:83] op_sel_hi:[1,0,1]
	s_wait_loadcnt 0x1
	v_dual_mul_f32 v28, v49, v69 :: v_dual_fma_f32 v56, v48, v64, -v92
	v_dual_fmac_f32 v57, v49, v64 :: v_dual_mul_f32 v83, v48, v69
	v_pk_fma_f32 v[64:65], v[50:51], v[66:67], v[30:31] op_sel:[0,0,1] op_sel_hi:[1,1,0] neg_lo:[0,0,1] neg_hi:[0,0,1]
	v_pk_fma_f32 v[66:67], v[50:51], v[66:67], v[30:31] op_sel:[0,0,1] op_sel_hi:[0,1,0]
	v_pk_mul_f32 v[30:31], v[50:51], v[70:71] op_sel:[1,0]
	v_pk_fma_f32 v[92:93], v[54:55], v[34:35], v[78:79] neg_lo:[0,0,1] neg_hi:[0,0,1]
	v_pk_fma_f32 v[34:35], v[54:55], v[34:35], v[78:79] op_sel_hi:[1,0,1]
	v_pk_mul_f32 v[78:79], v[52:53], v[60:61] op_sel:[1,1] op_sel_hi:[0,1]
	v_pk_mul_f32 v[86:87], v[54:55], v[86:87] op_sel:[1,0] op_sel_hi:[0,0]
	v_dual_fma_f32 v82, v48, v68, -v28 :: v_dual_fmac_f32 v83, v49, v68
	v_pk_fma_f32 v[68:69], v[50:51], v[70:71], v[30:31] op_sel:[0,0,1] op_sel_hi:[1,1,0] neg_lo:[0,0,1] neg_hi:[0,0,1]
	v_pk_fma_f32 v[70:71], v[50:51], v[70:71], v[30:31] op_sel:[0,0,1] op_sel_hi:[0,1,0]
	s_wait_loadcnt 0x0
	v_dual_mov_b32 v28, v75 :: v_dual_mov_b32 v89, v29
	v_pk_mul_f32 v[30:31], v[52:53], v[72:73] op_sel:[1,1] op_sel_hi:[0,1]
	v_pk_fma_f32 v[94:95], v[52:53], v[60:61], v[78:79] neg_lo:[0,0,1] neg_hi:[0,0,1]
	v_pk_fma_f32 v[60:61], v[52:53], v[60:61], v[78:79] op_sel_hi:[1,0,1]
	v_pk_fma_f32 v[78:79], v[54:55], v[62:63], v[86:87] neg_lo:[0,0,1] neg_hi:[0,0,1]
	v_pk_fma_f32 v[62:63], v[54:55], v[62:63], v[86:87] op_sel_hi:[1,0,1]
	v_pk_mul_f32 v[86:87], v[54:55], v[28:29] op_sel:[1,0] op_sel_hi:[0,0]
	v_pk_fma_f32 v[96:97], v[52:53], v[72:73], v[30:31] neg_lo:[0,0,1] neg_hi:[0,0,1]
	s_wait_xcnt 0x0
	v_pk_fma_f32 v[72:73], v[52:53], v[72:73], v[30:31] op_sel_hi:[1,0,1]
	global_load_b128 v[28:31], v[36:37], off offset:16
	v_dual_mov_b32 v85, v33 :: v_dual_mov_b32 v91, v59
	s_wait_xcnt 0x0
	v_pk_add_f32 v[36:37], v[76:77], 0 op_sel_hi:[1,0]
	v_dual_mov_b32 v65, v67 :: v_dual_mov_b32 v97, v73
	v_pk_add_f32 v[56:57], v[56:57], 0 op_sel_hi:[1,0]
	v_dual_mov_b32 v93, v35 :: v_dual_mov_b32 v69, v71
	v_pk_fma_f32 v[98:99], v[54:55], v[74:75], v[86:87] neg_lo:[0,0,1] neg_hi:[0,0,1]
	v_pk_fma_f32 v[74:75], v[54:55], v[74:75], v[86:87] op_sel_hi:[1,0,1]
	v_pk_add_f32 v[36:37], v[36:37], v[88:89]
	v_pk_add_f32 v[56:57], v[56:57], v[64:65]
	ds_store_b128 v38, v[48:51]
	ds_store_b128 v38, v[52:55] offset:16
	v_mov_b32_e32 v95, v61
	v_pk_add_f32 v[60:61], v[80:81], 0 op_sel_hi:[1,0]
	v_pk_add_f32 v[36:37], v[36:37], v[84:85]
	v_pk_add_f32 v[56:57], v[56:57], v[96:97]
	v_mov_b32_e32 v79, v63
	s_wait_loadcnt 0x0
	v_pk_mul_f32 v[32:33], v[52:53], v[28:29] op_sel:[1,1] op_sel_hi:[0,1]
	v_mov_b32_e32 v34, v31
	s_delay_alu instid0(VALU_DEP_2) | instskip(SKIP_1) | instid1(VALU_DEP_3)
	v_pk_fma_f32 v[58:59], v[52:53], v[28:29], v[32:33] neg_lo:[0,0,1] neg_hi:[0,0,1]
	v_pk_fma_f32 v[28:29], v[52:53], v[28:29], v[32:33] op_sel_hi:[1,0,1]
	v_pk_mul_f32 v[32:33], v[54:55], v[34:35] op_sel:[1,0] op_sel_hi:[0,0]
	v_pk_add_f32 v[34:35], v[82:83], 0 op_sel_hi:[1,0]
	s_delay_alu instid0(VALU_DEP_3) | instskip(NEXT) | instid1(VALU_DEP_3)
	v_mov_b32_e32 v59, v29
	v_pk_fma_f32 v[28:29], v[54:55], v[30:31], v[32:33] neg_lo:[0,0,1] neg_hi:[0,0,1]
	v_pk_fma_f32 v[30:31], v[54:55], v[30:31], v[32:33] op_sel_hi:[1,0,1]
	v_pk_add_f32 v[32:33], v[60:61], v[90:91]
	v_pk_add_f32 v[34:35], v[34:35], v[68:69]
	s_delay_alu instid0(VALU_DEP_3) | instskip(NEXT) | instid1(VALU_DEP_3)
	v_dual_mov_b32 v99, v75 :: v_dual_mov_b32 v29, v31
	v_pk_add_f32 v[32:33], v[32:33], v[94:95]
	s_delay_alu instid0(VALU_DEP_3) | instskip(SKIP_1) | instid1(VALU_DEP_4)
	v_pk_add_f32 v[58:59], v[34:35], v[58:59]
	v_pk_add_f32 v[34:35], v[36:37], v[92:93]
	v_pk_add_f32 v[30:31], v[56:57], v[98:99]
	s_delay_alu instid0(VALU_DEP_4) | instskip(NEXT) | instid1(VALU_DEP_4)
	v_pk_add_f32 v[32:33], v[32:33], v[78:79]
	v_pk_add_f32 v[28:29], v[58:59], v[28:29]
	s_and_not1_saveexec_b32 s68, s7
	s_cbranch_execz .LBB118_19
.LBB118_45:                             ;   in Loop: Header=BB118_17 Depth=2
	v_dual_mov_b32 v35, 0 :: v_dual_mov_b32 v34, 0
	v_dual_mov_b32 v33, 0 :: v_dual_mov_b32 v32, 0
	;; [unrolled: 1-line block ×3, first 2 shown]
	s_wait_dscnt 0x0
	v_dual_mov_b32 v29, 0 :: v_dual_mov_b32 v28, 0
	s_and_saveexec_b32 s69, s2
	s_cbranch_execz .LBB118_60
; %bb.46:                               ;   in Loop: Header=BB118_17 Depth=2
	v_dual_mov_b32 v28, v4 :: v_dual_mov_b32 v29, v38
	s_and_not1_b32 vcc_lo, exec_lo, s34
	s_mov_b32 s7, s58
	s_cbranch_vccnz .LBB118_59
.LBB118_47:                             ;   Parent Loop BB118_3 Depth=1
                                        ;     Parent Loop BB118_17 Depth=2
                                        ; =>    This Inner Loop Header: Depth=3
	global_load_b64 v[30:31], v28, s[48:49] scale_offset
	s_wait_xcnt 0x0
	v_add_nc_u32_e32 v28, s10, v28
	s_add_co_i32 s7, s7, -1
	s_delay_alu instid0(SALU_CYCLE_1)
	s_cmp_eq_u32 s7, 0
	s_wait_loadcnt 0x0
	ds_store_b64 v29, v[30:31]
	v_add_nc_u32_e32 v29, 8, v29
	s_cbranch_scc0 .LBB118_47
; %bb.48:                               ;   in Loop: Header=BB118_17 Depth=2
	v_dual_mov_b32 v28, 0 :: v_dual_mov_b32 v48, v38
	s_ashr_i32 s7, s6, 31
	s_mov_b32 s8, s29
	v_lshl_add_u64 v[36:37], s[6:7], 3, v[24:25]
	s_delay_alu instid0(VALU_DEP_2)
	v_dual_mov_b32 v29, v28 :: v_dual_mov_b32 v30, v28
	v_dual_mov_b32 v31, v28 :: v_dual_mov_b32 v32, v28
	;; [unrolled: 1-line block ×3, first 2 shown]
	v_mov_b32_e32 v35, v28
	s_mov_b32 s52, s66
	s_mov_b32 s54, s67
	;; [unrolled: 1-line block ×3, first 2 shown]
.LBB118_49:                             ;   Parent Loop BB118_3 Depth=1
                                        ;     Parent Loop BB118_17 Depth=2
                                        ; =>    This Inner Loop Header: Depth=3
	s_ashr_i32 s55, s54, 31
	s_ashr_i32 s53, s52, 31
	;; [unrolled: 1-line block ×3, first 2 shown]
	v_lshl_add_u64 v[50:51], s[54:55], 3, v[14:15]
	v_lshl_add_u64 v[52:53], s[52:53], 3, v[14:15]
	;; [unrolled: 1-line block ×3, first 2 shown]
	global_load_b64 v[56:57], v[36:37], off
	s_clause 0x2
	global_load_b64 v[50:51], v[50:51], off
	global_load_b64 v[52:53], v[52:53], off
	;; [unrolled: 1-line block ×3, first 2 shown]
	ds_load_b64 v[58:59], v48
	s_wait_xcnt 0x3
	v_add_nc_u64_e32 v[36:37], 8, v[36:37]
	s_add_co_i32 s7, s7, -1
	s_add_co_i32 s54, s54, 1
	s_add_co_i32 s52, s52, 1
	;; [unrolled: 1-line block ×3, first 2 shown]
	s_cmp_lg_u32 s7, 0
	s_wait_loadcnt_dscnt 0x300
	v_pk_mul_f32 v[60:61], v[58:59], v[56:57] op_sel:[1,1] op_sel_hi:[0,1]
	s_wait_loadcnt 0x1
	v_pk_mul_f32 v[64:65], v[58:59], v[52:53] op_sel:[1,1] op_sel_hi:[0,1]
	s_wait_loadcnt 0x0
	v_pk_mul_f32 v[66:67], v[58:59], v[54:55] op_sel:[1,1] op_sel_hi:[0,1]
	v_pk_fma_f32 v[62:63], v[58:59], v[56:57], v[60:61] neg_lo:[0,0,1] neg_hi:[0,0,1]
	v_pk_fma_f32 v[56:57], v[58:59], v[56:57], v[60:61] op_sel_hi:[1,0,1]
	v_pk_mul_f32 v[60:61], v[58:59], v[50:51] op_sel:[1,1] op_sel_hi:[0,1]
	v_add_nc_u32_e32 v48, 8, v48
	v_pk_fma_f32 v[68:69], v[58:59], v[54:55], v[66:67] op_sel_hi:[1,0,1]
	s_wait_xcnt 0x0
	v_pk_fma_f32 v[54:55], v[58:59], v[54:55], v[66:67] neg_lo:[0,0,1] neg_hi:[0,0,1]
	v_mov_b32_e32 v63, v57
	v_pk_fma_f32 v[56:57], v[58:59], v[50:51], v[60:61] neg_lo:[0,0,1] neg_hi:[0,0,1]
	v_pk_fma_f32 v[50:51], v[58:59], v[50:51], v[60:61] op_sel_hi:[1,0,1]
	v_pk_fma_f32 v[60:61], v[58:59], v[52:53], v[64:65] op_sel_hi:[1,0,1]
	v_pk_fma_f32 v[52:53], v[58:59], v[52:53], v[64:65] neg_lo:[0,0,1] neg_hi:[0,0,1]
	v_mov_b32_e32 v55, v69
	v_pk_add_f32 v[34:35], v[34:35], v[62:63]
	s_delay_alu instid0(VALU_DEP_4) | instskip(NEXT) | instid1(VALU_DEP_3)
	v_dual_mov_b32 v57, v51 :: v_dual_mov_b32 v53, v61
	v_pk_add_f32 v[28:29], v[28:29], v[54:55]
	s_delay_alu instid0(VALU_DEP_2) | instskip(NEXT) | instid1(VALU_DEP_3)
	v_pk_add_f32 v[32:33], v[32:33], v[56:57]
	v_pk_add_f32 v[30:31], v[30:31], v[52:53]
	s_cbranch_scc1 .LBB118_49
	s_branch .LBB118_60
.LBB118_50:                             ;   in Loop: Header=BB118_17 Depth=2
	ds_load_b64 v[34:35], v39
	s_or_b32 exec_lo, exec_lo, s7
	s_and_saveexec_b32 s7, s3
	s_cbranch_execz .LBB118_25
.LBB118_51:                             ;   in Loop: Header=BB118_17 Depth=2
	s_wait_dscnt 0x0
	ds_bpermute_b32 v36, v45, v34
	ds_bpermute_b32 v37, v45, v35
	s_wait_dscnt 0x0
	v_pk_add_f32 v[34:35], v[34:35], v[36:37]
	ds_bpermute_b32 v36, v46, v34
	ds_bpermute_b32 v37, v46, v35
	s_wait_dscnt 0x0
	v_pk_add_f32 v[34:35], v[34:35], v[36:37]
	;; [unrolled: 4-line block ×3, first 2 shown]
	s_or_b32 exec_lo, exec_lo, s7
	s_and_saveexec_b32 s7, s3
	s_cbranch_execnz .LBB118_26
	s_branch .LBB118_27
.LBB118_52:                             ;   in Loop: Header=BB118_17 Depth=2
	ds_load_b64 v[32:33], v39
	s_or_b32 exec_lo, exec_lo, s7
	s_and_saveexec_b32 s7, s3
	s_cbranch_execz .LBB118_31
.LBB118_53:                             ;   in Loop: Header=BB118_17 Depth=2
	s_wait_dscnt 0x0
	ds_bpermute_b32 v36, v45, v32
	ds_bpermute_b32 v37, v45, v33
	s_wait_dscnt 0x0
	v_pk_add_f32 v[32:33], v[32:33], v[36:37]
	ds_bpermute_b32 v36, v46, v32
	ds_bpermute_b32 v37, v46, v33
	s_wait_dscnt 0x0
	v_pk_add_f32 v[32:33], v[32:33], v[36:37]
	;; [unrolled: 4-line block ×3, first 2 shown]
	s_or_b32 exec_lo, exec_lo, s7
	s_and_saveexec_b32 s7, s3
	s_cbranch_execnz .LBB118_32
	s_branch .LBB118_33
.LBB118_54:                             ;   in Loop: Header=BB118_17 Depth=2
	ds_load_b64 v[30:31], v39
	s_or_b32 exec_lo, exec_lo, s7
	s_and_saveexec_b32 s7, s3
	s_cbranch_execz .LBB118_37
.LBB118_55:                             ;   in Loop: Header=BB118_17 Depth=2
	s_wait_dscnt 0x0
	ds_bpermute_b32 v36, v45, v30
	ds_bpermute_b32 v37, v45, v31
	s_wait_dscnt 0x0
	v_pk_add_f32 v[30:31], v[30:31], v[36:37]
	ds_bpermute_b32 v36, v46, v30
	ds_bpermute_b32 v37, v46, v31
	s_wait_dscnt 0x0
	v_pk_add_f32 v[30:31], v[30:31], v[36:37]
	ds_bpermute_b32 v36, v47, v30
	ds_bpermute_b32 v37, v47, v31
	s_wait_dscnt 0x0
	v_pk_add_f32 v[30:31], v[30:31], v[36:37]
	s_or_b32 exec_lo, exec_lo, s7
	s_and_saveexec_b32 s7, s3
	s_cbranch_execnz .LBB118_38
	s_branch .LBB118_39
.LBB118_56:                             ;   in Loop: Header=BB118_17 Depth=2
	ds_load_b64 v[28:29], v39
	s_or_b32 exec_lo, exec_lo, s7
	s_and_saveexec_b32 s7, s3
	s_cbranch_execz .LBB118_43
.LBB118_57:                             ;   in Loop: Header=BB118_17 Depth=2
	s_wait_dscnt 0x0
	ds_bpermute_b32 v36, v45, v28
	ds_bpermute_b32 v37, v45, v29
	s_wait_dscnt 0x0
	v_pk_add_f32 v[28:29], v[28:29], v[36:37]
	ds_bpermute_b32 v36, v46, v28
	ds_bpermute_b32 v37, v46, v29
	s_wait_dscnt 0x0
	v_pk_add_f32 v[28:29], v[28:29], v[36:37]
	;; [unrolled: 4-line block ×3, first 2 shown]
	s_or_b32 exec_lo, exec_lo, s7
	s_and_saveexec_b32 s7, s0
	s_cbranch_execz .LBB118_16
.LBB118_58:                             ;   in Loop: Header=BB118_17 Depth=2
	v_pk_mul_f32 v[36:37], v[34:35], v[26:27] op_sel:[1,0]
	v_pk_mul_f32 v[48:49], v[32:33], v[26:27] op_sel:[1,0]
	;; [unrolled: 1-line block ×3, first 2 shown]
	s_mul_i32 s8, s30, s36
	s_delay_alu instid0(SALU_CYCLE_1)
	s_add_co_i32 s8, s8, s38
	v_pk_fma_f32 v[52:53], v[34:35], v[12:13], v[36:37] op_sel_hi:[0,1,1]
	v_pk_fma_f32 v[34:35], v[34:35], v[12:13], v[36:37] neg_lo:[0,0,1] neg_hi:[0,0,1]
	s_wait_dscnt 0x0
	v_pk_mul_f32 v[36:37], v[28:29], v[26:27] op_sel:[1,0]
	v_pk_fma_f32 v[54:55], v[32:33], v[12:13], v[48:49] op_sel_hi:[0,1,1]
	v_pk_fma_f32 v[32:33], v[32:33], v[12:13], v[48:49] neg_lo:[0,0,1] neg_hi:[0,0,1]
	v_pk_fma_f32 v[48:49], v[30:31], v[12:13], v[50:51] op_sel_hi:[0,1,1]
	v_dual_mov_b32 v52, s8 :: v_dual_mov_b32 v35, v53
	s_add_co_i32 s8, s8, s36
	v_pk_fma_f32 v[30:31], v[30:31], v[12:13], v[50:51] neg_lo:[0,0,1] neg_hi:[0,0,1]
	v_pk_fma_f32 v[50:51], v[28:29], v[12:13], v[36:37] op_sel_hi:[0,1,1]
	v_dual_mov_b32 v33, v55 :: v_dual_mov_b32 v48, s8
	s_add_co_i32 s8, s8, s36
	s_delay_alu instid0(SALU_CYCLE_1)
	v_dual_mov_b32 v31, v49 :: v_dual_mov_b32 v49, s8
	s_add_co_i32 s8, s8, s36
	v_pk_fma_f32 v[28:29], v[28:29], v[12:13], v[36:37] neg_lo:[0,0,1] neg_hi:[0,0,1]
	v_dual_mov_b32 v29, v51 :: v_dual_mov_b32 v36, s8
	s_clause 0x3
	global_store_b64 v52, v[34:35], s[50:51] scale_offset
	global_store_b64 v48, v[32:33], s[50:51] scale_offset
	;; [unrolled: 1-line block ×4, first 2 shown]
	s_branch .LBB118_16
.LBB118_59:                             ;   in Loop: Header=BB118_17 Depth=2
	v_mov_b32_e32 v35, 0
	s_delay_alu instid0(VALU_DEP_1)
	v_dual_mov_b32 v34, v35 :: v_dual_mov_b32 v33, v35
	v_dual_mov_b32 v32, v35 :: v_dual_mov_b32 v31, v35
	;; [unrolled: 1-line block ×3, first 2 shown]
	v_mov_b32_e32 v28, v35
.LBB118_60:                             ;   in Loop: Header=BB118_17 Depth=2
	s_or_b32 exec_lo, exec_lo, s69
	s_delay_alu instid0(SALU_CYCLE_1)
	s_or_b32 exec_lo, exec_lo, s68
	s_and_saveexec_b32 s7, s3
	s_cbranch_execnz .LBB118_20
	s_branch .LBB118_21
.LBB118_61:                             ;   in Loop: Header=BB118_3 Depth=1
	s_mov_b32 s30, 0
.LBB118_62:                             ;   in Loop: Header=BB118_3 Depth=1
	s_delay_alu instid0(SALU_CYCLE_1)
	s_cmp_ge_i32 s30, s35
	s_cbranch_scc1 .LBB118_2
; %bb.63:                               ;   in Loop: Header=BB118_3 Depth=1
	v_cmp_gt_u32_e32 vcc_lo, 24, v41
	s_add_nc_u64 s[6:7], s[50:51], s[22:23]
	s_mul_i32 s8, s33, s30
	v_cndmask_b32_e64 v26, 0, 8, vcc_lo
	v_cmp_gt_u32_e32 vcc_lo, 28, v41
	s_delay_alu instid0(VALU_DEP_2) | instskip(SKIP_3) | instid1(VALU_DEP_3)
	v_add_lshl_u32 v32, v26, v41, 2
	v_cndmask_b32_e64 v27, 0, 4, vcc_lo
	v_cmp_gt_u32_e32 vcc_lo, 30, v41
	v_mov_b32_e32 v26, v13
	v_add_lshl_u32 v33, v27, v41, 2
	s_wait_dscnt 0x0
	v_cndmask_b32_e64 v28, 0, 2, vcc_lo
	v_cmp_ne_u32_e32 vcc_lo, 31, v41
	v_mov_b32_e32 v27, v12
	s_delay_alu instid0(VALU_DEP_3) | instskip(SKIP_1) | instid1(VALU_DEP_1)
	v_add_lshl_u32 v34, v28, v41, 2
	v_add_co_ci_u32_e64 v29, null, 0, v41, vcc_lo
	v_lshlrev_b32_e32 v35, 2, v29
	s_branch .LBB118_65
.LBB118_64:                             ;   in Loop: Header=BB118_65 Depth=2
	s_wait_xcnt 0x0
	s_or_b32 exec_lo, exec_lo, s9
	s_add_co_i32 s30, s30, 1
	s_add_co_i32 s8, s8, s33
	s_cmp_ge_i32 s30, s35
	s_cbranch_scc1 .LBB118_2
.LBB118_65:                             ;   Parent Loop BB118_3 Depth=1
                                        ; =>  This Loop Header: Depth=2
                                        ;       Child Loop BB118_77 Depth 3
                                        ;       Child Loop BB118_79 Depth 3
                                        ; implicit-def: $vgpr29
	s_and_saveexec_b32 s9, s1
	s_delay_alu instid0(SALU_CYCLE_1)
	s_xor_b32 s9, exec_lo, s9
	s_cbranch_execnz .LBB118_74
; %bb.66:                               ;   in Loop: Header=BB118_65 Depth=2
	s_and_not1_saveexec_b32 s29, s9
	s_cbranch_execnz .LBB118_75
.LBB118_67:                             ;   in Loop: Header=BB118_65 Depth=2
	s_or_b32 exec_lo, exec_lo, s29
	s_and_saveexec_b32 s9, s3
.LBB118_68:                             ;   in Loop: Header=BB118_65 Depth=2
	ds_store_b64 v39, v[10:11]
.LBB118_69:                             ;   in Loop: Header=BB118_65 Depth=2
	s_or_b32 exec_lo, exec_lo, s9
	s_wait_dscnt 0x0
	ds_bpermute_b32 v30, v43, v28
	ds_bpermute_b32 v31, v43, v29
	s_wait_storecnt_dscnt 0x0
	s_barrier_signal -1
	s_barrier_wait -1
	v_pk_add_f32 v[28:29], v[28:29], v[30:31]
	ds_bpermute_b32 v30, v32, v28
	ds_bpermute_b32 v31, v32, v29
	s_wait_dscnt 0x0
	v_pk_add_f32 v[28:29], v[28:29], v[30:31]
	ds_bpermute_b32 v30, v33, v28
	ds_bpermute_b32 v31, v33, v29
	s_wait_dscnt 0x0
	;; [unrolled: 4-line block ×3, first 2 shown]
	v_pk_add_f32 v[28:29], v[28:29], v[30:31]
	ds_bpermute_b32 v30, v35, v28
	ds_bpermute_b32 v31, v35, v29
	s_and_saveexec_b32 s9, s4
	s_cbranch_execz .LBB118_71
; %bb.70:                               ;   in Loop: Header=BB118_65 Depth=2
	s_wait_dscnt 0x0
	v_pk_add_f32 v[28:29], v[28:29], v[30:31]
	ds_store_b64 v40, v[28:29]
.LBB118_71:                             ;   in Loop: Header=BB118_65 Depth=2
	s_or_b32 exec_lo, exec_lo, s9
	v_mov_b64_e32 v[28:29], 0
	s_wait_dscnt 0x0
	s_barrier_signal -1
	s_barrier_wait -1
	s_and_saveexec_b32 s9, s5
	s_cbranch_execnz .LBB118_81
; %bb.72:                               ;   in Loop: Header=BB118_65 Depth=2
	s_or_b32 exec_lo, exec_lo, s9
	s_and_saveexec_b32 s9, s3
	s_cbranch_execnz .LBB118_82
.LBB118_73:                             ;   in Loop: Header=BB118_65 Depth=2
	s_or_b32 exec_lo, exec_lo, s9
	s_and_saveexec_b32 s9, s0
	s_cbranch_execz .LBB118_64
	s_branch .LBB118_83
.LBB118_74:                             ;   in Loop: Header=BB118_65 Depth=2
	s_mul_i32 s50, s30, s33
	s_delay_alu instid0(SALU_CYCLE_1) | instskip(NEXT) | instid1(SALU_CYCLE_1)
	s_ashr_i32 s51, s50, 31
	v_lshl_add_u64 v[36:37], s[50:51], 3, v[14:15]
	global_load_b64 v[44:45], v[16:17], off
	global_load_b64 v[52:53], v[36:37], off
	s_wait_dscnt 0x0
	global_load_b128 v[28:31], v[36:37], off offset:8
	s_clause 0x2
	global_load_b64 v[46:47], v[18:19], off
	global_load_b64 v[48:49], v[20:21], off
	;; [unrolled: 1-line block ×3, first 2 shown]
	global_load_b64 v[36:37], v[36:37], off offset:24
	s_wait_loadcnt 0x3
	ds_store_b128 v38, v[44:47]
	s_wait_loadcnt 0x1
	ds_store_b128 v38, v[48:51] offset:16
	v_dual_mul_f32 v54, v45, v53 :: v_dual_mul_f32 v55, v44, v53
	v_pk_mul_f32 v[56:57], v[46:47], v[28:29] op_sel:[1,1] op_sel_hi:[1,0]
	v_dual_mov_b32 v58, v31 :: v_dual_mov_b32 v59, v30
	s_delay_alu instid0(VALU_DEP_3) | instskip(NEXT) | instid1(VALU_DEP_3)
	v_dual_fma_f32 v54, v44, v52, -v54 :: v_dual_fmac_f32 v55, v45, v52
	v_pk_fma_f32 v[52:53], v[46:47], v[28:29], v[56:57] op_sel_hi:[0,1,1]
	v_pk_fma_f32 v[28:29], v[46:47], v[28:29], v[56:57] neg_lo:[0,0,1] neg_hi:[0,0,1]
	s_delay_alu instid0(VALU_DEP_4)
	v_pk_mul_f32 v[58:59], v[48:49], v[58:59] op_sel:[1,0]
	s_wait_loadcnt 0x0
	v_pk_mul_f32 v[56:57], v[50:51], v[36:37] op_sel:[1,1] op_sel_hi:[1,0]
	v_pk_add_f32 v[54:55], v[54:55], 0 op_sel_hi:[1,0]
	v_mov_b32_e32 v29, v53
	v_pk_fma_f32 v[52:53], v[48:49], v[30:31], v[58:59] op_sel_hi:[0,1,1]
	v_pk_fma_f32 v[30:31], v[48:49], v[30:31], v[58:59] neg_lo:[0,0,1] neg_hi:[0,0,1]
	s_delay_alu instid0(VALU_DEP_2) | instskip(NEXT) | instid1(VALU_DEP_4)
	v_mov_b32_e32 v31, v53
	v_pk_add_f32 v[28:29], v[54:55], v[28:29]
	v_pk_fma_f32 v[52:53], v[50:51], v[36:37], v[56:57] op_sel_hi:[0,1,1]
	s_wait_xcnt 0x0
	v_pk_fma_f32 v[36:37], v[50:51], v[36:37], v[56:57] neg_lo:[0,0,1] neg_hi:[0,0,1]
	s_delay_alu instid0(VALU_DEP_3) | instskip(NEXT) | instid1(VALU_DEP_3)
	v_pk_add_f32 v[28:29], v[28:29], v[30:31]
	v_mov_b32_e32 v37, v53
	s_delay_alu instid0(VALU_DEP_1)
	v_pk_add_f32 v[28:29], v[28:29], v[36:37]
	s_and_not1_saveexec_b32 s29, s9
	s_cbranch_execz .LBB118_67
.LBB118_75:                             ;   in Loop: Header=BB118_65 Depth=2
	s_wait_dscnt 0x0
	v_mov_b32_e32 v29, 0
	s_delay_alu instid0(VALU_DEP_1)
	v_mov_b32_e32 v28, v29
	s_and_saveexec_b32 s50, s60
	s_cbranch_execz .LBB118_80
; %bb.76:                               ;   in Loop: Header=BB118_65 Depth=2
	v_dual_mov_b32 v28, v4 :: v_dual_mov_b32 v29, v38
	s_mov_b32 s9, s58
.LBB118_77:                             ;   Parent Loop BB118_3 Depth=1
                                        ;     Parent Loop BB118_65 Depth=2
                                        ; =>    This Inner Loop Header: Depth=3
	global_load_b64 v[30:31], v28, s[48:49] scale_offset
	s_wait_xcnt 0x0
	v_add_nc_u32_e32 v28, s10, v28
	s_add_co_i32 s9, s9, -1
	s_delay_alu instid0(SALU_CYCLE_1)
	s_cmp_eq_u32 s9, 0
	s_wait_loadcnt 0x0
	ds_store_b64 v29, v[30:31]
	v_add_nc_u32_e32 v29, 8, v29
	s_cbranch_scc0 .LBB118_77
; %bb.78:                               ;   in Loop: Header=BB118_65 Depth=2
	v_dual_mov_b32 v28, 0 :: v_dual_mov_b32 v36, v38
	s_ashr_i32 s9, s8, 31
	s_delay_alu instid0(SALU_CYCLE_1) | instskip(NEXT) | instid1(VALU_DEP_2)
	v_lshl_add_u64 v[30:31], s[8:9], 3, v[24:25]
	v_mov_b32_e32 v29, v28
	s_mov_b32 s9, s58
.LBB118_79:                             ;   Parent Loop BB118_3 Depth=1
                                        ;     Parent Loop BB118_65 Depth=2
                                        ; =>    This Inner Loop Header: Depth=3
	global_load_b64 v[44:45], v[30:31], off
	ds_load_b64 v[46:47], v36
	s_wait_xcnt 0x0
	v_add_nc_u64_e32 v[30:31], 8, v[30:31]
	s_add_co_i32 s9, s9, -1
	v_add_nc_u32_e32 v36, 8, v36
	s_cmp_lg_u32 s9, 0
	s_wait_loadcnt_dscnt 0x0
	v_pk_mul_f32 v[48:49], v[46:47], v[44:45] op_sel:[1,1] op_sel_hi:[0,1]
	s_delay_alu instid0(VALU_DEP_1) | instskip(SKIP_1) | instid1(VALU_DEP_2)
	v_pk_fma_f32 v[50:51], v[46:47], v[44:45], v[48:49] op_sel_hi:[1,0,1]
	v_pk_fma_f32 v[44:45], v[46:47], v[44:45], v[48:49] neg_lo:[0,0,1] neg_hi:[0,0,1]
	v_mov_b32_e32 v45, v51
	s_delay_alu instid0(VALU_DEP_1)
	v_pk_add_f32 v[28:29], v[28:29], v[44:45]
	s_cbranch_scc1 .LBB118_79
.LBB118_80:                             ;   in Loop: Header=BB118_65 Depth=2
	s_or_b32 exec_lo, exec_lo, s50
	s_delay_alu instid0(SALU_CYCLE_1)
	s_or_b32 exec_lo, exec_lo, s29
	s_and_saveexec_b32 s9, s3
	s_cbranch_execnz .LBB118_68
	s_branch .LBB118_69
.LBB118_81:                             ;   in Loop: Header=BB118_65 Depth=2
	ds_load_b64 v[28:29], v39
	s_or_b32 exec_lo, exec_lo, s9
	s_and_saveexec_b32 s9, s3
	s_cbranch_execz .LBB118_73
.LBB118_82:                             ;   in Loop: Header=BB118_65 Depth=2
	s_wait_dscnt 0x0
	ds_bpermute_b32 v30, v33, v28
	ds_bpermute_b32 v31, v33, v29
	s_wait_dscnt 0x0
	v_pk_add_f32 v[28:29], v[28:29], v[30:31]
	ds_bpermute_b32 v30, v34, v28
	ds_bpermute_b32 v31, v34, v29
	s_wait_dscnt 0x0
	v_pk_add_f32 v[28:29], v[28:29], v[30:31]
	;; [unrolled: 4-line block ×3, first 2 shown]
	s_or_b32 exec_lo, exec_lo, s9
	s_and_saveexec_b32 s9, s0
	s_cbranch_execz .LBB118_64
.LBB118_83:                             ;   in Loop: Header=BB118_65 Depth=2
	s_wait_dscnt 0x0
	v_pk_mul_f32 v[30:31], v[28:29], v[26:27] op_sel:[1,0]
	s_mul_u64 s[50:51], s[30:31], s[36:37]
	s_delay_alu instid0(SALU_CYCLE_1) | instskip(NEXT) | instid1(SALU_CYCLE_1)
	s_lshl_b64 s[50:51], s[50:51], 3
	s_add_nc_u64 s[50:51], s[6:7], s[50:51]
	s_delay_alu instid0(VALU_DEP_1) | instskip(SKIP_1) | instid1(VALU_DEP_2)
	v_pk_fma_f32 v[36:37], v[28:29], v[12:13], v[30:31] op_sel_hi:[0,1,1]
	v_pk_fma_f32 v[28:29], v[28:29], v[12:13], v[30:31] neg_lo:[0,0,1] neg_hi:[0,0,1]
	v_mov_b32_e32 v29, v37
	global_store_b64 v42, v[28:29], s[50:51]
	s_branch .LBB118_64
.LBB118_84:
	s_sendmsg sendmsg(MSG_DEALLOC_VGPRS)
	s_endpgm
	.section	.rodata,"a",@progbits
	.p2align	6, 0x0
	.amdhsa_kernel _ZL23rocblas_gemvt_sn_kernelILb0ELi256ELi4Ei19rocblas_complex_numIfEPKS1_S1_EviiT4_lPKT3_lilS7_lilPT5_i
		.amdhsa_group_segment_fixed_size 8448
		.amdhsa_private_segment_fixed_size 0
		.amdhsa_kernarg_size 360
		.amdhsa_user_sgpr_count 4
		.amdhsa_user_sgpr_dispatch_ptr 1
		.amdhsa_user_sgpr_queue_ptr 0
		.amdhsa_user_sgpr_kernarg_segment_ptr 1
		.amdhsa_user_sgpr_dispatch_id 0
		.amdhsa_user_sgpr_kernarg_preload_length 0
		.amdhsa_user_sgpr_kernarg_preload_offset 0
		.amdhsa_user_sgpr_private_segment_size 0
		.amdhsa_wavefront_size32 1
		.amdhsa_uses_dynamic_stack 0
		.amdhsa_enable_private_segment 0
		.amdhsa_system_sgpr_workgroup_id_x 1
		.amdhsa_system_sgpr_workgroup_id_y 0
		.amdhsa_system_sgpr_workgroup_id_z 1
		.amdhsa_system_sgpr_workgroup_info 0
		.amdhsa_system_vgpr_workitem_id 2
		.amdhsa_next_free_vgpr 100
		.amdhsa_next_free_sgpr 70
		.amdhsa_named_barrier_count 0
		.amdhsa_reserve_vcc 1
		.amdhsa_float_round_mode_32 0
		.amdhsa_float_round_mode_16_64 0
		.amdhsa_float_denorm_mode_32 3
		.amdhsa_float_denorm_mode_16_64 3
		.amdhsa_fp16_overflow 0
		.amdhsa_memory_ordered 1
		.amdhsa_forward_progress 1
		.amdhsa_inst_pref_size 43
		.amdhsa_round_robin_scheduling 0
		.amdhsa_exception_fp_ieee_invalid_op 0
		.amdhsa_exception_fp_denorm_src 0
		.amdhsa_exception_fp_ieee_div_zero 0
		.amdhsa_exception_fp_ieee_overflow 0
		.amdhsa_exception_fp_ieee_underflow 0
		.amdhsa_exception_fp_ieee_inexact 0
		.amdhsa_exception_int_div_zero 0
	.end_amdhsa_kernel
	.section	.text._ZL23rocblas_gemvt_sn_kernelILb0ELi256ELi4Ei19rocblas_complex_numIfEPKS1_S1_EviiT4_lPKT3_lilS7_lilPT5_i,"axG",@progbits,_ZL23rocblas_gemvt_sn_kernelILb0ELi256ELi4Ei19rocblas_complex_numIfEPKS1_S1_EviiT4_lPKT3_lilS7_lilPT5_i,comdat
.Lfunc_end118:
	.size	_ZL23rocblas_gemvt_sn_kernelILb0ELi256ELi4Ei19rocblas_complex_numIfEPKS1_S1_EviiT4_lPKT3_lilS7_lilPT5_i, .Lfunc_end118-_ZL23rocblas_gemvt_sn_kernelILb0ELi256ELi4Ei19rocblas_complex_numIfEPKS1_S1_EviiT4_lPKT3_lilS7_lilPT5_i
                                        ; -- End function
	.set _ZL23rocblas_gemvt_sn_kernelILb0ELi256ELi4Ei19rocblas_complex_numIfEPKS1_S1_EviiT4_lPKT3_lilS7_lilPT5_i.num_vgpr, 100
	.set _ZL23rocblas_gemvt_sn_kernelILb0ELi256ELi4Ei19rocblas_complex_numIfEPKS1_S1_EviiT4_lPKT3_lilS7_lilPT5_i.num_agpr, 0
	.set _ZL23rocblas_gemvt_sn_kernelILb0ELi256ELi4Ei19rocblas_complex_numIfEPKS1_S1_EviiT4_lPKT3_lilS7_lilPT5_i.numbered_sgpr, 70
	.set _ZL23rocblas_gemvt_sn_kernelILb0ELi256ELi4Ei19rocblas_complex_numIfEPKS1_S1_EviiT4_lPKT3_lilS7_lilPT5_i.num_named_barrier, 0
	.set _ZL23rocblas_gemvt_sn_kernelILb0ELi256ELi4Ei19rocblas_complex_numIfEPKS1_S1_EviiT4_lPKT3_lilS7_lilPT5_i.private_seg_size, 0
	.set _ZL23rocblas_gemvt_sn_kernelILb0ELi256ELi4Ei19rocblas_complex_numIfEPKS1_S1_EviiT4_lPKT3_lilS7_lilPT5_i.uses_vcc, 1
	.set _ZL23rocblas_gemvt_sn_kernelILb0ELi256ELi4Ei19rocblas_complex_numIfEPKS1_S1_EviiT4_lPKT3_lilS7_lilPT5_i.uses_flat_scratch, 0
	.set _ZL23rocblas_gemvt_sn_kernelILb0ELi256ELi4Ei19rocblas_complex_numIfEPKS1_S1_EviiT4_lPKT3_lilS7_lilPT5_i.has_dyn_sized_stack, 0
	.set _ZL23rocblas_gemvt_sn_kernelILb0ELi256ELi4Ei19rocblas_complex_numIfEPKS1_S1_EviiT4_lPKT3_lilS7_lilPT5_i.has_recursion, 0
	.set _ZL23rocblas_gemvt_sn_kernelILb0ELi256ELi4Ei19rocblas_complex_numIfEPKS1_S1_EviiT4_lPKT3_lilS7_lilPT5_i.has_indirect_call, 0
	.section	.AMDGPU.csdata,"",@progbits
; Kernel info:
; codeLenInByte = 5428
; TotalNumSgprs: 72
; NumVgprs: 100
; ScratchSize: 0
; MemoryBound: 0
; FloatMode: 240
; IeeeMode: 1
; LDSByteSize: 8448 bytes/workgroup (compile time only)
; SGPRBlocks: 0
; VGPRBlocks: 6
; NumSGPRsForWavesPerEU: 72
; NumVGPRsForWavesPerEU: 100
; NamedBarCnt: 0
; Occupancy: 9
; WaveLimiterHint : 0
; COMPUTE_PGM_RSRC2:SCRATCH_EN: 0
; COMPUTE_PGM_RSRC2:USER_SGPR: 4
; COMPUTE_PGM_RSRC2:TRAP_HANDLER: 0
; COMPUTE_PGM_RSRC2:TGID_X_EN: 1
; COMPUTE_PGM_RSRC2:TGID_Y_EN: 0
; COMPUTE_PGM_RSRC2:TGID_Z_EN: 1
; COMPUTE_PGM_RSRC2:TIDIG_COMP_CNT: 2
	.section	.text._ZL23rocblas_gemvt_sn_kernelILb0ELi256ELi4El19rocblas_complex_numIfEPKS1_S1_EviiT4_lPKT3_lilS7_lilPT5_i,"axG",@progbits,_ZL23rocblas_gemvt_sn_kernelILb0ELi256ELi4El19rocblas_complex_numIfEPKS1_S1_EviiT4_lPKT3_lilS7_lilPT5_i,comdat
	.globl	_ZL23rocblas_gemvt_sn_kernelILb0ELi256ELi4El19rocblas_complex_numIfEPKS1_S1_EviiT4_lPKT3_lilS7_lilPT5_i ; -- Begin function _ZL23rocblas_gemvt_sn_kernelILb0ELi256ELi4El19rocblas_complex_numIfEPKS1_S1_EviiT4_lPKT3_lilS7_lilPT5_i
	.p2align	8
	.type	_ZL23rocblas_gemvt_sn_kernelILb0ELi256ELi4El19rocblas_complex_numIfEPKS1_S1_EviiT4_lPKT3_lilS7_lilPT5_i,@function
_ZL23rocblas_gemvt_sn_kernelILb0ELi256ELi4El19rocblas_complex_numIfEPKS1_S1_EviiT4_lPKT3_lilS7_lilPT5_i: ; @_ZL23rocblas_gemvt_sn_kernelILb0ELi256ELi4El19rocblas_complex_numIfEPKS1_S1_EviiT4_lPKT3_lilS7_lilPT5_i
; %bb.0:
	s_load_b32 s33, s[2:3], 0x60
	s_bfe_u32 s4, ttmp6, 0x40014
	s_lshr_b32 s5, ttmp7, 16
	s_add_co_i32 s4, s4, 1
	s_bfe_u32 s6, ttmp6, 0x40008
	s_mul_i32 s4, s5, s4
	s_getreg_b32 s8, hwreg(HW_REG_IB_STS2, 6, 4)
	s_add_co_i32 s6, s6, s4
	s_cmp_eq_u32 s8, 0
	s_mov_b32 s29, 0
	s_cselect_b32 s10, s5, s6
	s_wait_kmcnt 0x0
	s_cmp_ge_u32 s10, s33
	s_cbranch_scc1 .LBB119_84
; %bb.1:
	s_clause 0x1
	s_load_b32 s30, s[2:3], 0x28
	s_load_b96 s[4:6], s[2:3], 0x40
	s_load_b64 s[38:39], s[0:1], 0x4
	s_clause 0x3
	s_load_b256 s[12:19], s[2:3], 0x8
	s_load_b64 s[34:35], s[2:3], 0x0
	s_load_b128 s[20:23], s[2:3], 0x30
	s_load_b128 s[24:27], s[2:3], 0x50
	v_and_b32_e32 v1, 0x3ff, v0
	s_load_b32 s36, s[2:3], 0x68
	v_bfe_u32 v2, v0, 10, 10
	v_bfe_u32 v3, v0, 20, 10
	v_mbcnt_lo_u32_b32 v45, -1, 0
	s_wait_xcnt 0x0
	v_cmp_eq_u32_e64 s0, 0, v1
	s_mov_b32 s37, s29
	v_mov_b32_e32 v46, 0
	v_lshl_or_b32 v47, v45, 2, 64
	s_wait_kmcnt 0x0
	s_ashr_i32 s31, s30, 31
	s_ashr_i32 s7, s6, 31
	s_lshr_b32 s1, s38, 16
	s_lshl_b64 s[2:3], s[4:5], 3
	s_lshl_b64 s[4:5], s[18:19], 3
	s_ashr_i32 s9, s35, 31
	s_cmp_gt_i32 s35, 0
	s_mul_i32 s1, s1, s39
	s_cselect_b32 s11, -1, 0
	s_bfe_u32 s18, ttmp6, 0x4000c
	v_mul_lo_u32 v4, s1, v1
	s_add_co_i32 s18, s18, 1
	s_and_b32 s1, ttmp6, 15
	s_mul_i32 s18, ttmp9, s18
	s_and_b32 s62, s0, s11
	s_add_co_i32 s1, s1, s18
	s_cmp_eq_u32 s8, 0
	v_mul_u32_u24_e32 v2, s39, v2
	s_cselect_b32 s28, ttmp9, s1
	s_add_nc_u64 s[18:19], s[22:23], s[2:3]
	s_lshl_b32 s1, s28, 10
	s_add_nc_u64 s[2:3], s[16:17], s[4:5]
	v_lshl_or_b32 v6, v1, 2, s1
	s_ashr_i32 s1, s34, 31
	v_add3_u32 v2, v4, v2, v3
	s_lshr_b32 s1, s1, 30
	s_lshr_b32 s4, s9, 30
	s_add_co_i32 s1, s34, s1
	v_dual_ashrrev_i32 v7, 31, v6 :: v_dual_add_nc_u32 v4, 4, v6
	s_and_b32 s1, s1, -4
	v_or_b32_e32 v8, 1, v6
	s_sub_co_i32 s64, s34, s1
	s_delay_alu instid0(SALU_CYCLE_1)
	v_dual_add_nc_u32 v5, s64, v6 :: v_dual_bitop2_b32 v10, 2, v6 bitop3:0x54
	v_or_b32_e32 v12, 3, v6
	v_lshl_add_u32 v42, v2, 5, 0x100
	v_lshl_add_u64 v[2:3], v[6:7], 3, s[2:3]
	v_cmp_ge_i32_e64 s1, s34, v4
	v_cmp_ge_i32_e64 s2, s34, v5
	v_mul_u64_e32 v[4:5], s[6:7], v[6:7]
	v_ashrrev_i32_e32 v9, 31, v8
	v_dual_ashrrev_i32 v11, 31, v10 :: v_dual_bitop2_b32 v14, 31, v0 bitop3:0x40
	v_lshrrev_b32_e32 v0, 2, v0
	v_ashrrev_i32_e32 v13, 31, v12
	s_delay_alu instid0(VALU_DEP_4) | instskip(NEXT) | instid1(VALU_DEP_4)
	v_mul_u64_e32 v[6:7], s[6:7], v[8:9]
	v_lshlrev_b32_e32 v43, 3, v14
	v_mul_u64_e32 v[8:9], s[6:7], v[10:11]
	s_add_co_i32 s4, s35, s4
	v_mul_u64_e32 v[10:11], s[6:7], v[12:13]
	s_and_b32 s63, s4, -4
	v_mov_b64_e32 v[12:13], 0
	s_cmp_gt_i32 s63, 0
	v_cmp_gt_u32_e64 s3, 32, v1
	s_cselect_b32 s65, -1, 0
	s_cmp_gt_i32 s64, 0
	v_cmp_eq_u32_e64 s4, 0, v14
	s_cselect_b32 s34, -1, 0
	v_cmp_gt_u32_e64 s5, 8, v1
	s_and_b32 s66, s34, s2
	s_cmp_gt_u32 s35, 1
	v_and_b32_e32 v44, 56, v0
	s_cselect_b32 s11, -1, 0
	s_cmp_eq_u32 s36, 1
	s_mov_b32 s8, s35
	s_cselect_b32 s22, -1, 0
	s_and_b32 s67, s35, 0x7ffffffe
	s_and_b32 s68, s11, s22
	s_cmp_lg_u32 s35, s67
	s_mul_u64 s[16:17], s[8:9], s[36:37]
	s_cselect_b32 s69, -1, 0
	v_lshl_add_u64 v[0:1], v[4:5], 3, s[18:19]
	s_lshl_b64 s[22:23], s[28:29], 3
	s_lshl_b64 s[40:41], s[8:9], 3
	s_add_nc_u64 s[38:39], s[26:27], s[22:23]
	s_lshl_b64 s[42:43], s[36:37], 3
	s_lshl_b64 s[44:45], s[24:25], 3
	;; [unrolled: 1-line block ×7, first 2 shown]
	s_mul_u64 s[56:57], s[30:31], 24
	s_branch .LBB119_3
.LBB119_2:                              ;   in Loop: Header=BB119_3 Depth=1
	s_add_co_i32 s10, s10, 0x10000
	s_delay_alu instid0(SALU_CYCLE_1)
	s_cmp_lt_u32 s10, s33
	s_cbranch_scc0 .LBB119_84
.LBB119_3:                              ; =>This Loop Header: Depth=1
                                        ;     Child Loop BB119_7 Depth 2
                                        ;     Child Loop BB119_11 Depth 2
	;; [unrolled: 1-line block ×3, first 2 shown]
                                        ;       Child Loop BB119_47 Depth 3
                                        ;       Child Loop BB119_49 Depth 3
                                        ;     Child Loop BB119_65 Depth 2
                                        ;       Child Loop BB119_77 Depth 3
                                        ;       Child Loop BB119_79 Depth 3
	s_mov_b32 s11, s29
	s_delay_alu instid0(SALU_CYCLE_1) | instskip(NEXT) | instid1(SALU_CYCLE_1)
	s_mul_u64 s[6:7], s[14:15], s[10:11]
	s_lshl_b64 s[6:7], s[6:7], 3
	s_delay_alu instid0(SALU_CYCLE_1) | instskip(SKIP_3) | instid1(SALU_CYCLE_1)
	s_add_nc_u64 s[6:7], s[12:13], s[6:7]
	global_load_b64 v[14:15], v46, s[6:7]
	s_wait_xcnt 0x0
	s_mul_u64 s[6:7], s[16:17], s[10:11]
	s_lshl_b64 s[6:7], s[6:7], 3
	s_delay_alu instid0(SALU_CYCLE_1) | instskip(SKIP_3) | instid1(VALU_DEP_1)
	s_add_nc_u64 s[58:59], s[26:27], s[6:7]
	s_mov_b32 s6, -1
	s_wait_loadcnt 0x0
	v_or_b32_e32 v16, v14, v15
	v_and_b32_e32 v16, 0x7fffffff, v16
	s_delay_alu instid0(VALU_DEP_1)
	v_cmp_ne_u32_e32 vcc_lo, 0, v16
	s_cbranch_vccnz .LBB119_13
; %bb.4:                                ;   in Loop: Header=BB119_3 Depth=1
	s_and_saveexec_b32 s70, s62
	s_cbranch_execz .LBB119_12
; %bb.5:                                ;   in Loop: Header=BB119_3 Depth=1
	s_and_not1_b32 vcc_lo, exec_lo, s68
	s_cbranch_vccnz .LBB119_9
; %bb.6:                                ;   in Loop: Header=BB119_3 Depth=1
	s_add_nc_u64 s[6:7], s[58:59], s[22:23]
	s_mov_b32 s8, 1
	s_mov_b32 s28, 0
	s_mov_b32 s61, s67
.LBB119_7:                              ;   Parent Loop BB119_3 Depth=1
                                        ; =>  This Inner Loop Header: Depth=2
	s_mov_b32 s9, s29
	s_wait_xcnt 0x1
	s_lshl_b64 s[72:73], s[28:29], 3
	s_add_co_i32 s61, s61, -2
	s_add_co_i32 s28, s28, 2
	s_wait_xcnt 0x0
	s_lshl_b64 s[74:75], s[8:9], 3
	s_add_co_i32 s8, s8, 2
	s_mov_b32 s60, s67
	s_mov_b32 s71, s69
	s_add_nc_u64 s[72:73], s[6:7], s[72:73]
	s_cmp_lg_u32 s61, 0
	s_add_nc_u64 s[74:75], s[6:7], s[74:75]
	s_clause 0x1
	global_store_b64 v46, v[12:13], s[72:73]
	global_store_b64 v46, v[12:13], s[74:75]
	s_cbranch_scc1 .LBB119_7
; %bb.8:                                ;   in Loop: Header=BB119_3 Depth=1
	s_and_b32 vcc_lo, exec_lo, s71
	s_cbranch_vccnz .LBB119_10
	s_branch .LBB119_12
.LBB119_9:                              ;   in Loop: Header=BB119_3 Depth=1
	s_mov_b32 s60, 0
	s_cbranch_execz .LBB119_12
.LBB119_10:                             ;   in Loop: Header=BB119_3 Depth=1
	s_mov_b32 s61, s29
	s_mul_u64 s[6:7], s[40:41], s[10:11]
	s_lshl_b64 s[8:9], s[60:61], 3
	s_delay_alu instid0(SALU_CYCLE_1) | instskip(SKIP_2) | instid1(SALU_CYCLE_1)
	s_add_nc_u64 s[6:7], s[6:7], s[8:9]
	s_sub_co_i32 s8, s35, s60
	s_mul_u64 s[6:7], s[36:37], s[6:7]
	s_add_nc_u64 s[6:7], s[38:39], s[6:7]
.LBB119_11:                             ;   Parent Loop BB119_3 Depth=1
                                        ; =>  This Inner Loop Header: Depth=2
	s_add_co_i32 s8, s8, -1
	global_store_b64 v46, v[12:13], s[6:7]
	s_cmp_eq_u32 s8, 0
	s_wait_xcnt 0x0
	s_add_nc_u64 s[6:7], s[6:7], s[42:43]
	s_cbranch_scc0 .LBB119_11
.LBB119_12:                             ;   in Loop: Header=BB119_3 Depth=1
	s_wait_xcnt 0x0
	s_or_b32 exec_lo, exec_lo, s70
	s_mov_b32 s6, 0
.LBB119_13:                             ;   in Loop: Header=BB119_3 Depth=1
	s_delay_alu instid0(SALU_CYCLE_1)
	s_and_not1_b32 vcc_lo, exec_lo, s6
	s_cbranch_vccnz .LBB119_2
; %bb.14:                               ;   in Loop: Header=BB119_3 Depth=1
	v_mad_nc_u64_u32 v[16:17], s44, s10, v[0:1]
	s_mul_u64 s[6:7], s[24:25], s[10:11]
	s_mul_u64 s[8:9], s[20:21], s[10:11]
	s_lshl_b64 s[6:7], s[6:7], 3
	v_lshl_add_u64 v[18:19], s[8:9], 3, v[2:3]
	s_add_nc_u64 s[6:7], s[18:19], s[6:7]
	v_cmp_gt_u32_e64 s9, 24, v45
	v_lshl_add_u64 v[20:21], v[4:5], 3, s[6:7]
	v_lshl_add_u64 v[22:23], v[6:7], 3, s[6:7]
	;; [unrolled: 1-line block ×4, first 2 shown]
	v_mad_u32 v17, s45, s10, v17
	v_cmp_gt_u32_e64 s8, 28, v45
	v_cmp_gt_u32_e64 s7, 30, v45
	v_cmp_ne_u32_e64 s6, 31, v45
	s_mul_u64 s[60:61], s[48:49], s[10:11]
	s_and_not1_b32 vcc_lo, exec_lo, s65
	s_add_nc_u64 s[58:59], s[58:59], s[22:23]
	s_cbranch_vccnz .LBB119_61
; %bb.15:                               ;   in Loop: Header=BB119_3 Depth=1
	v_cndmask_b32_e64 v30, 0, 8, s9
	v_cndmask_b32_e64 v31, 0, 4, s8
	s_wait_dscnt 0x0
	v_cndmask_b32_e64 v32, 0, 2, s7
	v_add_co_ci_u32_e64 v33, null, 0, v45, s6
	v_add_nc_u64_e32 v[28:29], s[60:61], v[2:3]
	v_add_lshl_u32 v48, v30, v45, 2
	v_add_lshl_u32 v49, v31, v45, 2
	;; [unrolled: 1-line block ×3, first 2 shown]
	v_dual_mov_b32 v30, v15 :: v_dual_lshlrev_b32 v51, 2, v33
	v_mov_b32_e32 v31, v14
	s_mov_b32 s28, 0
	s_branch .LBB119_17
.LBB119_16:                             ;   in Loop: Header=BB119_17 Depth=2
	s_wait_xcnt 0x0
	s_or_b32 exec_lo, exec_lo, s6
	v_add_nc_u64_e32 v[28:29], s[50:51], v[28:29]
	s_add_co_i32 s28, s28, 4
	s_delay_alu instid0(SALU_CYCLE_1)
	s_cmp_ge_i32 s28, s63
	s_cbranch_scc1 .LBB119_62
.LBB119_17:                             ;   Parent Loop BB119_3 Depth=1
                                        ; =>  This Loop Header: Depth=2
                                        ;       Child Loop BB119_47 Depth 3
                                        ;       Child Loop BB119_49 Depth 3
                                        ; implicit-def: $vgpr37
                                        ; implicit-def: $vgpr39
                                        ; implicit-def: $vgpr35
                                        ; implicit-def: $vgpr33
	s_and_saveexec_b32 s6, s1
	s_delay_alu instid0(SALU_CYCLE_1)
	s_xor_b32 s6, exec_lo, s6
	s_cbranch_execnz .LBB119_44
; %bb.18:                               ;   in Loop: Header=BB119_17 Depth=2
	s_and_not1_saveexec_b32 s6, s6
	s_cbranch_execnz .LBB119_45
.LBB119_19:                             ;   in Loop: Header=BB119_17 Depth=2
	s_or_b32 exec_lo, exec_lo, s6
	s_and_saveexec_b32 s6, s3
.LBB119_20:                             ;   in Loop: Header=BB119_17 Depth=2
	ds_store_b64 v43, v[12:13]
.LBB119_21:                             ;   in Loop: Header=BB119_17 Depth=2
	s_or_b32 exec_lo, exec_lo, s6
	ds_bpermute_b32 v40, v47, v36
	ds_bpermute_b32 v41, v47, v37
	s_wait_storecnt_dscnt 0x0
	s_barrier_signal -1
	s_barrier_wait -1
	v_pk_add_f32 v[36:37], v[36:37], v[40:41]
	ds_bpermute_b32 v40, v48, v36
	ds_bpermute_b32 v41, v48, v37
	s_wait_dscnt 0x0
	v_pk_add_f32 v[36:37], v[36:37], v[40:41]
	ds_bpermute_b32 v40, v49, v36
	ds_bpermute_b32 v41, v49, v37
	s_wait_dscnt 0x0
	;; [unrolled: 4-line block ×3, first 2 shown]
	v_pk_add_f32 v[36:37], v[36:37], v[40:41]
	ds_bpermute_b32 v40, v51, v36
	ds_bpermute_b32 v41, v51, v37
	s_and_saveexec_b32 s6, s4
	s_cbranch_execz .LBB119_23
; %bb.22:                               ;   in Loop: Header=BB119_17 Depth=2
	s_wait_dscnt 0x0
	v_pk_add_f32 v[36:37], v[36:37], v[40:41]
	ds_store_b64 v44, v[36:37]
.LBB119_23:                             ;   in Loop: Header=BB119_17 Depth=2
	s_or_b32 exec_lo, exec_lo, s6
	v_mov_b64_e32 v[36:37], 0
	s_wait_dscnt 0x0
	s_barrier_signal -1
	s_barrier_wait -1
	s_and_saveexec_b32 s6, s5
	s_cbranch_execnz .LBB119_50
; %bb.24:                               ;   in Loop: Header=BB119_17 Depth=2
	s_or_b32 exec_lo, exec_lo, s6
	s_and_saveexec_b32 s6, s3
	s_cbranch_execnz .LBB119_51
.LBB119_25:                             ;   in Loop: Header=BB119_17 Depth=2
	s_or_b32 exec_lo, exec_lo, s6
	s_and_saveexec_b32 s6, s3
.LBB119_26:                             ;   in Loop: Header=BB119_17 Depth=2
	ds_store_b64 v43, v[12:13]
.LBB119_27:                             ;   in Loop: Header=BB119_17 Depth=2
	s_or_b32 exec_lo, exec_lo, s6
	ds_bpermute_b32 v40, v47, v38
	ds_bpermute_b32 v41, v47, v39
	s_wait_dscnt 0x0
	s_barrier_signal -1
	s_barrier_wait -1
	v_pk_add_f32 v[38:39], v[38:39], v[40:41]
	ds_bpermute_b32 v40, v48, v38
	ds_bpermute_b32 v41, v48, v39
	s_wait_dscnt 0x0
	v_pk_add_f32 v[38:39], v[38:39], v[40:41]
	ds_bpermute_b32 v40, v49, v38
	ds_bpermute_b32 v41, v49, v39
	s_wait_dscnt 0x0
	;; [unrolled: 4-line block ×3, first 2 shown]
	v_pk_add_f32 v[38:39], v[38:39], v[40:41]
	ds_bpermute_b32 v40, v51, v38
	ds_bpermute_b32 v41, v51, v39
	s_and_saveexec_b32 s6, s4
	s_cbranch_execz .LBB119_29
; %bb.28:                               ;   in Loop: Header=BB119_17 Depth=2
	s_wait_dscnt 0x0
	v_pk_add_f32 v[38:39], v[38:39], v[40:41]
	ds_store_b64 v44, v[38:39]
.LBB119_29:                             ;   in Loop: Header=BB119_17 Depth=2
	s_or_b32 exec_lo, exec_lo, s6
	v_mov_b64_e32 v[38:39], 0
	s_wait_dscnt 0x0
	s_barrier_signal -1
	s_barrier_wait -1
	s_and_saveexec_b32 s6, s5
	s_cbranch_execnz .LBB119_52
; %bb.30:                               ;   in Loop: Header=BB119_17 Depth=2
	s_or_b32 exec_lo, exec_lo, s6
	s_and_saveexec_b32 s6, s3
	s_cbranch_execnz .LBB119_53
.LBB119_31:                             ;   in Loop: Header=BB119_17 Depth=2
	s_or_b32 exec_lo, exec_lo, s6
	s_and_saveexec_b32 s6, s3
.LBB119_32:                             ;   in Loop: Header=BB119_17 Depth=2
	ds_store_b64 v43, v[12:13]
.LBB119_33:                             ;   in Loop: Header=BB119_17 Depth=2
	s_or_b32 exec_lo, exec_lo, s6
	ds_bpermute_b32 v40, v47, v34
	ds_bpermute_b32 v41, v47, v35
	s_wait_dscnt 0x0
	s_barrier_signal -1
	s_barrier_wait -1
	v_pk_add_f32 v[34:35], v[34:35], v[40:41]
	ds_bpermute_b32 v40, v48, v34
	ds_bpermute_b32 v41, v48, v35
	s_wait_dscnt 0x0
	v_pk_add_f32 v[34:35], v[34:35], v[40:41]
	ds_bpermute_b32 v40, v49, v34
	ds_bpermute_b32 v41, v49, v35
	s_wait_dscnt 0x0
	;; [unrolled: 4-line block ×3, first 2 shown]
	v_pk_add_f32 v[34:35], v[34:35], v[40:41]
	ds_bpermute_b32 v40, v51, v34
	ds_bpermute_b32 v41, v51, v35
	s_and_saveexec_b32 s6, s4
	s_cbranch_execz .LBB119_35
; %bb.34:                               ;   in Loop: Header=BB119_17 Depth=2
	s_wait_dscnt 0x0
	v_pk_add_f32 v[34:35], v[34:35], v[40:41]
	ds_store_b64 v44, v[34:35]
.LBB119_35:                             ;   in Loop: Header=BB119_17 Depth=2
	s_or_b32 exec_lo, exec_lo, s6
	v_mov_b64_e32 v[34:35], 0
	s_wait_dscnt 0x0
	s_barrier_signal -1
	s_barrier_wait -1
	s_and_saveexec_b32 s6, s5
	s_cbranch_execnz .LBB119_54
; %bb.36:                               ;   in Loop: Header=BB119_17 Depth=2
	s_or_b32 exec_lo, exec_lo, s6
	s_and_saveexec_b32 s6, s3
	s_cbranch_execnz .LBB119_55
.LBB119_37:                             ;   in Loop: Header=BB119_17 Depth=2
	s_or_b32 exec_lo, exec_lo, s6
	s_and_saveexec_b32 s6, s3
.LBB119_38:                             ;   in Loop: Header=BB119_17 Depth=2
	ds_store_b64 v43, v[12:13]
.LBB119_39:                             ;   in Loop: Header=BB119_17 Depth=2
	s_or_b32 exec_lo, exec_lo, s6
	ds_bpermute_b32 v40, v47, v32
	ds_bpermute_b32 v41, v47, v33
	s_wait_dscnt 0x0
	s_barrier_signal -1
	s_barrier_wait -1
	v_pk_add_f32 v[32:33], v[32:33], v[40:41]
	ds_bpermute_b32 v40, v48, v32
	ds_bpermute_b32 v41, v48, v33
	s_wait_dscnt 0x0
	v_pk_add_f32 v[32:33], v[32:33], v[40:41]
	ds_bpermute_b32 v40, v49, v32
	ds_bpermute_b32 v41, v49, v33
	s_wait_dscnt 0x0
	;; [unrolled: 4-line block ×3, first 2 shown]
	v_pk_add_f32 v[32:33], v[32:33], v[40:41]
	ds_bpermute_b32 v40, v51, v32
	ds_bpermute_b32 v41, v51, v33
	s_and_saveexec_b32 s6, s4
	s_cbranch_execz .LBB119_41
; %bb.40:                               ;   in Loop: Header=BB119_17 Depth=2
	s_wait_dscnt 0x0
	v_pk_add_f32 v[32:33], v[32:33], v[40:41]
	ds_store_b64 v44, v[32:33]
.LBB119_41:                             ;   in Loop: Header=BB119_17 Depth=2
	s_or_b32 exec_lo, exec_lo, s6
	v_mov_b64_e32 v[32:33], 0
	s_wait_dscnt 0x0
	s_barrier_signal -1
	s_barrier_wait -1
	s_and_saveexec_b32 s6, s5
	s_cbranch_execnz .LBB119_56
; %bb.42:                               ;   in Loop: Header=BB119_17 Depth=2
	s_or_b32 exec_lo, exec_lo, s6
	s_and_saveexec_b32 s6, s3
	s_cbranch_execnz .LBB119_57
.LBB119_43:                             ;   in Loop: Header=BB119_17 Depth=2
	s_or_b32 exec_lo, exec_lo, s6
	s_and_saveexec_b32 s6, s0
	s_cbranch_execz .LBB119_16
	s_branch .LBB119_58
.LBB119_44:                             ;   in Loop: Header=BB119_17 Depth=2
	s_mul_u64 s[8:9], s[28:29], s[30:31]
	s_or_b32 s70, s28, 3
	s_mov_b32 s71, s29
	v_lshl_add_u64 v[40:41], s[8:9], 3, v[18:19]
	s_mul_u64 s[8:9], s[70:71], s[30:31]
	s_or_b32 s70, s28, 1
	v_lshl_add_u64 v[80:81], s[8:9], 3, v[18:19]
	s_mul_u64 s[8:9], s[70:71], s[30:31]
	s_wait_dscnt 0x0
	global_load_b128 v[32:35], v[40:41], off
	s_clause 0x1
	global_load_b64 v[52:53], v[20:21], off
	global_load_b64 v[54:55], v[22:23], off
	v_lshl_add_u64 v[62:63], s[8:9], 3, v[18:19]
	s_or_b32 s8, s28, 2
	s_mov_b32 s9, s29
	global_load_b128 v[36:39], v[80:81], off
	s_mul_u64 s[8:9], s[8:9], s[30:31]
	global_load_b128 v[56:59], v[40:41], off offset:16
	global_load_b64 v[60:61], v[24:25], off
	s_wait_xcnt 0x1
	v_lshl_add_u64 v[40:41], s[8:9], 3, v[18:19]
	s_clause 0x2
	global_load_b128 v[64:67], v[62:63], off
	global_load_b128 v[68:71], v[40:41], off
	global_load_b128 v[72:75], v[62:63], off offset:16
	global_load_b64 v[62:63], v[26:27], off
	global_load_b128 v[76:79], v[40:41], off offset:16
	s_wait_loadcnt 0x9
	s_wait_xcnt 0x0
	v_dual_mul_f32 v40, v53, v33 :: v_dual_mul_f32 v41, v52, v33
	s_wait_loadcnt 0x8
	v_pk_mul_f32 v[82:83], v[54:55], v[34:35] op_sel:[1,0]
	s_wait_loadcnt 0x6
	v_dual_mul_f32 v33, v53, v37 :: v_dual_mov_b32 v84, v59
	v_dual_mul_f32 v89, v52, v37 :: v_dual_fma_f32 v40, v52, v32, -v40
	v_pk_mul_f32 v[90:91], v[54:55], v[38:39] op_sel:[1,0]
	s_wait_loadcnt 0x4
	v_dual_mul_f32 v85, v53, v65 :: v_dual_mul_f32 v37, v52, v65
	v_pk_mul_f32 v[92:93], v[54:55], v[66:67] op_sel:[1,0]
	v_fmac_f32_e32 v41, v53, v32
	v_pk_fma_f32 v[94:95], v[54:55], v[34:35], v[82:83] op_sel:[0,0,1] op_sel_hi:[1,1,0] neg_lo:[0,0,1] neg_hi:[0,0,1]
	v_pk_fma_f32 v[82:83], v[54:55], v[34:35], v[82:83] op_sel:[0,0,1] op_sel_hi:[0,1,0]
	s_wait_loadcnt 0x3
	v_dual_mul_f32 v35, v53, v69 :: v_dual_mul_f32 v65, v52, v69
	v_fma_f32 v88, v52, v36, -v33
	s_wait_loadcnt 0x2
	v_dual_fmac_f32 v89, v53, v36 :: v_dual_mov_b32 v34, v75
	v_pk_mul_f32 v[32:33], v[54:55], v[70:71] op_sel:[1,0]
	v_pk_mul_f32 v[86:87], v[60:61], v[56:57] op_sel:[1,1] op_sel_hi:[0,1]
	v_pk_fma_f32 v[96:97], v[54:55], v[38:39], v[90:91] op_sel:[0,0,1] op_sel_hi:[1,1,0] neg_lo:[0,0,1] neg_hi:[0,0,1]
	v_pk_fma_f32 v[38:39], v[54:55], v[38:39], v[90:91] op_sel:[0,0,1] op_sel_hi:[0,1,0]
	v_fma_f32 v36, v52, v64, -v85
	v_fmac_f32_e32 v37, v53, v64
	v_pk_fma_f32 v[90:91], v[54:55], v[66:67], v[92:93] op_sel:[0,0,1] op_sel_hi:[1,1,0] neg_lo:[0,0,1] neg_hi:[0,0,1]
	v_pk_fma_f32 v[66:67], v[54:55], v[66:67], v[92:93] op_sel:[0,0,1] op_sel_hi:[0,1,0]
	v_pk_mul_f32 v[92:93], v[60:61], v[72:73] op_sel:[1,1] op_sel_hi:[0,1]
	s_wait_loadcnt 0x1
	v_pk_mul_f32 v[84:85], v[62:63], v[84:85] op_sel:[1,0] op_sel_hi:[0,0]
	v_dual_fma_f32 v64, v52, v68, -v35 :: v_dual_fmac_f32 v65, v53, v68
	v_pk_fma_f32 v[68:69], v[54:55], v[70:71], v[32:33] op_sel:[0,0,1] op_sel_hi:[1,1,0] neg_lo:[0,0,1] neg_hi:[0,0,1]
	v_pk_fma_f32 v[70:71], v[54:55], v[70:71], v[32:33] op_sel:[0,0,1] op_sel_hi:[0,1,0]
	v_pk_mul_f32 v[32:33], v[62:63], v[34:35] op_sel:[1,0] op_sel_hi:[0,0]
	v_pk_fma_f32 v[98:99], v[60:61], v[56:57], v[86:87] neg_lo:[0,0,1] neg_hi:[0,0,1]
	v_pk_fma_f32 v[56:57], v[60:61], v[56:57], v[86:87] op_sel_hi:[1,0,1]
	v_pk_fma_f32 v[86:87], v[62:63], v[58:59], v[84:85] neg_lo:[0,0,1] neg_hi:[0,0,1]
	v_pk_fma_f32 v[58:59], v[62:63], v[58:59], v[84:85] op_sel_hi:[1,0,1]
	v_pk_fma_f32 v[84:85], v[60:61], v[72:73], v[92:93] neg_lo:[0,0,1] neg_hi:[0,0,1]
	v_pk_fma_f32 v[72:73], v[60:61], v[72:73], v[92:93] op_sel_hi:[1,0,1]
	v_pk_fma_f32 v[92:93], v[62:63], v[74:75], v[32:33] neg_lo:[0,0,1] neg_hi:[0,0,1]
	v_pk_fma_f32 v[74:75], v[62:63], v[74:75], v[32:33] op_sel_hi:[1,0,1]
	s_wait_loadcnt 0x0
	v_mov_b32_e32 v32, v79
	v_pk_mul_f32 v[34:35], v[60:61], v[76:77] op_sel:[1,1] op_sel_hi:[0,1]
	v_dual_mov_b32 v95, v83 :: v_dual_mov_b32 v99, v57
	v_dual_mov_b32 v91, v67 :: v_dual_mov_b32 v85, v73
	s_delay_alu instid0(VALU_DEP_4) | instskip(NEXT) | instid1(VALU_DEP_4)
	v_pk_mul_f32 v[32:33], v[62:63], v[32:33] op_sel:[1,0] op_sel_hi:[0,0]
	v_pk_fma_f32 v[100:101], v[60:61], v[76:77], v[34:35] neg_lo:[0,0,1] neg_hi:[0,0,1]
	v_pk_fma_f32 v[76:77], v[60:61], v[76:77], v[34:35] op_sel_hi:[1,0,1]
	v_dual_mov_b32 v69, v71 :: v_dual_mov_b32 v87, v59
	v_mov_b32_e32 v93, v75
	v_pk_fma_f32 v[102:103], v[62:63], v[78:79], v[32:33] neg_lo:[0,0,1] neg_hi:[0,0,1]
	v_pk_fma_f32 v[78:79], v[62:63], v[78:79], v[32:33] op_sel_hi:[1,0,1]
	global_load_b128 v[32:35], v[80:81], off offset:16
	v_mov_b32_e32 v101, v77
	ds_store_b128 v42, v[52:55]
	ds_store_b128 v42, v[60:63] offset:16
	s_wait_loadcnt 0x0
	v_pk_mul_f32 v[104:105], v[60:61], v[32:33] op_sel:[1,1] op_sel_hi:[0,1]
	v_mov_b32_e32 v38, v35
	v_pk_add_f32 v[36:37], v[36:37], 0 op_sel_hi:[1,0]
	s_delay_alu instid0(VALU_DEP_3)
	v_pk_fma_f32 v[106:107], v[60:61], v[32:33], v[104:105] neg_lo:[0,0,1] neg_hi:[0,0,1]
	v_pk_fma_f32 v[32:33], v[60:61], v[32:33], v[104:105] op_sel_hi:[1,0,1]
	s_wait_xcnt 0x0
	v_pk_mul_f32 v[80:81], v[62:63], v[38:39] op_sel:[1,0] op_sel_hi:[0,0]
	v_mov_b32_e32 v97, v39
	v_pk_add_f32 v[38:39], v[40:41], 0 op_sel_hi:[1,0]
	v_pk_add_f32 v[40:41], v[64:65], 0 op_sel_hi:[1,0]
	v_mov_b32_e32 v107, v33
	v_pk_add_f32 v[32:33], v[88:89], 0 op_sel_hi:[1,0]
	v_pk_fma_f32 v[104:105], v[62:63], v[34:35], v[80:81] neg_lo:[0,0,1] neg_hi:[0,0,1]
	v_pk_fma_f32 v[34:35], v[62:63], v[34:35], v[80:81] op_sel_hi:[1,0,1]
	v_pk_add_f32 v[38:39], v[38:39], v[94:95]
	v_pk_add_f32 v[36:37], v[36:37], v[90:91]
	;; [unrolled: 1-line block ×4, first 2 shown]
	v_dual_mov_b32 v103, v79 :: v_dual_mov_b32 v105, v35
	v_pk_add_f32 v[34:35], v[38:39], v[98:99]
	v_pk_add_f32 v[38:39], v[36:37], v[84:85]
	s_delay_alu instid0(VALU_DEP_4) | instskip(SKIP_1) | instid1(VALU_DEP_4)
	v_pk_add_f32 v[40:41], v[40:41], v[100:101]
	v_pk_add_f32 v[32:33], v[32:33], v[106:107]
	;; [unrolled: 1-line block ×3, first 2 shown]
	s_delay_alu instid0(VALU_DEP_4) | instskip(NEXT) | instid1(VALU_DEP_4)
	v_pk_add_f32 v[38:39], v[38:39], v[92:93]
	v_pk_add_f32 v[34:35], v[40:41], v[102:103]
	s_delay_alu instid0(VALU_DEP_4)
	v_pk_add_f32 v[32:33], v[32:33], v[104:105]
	s_and_not1_saveexec_b32 s6, s6
	s_cbranch_execz .LBB119_19
.LBB119_45:                             ;   in Loop: Header=BB119_17 Depth=2
	v_dual_mov_b32 v37, 0 :: v_dual_mov_b32 v36, 0
	v_dual_mov_b32 v39, 0 :: v_dual_mov_b32 v38, 0
	;; [unrolled: 1-line block ×3, first 2 shown]
	s_wait_dscnt 0x0
	v_dual_mov_b32 v33, 0 :: v_dual_mov_b32 v32, 0
	s_and_saveexec_b32 s7, s2
	s_cbranch_execz .LBB119_60
; %bb.46:                               ;   in Loop: Header=BB119_17 Depth=2
	v_mov_b64_e32 v[32:33], v[16:17]
	v_mov_b32_e32 v34, v42
	s_and_not1_b32 vcc_lo, exec_lo, s34
	s_mov_b32 s8, s64
	s_cbranch_vccnz .LBB119_59
.LBB119_47:                             ;   Parent Loop BB119_3 Depth=1
                                        ;     Parent Loop BB119_17 Depth=2
                                        ; =>    This Inner Loop Header: Depth=3
	global_load_b64 v[36:37], v[32:33], off
	s_wait_xcnt 0x0
	v_add_nc_u64_e32 v[32:33], s[46:47], v[32:33]
	s_add_co_i32 s8, s8, -1
	s_delay_alu instid0(SALU_CYCLE_1)
	s_cmp_eq_u32 s8, 0
	s_wait_loadcnt 0x0
	ds_store_b64 v34, v[36:37]
	v_add_nc_u32_e32 v34, 8, v34
	s_cbranch_scc0 .LBB119_47
; %bb.48:                               ;   in Loop: Header=BB119_17 Depth=2
	v_dual_mov_b32 v32, 0 :: v_dual_mov_b32 v52, v42
	v_mov_b64_e32 v[40:41], v[28:29]
	s_mov_b32 s8, s64
	s_delay_alu instid0(VALU_DEP_2)
	v_dual_mov_b32 v33, v32 :: v_dual_mov_b32 v34, v32
	v_dual_mov_b32 v35, v32 :: v_dual_mov_b32 v38, v32
	;; [unrolled: 1-line block ×3, first 2 shown]
	v_mov_b32_e32 v37, v32
.LBB119_49:                             ;   Parent Loop BB119_3 Depth=1
                                        ;     Parent Loop BB119_17 Depth=2
                                        ; =>    This Inner Loop Header: Depth=3
	v_add_nc_u64_e32 v[54:55], s[52:53], v[40:41]
	v_add_nc_u64_e32 v[56:57], s[54:55], v[40:41]
	v_add_nc_u64_e32 v[58:59], s[56:57], v[40:41]
	s_add_co_i32 s8, s8, -1
	s_clause 0x3
	global_load_b64 v[60:61], v[40:41], off
	global_load_b64 v[54:55], v[54:55], off
	;; [unrolled: 1-line block ×4, first 2 shown]
	ds_load_b64 v[62:63], v52
	s_wait_xcnt 0x3
	v_add_nc_u64_e32 v[40:41], 8, v[40:41]
	s_cmp_lg_u32 s8, 0
	s_wait_loadcnt_dscnt 0x300
	v_pk_mul_f32 v[64:65], v[62:63], v[60:61] op_sel:[1,1] op_sel_hi:[0,1]
	s_wait_loadcnt 0x1
	v_pk_mul_f32 v[68:69], v[62:63], v[56:57] op_sel:[1,1] op_sel_hi:[0,1]
	s_wait_loadcnt 0x0
	v_pk_mul_f32 v[70:71], v[62:63], v[58:59] op_sel:[1,1] op_sel_hi:[0,1]
	v_pk_fma_f32 v[66:67], v[62:63], v[60:61], v[64:65] neg_lo:[0,0,1] neg_hi:[0,0,1]
	v_pk_fma_f32 v[60:61], v[62:63], v[60:61], v[64:65] op_sel_hi:[1,0,1]
	v_pk_mul_f32 v[64:65], v[62:63], v[54:55] op_sel:[1,1] op_sel_hi:[0,1]
	v_add_nc_u32_e32 v52, 8, v52
	v_pk_fma_f32 v[72:73], v[62:63], v[58:59], v[70:71] op_sel_hi:[1,0,1]
	s_wait_xcnt 0x0
	v_pk_fma_f32 v[58:59], v[62:63], v[58:59], v[70:71] neg_lo:[0,0,1] neg_hi:[0,0,1]
	v_mov_b32_e32 v67, v61
	v_pk_fma_f32 v[60:61], v[62:63], v[54:55], v[64:65] neg_lo:[0,0,1] neg_hi:[0,0,1]
	v_pk_fma_f32 v[54:55], v[62:63], v[54:55], v[64:65] op_sel_hi:[1,0,1]
	v_pk_fma_f32 v[64:65], v[62:63], v[56:57], v[68:69] op_sel_hi:[1,0,1]
	v_pk_fma_f32 v[56:57], v[62:63], v[56:57], v[68:69] neg_lo:[0,0,1] neg_hi:[0,0,1]
	v_mov_b32_e32 v59, v73
	v_pk_add_f32 v[36:37], v[36:37], v[66:67]
	s_delay_alu instid0(VALU_DEP_4) | instskip(NEXT) | instid1(VALU_DEP_3)
	v_dual_mov_b32 v61, v55 :: v_dual_mov_b32 v57, v65
	v_pk_add_f32 v[32:33], v[32:33], v[58:59]
	s_delay_alu instid0(VALU_DEP_2) | instskip(NEXT) | instid1(VALU_DEP_3)
	v_pk_add_f32 v[38:39], v[38:39], v[60:61]
	v_pk_add_f32 v[34:35], v[34:35], v[56:57]
	s_cbranch_scc1 .LBB119_49
	s_branch .LBB119_60
.LBB119_50:                             ;   in Loop: Header=BB119_17 Depth=2
	ds_load_b64 v[36:37], v43
	s_or_b32 exec_lo, exec_lo, s6
	s_and_saveexec_b32 s6, s3
	s_cbranch_execz .LBB119_25
.LBB119_51:                             ;   in Loop: Header=BB119_17 Depth=2
	s_wait_dscnt 0x0
	ds_bpermute_b32 v40, v49, v36
	ds_bpermute_b32 v41, v49, v37
	s_wait_dscnt 0x0
	v_pk_add_f32 v[36:37], v[36:37], v[40:41]
	ds_bpermute_b32 v40, v50, v36
	ds_bpermute_b32 v41, v50, v37
	s_wait_dscnt 0x0
	v_pk_add_f32 v[36:37], v[36:37], v[40:41]
	;; [unrolled: 4-line block ×3, first 2 shown]
	s_or_b32 exec_lo, exec_lo, s6
	s_and_saveexec_b32 s6, s3
	s_cbranch_execnz .LBB119_26
	s_branch .LBB119_27
.LBB119_52:                             ;   in Loop: Header=BB119_17 Depth=2
	ds_load_b64 v[38:39], v43
	s_or_b32 exec_lo, exec_lo, s6
	s_and_saveexec_b32 s6, s3
	s_cbranch_execz .LBB119_31
.LBB119_53:                             ;   in Loop: Header=BB119_17 Depth=2
	s_wait_dscnt 0x0
	ds_bpermute_b32 v40, v49, v38
	ds_bpermute_b32 v41, v49, v39
	s_wait_dscnt 0x0
	v_pk_add_f32 v[38:39], v[38:39], v[40:41]
	ds_bpermute_b32 v40, v50, v38
	ds_bpermute_b32 v41, v50, v39
	s_wait_dscnt 0x0
	v_pk_add_f32 v[38:39], v[38:39], v[40:41]
	;; [unrolled: 4-line block ×3, first 2 shown]
	s_or_b32 exec_lo, exec_lo, s6
	s_and_saveexec_b32 s6, s3
	s_cbranch_execnz .LBB119_32
	s_branch .LBB119_33
.LBB119_54:                             ;   in Loop: Header=BB119_17 Depth=2
	ds_load_b64 v[34:35], v43
	s_or_b32 exec_lo, exec_lo, s6
	s_and_saveexec_b32 s6, s3
	s_cbranch_execz .LBB119_37
.LBB119_55:                             ;   in Loop: Header=BB119_17 Depth=2
	s_wait_dscnt 0x0
	ds_bpermute_b32 v40, v49, v34
	ds_bpermute_b32 v41, v49, v35
	s_wait_dscnt 0x0
	v_pk_add_f32 v[34:35], v[34:35], v[40:41]
	ds_bpermute_b32 v40, v50, v34
	ds_bpermute_b32 v41, v50, v35
	s_wait_dscnt 0x0
	v_pk_add_f32 v[34:35], v[34:35], v[40:41]
	;; [unrolled: 4-line block ×3, first 2 shown]
	s_or_b32 exec_lo, exec_lo, s6
	s_and_saveexec_b32 s6, s3
	s_cbranch_execnz .LBB119_38
	s_branch .LBB119_39
.LBB119_56:                             ;   in Loop: Header=BB119_17 Depth=2
	ds_load_b64 v[32:33], v43
	s_or_b32 exec_lo, exec_lo, s6
	s_and_saveexec_b32 s6, s3
	s_cbranch_execz .LBB119_43
.LBB119_57:                             ;   in Loop: Header=BB119_17 Depth=2
	s_wait_dscnt 0x0
	ds_bpermute_b32 v40, v49, v32
	ds_bpermute_b32 v41, v49, v33
	s_wait_dscnt 0x0
	v_pk_add_f32 v[32:33], v[32:33], v[40:41]
	ds_bpermute_b32 v40, v50, v32
	ds_bpermute_b32 v41, v50, v33
	s_wait_dscnt 0x0
	v_pk_add_f32 v[32:33], v[32:33], v[40:41]
	ds_bpermute_b32 v40, v51, v32
	ds_bpermute_b32 v41, v51, v33
	s_wait_dscnt 0x0
	v_pk_add_f32 v[32:33], v[32:33], v[40:41]
	s_or_b32 exec_lo, exec_lo, s6
	s_and_saveexec_b32 s6, s0
	s_cbranch_execz .LBB119_16
.LBB119_58:                             ;   in Loop: Header=BB119_17 Depth=2
	v_pk_mul_f32 v[40:41], v[36:37], v[30:31] op_sel:[1,0]
	v_pk_mul_f32 v[52:53], v[38:39], v[30:31] op_sel:[1,0]
	s_mul_u64 s[8:9], s[28:29], s[36:37]
	s_or_b32 s70, s28, 1
	s_mov_b32 s71, s29
	v_pk_fma_f32 v[54:55], v[36:37], v[14:15], v[40:41] op_sel_hi:[0,1,1]
	v_pk_fma_f32 v[36:37], v[36:37], v[14:15], v[40:41] neg_lo:[0,0,1] neg_hi:[0,0,1]
	v_pk_fma_f32 v[40:41], v[38:39], v[14:15], v[52:53] op_sel_hi:[0,1,1]
	s_lshl_b64 s[8:9], s[8:9], 3
	s_mul_u64 s[70:71], s[70:71], s[36:37]
	v_mov_b32_e32 v37, v55
	v_pk_fma_f32 v[38:39], v[38:39], v[14:15], v[52:53] neg_lo:[0,0,1] neg_hi:[0,0,1]
	v_mov_b32_e32 v39, v41
	s_add_nc_u64 s[8:9], s[58:59], s[8:9]
	s_lshl_b64 s[70:71], s[70:71], 3
	global_store_b64 v46, v[36:37], s[8:9]
	s_wait_xcnt 0x0
	s_add_nc_u64 s[8:9], s[58:59], s[70:71]
	v_pk_mul_f32 v[36:37], v[34:35], v[30:31] op_sel:[1,0]
	global_store_b64 v46, v[38:39], s[8:9]
	s_wait_dscnt 0x0
	s_wait_xcnt 0x0
	v_pk_mul_f32 v[38:39], v[32:33], v[30:31] op_sel:[1,0]
	s_or_b32 s70, s28, 2
	s_mov_b32 s71, s29
	v_pk_fma_f32 v[40:41], v[34:35], v[14:15], v[36:37] op_sel_hi:[0,1,1]
	v_pk_fma_f32 v[34:35], v[34:35], v[14:15], v[36:37] neg_lo:[0,0,1] neg_hi:[0,0,1]
	v_pk_fma_f32 v[36:37], v[32:33], v[14:15], v[38:39] op_sel_hi:[0,1,1]
	s_mul_u64 s[8:9], s[70:71], s[36:37]
	s_or_b32 s70, s28, 3
	v_mov_b32_e32 v35, v41
	s_mul_u64 s[70:71], s[70:71], s[36:37]
	v_pk_fma_f32 v[32:33], v[32:33], v[14:15], v[38:39] neg_lo:[0,0,1] neg_hi:[0,0,1]
	s_lshl_b64 s[8:9], s[8:9], 3
	v_mov_b32_e32 v33, v37
	s_lshl_b64 s[70:71], s[70:71], 3
	s_add_nc_u64 s[8:9], s[58:59], s[8:9]
	s_add_nc_u64 s[70:71], s[58:59], s[70:71]
	s_clause 0x1
	global_store_b64 v46, v[34:35], s[8:9]
	global_store_b64 v46, v[32:33], s[70:71]
	s_branch .LBB119_16
.LBB119_59:                             ;   in Loop: Header=BB119_17 Depth=2
	v_mov_b32_e32 v37, 0
	s_delay_alu instid0(VALU_DEP_1)
	v_dual_mov_b32 v36, v37 :: v_dual_mov_b32 v39, v37
	v_dual_mov_b32 v38, v37 :: v_dual_mov_b32 v35, v37
	;; [unrolled: 1-line block ×3, first 2 shown]
	v_mov_b32_e32 v32, v37
.LBB119_60:                             ;   in Loop: Header=BB119_17 Depth=2
	s_or_b32 exec_lo, exec_lo, s7
	s_delay_alu instid0(SALU_CYCLE_1)
	s_or_b32 exec_lo, exec_lo, s6
	s_and_saveexec_b32 s6, s3
	s_cbranch_execnz .LBB119_20
	s_branch .LBB119_21
.LBB119_61:                             ;   in Loop: Header=BB119_3 Depth=1
	s_mov_b32 s28, 0
.LBB119_62:                             ;   in Loop: Header=BB119_3 Depth=1
	s_delay_alu instid0(SALU_CYCLE_1)
	s_cmp_ge_i32 s28, s35
	s_cbranch_scc1 .LBB119_2
; %bb.63:                               ;   in Loop: Header=BB119_3 Depth=1
	v_cmp_gt_u32_e32 vcc_lo, 24, v45
	s_mul_u64 s[6:7], s[52:53], s[28:29]
	v_mov_b32_e32 v31, v14
	s_add_nc_u64 s[6:7], s[6:7], s[60:61]
	v_cndmask_b32_e64 v28, 0, 8, vcc_lo
	v_cmp_gt_u32_e32 vcc_lo, 28, v45
	s_delay_alu instid0(VALU_DEP_2) | instskip(SKIP_2) | instid1(VALU_DEP_2)
	v_add_lshl_u32 v36, v28, v45, 2
	v_cndmask_b32_e64 v29, 0, 4, vcc_lo
	v_cmp_gt_u32_e32 vcc_lo, 30, v45
	v_add_lshl_u32 v37, v29, v45, 2
	v_cndmask_b32_e64 v28, 0, 2, vcc_lo
	v_cmp_ne_u32_e32 vcc_lo, 31, v45
	s_delay_alu instid0(VALU_DEP_2) | instskip(SKIP_2) | instid1(VALU_DEP_2)
	v_add_lshl_u32 v38, v28, v45, 2
	v_add_co_ci_u32_e64 v30, null, 0, v45, vcc_lo
	v_add_nc_u64_e32 v[28:29], s[6:7], v[2:3]
	v_dual_mov_b32 v30, v15 :: v_dual_lshlrev_b32 v39, 2, v30
	s_branch .LBB119_65
.LBB119_64:                             ;   in Loop: Header=BB119_65 Depth=2
	s_wait_xcnt 0x0
	s_or_b32 exec_lo, exec_lo, s6
	v_add_nc_u64_e32 v[28:29], s[52:53], v[28:29]
	s_add_co_i32 s28, s28, 1
	s_delay_alu instid0(SALU_CYCLE_1)
	s_cmp_ge_i32 s28, s35
	s_cbranch_scc1 .LBB119_2
.LBB119_65:                             ;   Parent Loop BB119_3 Depth=1
                                        ; =>  This Loop Header: Depth=2
                                        ;       Child Loop BB119_77 Depth 3
                                        ;       Child Loop BB119_79 Depth 3
                                        ; implicit-def: $vgpr33
	s_and_saveexec_b32 s6, s1
	s_delay_alu instid0(SALU_CYCLE_1)
	s_xor_b32 s6, exec_lo, s6
	s_cbranch_execnz .LBB119_74
; %bb.66:                               ;   in Loop: Header=BB119_65 Depth=2
	s_and_not1_saveexec_b32 s6, s6
	s_cbranch_execnz .LBB119_75
.LBB119_67:                             ;   in Loop: Header=BB119_65 Depth=2
	s_or_b32 exec_lo, exec_lo, s6
	s_and_saveexec_b32 s6, s3
.LBB119_68:                             ;   in Loop: Header=BB119_65 Depth=2
	ds_store_b64 v43, v[12:13]
.LBB119_69:                             ;   in Loop: Header=BB119_65 Depth=2
	s_or_b32 exec_lo, exec_lo, s6
	s_wait_dscnt 0x0
	ds_bpermute_b32 v34, v47, v32
	ds_bpermute_b32 v35, v47, v33
	s_wait_storecnt_dscnt 0x0
	s_barrier_signal -1
	s_barrier_wait -1
	v_pk_add_f32 v[32:33], v[32:33], v[34:35]
	ds_bpermute_b32 v34, v36, v32
	ds_bpermute_b32 v35, v36, v33
	s_wait_dscnt 0x0
	v_pk_add_f32 v[32:33], v[32:33], v[34:35]
	ds_bpermute_b32 v34, v37, v32
	ds_bpermute_b32 v35, v37, v33
	s_wait_dscnt 0x0
	;; [unrolled: 4-line block ×3, first 2 shown]
	v_pk_add_f32 v[32:33], v[32:33], v[34:35]
	ds_bpermute_b32 v34, v39, v32
	ds_bpermute_b32 v35, v39, v33
	s_and_saveexec_b32 s6, s4
	s_cbranch_execz .LBB119_71
; %bb.70:                               ;   in Loop: Header=BB119_65 Depth=2
	s_wait_dscnt 0x0
	v_pk_add_f32 v[32:33], v[32:33], v[34:35]
	ds_store_b64 v44, v[32:33]
.LBB119_71:                             ;   in Loop: Header=BB119_65 Depth=2
	s_or_b32 exec_lo, exec_lo, s6
	v_mov_b64_e32 v[32:33], 0
	s_wait_dscnt 0x0
	s_barrier_signal -1
	s_barrier_wait -1
	s_and_saveexec_b32 s6, s5
	s_cbranch_execnz .LBB119_81
; %bb.72:                               ;   in Loop: Header=BB119_65 Depth=2
	s_or_b32 exec_lo, exec_lo, s6
	s_and_saveexec_b32 s6, s3
	s_cbranch_execnz .LBB119_82
.LBB119_73:                             ;   in Loop: Header=BB119_65 Depth=2
	s_or_b32 exec_lo, exec_lo, s6
	s_and_saveexec_b32 s6, s0
	s_cbranch_execz .LBB119_64
	s_branch .LBB119_83
.LBB119_74:                             ;   in Loop: Header=BB119_65 Depth=2
	s_mul_u64 s[8:9], s[28:29], s[30:31]
	s_delay_alu instid0(SALU_CYCLE_1)
	v_lshl_add_u64 v[40:41], s[8:9], 3, v[18:19]
	global_load_b64 v[48:49], v[20:21], off
	global_load_b64 v[56:57], v[40:41], off
	s_wait_dscnt 0x0
	global_load_b128 v[32:35], v[40:41], off offset:8
	s_clause 0x2
	global_load_b64 v[50:51], v[22:23], off
	global_load_b64 v[52:53], v[24:25], off
	;; [unrolled: 1-line block ×3, first 2 shown]
	global_load_b64 v[40:41], v[40:41], off offset:24
	s_wait_loadcnt 0x3
	ds_store_b128 v42, v[48:51]
	s_wait_loadcnt 0x1
	ds_store_b128 v42, v[52:55] offset:16
	v_dual_mul_f32 v58, v49, v57 :: v_dual_mul_f32 v59, v48, v57
	v_pk_mul_f32 v[60:61], v[50:51], v[32:33] op_sel:[1,1] op_sel_hi:[1,0]
	v_dual_mov_b32 v62, v35 :: v_dual_mov_b32 v63, v34
	s_delay_alu instid0(VALU_DEP_3) | instskip(NEXT) | instid1(VALU_DEP_3)
	v_dual_fma_f32 v58, v48, v56, -v58 :: v_dual_fmac_f32 v59, v49, v56
	v_pk_fma_f32 v[56:57], v[50:51], v[32:33], v[60:61] op_sel_hi:[0,1,1]
	v_pk_fma_f32 v[32:33], v[50:51], v[32:33], v[60:61] neg_lo:[0,0,1] neg_hi:[0,0,1]
	s_delay_alu instid0(VALU_DEP_4)
	v_pk_mul_f32 v[62:63], v[52:53], v[62:63] op_sel:[1,0]
	s_wait_loadcnt 0x0
	v_pk_mul_f32 v[60:61], v[54:55], v[40:41] op_sel:[1,1] op_sel_hi:[1,0]
	v_pk_add_f32 v[58:59], v[58:59], 0 op_sel_hi:[1,0]
	v_mov_b32_e32 v33, v57
	v_pk_fma_f32 v[56:57], v[52:53], v[34:35], v[62:63] op_sel_hi:[0,1,1]
	v_pk_fma_f32 v[34:35], v[52:53], v[34:35], v[62:63] neg_lo:[0,0,1] neg_hi:[0,0,1]
	s_delay_alu instid0(VALU_DEP_2) | instskip(NEXT) | instid1(VALU_DEP_4)
	v_mov_b32_e32 v35, v57
	v_pk_add_f32 v[32:33], v[58:59], v[32:33]
	v_pk_fma_f32 v[56:57], v[54:55], v[40:41], v[60:61] op_sel_hi:[0,1,1]
	s_wait_xcnt 0x0
	v_pk_fma_f32 v[40:41], v[54:55], v[40:41], v[60:61] neg_lo:[0,0,1] neg_hi:[0,0,1]
	s_delay_alu instid0(VALU_DEP_3) | instskip(NEXT) | instid1(VALU_DEP_3)
	v_pk_add_f32 v[32:33], v[32:33], v[34:35]
	v_mov_b32_e32 v41, v57
	s_delay_alu instid0(VALU_DEP_1)
	v_pk_add_f32 v[32:33], v[32:33], v[40:41]
	s_and_not1_saveexec_b32 s6, s6
	s_cbranch_execz .LBB119_67
.LBB119_75:                             ;   in Loop: Header=BB119_65 Depth=2
	s_wait_dscnt 0x0
	v_mov_b32_e32 v33, 0
	s_delay_alu instid0(VALU_DEP_1)
	v_mov_b32_e32 v32, v33
	s_and_saveexec_b32 s7, s66
	s_cbranch_execz .LBB119_80
; %bb.76:                               ;   in Loop: Header=BB119_65 Depth=2
	v_mov_b64_e32 v[32:33], v[16:17]
	v_mov_b32_e32 v34, v42
	s_mov_b32 s8, s64
.LBB119_77:                             ;   Parent Loop BB119_3 Depth=1
                                        ;     Parent Loop BB119_65 Depth=2
                                        ; =>    This Inner Loop Header: Depth=3
	global_load_b64 v[40:41], v[32:33], off
	s_wait_xcnt 0x0
	v_add_nc_u64_e32 v[32:33], s[46:47], v[32:33]
	s_add_co_i32 s8, s8, -1
	s_delay_alu instid0(SALU_CYCLE_1)
	s_cmp_eq_u32 s8, 0
	s_wait_loadcnt 0x0
	ds_store_b64 v34, v[40:41]
	v_add_nc_u32_e32 v34, 8, v34
	s_cbranch_scc0 .LBB119_77
; %bb.78:                               ;   in Loop: Header=BB119_65 Depth=2
	v_dual_mov_b32 v32, 0 :: v_dual_mov_b32 v40, v42
	v_mov_b64_e32 v[34:35], v[28:29]
	s_mov_b32 s8, s64
	s_delay_alu instid0(VALU_DEP_2)
	v_mov_b32_e32 v33, v32
.LBB119_79:                             ;   Parent Loop BB119_3 Depth=1
                                        ;     Parent Loop BB119_65 Depth=2
                                        ; =>    This Inner Loop Header: Depth=3
	global_load_b64 v[48:49], v[34:35], off
	ds_load_b64 v[50:51], v40
	s_wait_xcnt 0x0
	v_add_nc_u64_e32 v[34:35], 8, v[34:35]
	s_add_co_i32 s8, s8, -1
	v_add_nc_u32_e32 v40, 8, v40
	s_cmp_lg_u32 s8, 0
	s_wait_loadcnt_dscnt 0x0
	v_pk_mul_f32 v[52:53], v[50:51], v[48:49] op_sel:[1,1] op_sel_hi:[0,1]
	s_delay_alu instid0(VALU_DEP_1) | instskip(SKIP_1) | instid1(VALU_DEP_2)
	v_pk_fma_f32 v[54:55], v[50:51], v[48:49], v[52:53] op_sel_hi:[1,0,1]
	v_pk_fma_f32 v[48:49], v[50:51], v[48:49], v[52:53] neg_lo:[0,0,1] neg_hi:[0,0,1]
	v_mov_b32_e32 v49, v55
	s_delay_alu instid0(VALU_DEP_1)
	v_pk_add_f32 v[32:33], v[32:33], v[48:49]
	s_cbranch_scc1 .LBB119_79
.LBB119_80:                             ;   in Loop: Header=BB119_65 Depth=2
	s_or_b32 exec_lo, exec_lo, s7
	s_delay_alu instid0(SALU_CYCLE_1)
	s_or_b32 exec_lo, exec_lo, s6
	s_and_saveexec_b32 s6, s3
	s_cbranch_execnz .LBB119_68
	s_branch .LBB119_69
.LBB119_81:                             ;   in Loop: Header=BB119_65 Depth=2
	ds_load_b64 v[32:33], v43
	s_or_b32 exec_lo, exec_lo, s6
	s_and_saveexec_b32 s6, s3
	s_cbranch_execz .LBB119_73
.LBB119_82:                             ;   in Loop: Header=BB119_65 Depth=2
	s_wait_dscnt 0x0
	ds_bpermute_b32 v34, v37, v32
	ds_bpermute_b32 v35, v37, v33
	s_wait_dscnt 0x0
	v_pk_add_f32 v[32:33], v[32:33], v[34:35]
	ds_bpermute_b32 v34, v38, v32
	ds_bpermute_b32 v35, v38, v33
	s_wait_dscnt 0x0
	v_pk_add_f32 v[32:33], v[32:33], v[34:35]
	;; [unrolled: 4-line block ×3, first 2 shown]
	s_or_b32 exec_lo, exec_lo, s6
	s_and_saveexec_b32 s6, s0
	s_cbranch_execz .LBB119_64
.LBB119_83:                             ;   in Loop: Header=BB119_65 Depth=2
	s_wait_dscnt 0x0
	v_pk_mul_f32 v[34:35], v[32:33], v[30:31] op_sel:[1,0]
	s_mul_u64 s[8:9], s[28:29], s[36:37]
	s_delay_alu instid0(SALU_CYCLE_1) | instskip(NEXT) | instid1(SALU_CYCLE_1)
	s_lshl_b64 s[8:9], s[8:9], 3
	s_add_nc_u64 s[8:9], s[58:59], s[8:9]
	s_delay_alu instid0(VALU_DEP_1) | instskip(SKIP_1) | instid1(VALU_DEP_2)
	v_pk_fma_f32 v[40:41], v[32:33], v[14:15], v[34:35] op_sel_hi:[0,1,1]
	v_pk_fma_f32 v[32:33], v[32:33], v[14:15], v[34:35] neg_lo:[0,0,1] neg_hi:[0,0,1]
	v_mov_b32_e32 v33, v41
	global_store_b64 v46, v[32:33], s[8:9]
	s_branch .LBB119_64
.LBB119_84:
	s_sendmsg sendmsg(MSG_DEALLOC_VGPRS)
	s_endpgm
	.section	.rodata,"a",@progbits
	.p2align	6, 0x0
	.amdhsa_kernel _ZL23rocblas_gemvt_sn_kernelILb0ELi256ELi4El19rocblas_complex_numIfEPKS1_S1_EviiT4_lPKT3_lilS7_lilPT5_i
		.amdhsa_group_segment_fixed_size 8448
		.amdhsa_private_segment_fixed_size 0
		.amdhsa_kernarg_size 360
		.amdhsa_user_sgpr_count 4
		.amdhsa_user_sgpr_dispatch_ptr 1
		.amdhsa_user_sgpr_queue_ptr 0
		.amdhsa_user_sgpr_kernarg_segment_ptr 1
		.amdhsa_user_sgpr_dispatch_id 0
		.amdhsa_user_sgpr_kernarg_preload_length 0
		.amdhsa_user_sgpr_kernarg_preload_offset 0
		.amdhsa_user_sgpr_private_segment_size 0
		.amdhsa_wavefront_size32 1
		.amdhsa_uses_dynamic_stack 0
		.amdhsa_enable_private_segment 0
		.amdhsa_system_sgpr_workgroup_id_x 1
		.amdhsa_system_sgpr_workgroup_id_y 0
		.amdhsa_system_sgpr_workgroup_id_z 1
		.amdhsa_system_sgpr_workgroup_info 0
		.amdhsa_system_vgpr_workitem_id 2
		.amdhsa_next_free_vgpr 108
		.amdhsa_next_free_sgpr 76
		.amdhsa_named_barrier_count 0
		.amdhsa_reserve_vcc 1
		.amdhsa_float_round_mode_32 0
		.amdhsa_float_round_mode_16_64 0
		.amdhsa_float_denorm_mode_32 3
		.amdhsa_float_denorm_mode_16_64 3
		.amdhsa_fp16_overflow 0
		.amdhsa_memory_ordered 1
		.amdhsa_forward_progress 1
		.amdhsa_inst_pref_size 43
		.amdhsa_round_robin_scheduling 0
		.amdhsa_exception_fp_ieee_invalid_op 0
		.amdhsa_exception_fp_denorm_src 0
		.amdhsa_exception_fp_ieee_div_zero 0
		.amdhsa_exception_fp_ieee_overflow 0
		.amdhsa_exception_fp_ieee_underflow 0
		.amdhsa_exception_fp_ieee_inexact 0
		.amdhsa_exception_int_div_zero 0
	.end_amdhsa_kernel
	.section	.text._ZL23rocblas_gemvt_sn_kernelILb0ELi256ELi4El19rocblas_complex_numIfEPKS1_S1_EviiT4_lPKT3_lilS7_lilPT5_i,"axG",@progbits,_ZL23rocblas_gemvt_sn_kernelILb0ELi256ELi4El19rocblas_complex_numIfEPKS1_S1_EviiT4_lPKT3_lilS7_lilPT5_i,comdat
.Lfunc_end119:
	.size	_ZL23rocblas_gemvt_sn_kernelILb0ELi256ELi4El19rocblas_complex_numIfEPKS1_S1_EviiT4_lPKT3_lilS7_lilPT5_i, .Lfunc_end119-_ZL23rocblas_gemvt_sn_kernelILb0ELi256ELi4El19rocblas_complex_numIfEPKS1_S1_EviiT4_lPKT3_lilS7_lilPT5_i
                                        ; -- End function
	.set _ZL23rocblas_gemvt_sn_kernelILb0ELi256ELi4El19rocblas_complex_numIfEPKS1_S1_EviiT4_lPKT3_lilS7_lilPT5_i.num_vgpr, 108
	.set _ZL23rocblas_gemvt_sn_kernelILb0ELi256ELi4El19rocblas_complex_numIfEPKS1_S1_EviiT4_lPKT3_lilS7_lilPT5_i.num_agpr, 0
	.set _ZL23rocblas_gemvt_sn_kernelILb0ELi256ELi4El19rocblas_complex_numIfEPKS1_S1_EviiT4_lPKT3_lilS7_lilPT5_i.numbered_sgpr, 76
	.set _ZL23rocblas_gemvt_sn_kernelILb0ELi256ELi4El19rocblas_complex_numIfEPKS1_S1_EviiT4_lPKT3_lilS7_lilPT5_i.num_named_barrier, 0
	.set _ZL23rocblas_gemvt_sn_kernelILb0ELi256ELi4El19rocblas_complex_numIfEPKS1_S1_EviiT4_lPKT3_lilS7_lilPT5_i.private_seg_size, 0
	.set _ZL23rocblas_gemvt_sn_kernelILb0ELi256ELi4El19rocblas_complex_numIfEPKS1_S1_EviiT4_lPKT3_lilS7_lilPT5_i.uses_vcc, 1
	.set _ZL23rocblas_gemvt_sn_kernelILb0ELi256ELi4El19rocblas_complex_numIfEPKS1_S1_EviiT4_lPKT3_lilS7_lilPT5_i.uses_flat_scratch, 0
	.set _ZL23rocblas_gemvt_sn_kernelILb0ELi256ELi4El19rocblas_complex_numIfEPKS1_S1_EviiT4_lPKT3_lilS7_lilPT5_i.has_dyn_sized_stack, 0
	.set _ZL23rocblas_gemvt_sn_kernelILb0ELi256ELi4El19rocblas_complex_numIfEPKS1_S1_EviiT4_lPKT3_lilS7_lilPT5_i.has_recursion, 0
	.set _ZL23rocblas_gemvt_sn_kernelILb0ELi256ELi4El19rocblas_complex_numIfEPKS1_S1_EviiT4_lPKT3_lilS7_lilPT5_i.has_indirect_call, 0
	.section	.AMDGPU.csdata,"",@progbits
; Kernel info:
; codeLenInByte = 5420
; TotalNumSgprs: 78
; NumVgprs: 108
; ScratchSize: 0
; MemoryBound: 0
; FloatMode: 240
; IeeeMode: 1
; LDSByteSize: 8448 bytes/workgroup (compile time only)
; SGPRBlocks: 0
; VGPRBlocks: 6
; NumSGPRsForWavesPerEU: 78
; NumVGPRsForWavesPerEU: 108
; NamedBarCnt: 0
; Occupancy: 9
; WaveLimiterHint : 0
; COMPUTE_PGM_RSRC2:SCRATCH_EN: 0
; COMPUTE_PGM_RSRC2:USER_SGPR: 4
; COMPUTE_PGM_RSRC2:TRAP_HANDLER: 0
; COMPUTE_PGM_RSRC2:TGID_X_EN: 1
; COMPUTE_PGM_RSRC2:TGID_Y_EN: 0
; COMPUTE_PGM_RSRC2:TGID_Z_EN: 1
; COMPUTE_PGM_RSRC2:TIDIG_COMP_CNT: 2
	.section	.text._ZL23rocblas_gemvt_sn_reduceILi256ELi8E19rocblas_complex_numIfEPKS1_S1_EviT2_lPT3_lilPT1_i,"axG",@progbits,_ZL23rocblas_gemvt_sn_reduceILi256ELi8E19rocblas_complex_numIfEPKS1_S1_EviT2_lPT3_lilPT1_i,comdat
	.globl	_ZL23rocblas_gemvt_sn_reduceILi256ELi8E19rocblas_complex_numIfEPKS1_S1_EviT2_lPT3_lilPT1_i ; -- Begin function _ZL23rocblas_gemvt_sn_reduceILi256ELi8E19rocblas_complex_numIfEPKS1_S1_EviT2_lPT3_lilPT1_i
	.p2align	8
	.type	_ZL23rocblas_gemvt_sn_reduceILi256ELi8E19rocblas_complex_numIfEPKS1_S1_EviT2_lPT3_lilPT1_i,@function
_ZL23rocblas_gemvt_sn_reduceILi256ELi8E19rocblas_complex_numIfEPKS1_S1_EviT2_lPT3_lilPT1_i: ; @_ZL23rocblas_gemvt_sn_reduceILi256ELi8E19rocblas_complex_numIfEPKS1_S1_EviT2_lPT3_lilPT1_i
; %bb.0:
	s_load_b32 s30, s[0:1], 0x40
	s_bfe_u32 s2, ttmp6, 0x40014
	s_lshr_b32 s3, ttmp7, 16
	s_add_co_i32 s2, s2, 1
	s_bfe_u32 s5, ttmp6, 0x40008
	s_mul_i32 s4, s3, s2
	s_getreg_b32 s2, hwreg(HW_REG_IB_STS2, 6, 4)
	s_add_co_i32 s5, s5, s4
	s_cmp_eq_u32 s2, 0
	s_mov_b32 s21, 0
	s_cselect_b32 s20, s3, s5
	s_wait_kmcnt 0x0
	s_cmp_ge_u32 s20, s30
	s_cbranch_scc1 .LBB120_21
; %bb.1:
	s_clause 0x5
	s_load_b32 s22, s[0:1], 0x0
	s_load_b32 s31, s[0:1], 0x4c
	;; [unrolled: 1-line block ×4, first 2 shown]
	s_load_b256 s[8:15], s[0:1], 0x8
	s_load_b128 s[16:19], s[0:1], 0x30
	v_mbcnt_lo_u32_b32 v4, -1, 0
	s_wait_xcnt 0x0
	s_bfe_u32 s0, ttmp6, 0x40010
	s_and_b32 s1, ttmp7, 0xffff
	s_add_co_i32 s5, s0, 1
	s_bfe_u32 s4, ttmp6, 0x40004
	v_cmp_gt_u32_e32 vcc_lo, 24, v4
	s_mul_i32 s5, s1, s5
	v_dual_mov_b32 v3, 0 :: v_dual_lshlrev_b32 v12, 3, v0
	s_add_co_i32 s24, s4, s5
	v_cndmask_b32_e64 v5, 0, 8, vcc_lo
	v_cmp_gt_u32_e32 vcc_lo, 28, v4
	v_and_b32_e32 v1, 31, v0
	v_lshl_or_b32 v14, v4, 2, 64
	s_wait_kmcnt 0x0
	s_ashr_i32 s23, s22, 31
	v_add_lshl_u32 v15, v5, v4, 2
	v_cndmask_b32_e64 v6, 0, 4, vcc_lo
	v_cmp_gt_u32_e32 vcc_lo, 30, v4
	s_ashr_i32 s7, s6, 31
	s_lshl_b64 s[4:5], s[14:15], 3
	s_cmp_eq_u32 s2, 0
	v_lshrrev_b32_e32 v5, 2, v0
	v_cndmask_b32_e64 v7, 0, 2, vcc_lo
	v_cmp_ne_u32_e32 vcc_lo, 31, v4
	s_cselect_b32 s14, s1, s24
	s_lshr_b32 s1, s23, 29
	v_add_lshl_u32 v16, v6, v4, 2
	s_add_co_i32 s1, s22, s1
	v_add_co_ci_u32_e64 v8, null, 0, v4, vcc_lo
	v_add_lshl_u32 v17, v7, v4, 2
	v_dual_lshlrev_b32 v4, 6, v0 :: v_dual_bitop2_b32 v19, 56, v5 bitop3:0x40
	v_mov_b32_e32 v5, v3
	s_and_b32 s33, s1, -8
	v_cmp_gt_u32_e64 s0, 32, v0
	s_sub_co_i32 s2, s22, s33
	v_xad_u32 v2, v0, -1, s22
	s_add_nc_u64 s[12:13], s[12:13], s[4:5]
	s_and_b32 s26, s3, 0xffff
	v_cmp_gt_u32_e64 s2, s2, v0
	v_dual_lshlrev_b32 v13, 3, v1 :: v_dual_lshlrev_b32 v18, 2, v8
	v_cmp_eq_u32_e64 s3, 0, v1
	v_cmp_gt_u32_e64 s4, 8, v0
	v_cmp_eq_u32_e64 s5, 0, v0
	v_add_nc_u64_e32 v[0:1], s[18:19], v[4:5]
	v_mov_b64_e32 v[4:5], 0
	s_mov_b32 s15, s21
	v_cmp_gt_i32_e64 s1, s33, v12
	s_mul_u64 s[6:7], s[6:7], s[14:15]
	s_mul_i32 s15, s20, s31
	s_lshl_b32 s34, s26, 3
	s_lshl_b64 s[24:25], s[22:23], 3
	s_add_co_i32 s15, s14, s15
	s_lshl_b32 s35, s31, 16
	s_lshl_b32 s26, s26, 6
	s_mov_b32 s27, s21
	s_lshl_b64 s[28:29], s[6:7], 3
	s_branch .LBB120_4
.LBB120_2:                              ;   in Loop: Header=BB120_4 Depth=1
	s_wait_dscnt 0x0
	global_store_b64 v3, v[8:9], s[6:7]
.LBB120_3:                              ;   in Loop: Header=BB120_4 Depth=1
	s_wait_xcnt 0x0
	s_or_b32 exec_lo, exec_lo, s36
	s_add_co_i32 s20, s20, 0x10000
	s_add_co_i32 s15, s15, s35
	s_cmp_lt_u32 s20, s30
	s_cbranch_scc0 .LBB120_21
.LBB120_4:                              ; =>This Loop Header: Depth=1
                                        ;     Child Loop BB120_14 Depth 2
	s_mul_u64 s[6:7], s[10:11], s[20:21]
	s_wait_dscnt 0x0
	v_mov_b64_e32 v[8:9], 0
	s_lshl_b64 s[6:7], s[6:7], 3
	s_delay_alu instid0(SALU_CYCLE_1)
	s_add_nc_u64 s[6:7], s[8:9], s[6:7]
	global_load_b64 v[6:7], v3, s[6:7]
	s_wait_xcnt 0x0
	s_and_saveexec_b32 s6, s1
	s_cbranch_execnz .LBB120_13
; %bb.5:                                ;   in Loop: Header=BB120_4 Depth=1
	s_or_b32 exec_lo, exec_lo, s6
	s_and_saveexec_b32 s6, s2
	s_cbranch_execnz .LBB120_16
.LBB120_6:                              ;   in Loop: Header=BB120_4 Depth=1
	s_or_b32 exec_lo, exec_lo, s6
	s_and_saveexec_b32 s6, s0
.LBB120_7:                              ;   in Loop: Header=BB120_4 Depth=1
	ds_store_b64 v13, v[4:5]
.LBB120_8:                              ;   in Loop: Header=BB120_4 Depth=1
	s_or_b32 exec_lo, exec_lo, s6
	ds_bpermute_b32 v10, v14, v8
	ds_bpermute_b32 v11, v14, v9
	s_wait_loadcnt_dscnt 0x0
	s_barrier_signal -1
	s_barrier_wait -1
	v_pk_add_f32 v[8:9], v[8:9], v[10:11]
	ds_bpermute_b32 v10, v15, v8
	ds_bpermute_b32 v11, v15, v9
	s_wait_dscnt 0x0
	v_pk_add_f32 v[8:9], v[8:9], v[10:11]
	ds_bpermute_b32 v10, v16, v8
	ds_bpermute_b32 v11, v16, v9
	s_wait_dscnt 0x0
	;; [unrolled: 4-line block ×3, first 2 shown]
	v_pk_add_f32 v[8:9], v[8:9], v[10:11]
	ds_bpermute_b32 v10, v18, v8
	ds_bpermute_b32 v11, v18, v9
	s_and_saveexec_b32 s6, s3
	s_cbranch_execz .LBB120_10
; %bb.9:                                ;   in Loop: Header=BB120_4 Depth=1
	s_wait_dscnt 0x0
	v_pk_add_f32 v[8:9], v[8:9], v[10:11]
	ds_store_b64 v19, v[8:9]
.LBB120_10:                             ;   in Loop: Header=BB120_4 Depth=1
	s_or_b32 exec_lo, exec_lo, s6
	v_mov_b64_e32 v[8:9], 0
	s_wait_dscnt 0x0
	s_barrier_signal -1
	s_barrier_wait -1
	s_and_saveexec_b32 s6, s4
	s_cbranch_execnz .LBB120_17
; %bb.11:                               ;   in Loop: Header=BB120_4 Depth=1
	s_or_b32 exec_lo, exec_lo, s6
	s_and_saveexec_b32 s6, s0
	s_cbranch_execnz .LBB120_18
.LBB120_12:                             ;   in Loop: Header=BB120_4 Depth=1
	s_or_b32 exec_lo, exec_lo, s6
	s_and_saveexec_b32 s36, s5
	s_cbranch_execz .LBB120_3
	s_branch .LBB120_19
.LBB120_13:                             ;   in Loop: Header=BB120_4 Depth=1
	v_mad_nc_u64_u32 v[10:11], s24, s15, v[0:1]
	v_dual_mov_b32 v8, 0 :: v_dual_mov_b32 v20, v12
	s_mov_b32 s7, 0
	s_delay_alu instid0(VALU_DEP_1) | instskip(NEXT) | instid1(VALU_DEP_3)
	v_mov_b32_e32 v9, v8
	v_mad_u32 v11, s25, s15, v11
.LBB120_14:                             ;   Parent Loop BB120_4 Depth=1
                                        ; =>  This Inner Loop Header: Depth=2
	s_clause 0x3
	global_load_b128 v[22:25], v[10:11], off
	global_load_b128 v[26:29], v[10:11], off offset:16
	global_load_b128 v[30:33], v[10:11], off offset:32
	;; [unrolled: 1-line block ×3, first 2 shown]
	v_add_nc_u32_e32 v20, s34, v20
	s_wait_xcnt 0x0
	v_add_nc_u64_e32 v[10:11], s[26:27], v[10:11]
	s_delay_alu instid0(VALU_DEP_2) | instskip(SKIP_3) | instid1(VALU_DEP_1)
	v_cmp_le_i32_e32 vcc_lo, s33, v20
	s_or_b32 s7, vcc_lo, s7
	s_wait_loadcnt 0x3
	v_pk_add_f32 v[8:9], v[8:9], v[22:23]
	v_pk_add_f32 v[8:9], v[8:9], v[24:25]
	s_wait_loadcnt 0x2
	s_delay_alu instid0(VALU_DEP_1) | instskip(NEXT) | instid1(VALU_DEP_1)
	v_pk_add_f32 v[8:9], v[8:9], v[26:27]
	v_pk_add_f32 v[8:9], v[8:9], v[28:29]
	s_wait_loadcnt 0x1
	s_delay_alu instid0(VALU_DEP_1) | instskip(NEXT) | instid1(VALU_DEP_1)
	;; [unrolled: 4-line block ×3, first 2 shown]
	v_pk_add_f32 v[8:9], v[8:9], v[34:35]
	v_pk_add_f32 v[8:9], v[8:9], v[36:37]
	s_and_not1_b32 exec_lo, exec_lo, s7
	s_cbranch_execnz .LBB120_14
; %bb.15:                               ;   in Loop: Header=BB120_4 Depth=1
	s_or_b32 exec_lo, exec_lo, s7
	s_delay_alu instid0(SALU_CYCLE_1)
	s_or_b32 exec_lo, exec_lo, s6
	s_and_saveexec_b32 s6, s2
	s_cbranch_execz .LBB120_6
.LBB120_16:                             ;   in Loop: Header=BB120_4 Depth=1
	s_mul_i32 s7, s31, s20
	s_mov_b32 s37, s21
	s_add_co_i32 s36, s7, s14
	s_delay_alu instid0(SALU_CYCLE_1) | instskip(NEXT) | instid1(SALU_CYCLE_1)
	s_mul_u64 s[36:37], s[36:37], s[22:23]
	s_lshl_b64 s[36:37], s[36:37], 3
	s_delay_alu instid0(SALU_CYCLE_1) | instskip(NEXT) | instid1(SALU_CYCLE_1)
	s_add_nc_u64 s[36:37], s[18:19], s[36:37]
	v_lshl_add_u64 v[10:11], v[2:3], 3, s[36:37]
	global_load_b64 v[10:11], v[10:11], off
	s_wait_loadcnt 0x0
	v_pk_add_f32 v[8:9], v[8:9], v[10:11]
	s_wait_xcnt 0x0
	s_or_b32 exec_lo, exec_lo, s6
	s_and_saveexec_b32 s6, s0
	s_cbranch_execnz .LBB120_7
	s_branch .LBB120_8
.LBB120_17:                             ;   in Loop: Header=BB120_4 Depth=1
	ds_load_b64 v[8:9], v13
	s_or_b32 exec_lo, exec_lo, s6
	s_and_saveexec_b32 s6, s0
	s_cbranch_execz .LBB120_12
.LBB120_18:                             ;   in Loop: Header=BB120_4 Depth=1
	s_wait_dscnt 0x0
	ds_bpermute_b32 v10, v16, v8
	ds_bpermute_b32 v11, v16, v9
	s_wait_dscnt 0x0
	v_pk_add_f32 v[8:9], v[8:9], v[10:11]
	ds_bpermute_b32 v10, v17, v8
	ds_bpermute_b32 v11, v17, v9
	s_wait_dscnt 0x0
	v_pk_add_f32 v[8:9], v[8:9], v[10:11]
	;; [unrolled: 4-line block ×3, first 2 shown]
	s_or_b32 exec_lo, exec_lo, s6
	s_and_saveexec_b32 s36, s5
	s_cbranch_execz .LBB120_3
.LBB120_19:                             ;   in Loop: Header=BB120_4 Depth=1
	v_cmp_neq_f32_e32 vcc_lo, 0, v6
	v_cmp_neq_f32_e64 s6, 0, v7
	s_or_b32 s37, vcc_lo, s6
	s_mul_u64 s[6:7], s[16:17], s[20:21]
	s_and_not1_b32 vcc_lo, exec_lo, s37
	s_lshl_b64 s[6:7], s[6:7], 3
	s_delay_alu instid0(SALU_CYCLE_1) | instskip(NEXT) | instid1(SALU_CYCLE_1)
	s_add_nc_u64 s[6:7], s[12:13], s[6:7]
	s_add_nc_u64 s[6:7], s[6:7], s[28:29]
	s_cbranch_vccnz .LBB120_2
; %bb.20:                               ;   in Loop: Header=BB120_4 Depth=1
	global_load_b64 v[10:11], v3, s[6:7]
	s_wait_loadcnt 0x0
	v_pk_mul_f32 v[20:21], v[6:7], v[10:11] op_sel:[1,1] op_sel_hi:[0,1]
	s_delay_alu instid0(VALU_DEP_1) | instskip(SKIP_1) | instid1(VALU_DEP_2)
	v_pk_fma_f32 v[22:23], v[6:7], v[10:11], v[20:21] op_sel_hi:[1,0,1]
	v_pk_fma_f32 v[6:7], v[6:7], v[10:11], v[20:21] neg_lo:[0,0,1] neg_hi:[0,0,1]
	v_mov_b32_e32 v7, v23
	s_wait_dscnt 0x0
	s_delay_alu instid0(VALU_DEP_1)
	v_pk_add_f32 v[8:9], v[8:9], v[6:7]
	s_branch .LBB120_2
.LBB120_21:
	s_endpgm
	.section	.rodata,"a",@progbits
	.p2align	6, 0x0
	.amdhsa_kernel _ZL23rocblas_gemvt_sn_reduceILi256ELi8E19rocblas_complex_numIfEPKS1_S1_EviT2_lPT3_lilPT1_i
		.amdhsa_group_segment_fixed_size 256
		.amdhsa_private_segment_fixed_size 0
		.amdhsa_kernarg_size 328
		.amdhsa_user_sgpr_count 2
		.amdhsa_user_sgpr_dispatch_ptr 0
		.amdhsa_user_sgpr_queue_ptr 0
		.amdhsa_user_sgpr_kernarg_segment_ptr 1
		.amdhsa_user_sgpr_dispatch_id 0
		.amdhsa_user_sgpr_kernarg_preload_length 0
		.amdhsa_user_sgpr_kernarg_preload_offset 0
		.amdhsa_user_sgpr_private_segment_size 0
		.amdhsa_wavefront_size32 1
		.amdhsa_uses_dynamic_stack 0
		.amdhsa_enable_private_segment 0
		.amdhsa_system_sgpr_workgroup_id_x 1
		.amdhsa_system_sgpr_workgroup_id_y 1
		.amdhsa_system_sgpr_workgroup_id_z 1
		.amdhsa_system_sgpr_workgroup_info 0
		.amdhsa_system_vgpr_workitem_id 0
		.amdhsa_next_free_vgpr 38
		.amdhsa_next_free_sgpr 38
		.amdhsa_named_barrier_count 0
		.amdhsa_reserve_vcc 1
		.amdhsa_float_round_mode_32 0
		.amdhsa_float_round_mode_16_64 0
		.amdhsa_float_denorm_mode_32 3
		.amdhsa_float_denorm_mode_16_64 3
		.amdhsa_fp16_overflow 0
		.amdhsa_memory_ordered 1
		.amdhsa_forward_progress 1
		.amdhsa_inst_pref_size 11
		.amdhsa_round_robin_scheduling 0
		.amdhsa_exception_fp_ieee_invalid_op 0
		.amdhsa_exception_fp_denorm_src 0
		.amdhsa_exception_fp_ieee_div_zero 0
		.amdhsa_exception_fp_ieee_overflow 0
		.amdhsa_exception_fp_ieee_underflow 0
		.amdhsa_exception_fp_ieee_inexact 0
		.amdhsa_exception_int_div_zero 0
	.end_amdhsa_kernel
	.section	.text._ZL23rocblas_gemvt_sn_reduceILi256ELi8E19rocblas_complex_numIfEPKS1_S1_EviT2_lPT3_lilPT1_i,"axG",@progbits,_ZL23rocblas_gemvt_sn_reduceILi256ELi8E19rocblas_complex_numIfEPKS1_S1_EviT2_lPT3_lilPT1_i,comdat
.Lfunc_end120:
	.size	_ZL23rocblas_gemvt_sn_reduceILi256ELi8E19rocblas_complex_numIfEPKS1_S1_EviT2_lPT3_lilPT1_i, .Lfunc_end120-_ZL23rocblas_gemvt_sn_reduceILi256ELi8E19rocblas_complex_numIfEPKS1_S1_EviT2_lPT3_lilPT1_i
                                        ; -- End function
	.set _ZL23rocblas_gemvt_sn_reduceILi256ELi8E19rocblas_complex_numIfEPKS1_S1_EviT2_lPT3_lilPT1_i.num_vgpr, 38
	.set _ZL23rocblas_gemvt_sn_reduceILi256ELi8E19rocblas_complex_numIfEPKS1_S1_EviT2_lPT3_lilPT1_i.num_agpr, 0
	.set _ZL23rocblas_gemvt_sn_reduceILi256ELi8E19rocblas_complex_numIfEPKS1_S1_EviT2_lPT3_lilPT1_i.numbered_sgpr, 38
	.set _ZL23rocblas_gemvt_sn_reduceILi256ELi8E19rocblas_complex_numIfEPKS1_S1_EviT2_lPT3_lilPT1_i.num_named_barrier, 0
	.set _ZL23rocblas_gemvt_sn_reduceILi256ELi8E19rocblas_complex_numIfEPKS1_S1_EviT2_lPT3_lilPT1_i.private_seg_size, 0
	.set _ZL23rocblas_gemvt_sn_reduceILi256ELi8E19rocblas_complex_numIfEPKS1_S1_EviT2_lPT3_lilPT1_i.uses_vcc, 1
	.set _ZL23rocblas_gemvt_sn_reduceILi256ELi8E19rocblas_complex_numIfEPKS1_S1_EviT2_lPT3_lilPT1_i.uses_flat_scratch, 0
	.set _ZL23rocblas_gemvt_sn_reduceILi256ELi8E19rocblas_complex_numIfEPKS1_S1_EviT2_lPT3_lilPT1_i.has_dyn_sized_stack, 0
	.set _ZL23rocblas_gemvt_sn_reduceILi256ELi8E19rocblas_complex_numIfEPKS1_S1_EviT2_lPT3_lilPT1_i.has_recursion, 0
	.set _ZL23rocblas_gemvt_sn_reduceILi256ELi8E19rocblas_complex_numIfEPKS1_S1_EviT2_lPT3_lilPT1_i.has_indirect_call, 0
	.section	.AMDGPU.csdata,"",@progbits
; Kernel info:
; codeLenInByte = 1352
; TotalNumSgprs: 40
; NumVgprs: 38
; ScratchSize: 0
; MemoryBound: 0
; FloatMode: 240
; IeeeMode: 1
; LDSByteSize: 256 bytes/workgroup (compile time only)
; SGPRBlocks: 0
; VGPRBlocks: 2
; NumSGPRsForWavesPerEU: 40
; NumVGPRsForWavesPerEU: 38
; NamedBarCnt: 0
; Occupancy: 16
; WaveLimiterHint : 0
; COMPUTE_PGM_RSRC2:SCRATCH_EN: 0
; COMPUTE_PGM_RSRC2:USER_SGPR: 2
; COMPUTE_PGM_RSRC2:TRAP_HANDLER: 0
; COMPUTE_PGM_RSRC2:TGID_X_EN: 1
; COMPUTE_PGM_RSRC2:TGID_Y_EN: 1
; COMPUTE_PGM_RSRC2:TGID_Z_EN: 1
; COMPUTE_PGM_RSRC2:TIDIG_COMP_CNT: 0
	.section	.text._ZL23rocblas_gemvt_sn_kernelILb0ELi256ELi4Ei19rocblas_complex_numIfES1_S1_EviiT4_lPKT3_lilS5_lilPT5_i,"axG",@progbits,_ZL23rocblas_gemvt_sn_kernelILb0ELi256ELi4Ei19rocblas_complex_numIfES1_S1_EviiT4_lPKT3_lilS5_lilPT5_i,comdat
	.globl	_ZL23rocblas_gemvt_sn_kernelILb0ELi256ELi4Ei19rocblas_complex_numIfES1_S1_EviiT4_lPKT3_lilS5_lilPT5_i ; -- Begin function _ZL23rocblas_gemvt_sn_kernelILb0ELi256ELi4Ei19rocblas_complex_numIfES1_S1_EviiT4_lPKT3_lilS5_lilPT5_i
	.p2align	8
	.type	_ZL23rocblas_gemvt_sn_kernelILb0ELi256ELi4Ei19rocblas_complex_numIfES1_S1_EviiT4_lPKT3_lilS5_lilPT5_i,@function
_ZL23rocblas_gemvt_sn_kernelILb0ELi256ELi4Ei19rocblas_complex_numIfES1_S1_EviiT4_lPKT3_lilS5_lilPT5_i: ; @_ZL23rocblas_gemvt_sn_kernelILb0ELi256ELi4Ei19rocblas_complex_numIfES1_S1_EviiT4_lPKT3_lilS5_lilPT5_i
; %bb.0:
	s_load_b32 s11, s[2:3], 0x60
	s_bfe_u32 s4, ttmp6, 0x40014
	s_lshr_b32 s5, ttmp7, 16
	s_add_co_i32 s4, s4, 1
	s_bfe_u32 s6, ttmp6, 0x40008
	s_mul_i32 s4, s5, s4
	s_getreg_b32 s25, hwreg(HW_REG_IB_STS2, 6, 4)
	s_add_co_i32 s6, s6, s4
	s_cmp_eq_u32 s25, 0
	s_mov_b32 s27, 0
	s_cselect_b32 s24, s5, s6
	s_wait_kmcnt 0x0
	s_cmp_ge_u32 s24, s11
	s_cbranch_scc1 .LBB121_84
; %bb.1:
	s_load_b64 s[34:35], s[0:1], 0x4
	s_clause 0x6
	s_load_b96 s[8:10], s[2:3], 0x40
	s_load_b128 s[4:7], s[2:3], 0x18
	s_load_b128 s[12:15], s[2:3], 0x0
	s_load_b32 s33, s[2:3], 0x28
	s_load_b128 s[16:19], s[2:3], 0x30
	s_load_b128 s[20:23], s[2:3], 0x50
	s_load_b32 s28, s[2:3], 0x68
	v_and_b32_e32 v1, 0x3ff, v0
	v_bfe_u32 v2, v0, 10, 10
	v_bfe_u32 v3, v0, 20, 10
	v_mbcnt_lo_u32_b32 v37, -1, 0
	v_mov_b64_e32 v[14:15], 0
	s_wait_xcnt 0x0
	v_cmp_eq_u32_e64 s0, 0, v1
	s_mov_b32 s31, s27
	s_mov_b32 s29, s27
	v_lshl_or_b32 v39, v37, 2, 64
	v_mov_b32_e32 v38, 0
	s_wait_kmcnt 0x0
	s_lshr_b32 s1, s34, 16
	s_lshl_b64 s[2:3], s[8:9], 3
	s_lshl_b64 s[8:9], s[6:7], 3
	s_or_b32 s6, s14, s15
	s_ashr_i32 s7, s13, 31
	s_and_b32 s26, s6, 0x7fffffff
	s_mul_i32 s1, s1, s35
	s_cmp_eq_u32 s26, 0
	s_add_nc_u64 s[18:19], s[18:19], s[2:3]
	s_cselect_b32 s56, -1, 0
	s_cmp_gt_i32 s13, 0
	v_mul_lo_u32 v4, s1, v1
	s_cselect_b32 s2, -1, 0
	s_bfe_u32 s3, ttmp6, 0x4000c
	s_and_b32 s1, ttmp6, 15
	s_add_co_i32 s3, s3, 1
	s_and_b32 s57, s0, s2
	s_mul_i32 s3, ttmp9, s3
	v_mul_u32_u24_e32 v2, s35, v2
	s_add_co_i32 s1, s1, s3
	s_cmp_eq_u32 s25, 0
	s_add_nc_u64 s[2:3], s[4:5], s[8:9]
	s_cselect_b32 s30, ttmp9, s1
	v_add3_u32 v3, v4, v2, v3
	s_lshl_b32 s1, s30, 10
	s_lshr_b32 s4, s7, 30
	v_lshl_or_b32 v2, v1, 2, s1
	s_ashr_i32 s1, s12, 31
	v_lshl_add_u32 v34, v3, 5, 0x100
	s_lshr_b32 s1, s1, 30
	s_add_co_i32 s4, s13, s4
	s_add_co_i32 s1, s12, s1
	v_mul_lo_u32 v4, s10, v2
	s_and_b32 s1, s1, -4
	v_dual_ashrrev_i32 v3, 31, v2 :: v_dual_add_nc_u32 v5, 4, v2
	s_sub_co_i32 s59, s12, s1
	s_and_b32 s58, s4, -4
	v_add_nc_u32_e32 v8, s59, v2
	s_cmp_gt_i32 s58, 0
	v_lshl_add_u64 v[6:7], v[2:3], 3, s[2:3]
	v_and_b32_e32 v2, 31, v0
	s_cselect_b32 s60, -1, 0
	v_cmp_ge_i32_e64 s2, s12, v8
	v_add_nc_u32_e32 v8, s10, v4
	s_cmp_gt_i32 s59, 0
	v_cmp_ge_i32_e64 s1, s12, v5
	s_cselect_b32 s12, -1, 0
	v_ashrrev_i32_e32 v5, 31, v4
	v_dual_add_nc_u32 v10, s10, v8 :: v_dual_ashrrev_i32 v9, 31, v8
	s_and_b32 s61, s12, s2
	s_cmp_gt_u32 s13, 1
	v_dual_lshrrev_b32 v0, 2, v0 :: v_dual_lshlrev_b32 v35, 3, v2
	s_cselect_b32 s8, -1, 0
	s_cmp_eq_u32 s28, 1
	v_add_nc_u32_e32 v12, s10, v10
	s_cselect_b32 s9, -1, 0
	s_and_b32 s62, s13, 0x7ffffffe
	s_and_b32 s63, s8, s9
	s_cmp_lg_u32 s13, s62
	v_cmp_gt_u32_e64 s3, 32, v1
	v_cmp_eq_u32_e64 s4, 0, v2
	v_cmp_gt_u32_e64 s5, 8, v1
	v_dual_ashrrev_i32 v11, 31, v10 :: v_dual_bitop2_b32 v36, 56, v0 bitop3:0x40
	v_ashrrev_i32_e32 v13, 31, v12
	s_mov_b32 s6, s13
	s_cselect_b32 s64, -1, 0
	s_lshl_b64 s[38:39], s[30:31], 3
	s_mul_u64 s[34:35], s[6:7], s[28:29]
	s_mov_b32 s36, s15
	s_mov_b32 s37, s14
	s_add_nc_u64 s[40:41], s[22:23], s[38:39]
	s_lshl_b64 s[42:43], s[6:7], 3
	s_lshl_b64 s[44:45], s[28:29], 3
	s_lshl_b32 s31, s33, 2
	s_lshl_b32 s65, s33, 1
	s_mul_i32 s66, s33, 3
	s_lshl_b64 s[46:47], s[16:17], 3
	s_branch .LBB121_3
.LBB121_2:                              ;   in Loop: Header=BB121_3 Depth=1
	s_add_co_i32 s24, s24, 0x10000
	s_delay_alu instid0(SALU_CYCLE_1)
	s_cmp_lt_u32 s24, s11
	s_cbranch_scc0 .LBB121_84
.LBB121_3:                              ; =>This Loop Header: Depth=1
                                        ;     Child Loop BB121_7 Depth 2
                                        ;     Child Loop BB121_11 Depth 2
	;; [unrolled: 1-line block ×3, first 2 shown]
                                        ;       Child Loop BB121_47 Depth 3
                                        ;       Child Loop BB121_49 Depth 3
                                        ;     Child Loop BB121_65 Depth 2
                                        ;       Child Loop BB121_77 Depth 3
                                        ;       Child Loop BB121_79 Depth 3
	s_mov_b32 s25, s27
	s_and_not1_b32 vcc_lo, exec_lo, s56
	s_mul_u64 s[6:7], s[34:35], s[24:25]
	s_delay_alu instid0(SALU_CYCLE_1) | instskip(NEXT) | instid1(SALU_CYCLE_1)
	s_lshl_b64 s[6:7], s[6:7], 3
	s_add_nc_u64 s[50:51], s[22:23], s[6:7]
	s_mov_b32 s6, -1
	s_cbranch_vccnz .LBB121_13
; %bb.4:                                ;   in Loop: Header=BB121_3 Depth=1
	s_and_saveexec_b32 s52, s57
	s_cbranch_execz .LBB121_12
; %bb.5:                                ;   in Loop: Header=BB121_3 Depth=1
	s_and_not1_b32 vcc_lo, exec_lo, s63
	s_cbranch_vccnz .LBB121_9
; %bb.6:                                ;   in Loop: Header=BB121_3 Depth=1
	s_add_nc_u64 s[6:7], s[50:51], s[38:39]
	s_mov_b32 s8, 1
	s_mov_b32 s26, 0
	;; [unrolled: 1-line block ×3, first 2 shown]
.LBB121_7:                              ;   Parent Loop BB121_3 Depth=1
                                        ; =>  This Inner Loop Header: Depth=2
	s_mov_b32 s9, s27
	s_wait_xcnt 0x1
	s_lshl_b64 s[54:55], s[26:27], 3
	s_add_co_i32 s49, s49, -2
	s_add_co_i32 s26, s26, 2
	s_wait_xcnt 0x0
	s_lshl_b64 s[68:69], s[8:9], 3
	s_add_co_i32 s8, s8, 2
	s_mov_b32 s48, s62
	s_mov_b32 s53, s64
	s_add_nc_u64 s[54:55], s[6:7], s[54:55]
	s_cmp_lg_u32 s49, 0
	s_add_nc_u64 s[68:69], s[6:7], s[68:69]
	s_clause 0x1
	global_store_b64 v38, v[14:15], s[54:55]
	global_store_b64 v38, v[14:15], s[68:69]
	s_cbranch_scc1 .LBB121_7
; %bb.8:                                ;   in Loop: Header=BB121_3 Depth=1
	s_and_b32 vcc_lo, exec_lo, s53
	s_cbranch_vccnz .LBB121_10
	s_branch .LBB121_12
.LBB121_9:                              ;   in Loop: Header=BB121_3 Depth=1
	s_mov_b32 s48, 0
	s_cbranch_execz .LBB121_12
.LBB121_10:                             ;   in Loop: Header=BB121_3 Depth=1
	s_mov_b32 s49, s27
	s_mul_u64 s[6:7], s[42:43], s[24:25]
	s_lshl_b64 s[8:9], s[48:49], 3
	s_delay_alu instid0(SALU_CYCLE_1) | instskip(SKIP_2) | instid1(SALU_CYCLE_1)
	s_add_nc_u64 s[6:7], s[6:7], s[8:9]
	s_sub_co_i32 s8, s13, s48
	s_mul_u64 s[6:7], s[28:29], s[6:7]
	s_add_nc_u64 s[6:7], s[40:41], s[6:7]
.LBB121_11:                             ;   Parent Loop BB121_3 Depth=1
                                        ; =>  This Inner Loop Header: Depth=2
	s_add_co_i32 s8, s8, -1
	global_store_b64 v38, v[14:15], s[6:7]
	s_cmp_eq_u32 s8, 0
	s_wait_xcnt 0x0
	s_add_nc_u64 s[6:7], s[6:7], s[44:45]
	s_cbranch_scc0 .LBB121_11
.LBB121_12:                             ;   in Loop: Header=BB121_3 Depth=1
	s_wait_xcnt 0x0
	s_or_b32 exec_lo, exec_lo, s52
	s_mov_b32 s6, 0
.LBB121_13:                             ;   in Loop: Header=BB121_3 Depth=1
	s_delay_alu instid0(SALU_CYCLE_1)
	s_and_not1_b32 vcc_lo, exec_lo, s6
	s_cbranch_vccnz .LBB121_2
; %bb.14:                               ;   in Loop: Header=BB121_3 Depth=1
	s_mul_u64 s[6:7], s[20:21], s[24:25]
	s_mul_u64 s[8:9], s[46:47], s[24:25]
	s_lshl_b64 s[6:7], s[6:7], 3
	s_mul_u64 s[52:53], s[16:17], s[24:25]
	s_add_nc_u64 s[48:49], s[18:19], s[6:7]
	v_add_nc_u64_e32 v[26:27], s[8:9], v[6:7]
	v_lshl_add_u64 v[16:17], s[52:53], 3, v[6:7]
	v_lshl_add_u64 v[18:19], v[4:5], 3, s[48:49]
	;; [unrolled: 1-line block ×5, first 2 shown]
	v_cmp_gt_u32_e64 s9, 24, v37
	v_cmp_gt_u32_e64 s8, 28, v37
	;; [unrolled: 1-line block ×3, first 2 shown]
	v_cmp_ne_u32_e64 s6, 31, v37
	s_and_not1_b32 vcc_lo, exec_lo, s60
	s_cbranch_vccnz .LBB121_61
; %bb.15:                               ;   in Loop: Header=BB121_3 Depth=1
	s_wait_dscnt 0x0
	v_cndmask_b32_e64 v0, 0, 8, s9
	v_cndmask_b32_e64 v1, 0, 4, s8
	;; [unrolled: 1-line block ×3, first 2 shown]
	v_add_co_ci_u32_e64 v3, null, 0, v37, s6
	s_delay_alu instid0(VALU_DEP_4) | instskip(NEXT) | instid1(VALU_DEP_4)
	v_add_lshl_u32 v40, v0, v37, 2
	v_add_lshl_u32 v41, v1, v37, 2
	s_delay_alu instid0(VALU_DEP_4) | instskip(NEXT) | instid1(VALU_DEP_4)
	v_add_lshl_u32 v42, v2, v37, 2
	v_lshlrev_b32_e32 v43, 2, v3
	s_mov_b32 s6, 0
	s_mov_b32 s25, s66
	;; [unrolled: 1-line block ×5, first 2 shown]
	s_branch .LBB121_17
.LBB121_16:                             ;   in Loop: Header=BB121_17 Depth=2
	s_wait_xcnt 0x0
	s_or_b32 exec_lo, exec_lo, s7
	s_add_co_i32 s26, s26, 4
	s_add_co_i32 s68, s68, s31
	;; [unrolled: 1-line block ×5, first 2 shown]
	s_cmp_ge_i32 s26, s58
	s_cbranch_scc1 .LBB121_62
.LBB121_17:                             ;   Parent Loop BB121_3 Depth=1
                                        ; =>  This Loop Header: Depth=2
                                        ;       Child Loop BB121_47 Depth 3
                                        ;       Child Loop BB121_49 Depth 3
                                        ; implicit-def: $vgpr31
                                        ; implicit-def: $vgpr29
                                        ; implicit-def: $vgpr1
                                        ; implicit-def: $vgpr3
	s_and_saveexec_b32 s7, s1
	s_delay_alu instid0(SALU_CYCLE_1)
	s_xor_b32 s7, exec_lo, s7
	s_cbranch_execnz .LBB121_44
; %bb.18:                               ;   in Loop: Header=BB121_17 Depth=2
	s_and_not1_saveexec_b32 s69, s7
	s_cbranch_execnz .LBB121_45
.LBB121_19:                             ;   in Loop: Header=BB121_17 Depth=2
	s_or_b32 exec_lo, exec_lo, s69
	s_and_saveexec_b32 s7, s3
.LBB121_20:                             ;   in Loop: Header=BB121_17 Depth=2
	ds_store_b64 v35, v[14:15]
.LBB121_21:                             ;   in Loop: Header=BB121_17 Depth=2
	s_or_b32 exec_lo, exec_lo, s7
	ds_bpermute_b32 v32, v39, v30
	ds_bpermute_b32 v33, v39, v31
	s_wait_storecnt_dscnt 0x0
	s_barrier_signal -1
	s_barrier_wait -1
	v_pk_add_f32 v[30:31], v[30:31], v[32:33]
	ds_bpermute_b32 v32, v40, v30
	ds_bpermute_b32 v33, v40, v31
	s_wait_dscnt 0x0
	v_pk_add_f32 v[30:31], v[30:31], v[32:33]
	ds_bpermute_b32 v32, v41, v30
	ds_bpermute_b32 v33, v41, v31
	s_wait_dscnt 0x0
	v_pk_add_f32 v[30:31], v[30:31], v[32:33]
	ds_bpermute_b32 v32, v42, v30
	ds_bpermute_b32 v33, v42, v31
	s_wait_dscnt 0x0
	v_pk_add_f32 v[30:31], v[30:31], v[32:33]
	ds_bpermute_b32 v32, v43, v30
	ds_bpermute_b32 v33, v43, v31
	s_and_saveexec_b32 s7, s4
	s_cbranch_execz .LBB121_23
; %bb.22:                               ;   in Loop: Header=BB121_17 Depth=2
	s_wait_dscnt 0x0
	v_pk_add_f32 v[30:31], v[30:31], v[32:33]
	ds_store_b64 v36, v[30:31]
.LBB121_23:                             ;   in Loop: Header=BB121_17 Depth=2
	s_or_b32 exec_lo, exec_lo, s7
	v_mov_b64_e32 v[30:31], 0
	s_wait_dscnt 0x0
	s_barrier_signal -1
	s_barrier_wait -1
	s_and_saveexec_b32 s7, s5
	s_cbranch_execnz .LBB121_50
; %bb.24:                               ;   in Loop: Header=BB121_17 Depth=2
	s_or_b32 exec_lo, exec_lo, s7
	s_and_saveexec_b32 s7, s3
	s_cbranch_execnz .LBB121_51
.LBB121_25:                             ;   in Loop: Header=BB121_17 Depth=2
	s_or_b32 exec_lo, exec_lo, s7
	s_and_saveexec_b32 s7, s3
.LBB121_26:                             ;   in Loop: Header=BB121_17 Depth=2
	ds_store_b64 v35, v[14:15]
.LBB121_27:                             ;   in Loop: Header=BB121_17 Depth=2
	s_or_b32 exec_lo, exec_lo, s7
	ds_bpermute_b32 v32, v39, v28
	ds_bpermute_b32 v33, v39, v29
	s_wait_dscnt 0x0
	s_barrier_signal -1
	s_barrier_wait -1
	v_pk_add_f32 v[28:29], v[28:29], v[32:33]
	ds_bpermute_b32 v32, v40, v28
	ds_bpermute_b32 v33, v40, v29
	s_wait_dscnt 0x0
	v_pk_add_f32 v[28:29], v[28:29], v[32:33]
	ds_bpermute_b32 v32, v41, v28
	ds_bpermute_b32 v33, v41, v29
	s_wait_dscnt 0x0
	;; [unrolled: 4-line block ×3, first 2 shown]
	v_pk_add_f32 v[28:29], v[28:29], v[32:33]
	ds_bpermute_b32 v32, v43, v28
	ds_bpermute_b32 v33, v43, v29
	s_and_saveexec_b32 s7, s4
	s_cbranch_execz .LBB121_29
; %bb.28:                               ;   in Loop: Header=BB121_17 Depth=2
	s_wait_dscnt 0x0
	v_pk_add_f32 v[28:29], v[28:29], v[32:33]
	ds_store_b64 v36, v[28:29]
.LBB121_29:                             ;   in Loop: Header=BB121_17 Depth=2
	s_or_b32 exec_lo, exec_lo, s7
	v_mov_b64_e32 v[28:29], 0
	s_wait_dscnt 0x0
	s_barrier_signal -1
	s_barrier_wait -1
	s_and_saveexec_b32 s7, s5
	s_cbranch_execnz .LBB121_52
; %bb.30:                               ;   in Loop: Header=BB121_17 Depth=2
	s_or_b32 exec_lo, exec_lo, s7
	s_and_saveexec_b32 s7, s3
	s_cbranch_execnz .LBB121_53
.LBB121_31:                             ;   in Loop: Header=BB121_17 Depth=2
	s_or_b32 exec_lo, exec_lo, s7
	s_and_saveexec_b32 s7, s3
.LBB121_32:                             ;   in Loop: Header=BB121_17 Depth=2
	ds_store_b64 v35, v[14:15]
.LBB121_33:                             ;   in Loop: Header=BB121_17 Depth=2
	s_or_b32 exec_lo, exec_lo, s7
	ds_bpermute_b32 v32, v39, v0
	ds_bpermute_b32 v33, v39, v1
	s_wait_dscnt 0x0
	s_barrier_signal -1
	s_barrier_wait -1
	v_pk_add_f32 v[0:1], v[0:1], v[32:33]
	ds_bpermute_b32 v32, v40, v0
	ds_bpermute_b32 v33, v40, v1
	s_wait_dscnt 0x0
	v_pk_add_f32 v[0:1], v[0:1], v[32:33]
	ds_bpermute_b32 v32, v41, v0
	ds_bpermute_b32 v33, v41, v1
	s_wait_dscnt 0x0
	;; [unrolled: 4-line block ×3, first 2 shown]
	v_pk_add_f32 v[0:1], v[0:1], v[32:33]
	ds_bpermute_b32 v32, v43, v0
	ds_bpermute_b32 v33, v43, v1
	s_and_saveexec_b32 s7, s4
	s_cbranch_execz .LBB121_35
; %bb.34:                               ;   in Loop: Header=BB121_17 Depth=2
	s_wait_dscnt 0x0
	v_pk_add_f32 v[0:1], v[0:1], v[32:33]
	ds_store_b64 v36, v[0:1]
.LBB121_35:                             ;   in Loop: Header=BB121_17 Depth=2
	s_or_b32 exec_lo, exec_lo, s7
	v_mov_b64_e32 v[0:1], 0
	s_wait_dscnt 0x0
	s_barrier_signal -1
	s_barrier_wait -1
	s_and_saveexec_b32 s7, s5
	s_cbranch_execnz .LBB121_54
; %bb.36:                               ;   in Loop: Header=BB121_17 Depth=2
	s_or_b32 exec_lo, exec_lo, s7
	s_and_saveexec_b32 s7, s3
	s_cbranch_execnz .LBB121_55
.LBB121_37:                             ;   in Loop: Header=BB121_17 Depth=2
	s_or_b32 exec_lo, exec_lo, s7
	s_and_saveexec_b32 s7, s3
.LBB121_38:                             ;   in Loop: Header=BB121_17 Depth=2
	ds_store_b64 v35, v[14:15]
.LBB121_39:                             ;   in Loop: Header=BB121_17 Depth=2
	s_or_b32 exec_lo, exec_lo, s7
	ds_bpermute_b32 v32, v39, v2
	ds_bpermute_b32 v33, v39, v3
	s_wait_dscnt 0x0
	s_barrier_signal -1
	s_barrier_wait -1
	v_pk_add_f32 v[2:3], v[2:3], v[32:33]
	ds_bpermute_b32 v32, v40, v2
	ds_bpermute_b32 v33, v40, v3
	s_wait_dscnt 0x0
	v_pk_add_f32 v[2:3], v[2:3], v[32:33]
	ds_bpermute_b32 v32, v41, v2
	ds_bpermute_b32 v33, v41, v3
	s_wait_dscnt 0x0
	;; [unrolled: 4-line block ×3, first 2 shown]
	v_pk_add_f32 v[2:3], v[2:3], v[32:33]
	ds_bpermute_b32 v32, v43, v2
	ds_bpermute_b32 v33, v43, v3
	s_and_saveexec_b32 s7, s4
	s_cbranch_execz .LBB121_41
; %bb.40:                               ;   in Loop: Header=BB121_17 Depth=2
	s_wait_dscnt 0x0
	v_pk_add_f32 v[2:3], v[2:3], v[32:33]
	ds_store_b64 v36, v[2:3]
.LBB121_41:                             ;   in Loop: Header=BB121_17 Depth=2
	s_or_b32 exec_lo, exec_lo, s7
	v_mov_b64_e32 v[2:3], 0
	s_wait_dscnt 0x0
	s_barrier_signal -1
	s_barrier_wait -1
	s_and_saveexec_b32 s7, s5
	s_cbranch_execnz .LBB121_56
; %bb.42:                               ;   in Loop: Header=BB121_17 Depth=2
	s_or_b32 exec_lo, exec_lo, s7
	s_and_saveexec_b32 s7, s3
	s_cbranch_execnz .LBB121_57
.LBB121_43:                             ;   in Loop: Header=BB121_17 Depth=2
	s_or_b32 exec_lo, exec_lo, s7
	s_and_saveexec_b32 s7, s0
	s_cbranch_execz .LBB121_16
	s_branch .LBB121_58
.LBB121_44:                             ;   in Loop: Header=BB121_17 Depth=2
	s_clause 0x1
	global_load_b64 v[30:31], v[18:19], off
	global_load_b64 v[32:33], v[20:21], off
	s_mul_i32 s8, s26, s33
	s_delay_alu instid0(SALU_CYCLE_1) | instskip(NEXT) | instid1(SALU_CYCLE_1)
	s_ashr_i32 s9, s8, 31
	v_lshl_add_u64 v[28:29], s[8:9], 3, v[16:17]
	s_add_co_i32 s8, s8, s33
	s_delay_alu instid0(SALU_CYCLE_1)
	s_ashr_i32 s9, s8, 31
	s_wait_loadcnt 0x0
	ds_store_b128 v34, v[30:33]
	global_load_b64 v[0:1], v[22:23], off
	s_wait_dscnt 0x1
	global_load_b64 v[2:3], v[24:25], off
	global_load_b128 v[44:47], v[28:29], off
	s_wait_loadcnt 0x1
	ds_store_b128 v34, v[0:3] offset:16
	s_wait_loadcnt 0x0
	v_dual_mul_f32 v48, v31, v45 :: v_dual_mul_f32 v73, v30, v45
	s_delay_alu instid0(VALU_DEP_1) | instskip(SKIP_2) | instid1(SALU_CYCLE_1)
	v_dual_fma_f32 v72, v30, v44, -v48 :: v_dual_fmac_f32 v73, v31, v44
	v_lshl_add_u64 v[44:45], s[8:9], 3, v[16:17]
	s_add_co_i32 s8, s8, s33
	s_ashr_i32 s9, s8, 31
	global_load_b128 v[48:51], v[44:45], off
	s_wait_loadcnt 0x0
	v_dual_mul_f32 v52, v31, v49 :: v_dual_mul_f32 v75, v30, v49
	s_delay_alu instid0(VALU_DEP_1) | instskip(SKIP_2) | instid1(SALU_CYCLE_1)
	v_dual_fma_f32 v74, v30, v48, -v52 :: v_dual_fmac_f32 v75, v31, v48
	v_lshl_add_u64 v[48:49], s[8:9], 3, v[16:17]
	s_add_co_i32 s8, s8, s33
	s_ashr_i32 s9, s8, 31
	global_load_b128 v[52:55], v[48:49], off
	s_wait_loadcnt 0x0
	v_dual_mul_f32 v56, v31, v53 :: v_dual_mul_f32 v77, v30, v53
	s_delay_alu instid0(VALU_DEP_1) | instskip(SKIP_4) | instid1(VALU_DEP_1)
	v_dual_fma_f32 v76, v30, v52, -v56 :: v_dual_fmac_f32 v77, v31, v52
	v_lshl_add_u64 v[52:53], s[8:9], 3, v[16:17]
	global_load_b128 v[56:59], v[52:53], off
	s_wait_loadcnt 0x0
	v_dual_mul_f32 v60, v31, v57 :: v_dual_mul_f32 v79, v30, v57
	v_dual_fma_f32 v78, v30, v56, -v60 :: v_dual_fmac_f32 v79, v31, v56
	s_clause 0x3
	global_load_b128 v[28:31], v[28:29], off offset:16
	global_load_b128 v[60:63], v[44:45], off offset:16
	;; [unrolled: 1-line block ×4, first 2 shown]
	s_wait_xcnt 0x1
	v_pk_mul_f32 v[48:49], v[32:33], v[58:59] op_sel:[1,0]
	v_pk_add_f32 v[44:45], v[78:79], 0 op_sel_hi:[1,0]
	s_wait_xcnt 0x0
	s_delay_alu instid0(VALU_DEP_2) | instskip(SKIP_1) | instid1(VALU_DEP_1)
	v_pk_fma_f32 v[52:53], v[32:33], v[58:59], v[48:49] op_sel:[0,0,1] op_sel_hi:[1,1,0] neg_lo:[0,0,1] neg_hi:[0,0,1]
	v_pk_fma_f32 v[48:49], v[32:33], v[58:59], v[48:49] op_sel:[0,0,1] op_sel_hi:[0,1,0]
	v_mov_b32_e32 v53, v49
	s_delay_alu instid0(VALU_DEP_1) | instskip(SKIP_2) | instid1(VALU_DEP_1)
	v_pk_add_f32 v[44:45], v[44:45], v[52:53]
	s_wait_loadcnt 0x0
	v_pk_mul_f32 v[48:49], v[0:1], v[68:69] op_sel:[1,1] op_sel_hi:[0,1]
	v_pk_fma_f32 v[52:53], v[0:1], v[68:69], v[48:49] neg_lo:[0,0,1] neg_hi:[0,0,1]
	v_pk_fma_f32 v[48:49], v[0:1], v[68:69], v[48:49] op_sel_hi:[1,0,1]
	s_delay_alu instid0(VALU_DEP_1) | instskip(SKIP_1) | instid1(VALU_DEP_2)
	v_mov_b32_e32 v53, v49
	v_pk_add_f32 v[48:49], v[72:73], 0 op_sel_hi:[1,0]
	v_pk_add_f32 v[44:45], v[44:45], v[52:53]
	v_pk_mul_f32 v[52:53], v[32:33], v[46:47] op_sel:[1,0]
	s_delay_alu instid0(VALU_DEP_1) | instskip(SKIP_1) | instid1(VALU_DEP_1)
	v_pk_fma_f32 v[56:57], v[32:33], v[46:47], v[52:53] op_sel:[0,0,1] op_sel_hi:[1,1,0] neg_lo:[0,0,1] neg_hi:[0,0,1]
	v_pk_fma_f32 v[46:47], v[32:33], v[46:47], v[52:53] op_sel:[0,0,1] op_sel_hi:[0,1,0]
	v_mov_b32_e32 v57, v47
	s_delay_alu instid0(VALU_DEP_1) | instskip(SKIP_1) | instid1(VALU_DEP_1)
	v_pk_add_f32 v[46:47], v[48:49], v[56:57]
	v_pk_mul_f32 v[48:49], v[0:1], v[28:29] op_sel:[1,1] op_sel_hi:[0,1]
	v_pk_fma_f32 v[52:53], v[0:1], v[28:29], v[48:49] neg_lo:[0,0,1] neg_hi:[0,0,1]
	v_pk_fma_f32 v[28:29], v[0:1], v[28:29], v[48:49] op_sel_hi:[1,0,1]
	s_delay_alu instid0(VALU_DEP_1) | instskip(NEXT) | instid1(VALU_DEP_1)
	v_mov_b32_e32 v53, v29
	v_pk_add_f32 v[28:29], v[46:47], v[52:53]
	v_mov_b32_e32 v46, v31
	s_delay_alu instid0(VALU_DEP_1) | instskip(NEXT) | instid1(VALU_DEP_1)
	v_pk_mul_f32 v[46:47], v[2:3], v[46:47] op_sel:[1,0] op_sel_hi:[0,0]
	v_pk_fma_f32 v[48:49], v[2:3], v[30:31], v[46:47] neg_lo:[0,0,1] neg_hi:[0,0,1]
	v_pk_fma_f32 v[30:31], v[2:3], v[30:31], v[46:47] op_sel_hi:[1,0,1]
	v_pk_mul_f32 v[46:47], v[32:33], v[50:51] op_sel:[1,0]
	s_delay_alu instid0(VALU_DEP_2) | instskip(NEXT) | instid1(VALU_DEP_1)
	v_mov_b32_e32 v49, v31
	v_pk_add_f32 v[30:31], v[28:29], v[48:49]
	s_delay_alu instid0(VALU_DEP_3) | instskip(SKIP_2) | instid1(VALU_DEP_2)
	v_pk_fma_f32 v[48:49], v[32:33], v[50:51], v[46:47] op_sel:[0,0,1] op_sel_hi:[1,1,0] neg_lo:[0,0,1] neg_hi:[0,0,1]
	v_pk_fma_f32 v[46:47], v[32:33], v[50:51], v[46:47] op_sel:[0,0,1] op_sel_hi:[0,1,0]
	v_pk_add_f32 v[28:29], v[74:75], 0 op_sel_hi:[1,0]
	v_mov_b32_e32 v49, v47
	v_pk_mul_f32 v[46:47], v[0:1], v[60:61] op_sel:[1,1] op_sel_hi:[0,1]
	s_delay_alu instid0(VALU_DEP_2) | instskip(NEXT) | instid1(VALU_DEP_2)
	v_pk_add_f32 v[28:29], v[28:29], v[48:49]
	v_pk_fma_f32 v[48:49], v[0:1], v[60:61], v[46:47] neg_lo:[0,0,1] neg_hi:[0,0,1]
	v_pk_fma_f32 v[46:47], v[0:1], v[60:61], v[46:47] op_sel_hi:[1,0,1]
	s_delay_alu instid0(VALU_DEP_1) | instskip(NEXT) | instid1(VALU_DEP_1)
	v_dual_mov_b32 v46, v63 :: v_dual_mov_b32 v49, v47
	v_pk_mul_f32 v[46:47], v[2:3], v[46:47] op_sel:[1,0] op_sel_hi:[0,0]
	s_delay_alu instid0(VALU_DEP_2) | instskip(NEXT) | instid1(VALU_DEP_2)
	v_pk_add_f32 v[28:29], v[28:29], v[48:49]
	v_pk_fma_f32 v[48:49], v[2:3], v[62:63], v[46:47] neg_lo:[0,0,1] neg_hi:[0,0,1]
	v_pk_fma_f32 v[46:47], v[2:3], v[62:63], v[46:47] op_sel_hi:[1,0,1]
	s_delay_alu instid0(VALU_DEP_1) | instskip(SKIP_1) | instid1(VALU_DEP_2)
	v_mov_b32_e32 v49, v47
	v_pk_add_f32 v[46:47], v[76:77], 0 op_sel_hi:[1,0]
	v_pk_add_f32 v[28:29], v[28:29], v[48:49]
	v_pk_mul_f32 v[48:49], v[32:33], v[54:55] op_sel:[1,0]
	s_delay_alu instid0(VALU_DEP_1) | instskip(SKIP_1) | instid1(VALU_DEP_1)
	v_pk_fma_f32 v[50:51], v[32:33], v[54:55], v[48:49] op_sel:[0,0,1] op_sel_hi:[1,1,0] neg_lo:[0,0,1] neg_hi:[0,0,1]
	v_pk_fma_f32 v[32:33], v[32:33], v[54:55], v[48:49] op_sel:[0,0,1] op_sel_hi:[0,1,0]
	v_mov_b32_e32 v51, v33
	s_delay_alu instid0(VALU_DEP_1) | instskip(SKIP_1) | instid1(VALU_DEP_1)
	v_pk_add_f32 v[32:33], v[46:47], v[50:51]
	v_pk_mul_f32 v[46:47], v[0:1], v[64:65] op_sel:[1,1] op_sel_hi:[0,1]
	v_pk_fma_f32 v[48:49], v[0:1], v[64:65], v[46:47] neg_lo:[0,0,1] neg_hi:[0,0,1]
	v_pk_fma_f32 v[0:1], v[0:1], v[64:65], v[46:47] op_sel_hi:[1,0,1]
	s_delay_alu instid0(VALU_DEP_1) | instskip(NEXT) | instid1(VALU_DEP_1)
	v_mov_b32_e32 v49, v1
	v_pk_add_f32 v[0:1], v[32:33], v[48:49]
	v_mov_b32_e32 v32, v67
	s_delay_alu instid0(VALU_DEP_1) | instskip(NEXT) | instid1(VALU_DEP_1)
	v_pk_mul_f32 v[32:33], v[2:3], v[32:33] op_sel:[1,0] op_sel_hi:[0,0]
	v_pk_fma_f32 v[46:47], v[2:3], v[66:67], v[32:33] neg_lo:[0,0,1] neg_hi:[0,0,1]
	v_pk_fma_f32 v[32:33], v[2:3], v[66:67], v[32:33] op_sel_hi:[1,0,1]
	s_delay_alu instid0(VALU_DEP_1) | instskip(NEXT) | instid1(VALU_DEP_1)
	v_dual_mov_b32 v32, v71 :: v_dual_mov_b32 v47, v33
	v_pk_mul_f32 v[32:33], v[2:3], v[32:33] op_sel:[1,0] op_sel_hi:[0,0]
	s_delay_alu instid0(VALU_DEP_2) | instskip(NEXT) | instid1(VALU_DEP_2)
	v_pk_add_f32 v[0:1], v[0:1], v[46:47]
	v_pk_fma_f32 v[46:47], v[2:3], v[70:71], v[32:33] neg_lo:[0,0,1] neg_hi:[0,0,1]
	v_pk_fma_f32 v[2:3], v[2:3], v[70:71], v[32:33] op_sel_hi:[1,0,1]
	s_delay_alu instid0(VALU_DEP_1) | instskip(NEXT) | instid1(VALU_DEP_1)
	v_mov_b32_e32 v47, v3
	v_pk_add_f32 v[2:3], v[44:45], v[46:47]
	s_and_not1_saveexec_b32 s69, s7
	s_cbranch_execz .LBB121_19
.LBB121_45:                             ;   in Loop: Header=BB121_17 Depth=2
	v_dual_mov_b32 v31, 0 :: v_dual_mov_b32 v30, 0
	v_dual_mov_b32 v29, 0 :: v_dual_mov_b32 v28, 0
	;; [unrolled: 1-line block ×3, first 2 shown]
	s_wait_dscnt 0x0
	v_dual_mov_b32 v3, 0 :: v_dual_mov_b32 v2, 0
	s_and_saveexec_b32 s70, s2
	s_cbranch_execz .LBB121_60
; %bb.46:                               ;   in Loop: Header=BB121_17 Depth=2
	v_dual_mov_b32 v0, v4 :: v_dual_mov_b32 v1, v34
	s_and_not1_b32 vcc_lo, exec_lo, s12
	s_mov_b32 s7, s59
	s_cbranch_vccnz .LBB121_59
.LBB121_47:                             ;   Parent Loop BB121_3 Depth=1
                                        ;     Parent Loop BB121_17 Depth=2
                                        ; =>    This Inner Loop Header: Depth=3
	global_load_b64 v[2:3], v0, s[48:49] scale_offset
	s_wait_xcnt 0x0
	v_add_nc_u32_e32 v0, s10, v0
	s_add_co_i32 s7, s7, -1
	s_delay_alu instid0(SALU_CYCLE_1)
	s_cmp_eq_u32 s7, 0
	s_wait_loadcnt 0x0
	ds_store_b64 v1, v[2:3]
	v_add_nc_u32_e32 v1, 8, v1
	s_cbranch_scc0 .LBB121_47
; %bb.48:                               ;   in Loop: Header=BB121_17 Depth=2
	v_dual_mov_b32 v2, 0 :: v_dual_mov_b32 v44, v34
	s_ashr_i32 s7, s6, 31
	s_mov_b32 s8, s25
	v_lshl_add_u64 v[32:33], s[6:7], 3, v[26:27]
	s_delay_alu instid0(VALU_DEP_2)
	v_dual_mov_b32 v3, v2 :: v_dual_mov_b32 v0, v2
	v_dual_mov_b32 v1, v2 :: v_dual_mov_b32 v28, v2
	;; [unrolled: 1-line block ×3, first 2 shown]
	v_mov_b32_e32 v31, v2
	s_mov_b32 s52, s67
	s_mov_b32 s54, s68
	;; [unrolled: 1-line block ×3, first 2 shown]
.LBB121_49:                             ;   Parent Loop BB121_3 Depth=1
                                        ;     Parent Loop BB121_17 Depth=2
                                        ; =>    This Inner Loop Header: Depth=3
	s_ashr_i32 s55, s54, 31
	s_ashr_i32 s53, s52, 31
	;; [unrolled: 1-line block ×3, first 2 shown]
	v_lshl_add_u64 v[46:47], s[54:55], 3, v[16:17]
	v_lshl_add_u64 v[48:49], s[52:53], 3, v[16:17]
	;; [unrolled: 1-line block ×3, first 2 shown]
	global_load_b64 v[52:53], v[32:33], off
	s_clause 0x2
	global_load_b64 v[46:47], v[46:47], off
	global_load_b64 v[48:49], v[48:49], off
	;; [unrolled: 1-line block ×3, first 2 shown]
	ds_load_b64 v[54:55], v44
	s_wait_xcnt 0x3
	v_add_nc_u64_e32 v[32:33], 8, v[32:33]
	s_add_co_i32 s7, s7, -1
	s_add_co_i32 s54, s54, 1
	s_add_co_i32 s52, s52, 1
	;; [unrolled: 1-line block ×3, first 2 shown]
	s_cmp_lg_u32 s7, 0
	s_wait_loadcnt_dscnt 0x300
	v_pk_mul_f32 v[56:57], v[54:55], v[52:53] op_sel:[1,1] op_sel_hi:[0,1]
	s_wait_loadcnt 0x1
	v_pk_mul_f32 v[60:61], v[54:55], v[48:49] op_sel:[1,1] op_sel_hi:[0,1]
	s_wait_loadcnt 0x0
	v_pk_mul_f32 v[62:63], v[54:55], v[50:51] op_sel:[1,1] op_sel_hi:[0,1]
	v_pk_fma_f32 v[58:59], v[54:55], v[52:53], v[56:57] neg_lo:[0,0,1] neg_hi:[0,0,1]
	v_pk_fma_f32 v[52:53], v[54:55], v[52:53], v[56:57] op_sel_hi:[1,0,1]
	v_pk_mul_f32 v[56:57], v[54:55], v[46:47] op_sel:[1,1] op_sel_hi:[0,1]
	v_add_nc_u32_e32 v44, 8, v44
	v_pk_fma_f32 v[64:65], v[54:55], v[50:51], v[62:63] op_sel_hi:[1,0,1]
	s_wait_xcnt 0x0
	v_pk_fma_f32 v[50:51], v[54:55], v[50:51], v[62:63] neg_lo:[0,0,1] neg_hi:[0,0,1]
	v_mov_b32_e32 v59, v53
	v_pk_fma_f32 v[52:53], v[54:55], v[46:47], v[56:57] neg_lo:[0,0,1] neg_hi:[0,0,1]
	v_pk_fma_f32 v[46:47], v[54:55], v[46:47], v[56:57] op_sel_hi:[1,0,1]
	v_pk_fma_f32 v[56:57], v[54:55], v[48:49], v[60:61] op_sel_hi:[1,0,1]
	v_pk_fma_f32 v[48:49], v[54:55], v[48:49], v[60:61] neg_lo:[0,0,1] neg_hi:[0,0,1]
	v_mov_b32_e32 v51, v65
	v_pk_add_f32 v[30:31], v[30:31], v[58:59]
	s_delay_alu instid0(VALU_DEP_4) | instskip(NEXT) | instid1(VALU_DEP_3)
	v_dual_mov_b32 v53, v47 :: v_dual_mov_b32 v49, v57
	v_pk_add_f32 v[2:3], v[2:3], v[50:51]
	s_delay_alu instid0(VALU_DEP_2) | instskip(NEXT) | instid1(VALU_DEP_3)
	v_pk_add_f32 v[28:29], v[28:29], v[52:53]
	v_pk_add_f32 v[0:1], v[0:1], v[48:49]
	s_cbranch_scc1 .LBB121_49
	s_branch .LBB121_60
.LBB121_50:                             ;   in Loop: Header=BB121_17 Depth=2
	ds_load_b64 v[30:31], v35
	s_or_b32 exec_lo, exec_lo, s7
	s_and_saveexec_b32 s7, s3
	s_cbranch_execz .LBB121_25
.LBB121_51:                             ;   in Loop: Header=BB121_17 Depth=2
	s_wait_dscnt 0x0
	ds_bpermute_b32 v32, v41, v30
	ds_bpermute_b32 v33, v41, v31
	s_wait_dscnt 0x0
	v_pk_add_f32 v[30:31], v[30:31], v[32:33]
	ds_bpermute_b32 v32, v42, v30
	ds_bpermute_b32 v33, v42, v31
	s_wait_dscnt 0x0
	v_pk_add_f32 v[30:31], v[30:31], v[32:33]
	;; [unrolled: 4-line block ×3, first 2 shown]
	s_or_b32 exec_lo, exec_lo, s7
	s_and_saveexec_b32 s7, s3
	s_cbranch_execnz .LBB121_26
	s_branch .LBB121_27
.LBB121_52:                             ;   in Loop: Header=BB121_17 Depth=2
	ds_load_b64 v[28:29], v35
	s_or_b32 exec_lo, exec_lo, s7
	s_and_saveexec_b32 s7, s3
	s_cbranch_execz .LBB121_31
.LBB121_53:                             ;   in Loop: Header=BB121_17 Depth=2
	s_wait_dscnt 0x0
	ds_bpermute_b32 v32, v41, v28
	ds_bpermute_b32 v33, v41, v29
	s_wait_dscnt 0x0
	v_pk_add_f32 v[28:29], v[28:29], v[32:33]
	ds_bpermute_b32 v32, v42, v28
	ds_bpermute_b32 v33, v42, v29
	s_wait_dscnt 0x0
	v_pk_add_f32 v[28:29], v[28:29], v[32:33]
	;; [unrolled: 4-line block ×3, first 2 shown]
	s_or_b32 exec_lo, exec_lo, s7
	s_and_saveexec_b32 s7, s3
	s_cbranch_execnz .LBB121_32
	s_branch .LBB121_33
.LBB121_54:                             ;   in Loop: Header=BB121_17 Depth=2
	ds_load_b64 v[0:1], v35
	s_or_b32 exec_lo, exec_lo, s7
	s_and_saveexec_b32 s7, s3
	s_cbranch_execz .LBB121_37
.LBB121_55:                             ;   in Loop: Header=BB121_17 Depth=2
	s_wait_dscnt 0x0
	ds_bpermute_b32 v32, v41, v0
	ds_bpermute_b32 v33, v41, v1
	s_wait_dscnt 0x0
	v_pk_add_f32 v[0:1], v[0:1], v[32:33]
	ds_bpermute_b32 v32, v42, v0
	ds_bpermute_b32 v33, v42, v1
	s_wait_dscnt 0x0
	v_pk_add_f32 v[0:1], v[0:1], v[32:33]
	;; [unrolled: 4-line block ×3, first 2 shown]
	s_or_b32 exec_lo, exec_lo, s7
	s_and_saveexec_b32 s7, s3
	s_cbranch_execnz .LBB121_38
	s_branch .LBB121_39
.LBB121_56:                             ;   in Loop: Header=BB121_17 Depth=2
	ds_load_b64 v[2:3], v35
	s_or_b32 exec_lo, exec_lo, s7
	s_and_saveexec_b32 s7, s3
	s_cbranch_execz .LBB121_43
.LBB121_57:                             ;   in Loop: Header=BB121_17 Depth=2
	s_wait_dscnt 0x0
	ds_bpermute_b32 v32, v41, v2
	ds_bpermute_b32 v33, v41, v3
	s_wait_dscnt 0x0
	v_pk_add_f32 v[2:3], v[2:3], v[32:33]
	ds_bpermute_b32 v32, v42, v2
	ds_bpermute_b32 v33, v42, v3
	s_wait_dscnt 0x0
	v_pk_add_f32 v[2:3], v[2:3], v[32:33]
	;; [unrolled: 4-line block ×3, first 2 shown]
	s_or_b32 exec_lo, exec_lo, s7
	s_and_saveexec_b32 s7, s0
	s_cbranch_execz .LBB121_16
.LBB121_58:                             ;   in Loop: Header=BB121_17 Depth=2
	v_mov_b64_e32 v[32:33], s[36:37]
	v_mov_b64_e32 v[44:45], s[14:15]
	s_mul_i32 s8, s26, s28
	s_delay_alu instid0(SALU_CYCLE_1) | instskip(NEXT) | instid1(VALU_DEP_2)
	s_add_co_i32 s8, s8, s30
	v_pk_mul_f32 v[48:49], v[28:29], v[32:33] op_sel:[1,0]
	v_pk_mul_f32 v[46:47], v[30:31], v[32:33] op_sel:[1,0]
	;; [unrolled: 1-line block ×3, first 2 shown]
	s_wait_dscnt 0x0
	v_pk_mul_f32 v[32:33], v[2:3], v[32:33] op_sel:[1,0]
	v_pk_fma_f32 v[54:55], v[28:29], v[44:45], v[48:49] op_sel_hi:[0,1,1]
	v_pk_fma_f32 v[52:53], v[30:31], v[44:45], v[46:47] op_sel_hi:[0,1,1]
	v_pk_fma_f32 v[30:31], v[30:31], v[44:45], v[46:47] neg_lo:[0,0,1] neg_hi:[0,0,1]
	v_pk_fma_f32 v[46:47], v[0:1], v[44:45], v[50:51] op_sel_hi:[0,1,1]
	v_mov_b32_e32 v56, s8
	s_add_co_i32 s8, s8, s28
	v_pk_fma_f32 v[28:29], v[28:29], v[44:45], v[48:49] neg_lo:[0,0,1] neg_hi:[0,0,1]
	v_pk_fma_f32 v[48:49], v[2:3], v[44:45], v[32:33] op_sel_hi:[0,1,1]
	v_dual_mov_b32 v29, v55 :: v_dual_mov_b32 v46, s8
	s_add_co_i32 s8, s8, s28
	v_mov_b32_e32 v31, v53
	v_pk_fma_f32 v[0:1], v[0:1], v[44:45], v[50:51] neg_lo:[0,0,1] neg_hi:[0,0,1]
	v_dual_mov_b32 v1, v47 :: v_dual_mov_b32 v47, s8
	s_add_co_i32 s8, s8, s28
	v_pk_fma_f32 v[2:3], v[2:3], v[44:45], v[32:33] neg_lo:[0,0,1] neg_hi:[0,0,1]
	v_dual_mov_b32 v3, v49 :: v_dual_mov_b32 v32, s8
	s_clause 0x3
	global_store_b64 v56, v[30:31], s[50:51] scale_offset
	global_store_b64 v46, v[28:29], s[50:51] scale_offset
	;; [unrolled: 1-line block ×4, first 2 shown]
	s_branch .LBB121_16
.LBB121_59:                             ;   in Loop: Header=BB121_17 Depth=2
	v_mov_b32_e32 v31, 0
	s_delay_alu instid0(VALU_DEP_1)
	v_dual_mov_b32 v30, v31 :: v_dual_mov_b32 v29, v31
	v_dual_mov_b32 v28, v31 :: v_dual_mov_b32 v1, v31
	;; [unrolled: 1-line block ×3, first 2 shown]
	v_mov_b32_e32 v2, v31
.LBB121_60:                             ;   in Loop: Header=BB121_17 Depth=2
	s_or_b32 exec_lo, exec_lo, s70
	s_delay_alu instid0(SALU_CYCLE_1)
	s_or_b32 exec_lo, exec_lo, s69
	s_and_saveexec_b32 s7, s3
	s_cbranch_execnz .LBB121_20
	s_branch .LBB121_21
.LBB121_61:                             ;   in Loop: Header=BB121_3 Depth=1
	s_mov_b32 s26, 0
.LBB121_62:                             ;   in Loop: Header=BB121_3 Depth=1
	s_delay_alu instid0(SALU_CYCLE_1)
	s_cmp_ge_i32 s26, s13
	s_cbranch_scc1 .LBB121_2
; %bb.63:                               ;   in Loop: Header=BB121_3 Depth=1
	v_cmp_gt_u32_e32 vcc_lo, 24, v37
	s_add_nc_u64 s[6:7], s[50:51], s[38:39]
	s_mul_i32 s8, s33, s26
	s_wait_dscnt 0x0
	v_cndmask_b32_e64 v0, 0, 8, vcc_lo
	v_cmp_gt_u32_e32 vcc_lo, 28, v37
	s_delay_alu instid0(VALU_DEP_2) | instskip(SKIP_2) | instid1(VALU_DEP_2)
	v_add_lshl_u32 v28, v0, v37, 2
	v_cndmask_b32_e64 v1, 0, 4, vcc_lo
	v_cmp_gt_u32_e32 vcc_lo, 30, v37
	v_add_lshl_u32 v29, v1, v37, 2
	s_wait_dscnt 0x0
	v_cndmask_b32_e64 v2, 0, 2, vcc_lo
	v_cmp_ne_u32_e32 vcc_lo, 31, v37
	s_delay_alu instid0(VALU_DEP_2) | instskip(SKIP_1) | instid1(VALU_DEP_1)
	v_add_lshl_u32 v30, v2, v37, 2
	v_add_co_ci_u32_e64 v3, null, 0, v37, vcc_lo
	v_lshlrev_b32_e32 v31, 2, v3
	s_branch .LBB121_65
.LBB121_64:                             ;   in Loop: Header=BB121_65 Depth=2
	s_wait_xcnt 0x0
	s_or_b32 exec_lo, exec_lo, s9
	s_add_co_i32 s26, s26, 1
	s_add_co_i32 s8, s8, s33
	s_cmp_ge_i32 s26, s13
	s_cbranch_scc1 .LBB121_2
.LBB121_65:                             ;   Parent Loop BB121_3 Depth=1
                                        ; =>  This Loop Header: Depth=2
                                        ;       Child Loop BB121_77 Depth 3
                                        ;       Child Loop BB121_79 Depth 3
                                        ; implicit-def: $vgpr1
	s_and_saveexec_b32 s9, s1
	s_delay_alu instid0(SALU_CYCLE_1)
	s_xor_b32 s9, exec_lo, s9
	s_cbranch_execnz .LBB121_74
; %bb.66:                               ;   in Loop: Header=BB121_65 Depth=2
	s_and_not1_saveexec_b32 s25, s9
	s_cbranch_execnz .LBB121_75
.LBB121_67:                             ;   in Loop: Header=BB121_65 Depth=2
	s_or_b32 exec_lo, exec_lo, s25
	s_and_saveexec_b32 s9, s3
.LBB121_68:                             ;   in Loop: Header=BB121_65 Depth=2
	ds_store_b64 v35, v[14:15]
.LBB121_69:                             ;   in Loop: Header=BB121_65 Depth=2
	s_or_b32 exec_lo, exec_lo, s9
	s_wait_dscnt 0x0
	ds_bpermute_b32 v2, v39, v0
	ds_bpermute_b32 v3, v39, v1
	s_wait_storecnt_dscnt 0x0
	s_barrier_signal -1
	s_barrier_wait -1
	v_pk_add_f32 v[0:1], v[0:1], v[2:3]
	ds_bpermute_b32 v2, v28, v0
	ds_bpermute_b32 v3, v28, v1
	s_wait_dscnt 0x0
	v_pk_add_f32 v[0:1], v[0:1], v[2:3]
	ds_bpermute_b32 v2, v29, v0
	ds_bpermute_b32 v3, v29, v1
	s_wait_dscnt 0x0
	;; [unrolled: 4-line block ×3, first 2 shown]
	v_pk_add_f32 v[0:1], v[0:1], v[2:3]
	ds_bpermute_b32 v2, v31, v0
	ds_bpermute_b32 v3, v31, v1
	s_and_saveexec_b32 s9, s4
	s_cbranch_execz .LBB121_71
; %bb.70:                               ;   in Loop: Header=BB121_65 Depth=2
	s_wait_dscnt 0x0
	v_pk_add_f32 v[0:1], v[0:1], v[2:3]
	ds_store_b64 v36, v[0:1]
.LBB121_71:                             ;   in Loop: Header=BB121_65 Depth=2
	s_or_b32 exec_lo, exec_lo, s9
	v_mov_b64_e32 v[0:1], 0
	s_wait_dscnt 0x0
	s_barrier_signal -1
	s_barrier_wait -1
	s_and_saveexec_b32 s9, s5
	s_cbranch_execnz .LBB121_81
; %bb.72:                               ;   in Loop: Header=BB121_65 Depth=2
	s_or_b32 exec_lo, exec_lo, s9
	s_and_saveexec_b32 s9, s3
	s_cbranch_execnz .LBB121_82
.LBB121_73:                             ;   in Loop: Header=BB121_65 Depth=2
	s_or_b32 exec_lo, exec_lo, s9
	s_and_saveexec_b32 s9, s0
	s_cbranch_execz .LBB121_64
	s_branch .LBB121_83
.LBB121_74:                             ;   in Loop: Header=BB121_65 Depth=2
	s_mul_i32 s50, s26, s33
	s_delay_alu instid0(SALU_CYCLE_1) | instskip(NEXT) | instid1(SALU_CYCLE_1)
	s_ashr_i32 s51, s50, 31
	v_lshl_add_u64 v[32:33], s[50:51], 3, v[16:17]
	global_load_b64 v[40:41], v[18:19], off
	global_load_b64 v[48:49], v[32:33], off
	s_wait_dscnt 0x0
	global_load_b128 v[0:3], v[32:33], off offset:8
	s_clause 0x2
	global_load_b64 v[42:43], v[20:21], off
	global_load_b64 v[44:45], v[22:23], off
	;; [unrolled: 1-line block ×3, first 2 shown]
	global_load_b64 v[32:33], v[32:33], off offset:24
	s_wait_loadcnt 0x3
	ds_store_b128 v34, v[40:43]
	s_wait_loadcnt 0x1
	ds_store_b128 v34, v[44:47] offset:16
	v_dual_mul_f32 v50, v41, v49 :: v_dual_mul_f32 v51, v40, v49
	v_pk_mul_f32 v[52:53], v[42:43], v[0:1] op_sel:[1,1] op_sel_hi:[1,0]
	v_dual_mov_b32 v54, v3 :: v_dual_mov_b32 v55, v2
	s_delay_alu instid0(VALU_DEP_3) | instskip(NEXT) | instid1(VALU_DEP_3)
	v_dual_fma_f32 v50, v40, v48, -v50 :: v_dual_fmac_f32 v51, v41, v48
	v_pk_fma_f32 v[48:49], v[42:43], v[0:1], v[52:53] op_sel_hi:[0,1,1]
	v_pk_fma_f32 v[0:1], v[42:43], v[0:1], v[52:53] neg_lo:[0,0,1] neg_hi:[0,0,1]
	s_delay_alu instid0(VALU_DEP_4)
	v_pk_mul_f32 v[54:55], v[44:45], v[54:55] op_sel:[1,0]
	s_wait_loadcnt 0x0
	v_pk_mul_f32 v[52:53], v[46:47], v[32:33] op_sel:[1,1] op_sel_hi:[1,0]
	v_pk_add_f32 v[50:51], v[50:51], 0 op_sel_hi:[1,0]
	v_mov_b32_e32 v1, v49
	v_pk_fma_f32 v[48:49], v[44:45], v[2:3], v[54:55] op_sel_hi:[0,1,1]
	v_pk_fma_f32 v[2:3], v[44:45], v[2:3], v[54:55] neg_lo:[0,0,1] neg_hi:[0,0,1]
	s_delay_alu instid0(VALU_DEP_2) | instskip(NEXT) | instid1(VALU_DEP_4)
	v_mov_b32_e32 v3, v49
	v_pk_add_f32 v[0:1], v[50:51], v[0:1]
	v_pk_fma_f32 v[48:49], v[46:47], v[32:33], v[52:53] op_sel_hi:[0,1,1]
	s_wait_xcnt 0x0
	v_pk_fma_f32 v[32:33], v[46:47], v[32:33], v[52:53] neg_lo:[0,0,1] neg_hi:[0,0,1]
	s_delay_alu instid0(VALU_DEP_3) | instskip(NEXT) | instid1(VALU_DEP_3)
	v_pk_add_f32 v[0:1], v[0:1], v[2:3]
	v_mov_b32_e32 v33, v49
	s_delay_alu instid0(VALU_DEP_1)
	v_pk_add_f32 v[0:1], v[0:1], v[32:33]
	s_and_not1_saveexec_b32 s25, s9
	s_cbranch_execz .LBB121_67
.LBB121_75:                             ;   in Loop: Header=BB121_65 Depth=2
	s_wait_dscnt 0x0
	v_mov_b32_e32 v1, 0
	s_delay_alu instid0(VALU_DEP_1)
	v_mov_b32_e32 v0, v1
	s_and_saveexec_b32 s50, s61
	s_cbranch_execz .LBB121_80
; %bb.76:                               ;   in Loop: Header=BB121_65 Depth=2
	v_dual_mov_b32 v0, v4 :: v_dual_mov_b32 v1, v34
	s_mov_b32 s9, s59
.LBB121_77:                             ;   Parent Loop BB121_3 Depth=1
                                        ;     Parent Loop BB121_65 Depth=2
                                        ; =>    This Inner Loop Header: Depth=3
	global_load_b64 v[2:3], v0, s[48:49] scale_offset
	s_wait_xcnt 0x0
	v_add_nc_u32_e32 v0, s10, v0
	s_add_co_i32 s9, s9, -1
	s_delay_alu instid0(SALU_CYCLE_1)
	s_cmp_eq_u32 s9, 0
	s_wait_loadcnt 0x0
	ds_store_b64 v1, v[2:3]
	v_add_nc_u32_e32 v1, 8, v1
	s_cbranch_scc0 .LBB121_77
; %bb.78:                               ;   in Loop: Header=BB121_65 Depth=2
	v_dual_mov_b32 v0, 0 :: v_dual_mov_b32 v32, v34
	s_ashr_i32 s9, s8, 31
	s_delay_alu instid0(SALU_CYCLE_1) | instskip(NEXT) | instid1(VALU_DEP_2)
	v_lshl_add_u64 v[2:3], s[8:9], 3, v[26:27]
	v_mov_b32_e32 v1, v0
	s_mov_b32 s9, s59
.LBB121_79:                             ;   Parent Loop BB121_3 Depth=1
                                        ;     Parent Loop BB121_65 Depth=2
                                        ; =>    This Inner Loop Header: Depth=3
	global_load_b64 v[40:41], v[2:3], off
	ds_load_b64 v[42:43], v32
	s_wait_xcnt 0x0
	v_add_nc_u64_e32 v[2:3], 8, v[2:3]
	s_add_co_i32 s9, s9, -1
	v_add_nc_u32_e32 v32, 8, v32
	s_cmp_lg_u32 s9, 0
	s_wait_loadcnt_dscnt 0x0
	v_pk_mul_f32 v[44:45], v[42:43], v[40:41] op_sel:[1,1] op_sel_hi:[0,1]
	s_delay_alu instid0(VALU_DEP_1) | instskip(SKIP_1) | instid1(VALU_DEP_2)
	v_pk_fma_f32 v[46:47], v[42:43], v[40:41], v[44:45] op_sel_hi:[1,0,1]
	v_pk_fma_f32 v[40:41], v[42:43], v[40:41], v[44:45] neg_lo:[0,0,1] neg_hi:[0,0,1]
	v_mov_b32_e32 v41, v47
	s_delay_alu instid0(VALU_DEP_1)
	v_pk_add_f32 v[0:1], v[0:1], v[40:41]
	s_cbranch_scc1 .LBB121_79
.LBB121_80:                             ;   in Loop: Header=BB121_65 Depth=2
	s_or_b32 exec_lo, exec_lo, s50
	s_delay_alu instid0(SALU_CYCLE_1)
	s_or_b32 exec_lo, exec_lo, s25
	s_and_saveexec_b32 s9, s3
	s_cbranch_execnz .LBB121_68
	s_branch .LBB121_69
.LBB121_81:                             ;   in Loop: Header=BB121_65 Depth=2
	ds_load_b64 v[0:1], v35
	s_or_b32 exec_lo, exec_lo, s9
	s_and_saveexec_b32 s9, s3
	s_cbranch_execz .LBB121_73
.LBB121_82:                             ;   in Loop: Header=BB121_65 Depth=2
	s_wait_dscnt 0x0
	ds_bpermute_b32 v2, v29, v0
	ds_bpermute_b32 v3, v29, v1
	s_wait_dscnt 0x0
	v_pk_add_f32 v[0:1], v[0:1], v[2:3]
	ds_bpermute_b32 v2, v30, v0
	ds_bpermute_b32 v3, v30, v1
	s_wait_dscnt 0x0
	v_pk_add_f32 v[0:1], v[0:1], v[2:3]
	;; [unrolled: 4-line block ×3, first 2 shown]
	s_or_b32 exec_lo, exec_lo, s9
	s_and_saveexec_b32 s9, s0
	s_cbranch_execz .LBB121_64
.LBB121_83:                             ;   in Loop: Header=BB121_65 Depth=2
	v_mov_b64_e32 v[2:3], s[36:37]
	v_mov_b64_e32 v[32:33], s[14:15]
	s_mul_u64 s[50:51], s[26:27], s[28:29]
	s_delay_alu instid0(SALU_CYCLE_1) | instskip(NEXT) | instid1(SALU_CYCLE_1)
	s_lshl_b64 s[50:51], s[50:51], 3
	s_add_nc_u64 s[50:51], s[6:7], s[50:51]
	s_wait_dscnt 0x0
	s_delay_alu instid0(VALU_DEP_2) | instskip(NEXT) | instid1(VALU_DEP_1)
	v_pk_mul_f32 v[2:3], v[0:1], v[2:3] op_sel:[1,0]
	v_pk_fma_f32 v[40:41], v[0:1], v[32:33], v[2:3] op_sel_hi:[0,1,1]
	v_pk_fma_f32 v[0:1], v[0:1], v[32:33], v[2:3] neg_lo:[0,0,1] neg_hi:[0,0,1]
	s_delay_alu instid0(VALU_DEP_2)
	v_mov_b32_e32 v1, v41
	global_store_b64 v38, v[0:1], s[50:51]
	s_branch .LBB121_64
.LBB121_84:
	s_sendmsg sendmsg(MSG_DEALLOC_VGPRS)
	s_endpgm
	.section	.rodata,"a",@progbits
	.p2align	6, 0x0
	.amdhsa_kernel _ZL23rocblas_gemvt_sn_kernelILb0ELi256ELi4Ei19rocblas_complex_numIfES1_S1_EviiT4_lPKT3_lilS5_lilPT5_i
		.amdhsa_group_segment_fixed_size 8448
		.amdhsa_private_segment_fixed_size 0
		.amdhsa_kernarg_size 360
		.amdhsa_user_sgpr_count 4
		.amdhsa_user_sgpr_dispatch_ptr 1
		.amdhsa_user_sgpr_queue_ptr 0
		.amdhsa_user_sgpr_kernarg_segment_ptr 1
		.amdhsa_user_sgpr_dispatch_id 0
		.amdhsa_user_sgpr_kernarg_preload_length 0
		.amdhsa_user_sgpr_kernarg_preload_offset 0
		.amdhsa_user_sgpr_private_segment_size 0
		.amdhsa_wavefront_size32 1
		.amdhsa_uses_dynamic_stack 0
		.amdhsa_enable_private_segment 0
		.amdhsa_system_sgpr_workgroup_id_x 1
		.amdhsa_system_sgpr_workgroup_id_y 0
		.amdhsa_system_sgpr_workgroup_id_z 1
		.amdhsa_system_sgpr_workgroup_info 0
		.amdhsa_system_vgpr_workitem_id 2
		.amdhsa_next_free_vgpr 80
		.amdhsa_next_free_sgpr 71
		.amdhsa_named_barrier_count 0
		.amdhsa_reserve_vcc 1
		.amdhsa_float_round_mode_32 0
		.amdhsa_float_round_mode_16_64 0
		.amdhsa_float_denorm_mode_32 3
		.amdhsa_float_denorm_mode_16_64 3
		.amdhsa_fp16_overflow 0
		.amdhsa_memory_ordered 1
		.amdhsa_forward_progress 1
		.amdhsa_inst_pref_size 43
		.amdhsa_round_robin_scheduling 0
		.amdhsa_exception_fp_ieee_invalid_op 0
		.amdhsa_exception_fp_denorm_src 0
		.amdhsa_exception_fp_ieee_div_zero 0
		.amdhsa_exception_fp_ieee_overflow 0
		.amdhsa_exception_fp_ieee_underflow 0
		.amdhsa_exception_fp_ieee_inexact 0
		.amdhsa_exception_int_div_zero 0
	.end_amdhsa_kernel
	.section	.text._ZL23rocblas_gemvt_sn_kernelILb0ELi256ELi4Ei19rocblas_complex_numIfES1_S1_EviiT4_lPKT3_lilS5_lilPT5_i,"axG",@progbits,_ZL23rocblas_gemvt_sn_kernelILb0ELi256ELi4Ei19rocblas_complex_numIfES1_S1_EviiT4_lPKT3_lilS5_lilPT5_i,comdat
.Lfunc_end121:
	.size	_ZL23rocblas_gemvt_sn_kernelILb0ELi256ELi4Ei19rocblas_complex_numIfES1_S1_EviiT4_lPKT3_lilS5_lilPT5_i, .Lfunc_end121-_ZL23rocblas_gemvt_sn_kernelILb0ELi256ELi4Ei19rocblas_complex_numIfES1_S1_EviiT4_lPKT3_lilS5_lilPT5_i
                                        ; -- End function
	.set _ZL23rocblas_gemvt_sn_kernelILb0ELi256ELi4Ei19rocblas_complex_numIfES1_S1_EviiT4_lPKT3_lilS5_lilPT5_i.num_vgpr, 80
	.set _ZL23rocblas_gemvt_sn_kernelILb0ELi256ELi4Ei19rocblas_complex_numIfES1_S1_EviiT4_lPKT3_lilS5_lilPT5_i.num_agpr, 0
	.set _ZL23rocblas_gemvt_sn_kernelILb0ELi256ELi4Ei19rocblas_complex_numIfES1_S1_EviiT4_lPKT3_lilS5_lilPT5_i.numbered_sgpr, 71
	.set _ZL23rocblas_gemvt_sn_kernelILb0ELi256ELi4Ei19rocblas_complex_numIfES1_S1_EviiT4_lPKT3_lilS5_lilPT5_i.num_named_barrier, 0
	.set _ZL23rocblas_gemvt_sn_kernelILb0ELi256ELi4Ei19rocblas_complex_numIfES1_S1_EviiT4_lPKT3_lilS5_lilPT5_i.private_seg_size, 0
	.set _ZL23rocblas_gemvt_sn_kernelILb0ELi256ELi4Ei19rocblas_complex_numIfES1_S1_EviiT4_lPKT3_lilS5_lilPT5_i.uses_vcc, 1
	.set _ZL23rocblas_gemvt_sn_kernelILb0ELi256ELi4Ei19rocblas_complex_numIfES1_S1_EviiT4_lPKT3_lilS5_lilPT5_i.uses_flat_scratch, 0
	.set _ZL23rocblas_gemvt_sn_kernelILb0ELi256ELi4Ei19rocblas_complex_numIfES1_S1_EviiT4_lPKT3_lilS5_lilPT5_i.has_dyn_sized_stack, 0
	.set _ZL23rocblas_gemvt_sn_kernelILb0ELi256ELi4Ei19rocblas_complex_numIfES1_S1_EviiT4_lPKT3_lilS5_lilPT5_i.has_recursion, 0
	.set _ZL23rocblas_gemvt_sn_kernelILb0ELi256ELi4Ei19rocblas_complex_numIfES1_S1_EviiT4_lPKT3_lilS5_lilPT5_i.has_indirect_call, 0
	.section	.AMDGPU.csdata,"",@progbits
; Kernel info:
; codeLenInByte = 5448
; TotalNumSgprs: 73
; NumVgprs: 80
; ScratchSize: 0
; MemoryBound: 0
; FloatMode: 240
; IeeeMode: 1
; LDSByteSize: 8448 bytes/workgroup (compile time only)
; SGPRBlocks: 0
; VGPRBlocks: 4
; NumSGPRsForWavesPerEU: 73
; NumVGPRsForWavesPerEU: 80
; NamedBarCnt: 0
; Occupancy: 12
; WaveLimiterHint : 0
; COMPUTE_PGM_RSRC2:SCRATCH_EN: 0
; COMPUTE_PGM_RSRC2:USER_SGPR: 4
; COMPUTE_PGM_RSRC2:TRAP_HANDLER: 0
; COMPUTE_PGM_RSRC2:TGID_X_EN: 1
; COMPUTE_PGM_RSRC2:TGID_Y_EN: 0
; COMPUTE_PGM_RSRC2:TGID_Z_EN: 1
; COMPUTE_PGM_RSRC2:TIDIG_COMP_CNT: 2
	.section	.text._ZL23rocblas_gemvt_sn_kernelILb0ELi256ELi4El19rocblas_complex_numIfES1_S1_EviiT4_lPKT3_lilS5_lilPT5_i,"axG",@progbits,_ZL23rocblas_gemvt_sn_kernelILb0ELi256ELi4El19rocblas_complex_numIfES1_S1_EviiT4_lPKT3_lilS5_lilPT5_i,comdat
	.globl	_ZL23rocblas_gemvt_sn_kernelILb0ELi256ELi4El19rocblas_complex_numIfES1_S1_EviiT4_lPKT3_lilS5_lilPT5_i ; -- Begin function _ZL23rocblas_gemvt_sn_kernelILb0ELi256ELi4El19rocblas_complex_numIfES1_S1_EviiT4_lPKT3_lilS5_lilPT5_i
	.p2align	8
	.type	_ZL23rocblas_gemvt_sn_kernelILb0ELi256ELi4El19rocblas_complex_numIfES1_S1_EviiT4_lPKT3_lilS5_lilPT5_i,@function
_ZL23rocblas_gemvt_sn_kernelILb0ELi256ELi4El19rocblas_complex_numIfES1_S1_EviiT4_lPKT3_lilS5_lilPT5_i: ; @_ZL23rocblas_gemvt_sn_kernelILb0ELi256ELi4El19rocblas_complex_numIfES1_S1_EviiT4_lPKT3_lilS5_lilPT5_i
; %bb.0:
	s_load_b32 s33, s[2:3], 0x60
	s_bfe_u32 s4, ttmp6, 0x40014
	s_lshr_b32 s5, ttmp7, 16
	s_add_co_i32 s4, s4, 1
	s_bfe_u32 s6, ttmp6, 0x40008
	s_mul_i32 s4, s5, s4
	s_getreg_b32 s25, hwreg(HW_REG_IB_STS2, 6, 4)
	s_add_co_i32 s6, s6, s4
	s_cmp_eq_u32 s25, 0
	s_mov_b32 s11, 0
	s_cselect_b32 s24, s5, s6
	s_wait_kmcnt 0x0
	s_cmp_ge_u32 s24, s33
	s_cbranch_scc1 .LBB122_84
; %bb.1:
	s_clause 0x1
	s_load_b32 s26, s[2:3], 0x28
	s_load_b96 s[8:10], s[2:3], 0x40
	s_load_b64 s[30:31], s[0:1], 0x4
	s_clause 0x4
	s_load_b128 s[12:15], s[2:3], 0x0
	s_load_b128 s[4:7], s[2:3], 0x18
	s_load_b128 s[16:19], s[2:3], 0x30
	s_load_b128 s[20:23], s[2:3], 0x50
	s_load_b32 s28, s[2:3], 0x68
	v_and_b32_e32 v1, 0x3ff, v0
	v_bfe_u32 v2, v0, 10, 10
	v_bfe_u32 v3, v0, 20, 10
	v_mbcnt_lo_u32_b32 v41, -1, 0
	s_mov_b32 s29, s11
	s_wait_xcnt 0x0
	v_cmp_eq_u32_e64 s0, 0, v1
	v_dual_lshrrev_b32 v0, 2, v0 :: v_dual_bitop2_b32 v13, 31, v0 bitop3:0x40
	v_lshl_or_b32 v43, v41, 2, 64
	s_delay_alu instid0(VALU_DEP_2)
	v_dual_mov_b32 v42, 0 :: v_dual_lshlrev_b32 v39, 3, v13
	s_wait_kmcnt 0x0
	s_ashr_i32 s27, s26, 31
	s_ashr_i32 s47, s10, 31
	s_mov_b32 s46, s10
	s_or_b32 s10, s14, s15
	s_lshr_b32 s1, s30, 16
	s_bitset0_b32 s10, 31
	s_lshl_b64 s[2:3], s[8:9], 3
	s_lshl_b64 s[8:9], s[6:7], 3
	s_ashr_i32 s7, s13, 31
	s_cmp_eq_u32 s10, 0
	s_mul_i32 s1, s1, s31
	s_cselect_b32 s62, -1, 0
	s_cmp_gt_i32 s13, 0
	v_mul_lo_u32 v4, s1, v1
	s_cselect_b32 s6, -1, 0
	s_bfe_u32 s10, ttmp6, 0x4000c
	s_and_b32 s1, ttmp6, 15
	s_add_co_i32 s10, s10, 1
	s_and_b32 s63, s0, s6
	s_mul_i32 s10, ttmp9, s10
	v_mul_u32_u24_e32 v2, s31, v2
	s_add_co_i32 s1, s1, s10
	s_cmp_eq_u32 s25, 0
	s_add_nc_u64 s[18:19], s[18:19], s[2:3]
	s_cselect_b32 s10, ttmp9, s1
	v_add3_u32 v2, v4, v2, v3
	s_lshl_b32 s1, s10, 10
	s_add_nc_u64 s[2:3], s[4:5], s[8:9]
	v_lshl_or_b32 v6, v1, 2, s1
	s_ashr_i32 s1, s12, 31
	s_lshr_b32 s4, s7, 30
	s_lshr_b32 s1, s1, 30
	s_add_co_i32 s4, s13, s4
	s_add_co_i32 s1, s12, s1
	v_dual_ashrrev_i32 v7, 31, v6 :: v_dual_add_nc_u32 v4, 4, v6
	s_and_b32 s1, s1, -4
	v_or_b32_e32 v8, 1, v6
	s_sub_co_i32 s65, s12, s1
	s_delay_alu instid0(SALU_CYCLE_1)
	v_dual_add_nc_u32 v5, s65, v6 :: v_dual_bitop2_b32 v10, 2, v6 bitop3:0x54
	v_or_b32_e32 v12, 3, v6
	v_lshl_add_u32 v38, v2, 5, 0x100
	s_and_b32 s64, s4, -4
	v_lshl_add_u64 v[2:3], v[6:7], 3, s[2:3]
	v_cmp_ge_i32_e64 s1, s12, v4
	v_cmp_ge_i32_e64 s2, s12, v5
	v_mul_u64_e32 v[4:5], s[46:47], v[6:7]
	v_cmp_eq_u32_e64 s4, 0, v13
	v_dual_ashrrev_i32 v9, 31, v8 :: v_dual_ashrrev_i32 v11, 31, v10
	v_ashrrev_i32_e32 v13, 31, v12
	s_cmp_gt_i32 s64, 0
	v_cmp_gt_u32_e64 s3, 32, v1
	s_delay_alu instid0(VALU_DEP_3)
	v_mul_u64_e32 v[6:7], s[46:47], v[8:9]
	v_mul_u64_e32 v[8:9], s[46:47], v[10:11]
	;; [unrolled: 1-line block ×3, first 2 shown]
	s_cselect_b32 s66, -1, 0
	s_cmp_gt_i32 s65, 0
	v_mov_b64_e32 v[12:13], 0
	s_cselect_b32 s12, -1, 0
	v_cmp_gt_u32_e64 s5, 8, v1
	s_and_b32 s67, s12, s2
	s_cmp_gt_u32 s13, 1
	v_and_b32_e32 v40, 56, v0
	s_cselect_b32 s8, -1, 0
	s_cmp_eq_u32 s28, 1
	s_mov_b32 s6, s13
	s_cselect_b32 s9, -1, 0
	s_and_b32 s68, s13, 0x7ffffffe
	s_and_b32 s69, s8, s9
	s_cmp_lg_u32 s13, s68
	s_mul_u64 s[30:31], s[6:7], s[28:29]
	s_cselect_b32 s70, -1, 0
	s_lshl_b64 s[36:37], s[10:11], 3
	s_mov_b32 s34, s15
	s_mov_b32 s35, s14
	s_add_nc_u64 s[38:39], s[22:23], s[36:37]
	s_lshl_b64 s[40:41], s[6:7], 3
	v_lshl_add_u64 v[0:1], v[4:5], 3, s[18:19]
	s_lshl_b64 s[42:43], s[28:29], 3
	s_lshl_b64 s[44:45], s[20:21], 3
	;; [unrolled: 1-line block ×7, first 2 shown]
	s_mul_u64 s[56:57], s[26:27], 24
	s_branch .LBB122_3
.LBB122_2:                              ;   in Loop: Header=BB122_3 Depth=1
	s_add_co_i32 s24, s24, 0x10000
	s_delay_alu instid0(SALU_CYCLE_1)
	s_cmp_lt_u32 s24, s33
	s_cbranch_scc0 .LBB122_84
.LBB122_3:                              ; =>This Loop Header: Depth=1
                                        ;     Child Loop BB122_7 Depth 2
                                        ;     Child Loop BB122_11 Depth 2
	;; [unrolled: 1-line block ×3, first 2 shown]
                                        ;       Child Loop BB122_47 Depth 3
                                        ;       Child Loop BB122_49 Depth 3
                                        ;     Child Loop BB122_65 Depth 2
                                        ;       Child Loop BB122_77 Depth 3
                                        ;       Child Loop BB122_79 Depth 3
	s_mov_b32 s25, s11
	s_and_not1_b32 vcc_lo, exec_lo, s62
	s_mul_u64 s[6:7], s[30:31], s[24:25]
	s_delay_alu instid0(SALU_CYCLE_1) | instskip(NEXT) | instid1(SALU_CYCLE_1)
	s_lshl_b64 s[6:7], s[6:7], 3
	s_add_nc_u64 s[58:59], s[22:23], s[6:7]
	s_mov_b32 s6, -1
	s_cbranch_vccnz .LBB122_13
; %bb.4:                                ;   in Loop: Header=BB122_3 Depth=1
	s_and_saveexec_b32 s71, s63
	s_cbranch_execz .LBB122_12
; %bb.5:                                ;   in Loop: Header=BB122_3 Depth=1
	s_and_not1_b32 vcc_lo, exec_lo, s69
	s_cbranch_vccnz .LBB122_9
; %bb.6:                                ;   in Loop: Header=BB122_3 Depth=1
	s_add_nc_u64 s[6:7], s[58:59], s[36:37]
	s_mov_b32 s8, 1
	s_mov_b32 s10, 0
	;; [unrolled: 1-line block ×3, first 2 shown]
.LBB122_7:                              ;   Parent Loop BB122_3 Depth=1
                                        ; =>  This Inner Loop Header: Depth=2
	s_mov_b32 s9, s11
	s_wait_xcnt 0x1
	s_lshl_b64 s[74:75], s[10:11], 3
	s_add_co_i32 s61, s61, -2
	s_add_co_i32 s10, s10, 2
	s_wait_xcnt 0x0
	s_lshl_b64 s[76:77], s[8:9], 3
	s_add_co_i32 s8, s8, 2
	s_mov_b32 s60, s68
	s_mov_b32 s72, s70
	s_add_nc_u64 s[74:75], s[6:7], s[74:75]
	s_cmp_lg_u32 s61, 0
	s_add_nc_u64 s[76:77], s[6:7], s[76:77]
	s_clause 0x1
	global_store_b64 v42, v[12:13], s[74:75]
	global_store_b64 v42, v[12:13], s[76:77]
	s_cbranch_scc1 .LBB122_7
; %bb.8:                                ;   in Loop: Header=BB122_3 Depth=1
	s_and_b32 vcc_lo, exec_lo, s72
	s_cbranch_vccnz .LBB122_10
	s_branch .LBB122_12
.LBB122_9:                              ;   in Loop: Header=BB122_3 Depth=1
	s_mov_b32 s60, 0
	s_cbranch_execz .LBB122_12
.LBB122_10:                             ;   in Loop: Header=BB122_3 Depth=1
	s_mov_b32 s61, s11
	s_mul_u64 s[6:7], s[40:41], s[24:25]
	s_lshl_b64 s[8:9], s[60:61], 3
	s_delay_alu instid0(SALU_CYCLE_1) | instskip(SKIP_2) | instid1(SALU_CYCLE_1)
	s_add_nc_u64 s[6:7], s[6:7], s[8:9]
	s_sub_co_i32 s8, s13, s60
	s_mul_u64 s[6:7], s[28:29], s[6:7]
	s_add_nc_u64 s[6:7], s[38:39], s[6:7]
.LBB122_11:                             ;   Parent Loop BB122_3 Depth=1
                                        ; =>  This Inner Loop Header: Depth=2
	s_add_co_i32 s8, s8, -1
	global_store_b64 v42, v[12:13], s[6:7]
	s_cmp_eq_u32 s8, 0
	s_wait_xcnt 0x0
	s_add_nc_u64 s[6:7], s[6:7], s[42:43]
	s_cbranch_scc0 .LBB122_11
.LBB122_12:                             ;   in Loop: Header=BB122_3 Depth=1
	s_wait_xcnt 0x0
	s_or_b32 exec_lo, exec_lo, s71
	s_mov_b32 s6, 0
.LBB122_13:                             ;   in Loop: Header=BB122_3 Depth=1
	s_delay_alu instid0(SALU_CYCLE_1)
	s_and_not1_b32 vcc_lo, exec_lo, s6
	s_cbranch_vccnz .LBB122_2
; %bb.14:                               ;   in Loop: Header=BB122_3 Depth=1
	v_mad_nc_u64_u32 v[14:15], s44, s24, v[0:1]
	s_mul_u64 s[6:7], s[20:21], s[24:25]
	s_mul_u64 s[8:9], s[16:17], s[24:25]
	s_lshl_b64 s[6:7], s[6:7], 3
	v_lshl_add_u64 v[16:17], s[8:9], 3, v[2:3]
	s_add_nc_u64 s[6:7], s[18:19], s[6:7]
	v_cmp_gt_u32_e64 s9, 24, v41
	v_lshl_add_u64 v[18:19], v[4:5], 3, s[6:7]
	v_lshl_add_u64 v[20:21], v[6:7], 3, s[6:7]
	;; [unrolled: 1-line block ×4, first 2 shown]
	v_mad_u32 v15, s45, s24, v15
	v_cmp_gt_u32_e64 s8, 28, v41
	v_cmp_gt_u32_e64 s7, 30, v41
	v_cmp_ne_u32_e64 s6, 31, v41
	s_mul_u64 s[60:61], s[48:49], s[24:25]
	s_and_not1_b32 vcc_lo, exec_lo, s66
	s_add_nc_u64 s[58:59], s[58:59], s[36:37]
	s_cbranch_vccnz .LBB122_61
; %bb.15:                               ;   in Loop: Header=BB122_3 Depth=1
	s_wait_dscnt 0x0
	v_cndmask_b32_e64 v28, 0, 8, s9
	v_cndmask_b32_e64 v29, 0, 4, s8
	;; [unrolled: 1-line block ×3, first 2 shown]
	v_add_co_ci_u32_e64 v31, null, 0, v41, s6
	v_add_nc_u64_e32 v[26:27], s[60:61], v[2:3]
	v_add_lshl_u32 v44, v28, v41, 2
	v_add_lshl_u32 v45, v29, v41, 2
	;; [unrolled: 1-line block ×3, first 2 shown]
	v_lshlrev_b32_e32 v47, 2, v31
	s_mov_b32 s10, 0
	s_branch .LBB122_17
.LBB122_16:                             ;   in Loop: Header=BB122_17 Depth=2
	s_wait_xcnt 0x0
	s_or_b32 exec_lo, exec_lo, s6
	v_add_nc_u64_e32 v[26:27], s[50:51], v[26:27]
	s_add_co_i32 s10, s10, 4
	s_delay_alu instid0(SALU_CYCLE_1)
	s_cmp_ge_i32 s10, s64
	s_cbranch_scc1 .LBB122_62
.LBB122_17:                             ;   Parent Loop BB122_3 Depth=1
                                        ; =>  This Loop Header: Depth=2
                                        ;       Child Loop BB122_47 Depth 3
                                        ;       Child Loop BB122_49 Depth 3
                                        ; implicit-def: $vgpr33
                                        ; implicit-def: $vgpr35
                                        ; implicit-def: $vgpr31
                                        ; implicit-def: $vgpr29
	s_and_saveexec_b32 s6, s1
	s_delay_alu instid0(SALU_CYCLE_1)
	s_xor_b32 s6, exec_lo, s6
	s_cbranch_execnz .LBB122_44
; %bb.18:                               ;   in Loop: Header=BB122_17 Depth=2
	s_and_not1_saveexec_b32 s6, s6
	s_cbranch_execnz .LBB122_45
.LBB122_19:                             ;   in Loop: Header=BB122_17 Depth=2
	s_or_b32 exec_lo, exec_lo, s6
	s_and_saveexec_b32 s6, s3
.LBB122_20:                             ;   in Loop: Header=BB122_17 Depth=2
	ds_store_b64 v39, v[12:13]
.LBB122_21:                             ;   in Loop: Header=BB122_17 Depth=2
	s_or_b32 exec_lo, exec_lo, s6
	ds_bpermute_b32 v36, v43, v32
	ds_bpermute_b32 v37, v43, v33
	s_wait_storecnt_dscnt 0x0
	s_barrier_signal -1
	s_barrier_wait -1
	v_pk_add_f32 v[32:33], v[32:33], v[36:37]
	ds_bpermute_b32 v36, v44, v32
	ds_bpermute_b32 v37, v44, v33
	s_wait_dscnt 0x0
	v_pk_add_f32 v[32:33], v[32:33], v[36:37]
	ds_bpermute_b32 v36, v45, v32
	ds_bpermute_b32 v37, v45, v33
	s_wait_dscnt 0x0
	;; [unrolled: 4-line block ×3, first 2 shown]
	v_pk_add_f32 v[32:33], v[32:33], v[36:37]
	ds_bpermute_b32 v36, v47, v32
	ds_bpermute_b32 v37, v47, v33
	s_and_saveexec_b32 s6, s4
	s_cbranch_execz .LBB122_23
; %bb.22:                               ;   in Loop: Header=BB122_17 Depth=2
	s_wait_dscnt 0x0
	v_pk_add_f32 v[32:33], v[32:33], v[36:37]
	ds_store_b64 v40, v[32:33]
.LBB122_23:                             ;   in Loop: Header=BB122_17 Depth=2
	s_or_b32 exec_lo, exec_lo, s6
	v_mov_b64_e32 v[32:33], 0
	s_wait_dscnt 0x0
	s_barrier_signal -1
	s_barrier_wait -1
	s_and_saveexec_b32 s6, s5
	s_cbranch_execnz .LBB122_50
; %bb.24:                               ;   in Loop: Header=BB122_17 Depth=2
	s_or_b32 exec_lo, exec_lo, s6
	s_and_saveexec_b32 s6, s3
	s_cbranch_execnz .LBB122_51
.LBB122_25:                             ;   in Loop: Header=BB122_17 Depth=2
	s_or_b32 exec_lo, exec_lo, s6
	s_and_saveexec_b32 s6, s3
.LBB122_26:                             ;   in Loop: Header=BB122_17 Depth=2
	ds_store_b64 v39, v[12:13]
.LBB122_27:                             ;   in Loop: Header=BB122_17 Depth=2
	s_or_b32 exec_lo, exec_lo, s6
	ds_bpermute_b32 v36, v43, v34
	ds_bpermute_b32 v37, v43, v35
	s_wait_dscnt 0x0
	s_barrier_signal -1
	s_barrier_wait -1
	v_pk_add_f32 v[34:35], v[34:35], v[36:37]
	ds_bpermute_b32 v36, v44, v34
	ds_bpermute_b32 v37, v44, v35
	s_wait_dscnt 0x0
	v_pk_add_f32 v[34:35], v[34:35], v[36:37]
	ds_bpermute_b32 v36, v45, v34
	ds_bpermute_b32 v37, v45, v35
	s_wait_dscnt 0x0
	;; [unrolled: 4-line block ×3, first 2 shown]
	v_pk_add_f32 v[34:35], v[34:35], v[36:37]
	ds_bpermute_b32 v36, v47, v34
	ds_bpermute_b32 v37, v47, v35
	s_and_saveexec_b32 s6, s4
	s_cbranch_execz .LBB122_29
; %bb.28:                               ;   in Loop: Header=BB122_17 Depth=2
	s_wait_dscnt 0x0
	v_pk_add_f32 v[34:35], v[34:35], v[36:37]
	ds_store_b64 v40, v[34:35]
.LBB122_29:                             ;   in Loop: Header=BB122_17 Depth=2
	s_or_b32 exec_lo, exec_lo, s6
	v_mov_b64_e32 v[34:35], 0
	s_wait_dscnt 0x0
	s_barrier_signal -1
	s_barrier_wait -1
	s_and_saveexec_b32 s6, s5
	s_cbranch_execnz .LBB122_52
; %bb.30:                               ;   in Loop: Header=BB122_17 Depth=2
	s_or_b32 exec_lo, exec_lo, s6
	s_and_saveexec_b32 s6, s3
	s_cbranch_execnz .LBB122_53
.LBB122_31:                             ;   in Loop: Header=BB122_17 Depth=2
	s_or_b32 exec_lo, exec_lo, s6
	s_and_saveexec_b32 s6, s3
.LBB122_32:                             ;   in Loop: Header=BB122_17 Depth=2
	ds_store_b64 v39, v[12:13]
.LBB122_33:                             ;   in Loop: Header=BB122_17 Depth=2
	s_or_b32 exec_lo, exec_lo, s6
	ds_bpermute_b32 v36, v43, v30
	ds_bpermute_b32 v37, v43, v31
	s_wait_dscnt 0x0
	s_barrier_signal -1
	s_barrier_wait -1
	v_pk_add_f32 v[30:31], v[30:31], v[36:37]
	ds_bpermute_b32 v36, v44, v30
	ds_bpermute_b32 v37, v44, v31
	s_wait_dscnt 0x0
	v_pk_add_f32 v[30:31], v[30:31], v[36:37]
	ds_bpermute_b32 v36, v45, v30
	ds_bpermute_b32 v37, v45, v31
	s_wait_dscnt 0x0
	;; [unrolled: 4-line block ×3, first 2 shown]
	v_pk_add_f32 v[30:31], v[30:31], v[36:37]
	ds_bpermute_b32 v36, v47, v30
	ds_bpermute_b32 v37, v47, v31
	s_and_saveexec_b32 s6, s4
	s_cbranch_execz .LBB122_35
; %bb.34:                               ;   in Loop: Header=BB122_17 Depth=2
	s_wait_dscnt 0x0
	v_pk_add_f32 v[30:31], v[30:31], v[36:37]
	ds_store_b64 v40, v[30:31]
.LBB122_35:                             ;   in Loop: Header=BB122_17 Depth=2
	s_or_b32 exec_lo, exec_lo, s6
	v_mov_b64_e32 v[30:31], 0
	s_wait_dscnt 0x0
	s_barrier_signal -1
	s_barrier_wait -1
	s_and_saveexec_b32 s6, s5
	s_cbranch_execnz .LBB122_54
; %bb.36:                               ;   in Loop: Header=BB122_17 Depth=2
	s_or_b32 exec_lo, exec_lo, s6
	s_and_saveexec_b32 s6, s3
	s_cbranch_execnz .LBB122_55
.LBB122_37:                             ;   in Loop: Header=BB122_17 Depth=2
	s_or_b32 exec_lo, exec_lo, s6
	s_and_saveexec_b32 s6, s3
.LBB122_38:                             ;   in Loop: Header=BB122_17 Depth=2
	ds_store_b64 v39, v[12:13]
.LBB122_39:                             ;   in Loop: Header=BB122_17 Depth=2
	s_or_b32 exec_lo, exec_lo, s6
	ds_bpermute_b32 v36, v43, v28
	ds_bpermute_b32 v37, v43, v29
	s_wait_dscnt 0x0
	s_barrier_signal -1
	s_barrier_wait -1
	v_pk_add_f32 v[28:29], v[28:29], v[36:37]
	ds_bpermute_b32 v36, v44, v28
	ds_bpermute_b32 v37, v44, v29
	s_wait_dscnt 0x0
	v_pk_add_f32 v[28:29], v[28:29], v[36:37]
	ds_bpermute_b32 v36, v45, v28
	ds_bpermute_b32 v37, v45, v29
	s_wait_dscnt 0x0
	;; [unrolled: 4-line block ×3, first 2 shown]
	v_pk_add_f32 v[28:29], v[28:29], v[36:37]
	ds_bpermute_b32 v36, v47, v28
	ds_bpermute_b32 v37, v47, v29
	s_and_saveexec_b32 s6, s4
	s_cbranch_execz .LBB122_41
; %bb.40:                               ;   in Loop: Header=BB122_17 Depth=2
	s_wait_dscnt 0x0
	v_pk_add_f32 v[28:29], v[28:29], v[36:37]
	ds_store_b64 v40, v[28:29]
.LBB122_41:                             ;   in Loop: Header=BB122_17 Depth=2
	s_or_b32 exec_lo, exec_lo, s6
	v_mov_b64_e32 v[28:29], 0
	s_wait_dscnt 0x0
	s_barrier_signal -1
	s_barrier_wait -1
	s_and_saveexec_b32 s6, s5
	s_cbranch_execnz .LBB122_56
; %bb.42:                               ;   in Loop: Header=BB122_17 Depth=2
	s_or_b32 exec_lo, exec_lo, s6
	s_and_saveexec_b32 s6, s3
	s_cbranch_execnz .LBB122_57
.LBB122_43:                             ;   in Loop: Header=BB122_17 Depth=2
	s_or_b32 exec_lo, exec_lo, s6
	s_and_saveexec_b32 s6, s0
	s_cbranch_execz .LBB122_16
	s_branch .LBB122_58
.LBB122_44:                             ;   in Loop: Header=BB122_17 Depth=2
	s_mul_u64 s[8:9], s[10:11], s[26:27]
	s_or_b32 s72, s10, 3
	s_mov_b32 s73, s11
	v_lshl_add_u64 v[36:37], s[8:9], 3, v[16:17]
	s_mul_u64 s[8:9], s[72:73], s[26:27]
	s_or_b32 s72, s10, 1
	v_lshl_add_u64 v[76:77], s[8:9], 3, v[16:17]
	s_mul_u64 s[8:9], s[72:73], s[26:27]
	s_wait_dscnt 0x0
	global_load_b128 v[28:31], v[36:37], off
	s_clause 0x1
	global_load_b64 v[48:49], v[18:19], off
	global_load_b64 v[50:51], v[20:21], off
	v_lshl_add_u64 v[58:59], s[8:9], 3, v[16:17]
	s_or_b32 s8, s10, 2
	s_mov_b32 s9, s11
	global_load_b128 v[32:35], v[76:77], off
	s_mul_u64 s[8:9], s[8:9], s[26:27]
	global_load_b128 v[52:55], v[36:37], off offset:16
	global_load_b64 v[56:57], v[22:23], off
	s_wait_xcnt 0x1
	v_lshl_add_u64 v[36:37], s[8:9], 3, v[16:17]
	s_clause 0x2
	global_load_b128 v[60:63], v[58:59], off
	global_load_b128 v[64:67], v[36:37], off
	global_load_b128 v[68:71], v[58:59], off offset:16
	global_load_b64 v[58:59], v[24:25], off
	global_load_b128 v[72:75], v[36:37], off offset:16
	s_wait_loadcnt 0x9
	s_wait_xcnt 0x0
	v_dual_mul_f32 v36, v49, v29 :: v_dual_mul_f32 v37, v48, v29
	s_wait_loadcnt 0x8
	v_pk_mul_f32 v[78:79], v[50:51], v[30:31] op_sel:[1,0]
	s_wait_loadcnt 0x6
	v_dual_mul_f32 v29, v49, v33 :: v_dual_mov_b32 v80, v55
	v_dual_mul_f32 v85, v48, v33 :: v_dual_fma_f32 v36, v48, v28, -v36
	v_pk_mul_f32 v[86:87], v[50:51], v[34:35] op_sel:[1,0]
	s_wait_loadcnt 0x4
	v_dual_mul_f32 v81, v49, v61 :: v_dual_mul_f32 v33, v48, v61
	v_pk_mul_f32 v[88:89], v[50:51], v[62:63] op_sel:[1,0]
	v_fmac_f32_e32 v37, v49, v28
	v_pk_fma_f32 v[90:91], v[50:51], v[30:31], v[78:79] op_sel:[0,0,1] op_sel_hi:[1,1,0] neg_lo:[0,0,1] neg_hi:[0,0,1]
	v_pk_fma_f32 v[78:79], v[50:51], v[30:31], v[78:79] op_sel:[0,0,1] op_sel_hi:[0,1,0]
	s_wait_loadcnt 0x3
	v_dual_mul_f32 v31, v49, v65 :: v_dual_mul_f32 v61, v48, v65
	v_fma_f32 v84, v48, v32, -v29
	s_wait_loadcnt 0x2
	v_dual_fmac_f32 v85, v49, v32 :: v_dual_mov_b32 v30, v71
	v_pk_mul_f32 v[28:29], v[50:51], v[66:67] op_sel:[1,0]
	v_pk_mul_f32 v[82:83], v[56:57], v[52:53] op_sel:[1,1] op_sel_hi:[0,1]
	v_pk_fma_f32 v[92:93], v[50:51], v[34:35], v[86:87] op_sel:[0,0,1] op_sel_hi:[1,1,0] neg_lo:[0,0,1] neg_hi:[0,0,1]
	v_pk_fma_f32 v[34:35], v[50:51], v[34:35], v[86:87] op_sel:[0,0,1] op_sel_hi:[0,1,0]
	v_fma_f32 v32, v48, v60, -v81
	v_fmac_f32_e32 v33, v49, v60
	v_pk_fma_f32 v[86:87], v[50:51], v[62:63], v[88:89] op_sel:[0,0,1] op_sel_hi:[1,1,0] neg_lo:[0,0,1] neg_hi:[0,0,1]
	v_pk_fma_f32 v[62:63], v[50:51], v[62:63], v[88:89] op_sel:[0,0,1] op_sel_hi:[0,1,0]
	v_pk_mul_f32 v[88:89], v[56:57], v[68:69] op_sel:[1,1] op_sel_hi:[0,1]
	s_wait_loadcnt 0x1
	v_pk_mul_f32 v[80:81], v[58:59], v[80:81] op_sel:[1,0] op_sel_hi:[0,0]
	v_dual_fma_f32 v60, v48, v64, -v31 :: v_dual_fmac_f32 v61, v49, v64
	v_pk_fma_f32 v[64:65], v[50:51], v[66:67], v[28:29] op_sel:[0,0,1] op_sel_hi:[1,1,0] neg_lo:[0,0,1] neg_hi:[0,0,1]
	v_pk_fma_f32 v[66:67], v[50:51], v[66:67], v[28:29] op_sel:[0,0,1] op_sel_hi:[0,1,0]
	v_pk_mul_f32 v[28:29], v[58:59], v[30:31] op_sel:[1,0] op_sel_hi:[0,0]
	v_pk_fma_f32 v[94:95], v[56:57], v[52:53], v[82:83] neg_lo:[0,0,1] neg_hi:[0,0,1]
	v_pk_fma_f32 v[52:53], v[56:57], v[52:53], v[82:83] op_sel_hi:[1,0,1]
	v_pk_fma_f32 v[82:83], v[58:59], v[54:55], v[80:81] neg_lo:[0,0,1] neg_hi:[0,0,1]
	v_pk_fma_f32 v[54:55], v[58:59], v[54:55], v[80:81] op_sel_hi:[1,0,1]
	;; [unrolled: 2-line block ×4, first 2 shown]
	s_wait_loadcnt 0x0
	v_mov_b32_e32 v28, v75
	v_pk_mul_f32 v[30:31], v[56:57], v[72:73] op_sel:[1,1] op_sel_hi:[0,1]
	v_dual_mov_b32 v91, v79 :: v_dual_mov_b32 v95, v53
	v_dual_mov_b32 v87, v63 :: v_dual_mov_b32 v81, v69
	s_delay_alu instid0(VALU_DEP_4) | instskip(NEXT) | instid1(VALU_DEP_4)
	v_pk_mul_f32 v[28:29], v[58:59], v[28:29] op_sel:[1,0] op_sel_hi:[0,0]
	v_pk_fma_f32 v[96:97], v[56:57], v[72:73], v[30:31] neg_lo:[0,0,1] neg_hi:[0,0,1]
	v_pk_fma_f32 v[72:73], v[56:57], v[72:73], v[30:31] op_sel_hi:[1,0,1]
	v_dual_mov_b32 v65, v67 :: v_dual_mov_b32 v83, v55
	v_mov_b32_e32 v89, v71
	v_pk_fma_f32 v[98:99], v[58:59], v[74:75], v[28:29] neg_lo:[0,0,1] neg_hi:[0,0,1]
	v_pk_fma_f32 v[74:75], v[58:59], v[74:75], v[28:29] op_sel_hi:[1,0,1]
	global_load_b128 v[28:31], v[76:77], off offset:16
	v_mov_b32_e32 v97, v73
	ds_store_b128 v38, v[48:51]
	ds_store_b128 v38, v[56:59] offset:16
	s_wait_loadcnt 0x0
	v_pk_mul_f32 v[100:101], v[56:57], v[28:29] op_sel:[1,1] op_sel_hi:[0,1]
	v_mov_b32_e32 v34, v31
	v_pk_add_f32 v[32:33], v[32:33], 0 op_sel_hi:[1,0]
	s_delay_alu instid0(VALU_DEP_3)
	v_pk_fma_f32 v[102:103], v[56:57], v[28:29], v[100:101] neg_lo:[0,0,1] neg_hi:[0,0,1]
	v_pk_fma_f32 v[28:29], v[56:57], v[28:29], v[100:101] op_sel_hi:[1,0,1]
	s_wait_xcnt 0x0
	v_pk_mul_f32 v[76:77], v[58:59], v[34:35] op_sel:[1,0] op_sel_hi:[0,0]
	v_mov_b32_e32 v93, v35
	v_pk_add_f32 v[34:35], v[36:37], 0 op_sel_hi:[1,0]
	v_pk_add_f32 v[36:37], v[60:61], 0 op_sel_hi:[1,0]
	v_mov_b32_e32 v103, v29
	v_pk_add_f32 v[28:29], v[84:85], 0 op_sel_hi:[1,0]
	v_pk_fma_f32 v[100:101], v[58:59], v[30:31], v[76:77] neg_lo:[0,0,1] neg_hi:[0,0,1]
	v_pk_fma_f32 v[30:31], v[58:59], v[30:31], v[76:77] op_sel_hi:[1,0,1]
	v_pk_add_f32 v[34:35], v[34:35], v[90:91]
	v_pk_add_f32 v[32:33], v[32:33], v[86:87]
	;; [unrolled: 1-line block ×4, first 2 shown]
	v_dual_mov_b32 v99, v75 :: v_dual_mov_b32 v101, v31
	v_pk_add_f32 v[30:31], v[34:35], v[94:95]
	v_pk_add_f32 v[34:35], v[32:33], v[80:81]
	s_delay_alu instid0(VALU_DEP_4) | instskip(SKIP_1) | instid1(VALU_DEP_4)
	v_pk_add_f32 v[36:37], v[36:37], v[96:97]
	v_pk_add_f32 v[28:29], v[28:29], v[102:103]
	v_pk_add_f32 v[32:33], v[30:31], v[82:83]
	s_delay_alu instid0(VALU_DEP_4) | instskip(NEXT) | instid1(VALU_DEP_4)
	v_pk_add_f32 v[34:35], v[34:35], v[88:89]
	v_pk_add_f32 v[30:31], v[36:37], v[98:99]
	s_delay_alu instid0(VALU_DEP_4)
	v_pk_add_f32 v[28:29], v[28:29], v[100:101]
	s_and_not1_saveexec_b32 s6, s6
	s_cbranch_execz .LBB122_19
.LBB122_45:                             ;   in Loop: Header=BB122_17 Depth=2
	v_dual_mov_b32 v33, 0 :: v_dual_mov_b32 v32, 0
	v_dual_mov_b32 v35, 0 :: v_dual_mov_b32 v34, 0
	;; [unrolled: 1-line block ×3, first 2 shown]
	s_wait_dscnt 0x0
	v_dual_mov_b32 v29, 0 :: v_dual_mov_b32 v28, 0
	s_and_saveexec_b32 s7, s2
	s_cbranch_execz .LBB122_60
; %bb.46:                               ;   in Loop: Header=BB122_17 Depth=2
	v_mov_b64_e32 v[28:29], v[14:15]
	v_mov_b32_e32 v30, v38
	s_and_not1_b32 vcc_lo, exec_lo, s12
	s_mov_b32 s8, s65
	s_cbranch_vccnz .LBB122_59
.LBB122_47:                             ;   Parent Loop BB122_3 Depth=1
                                        ;     Parent Loop BB122_17 Depth=2
                                        ; =>    This Inner Loop Header: Depth=3
	global_load_b64 v[32:33], v[28:29], off
	s_wait_xcnt 0x0
	v_add_nc_u64_e32 v[28:29], s[46:47], v[28:29]
	s_add_co_i32 s8, s8, -1
	s_delay_alu instid0(SALU_CYCLE_1)
	s_cmp_eq_u32 s8, 0
	s_wait_loadcnt 0x0
	ds_store_b64 v30, v[32:33]
	v_add_nc_u32_e32 v30, 8, v30
	s_cbranch_scc0 .LBB122_47
; %bb.48:                               ;   in Loop: Header=BB122_17 Depth=2
	v_dual_mov_b32 v28, 0 :: v_dual_mov_b32 v48, v38
	v_mov_b64_e32 v[36:37], v[26:27]
	s_mov_b32 s8, s65
	s_delay_alu instid0(VALU_DEP_2)
	v_dual_mov_b32 v29, v28 :: v_dual_mov_b32 v30, v28
	v_dual_mov_b32 v31, v28 :: v_dual_mov_b32 v34, v28
	;; [unrolled: 1-line block ×3, first 2 shown]
	v_mov_b32_e32 v33, v28
.LBB122_49:                             ;   Parent Loop BB122_3 Depth=1
                                        ;     Parent Loop BB122_17 Depth=2
                                        ; =>    This Inner Loop Header: Depth=3
	v_add_nc_u64_e32 v[50:51], s[52:53], v[36:37]
	v_add_nc_u64_e32 v[52:53], s[54:55], v[36:37]
	;; [unrolled: 1-line block ×3, first 2 shown]
	s_add_co_i32 s8, s8, -1
	s_clause 0x3
	global_load_b64 v[56:57], v[36:37], off
	global_load_b64 v[50:51], v[50:51], off
	global_load_b64 v[52:53], v[52:53], off
	global_load_b64 v[54:55], v[54:55], off
	ds_load_b64 v[58:59], v48
	s_wait_xcnt 0x3
	v_add_nc_u64_e32 v[36:37], 8, v[36:37]
	s_cmp_lg_u32 s8, 0
	s_wait_loadcnt_dscnt 0x300
	v_pk_mul_f32 v[60:61], v[58:59], v[56:57] op_sel:[1,1] op_sel_hi:[0,1]
	s_wait_loadcnt 0x1
	v_pk_mul_f32 v[64:65], v[58:59], v[52:53] op_sel:[1,1] op_sel_hi:[0,1]
	s_wait_loadcnt 0x0
	v_pk_mul_f32 v[66:67], v[58:59], v[54:55] op_sel:[1,1] op_sel_hi:[0,1]
	v_pk_fma_f32 v[62:63], v[58:59], v[56:57], v[60:61] neg_lo:[0,0,1] neg_hi:[0,0,1]
	v_pk_fma_f32 v[56:57], v[58:59], v[56:57], v[60:61] op_sel_hi:[1,0,1]
	v_pk_mul_f32 v[60:61], v[58:59], v[50:51] op_sel:[1,1] op_sel_hi:[0,1]
	v_add_nc_u32_e32 v48, 8, v48
	v_pk_fma_f32 v[68:69], v[58:59], v[54:55], v[66:67] op_sel_hi:[1,0,1]
	s_wait_xcnt 0x0
	v_pk_fma_f32 v[54:55], v[58:59], v[54:55], v[66:67] neg_lo:[0,0,1] neg_hi:[0,0,1]
	v_mov_b32_e32 v63, v57
	v_pk_fma_f32 v[56:57], v[58:59], v[50:51], v[60:61] neg_lo:[0,0,1] neg_hi:[0,0,1]
	v_pk_fma_f32 v[50:51], v[58:59], v[50:51], v[60:61] op_sel_hi:[1,0,1]
	v_pk_fma_f32 v[60:61], v[58:59], v[52:53], v[64:65] op_sel_hi:[1,0,1]
	v_pk_fma_f32 v[52:53], v[58:59], v[52:53], v[64:65] neg_lo:[0,0,1] neg_hi:[0,0,1]
	v_mov_b32_e32 v55, v69
	v_pk_add_f32 v[32:33], v[32:33], v[62:63]
	s_delay_alu instid0(VALU_DEP_4) | instskip(NEXT) | instid1(VALU_DEP_3)
	v_dual_mov_b32 v57, v51 :: v_dual_mov_b32 v53, v61
	v_pk_add_f32 v[28:29], v[28:29], v[54:55]
	s_delay_alu instid0(VALU_DEP_2) | instskip(NEXT) | instid1(VALU_DEP_3)
	v_pk_add_f32 v[34:35], v[34:35], v[56:57]
	v_pk_add_f32 v[30:31], v[30:31], v[52:53]
	s_cbranch_scc1 .LBB122_49
	s_branch .LBB122_60
.LBB122_50:                             ;   in Loop: Header=BB122_17 Depth=2
	ds_load_b64 v[32:33], v39
	s_or_b32 exec_lo, exec_lo, s6
	s_and_saveexec_b32 s6, s3
	s_cbranch_execz .LBB122_25
.LBB122_51:                             ;   in Loop: Header=BB122_17 Depth=2
	s_wait_dscnt 0x0
	ds_bpermute_b32 v36, v45, v32
	ds_bpermute_b32 v37, v45, v33
	s_wait_dscnt 0x0
	v_pk_add_f32 v[32:33], v[32:33], v[36:37]
	ds_bpermute_b32 v36, v46, v32
	ds_bpermute_b32 v37, v46, v33
	s_wait_dscnt 0x0
	v_pk_add_f32 v[32:33], v[32:33], v[36:37]
	;; [unrolled: 4-line block ×3, first 2 shown]
	s_or_b32 exec_lo, exec_lo, s6
	s_and_saveexec_b32 s6, s3
	s_cbranch_execnz .LBB122_26
	s_branch .LBB122_27
.LBB122_52:                             ;   in Loop: Header=BB122_17 Depth=2
	ds_load_b64 v[34:35], v39
	s_or_b32 exec_lo, exec_lo, s6
	s_and_saveexec_b32 s6, s3
	s_cbranch_execz .LBB122_31
.LBB122_53:                             ;   in Loop: Header=BB122_17 Depth=2
	s_wait_dscnt 0x0
	ds_bpermute_b32 v36, v45, v34
	ds_bpermute_b32 v37, v45, v35
	s_wait_dscnt 0x0
	v_pk_add_f32 v[34:35], v[34:35], v[36:37]
	ds_bpermute_b32 v36, v46, v34
	ds_bpermute_b32 v37, v46, v35
	s_wait_dscnt 0x0
	v_pk_add_f32 v[34:35], v[34:35], v[36:37]
	;; [unrolled: 4-line block ×3, first 2 shown]
	s_or_b32 exec_lo, exec_lo, s6
	s_and_saveexec_b32 s6, s3
	s_cbranch_execnz .LBB122_32
	s_branch .LBB122_33
.LBB122_54:                             ;   in Loop: Header=BB122_17 Depth=2
	ds_load_b64 v[30:31], v39
	s_or_b32 exec_lo, exec_lo, s6
	s_and_saveexec_b32 s6, s3
	s_cbranch_execz .LBB122_37
.LBB122_55:                             ;   in Loop: Header=BB122_17 Depth=2
	s_wait_dscnt 0x0
	ds_bpermute_b32 v36, v45, v30
	ds_bpermute_b32 v37, v45, v31
	s_wait_dscnt 0x0
	v_pk_add_f32 v[30:31], v[30:31], v[36:37]
	ds_bpermute_b32 v36, v46, v30
	ds_bpermute_b32 v37, v46, v31
	s_wait_dscnt 0x0
	v_pk_add_f32 v[30:31], v[30:31], v[36:37]
	;; [unrolled: 4-line block ×3, first 2 shown]
	s_or_b32 exec_lo, exec_lo, s6
	s_and_saveexec_b32 s6, s3
	s_cbranch_execnz .LBB122_38
	s_branch .LBB122_39
.LBB122_56:                             ;   in Loop: Header=BB122_17 Depth=2
	ds_load_b64 v[28:29], v39
	s_or_b32 exec_lo, exec_lo, s6
	s_and_saveexec_b32 s6, s3
	s_cbranch_execz .LBB122_43
.LBB122_57:                             ;   in Loop: Header=BB122_17 Depth=2
	s_wait_dscnt 0x0
	ds_bpermute_b32 v36, v45, v28
	ds_bpermute_b32 v37, v45, v29
	s_wait_dscnt 0x0
	v_pk_add_f32 v[28:29], v[28:29], v[36:37]
	ds_bpermute_b32 v36, v46, v28
	ds_bpermute_b32 v37, v46, v29
	s_wait_dscnt 0x0
	v_pk_add_f32 v[28:29], v[28:29], v[36:37]
	;; [unrolled: 4-line block ×3, first 2 shown]
	s_or_b32 exec_lo, exec_lo, s6
	s_and_saveexec_b32 s6, s0
	s_cbranch_execz .LBB122_16
.LBB122_58:                             ;   in Loop: Header=BB122_17 Depth=2
	v_mov_b64_e32 v[36:37], s[34:35]
	v_mov_b64_e32 v[48:49], s[14:15]
	s_or_b32 s72, s10, 1
	s_mov_b32 s73, s11
	s_mul_u64 s[8:9], s[10:11], s[28:29]
	s_mul_u64 s[72:73], s[72:73], s[28:29]
	s_lshl_b64 s[8:9], s[8:9], 3
	v_pk_mul_f32 v[50:51], v[32:33], v[36:37] op_sel:[1,0]
	v_pk_mul_f32 v[52:53], v[34:35], v[36:37] op_sel:[1,0]
	s_lshl_b64 s[72:73], s[72:73], 3
	s_add_nc_u64 s[8:9], s[58:59], s[8:9]
	s_add_nc_u64 s[72:73], s[58:59], s[72:73]
	v_pk_fma_f32 v[54:55], v[32:33], v[48:49], v[50:51] op_sel_hi:[0,1,1]
	v_pk_fma_f32 v[56:57], v[34:35], v[48:49], v[52:53] op_sel_hi:[0,1,1]
	v_pk_fma_f32 v[32:33], v[32:33], v[48:49], v[50:51] neg_lo:[0,0,1] neg_hi:[0,0,1]
	v_pk_fma_f32 v[34:35], v[34:35], v[48:49], v[52:53] neg_lo:[0,0,1] neg_hi:[0,0,1]
	s_or_b32 s74, s10, 2
	s_delay_alu instid0(VALU_DEP_3)
	v_dual_mov_b32 v33, v55 :: v_dual_mov_b32 v35, v57
	s_mov_b32 s75, s11
	global_store_b64 v42, v[32:33], s[8:9]
	s_wait_xcnt 0x0
	v_pk_mul_f32 v[32:33], v[30:31], v[36:37] op_sel:[1,0]
	global_store_b64 v42, v[34:35], s[72:73]
	s_wait_dscnt 0x0
	s_wait_xcnt 0x0
	v_pk_mul_f32 v[34:35], v[28:29], v[36:37] op_sel:[1,0]
	s_or_b32 s72, s10, 3
	s_mov_b32 s73, s11
	v_pk_fma_f32 v[36:37], v[30:31], v[48:49], v[32:33] op_sel_hi:[0,1,1]
	v_pk_fma_f32 v[30:31], v[30:31], v[48:49], v[32:33] neg_lo:[0,0,1] neg_hi:[0,0,1]
	v_pk_fma_f32 v[32:33], v[28:29], v[48:49], v[34:35] op_sel_hi:[0,1,1]
	s_mul_u64 s[8:9], s[74:75], s[28:29]
	s_mul_u64 s[72:73], s[72:73], s[28:29]
	v_mov_b32_e32 v31, v37
	v_pk_fma_f32 v[28:29], v[28:29], v[48:49], v[34:35] neg_lo:[0,0,1] neg_hi:[0,0,1]
	s_lshl_b64 s[8:9], s[8:9], 3
	v_mov_b32_e32 v29, v33
	s_lshl_b64 s[72:73], s[72:73], 3
	s_add_nc_u64 s[8:9], s[58:59], s[8:9]
	s_add_nc_u64 s[72:73], s[58:59], s[72:73]
	s_clause 0x1
	global_store_b64 v42, v[30:31], s[8:9]
	global_store_b64 v42, v[28:29], s[72:73]
	s_branch .LBB122_16
.LBB122_59:                             ;   in Loop: Header=BB122_17 Depth=2
	v_mov_b32_e32 v33, 0
	s_delay_alu instid0(VALU_DEP_1)
	v_dual_mov_b32 v32, v33 :: v_dual_mov_b32 v35, v33
	v_dual_mov_b32 v34, v33 :: v_dual_mov_b32 v31, v33
	;; [unrolled: 1-line block ×3, first 2 shown]
	v_mov_b32_e32 v28, v33
.LBB122_60:                             ;   in Loop: Header=BB122_17 Depth=2
	s_or_b32 exec_lo, exec_lo, s7
	s_delay_alu instid0(SALU_CYCLE_1)
	s_or_b32 exec_lo, exec_lo, s6
	s_and_saveexec_b32 s6, s3
	s_cbranch_execnz .LBB122_20
	s_branch .LBB122_21
.LBB122_61:                             ;   in Loop: Header=BB122_3 Depth=1
	s_mov_b32 s10, 0
.LBB122_62:                             ;   in Loop: Header=BB122_3 Depth=1
	s_delay_alu instid0(SALU_CYCLE_1)
	s_cmp_ge_i32 s10, s13
	s_cbranch_scc1 .LBB122_2
; %bb.63:                               ;   in Loop: Header=BB122_3 Depth=1
	v_cmp_gt_u32_e32 vcc_lo, 24, v41
	s_mul_u64 s[6:7], s[52:53], s[10:11]
	s_delay_alu instid0(SALU_CYCLE_1) | instskip(SKIP_2) | instid1(VALU_DEP_2)
	s_add_nc_u64 s[6:7], s[6:7], s[60:61]
	v_cndmask_b32_e64 v26, 0, 8, vcc_lo
	v_cmp_gt_u32_e32 vcc_lo, 28, v41
	v_add_lshl_u32 v32, v26, v41, 2
	v_cndmask_b32_e64 v27, 0, 4, vcc_lo
	v_cmp_gt_u32_e32 vcc_lo, 30, v41
	s_delay_alu instid0(VALU_DEP_2) | instskip(SKIP_4) | instid1(VALU_DEP_3)
	v_add_lshl_u32 v33, v27, v41, 2
	s_wait_dscnt 0x0
	v_cndmask_b32_e64 v28, 0, 2, vcc_lo
	v_cmp_ne_u32_e32 vcc_lo, 31, v41
	v_add_nc_u64_e32 v[26:27], s[6:7], v[2:3]
	v_add_lshl_u32 v34, v28, v41, 2
	v_add_co_ci_u32_e64 v29, null, 0, v41, vcc_lo
	s_delay_alu instid0(VALU_DEP_1)
	v_lshlrev_b32_e32 v35, 2, v29
	s_branch .LBB122_65
.LBB122_64:                             ;   in Loop: Header=BB122_65 Depth=2
	s_wait_xcnt 0x0
	s_or_b32 exec_lo, exec_lo, s6
	v_add_nc_u64_e32 v[26:27], s[52:53], v[26:27]
	s_add_co_i32 s10, s10, 1
	s_delay_alu instid0(SALU_CYCLE_1)
	s_cmp_ge_i32 s10, s13
	s_cbranch_scc1 .LBB122_2
.LBB122_65:                             ;   Parent Loop BB122_3 Depth=1
                                        ; =>  This Loop Header: Depth=2
                                        ;       Child Loop BB122_77 Depth 3
                                        ;       Child Loop BB122_79 Depth 3
                                        ; implicit-def: $vgpr29
	s_and_saveexec_b32 s6, s1
	s_delay_alu instid0(SALU_CYCLE_1)
	s_xor_b32 s6, exec_lo, s6
	s_cbranch_execnz .LBB122_74
; %bb.66:                               ;   in Loop: Header=BB122_65 Depth=2
	s_and_not1_saveexec_b32 s6, s6
	s_cbranch_execnz .LBB122_75
.LBB122_67:                             ;   in Loop: Header=BB122_65 Depth=2
	s_or_b32 exec_lo, exec_lo, s6
	s_and_saveexec_b32 s6, s3
.LBB122_68:                             ;   in Loop: Header=BB122_65 Depth=2
	ds_store_b64 v39, v[12:13]
.LBB122_69:                             ;   in Loop: Header=BB122_65 Depth=2
	s_or_b32 exec_lo, exec_lo, s6
	s_wait_dscnt 0x0
	ds_bpermute_b32 v30, v43, v28
	ds_bpermute_b32 v31, v43, v29
	s_wait_storecnt_dscnt 0x0
	s_barrier_signal -1
	s_barrier_wait -1
	v_pk_add_f32 v[28:29], v[28:29], v[30:31]
	ds_bpermute_b32 v30, v32, v28
	ds_bpermute_b32 v31, v32, v29
	s_wait_dscnt 0x0
	v_pk_add_f32 v[28:29], v[28:29], v[30:31]
	ds_bpermute_b32 v30, v33, v28
	ds_bpermute_b32 v31, v33, v29
	s_wait_dscnt 0x0
	;; [unrolled: 4-line block ×3, first 2 shown]
	v_pk_add_f32 v[28:29], v[28:29], v[30:31]
	ds_bpermute_b32 v30, v35, v28
	ds_bpermute_b32 v31, v35, v29
	s_and_saveexec_b32 s6, s4
	s_cbranch_execz .LBB122_71
; %bb.70:                               ;   in Loop: Header=BB122_65 Depth=2
	s_wait_dscnt 0x0
	v_pk_add_f32 v[28:29], v[28:29], v[30:31]
	ds_store_b64 v40, v[28:29]
.LBB122_71:                             ;   in Loop: Header=BB122_65 Depth=2
	s_or_b32 exec_lo, exec_lo, s6
	v_mov_b64_e32 v[28:29], 0
	s_wait_dscnt 0x0
	s_barrier_signal -1
	s_barrier_wait -1
	s_and_saveexec_b32 s6, s5
	s_cbranch_execnz .LBB122_81
; %bb.72:                               ;   in Loop: Header=BB122_65 Depth=2
	s_or_b32 exec_lo, exec_lo, s6
	s_and_saveexec_b32 s6, s3
	s_cbranch_execnz .LBB122_82
.LBB122_73:                             ;   in Loop: Header=BB122_65 Depth=2
	s_or_b32 exec_lo, exec_lo, s6
	s_and_saveexec_b32 s6, s0
	s_cbranch_execz .LBB122_64
	s_branch .LBB122_83
.LBB122_74:                             ;   in Loop: Header=BB122_65 Depth=2
	s_mul_u64 s[8:9], s[10:11], s[26:27]
	s_delay_alu instid0(SALU_CYCLE_1)
	v_lshl_add_u64 v[36:37], s[8:9], 3, v[16:17]
	global_load_b64 v[44:45], v[18:19], off
	global_load_b64 v[52:53], v[36:37], off
	s_wait_dscnt 0x0
	global_load_b128 v[28:31], v[36:37], off offset:8
	s_clause 0x2
	global_load_b64 v[46:47], v[20:21], off
	global_load_b64 v[48:49], v[22:23], off
	;; [unrolled: 1-line block ×3, first 2 shown]
	global_load_b64 v[36:37], v[36:37], off offset:24
	s_wait_loadcnt 0x3
	ds_store_b128 v38, v[44:47]
	s_wait_loadcnt 0x1
	ds_store_b128 v38, v[48:51] offset:16
	v_dual_mul_f32 v54, v45, v53 :: v_dual_mul_f32 v55, v44, v53
	v_pk_mul_f32 v[56:57], v[46:47], v[28:29] op_sel:[1,1] op_sel_hi:[1,0]
	v_dual_mov_b32 v58, v31 :: v_dual_mov_b32 v59, v30
	s_delay_alu instid0(VALU_DEP_3) | instskip(NEXT) | instid1(VALU_DEP_3)
	v_dual_fma_f32 v54, v44, v52, -v54 :: v_dual_fmac_f32 v55, v45, v52
	v_pk_fma_f32 v[52:53], v[46:47], v[28:29], v[56:57] op_sel_hi:[0,1,1]
	v_pk_fma_f32 v[28:29], v[46:47], v[28:29], v[56:57] neg_lo:[0,0,1] neg_hi:[0,0,1]
	s_delay_alu instid0(VALU_DEP_4)
	v_pk_mul_f32 v[58:59], v[48:49], v[58:59] op_sel:[1,0]
	s_wait_loadcnt 0x0
	v_pk_mul_f32 v[56:57], v[50:51], v[36:37] op_sel:[1,1] op_sel_hi:[1,0]
	v_pk_add_f32 v[54:55], v[54:55], 0 op_sel_hi:[1,0]
	v_mov_b32_e32 v29, v53
	v_pk_fma_f32 v[52:53], v[48:49], v[30:31], v[58:59] op_sel_hi:[0,1,1]
	v_pk_fma_f32 v[30:31], v[48:49], v[30:31], v[58:59] neg_lo:[0,0,1] neg_hi:[0,0,1]
	s_delay_alu instid0(VALU_DEP_2) | instskip(NEXT) | instid1(VALU_DEP_4)
	v_mov_b32_e32 v31, v53
	v_pk_add_f32 v[28:29], v[54:55], v[28:29]
	v_pk_fma_f32 v[52:53], v[50:51], v[36:37], v[56:57] op_sel_hi:[0,1,1]
	s_wait_xcnt 0x0
	v_pk_fma_f32 v[36:37], v[50:51], v[36:37], v[56:57] neg_lo:[0,0,1] neg_hi:[0,0,1]
	s_delay_alu instid0(VALU_DEP_3) | instskip(NEXT) | instid1(VALU_DEP_3)
	v_pk_add_f32 v[28:29], v[28:29], v[30:31]
	v_mov_b32_e32 v37, v53
	s_delay_alu instid0(VALU_DEP_1)
	v_pk_add_f32 v[28:29], v[28:29], v[36:37]
	s_and_not1_saveexec_b32 s6, s6
	s_cbranch_execz .LBB122_67
.LBB122_75:                             ;   in Loop: Header=BB122_65 Depth=2
	s_wait_dscnt 0x0
	v_mov_b32_e32 v29, 0
	s_delay_alu instid0(VALU_DEP_1)
	v_mov_b32_e32 v28, v29
	s_and_saveexec_b32 s7, s67
	s_cbranch_execz .LBB122_80
; %bb.76:                               ;   in Loop: Header=BB122_65 Depth=2
	v_mov_b64_e32 v[28:29], v[14:15]
	v_mov_b32_e32 v30, v38
	s_mov_b32 s8, s65
.LBB122_77:                             ;   Parent Loop BB122_3 Depth=1
                                        ;     Parent Loop BB122_65 Depth=2
                                        ; =>    This Inner Loop Header: Depth=3
	global_load_b64 v[36:37], v[28:29], off
	s_wait_xcnt 0x0
	v_add_nc_u64_e32 v[28:29], s[46:47], v[28:29]
	s_add_co_i32 s8, s8, -1
	s_delay_alu instid0(SALU_CYCLE_1)
	s_cmp_eq_u32 s8, 0
	s_wait_loadcnt 0x0
	ds_store_b64 v30, v[36:37]
	v_add_nc_u32_e32 v30, 8, v30
	s_cbranch_scc0 .LBB122_77
; %bb.78:                               ;   in Loop: Header=BB122_65 Depth=2
	v_dual_mov_b32 v28, 0 :: v_dual_mov_b32 v36, v38
	v_mov_b64_e32 v[30:31], v[26:27]
	s_mov_b32 s8, s65
	s_delay_alu instid0(VALU_DEP_2)
	v_mov_b32_e32 v29, v28
.LBB122_79:                             ;   Parent Loop BB122_3 Depth=1
                                        ;     Parent Loop BB122_65 Depth=2
                                        ; =>    This Inner Loop Header: Depth=3
	global_load_b64 v[44:45], v[30:31], off
	ds_load_b64 v[46:47], v36
	s_wait_xcnt 0x0
	v_add_nc_u64_e32 v[30:31], 8, v[30:31]
	s_add_co_i32 s8, s8, -1
	v_add_nc_u32_e32 v36, 8, v36
	s_cmp_lg_u32 s8, 0
	s_wait_loadcnt_dscnt 0x0
	v_pk_mul_f32 v[48:49], v[46:47], v[44:45] op_sel:[1,1] op_sel_hi:[0,1]
	s_delay_alu instid0(VALU_DEP_1) | instskip(SKIP_1) | instid1(VALU_DEP_2)
	v_pk_fma_f32 v[50:51], v[46:47], v[44:45], v[48:49] op_sel_hi:[1,0,1]
	v_pk_fma_f32 v[44:45], v[46:47], v[44:45], v[48:49] neg_lo:[0,0,1] neg_hi:[0,0,1]
	v_mov_b32_e32 v45, v51
	s_delay_alu instid0(VALU_DEP_1)
	v_pk_add_f32 v[28:29], v[28:29], v[44:45]
	s_cbranch_scc1 .LBB122_79
.LBB122_80:                             ;   in Loop: Header=BB122_65 Depth=2
	s_or_b32 exec_lo, exec_lo, s7
	s_delay_alu instid0(SALU_CYCLE_1)
	s_or_b32 exec_lo, exec_lo, s6
	s_and_saveexec_b32 s6, s3
	s_cbranch_execnz .LBB122_68
	s_branch .LBB122_69
.LBB122_81:                             ;   in Loop: Header=BB122_65 Depth=2
	ds_load_b64 v[28:29], v39
	s_or_b32 exec_lo, exec_lo, s6
	s_and_saveexec_b32 s6, s3
	s_cbranch_execz .LBB122_73
.LBB122_82:                             ;   in Loop: Header=BB122_65 Depth=2
	s_wait_dscnt 0x0
	ds_bpermute_b32 v30, v33, v28
	ds_bpermute_b32 v31, v33, v29
	s_wait_dscnt 0x0
	v_pk_add_f32 v[28:29], v[28:29], v[30:31]
	ds_bpermute_b32 v30, v34, v28
	ds_bpermute_b32 v31, v34, v29
	s_wait_dscnt 0x0
	v_pk_add_f32 v[28:29], v[28:29], v[30:31]
	;; [unrolled: 4-line block ×3, first 2 shown]
	s_or_b32 exec_lo, exec_lo, s6
	s_and_saveexec_b32 s6, s0
	s_cbranch_execz .LBB122_64
.LBB122_83:                             ;   in Loop: Header=BB122_65 Depth=2
	v_mov_b64_e32 v[30:31], s[34:35]
	v_mov_b64_e32 v[36:37], s[14:15]
	s_mul_u64 s[8:9], s[10:11], s[28:29]
	s_delay_alu instid0(SALU_CYCLE_1) | instskip(NEXT) | instid1(SALU_CYCLE_1)
	s_lshl_b64 s[8:9], s[8:9], 3
	s_add_nc_u64 s[8:9], s[58:59], s[8:9]
	s_wait_dscnt 0x0
	s_delay_alu instid0(VALU_DEP_2) | instskip(NEXT) | instid1(VALU_DEP_1)
	v_pk_mul_f32 v[30:31], v[28:29], v[30:31] op_sel:[1,0]
	v_pk_fma_f32 v[44:45], v[28:29], v[36:37], v[30:31] op_sel_hi:[0,1,1]
	v_pk_fma_f32 v[28:29], v[28:29], v[36:37], v[30:31] neg_lo:[0,0,1] neg_hi:[0,0,1]
	s_delay_alu instid0(VALU_DEP_2)
	v_mov_b32_e32 v29, v45
	global_store_b64 v42, v[28:29], s[8:9]
	s_branch .LBB122_64
.LBB122_84:
	s_sendmsg sendmsg(MSG_DEALLOC_VGPRS)
	s_endpgm
	.section	.rodata,"a",@progbits
	.p2align	6, 0x0
	.amdhsa_kernel _ZL23rocblas_gemvt_sn_kernelILb0ELi256ELi4El19rocblas_complex_numIfES1_S1_EviiT4_lPKT3_lilS5_lilPT5_i
		.amdhsa_group_segment_fixed_size 8448
		.amdhsa_private_segment_fixed_size 0
		.amdhsa_kernarg_size 360
		.amdhsa_user_sgpr_count 4
		.amdhsa_user_sgpr_dispatch_ptr 1
		.amdhsa_user_sgpr_queue_ptr 0
		.amdhsa_user_sgpr_kernarg_segment_ptr 1
		.amdhsa_user_sgpr_dispatch_id 0
		.amdhsa_user_sgpr_kernarg_preload_length 0
		.amdhsa_user_sgpr_kernarg_preload_offset 0
		.amdhsa_user_sgpr_private_segment_size 0
		.amdhsa_wavefront_size32 1
		.amdhsa_uses_dynamic_stack 0
		.amdhsa_enable_private_segment 0
		.amdhsa_system_sgpr_workgroup_id_x 1
		.amdhsa_system_sgpr_workgroup_id_y 0
		.amdhsa_system_sgpr_workgroup_id_z 1
		.amdhsa_system_sgpr_workgroup_info 0
		.amdhsa_system_vgpr_workitem_id 2
		.amdhsa_next_free_vgpr 104
		.amdhsa_next_free_sgpr 78
		.amdhsa_named_barrier_count 0
		.amdhsa_reserve_vcc 1
		.amdhsa_float_round_mode_32 0
		.amdhsa_float_round_mode_16_64 0
		.amdhsa_float_denorm_mode_32 3
		.amdhsa_float_denorm_mode_16_64 3
		.amdhsa_fp16_overflow 0
		.amdhsa_memory_ordered 1
		.amdhsa_forward_progress 1
		.amdhsa_inst_pref_size 43
		.amdhsa_round_robin_scheduling 0
		.amdhsa_exception_fp_ieee_invalid_op 0
		.amdhsa_exception_fp_denorm_src 0
		.amdhsa_exception_fp_ieee_div_zero 0
		.amdhsa_exception_fp_ieee_overflow 0
		.amdhsa_exception_fp_ieee_underflow 0
		.amdhsa_exception_fp_ieee_inexact 0
		.amdhsa_exception_int_div_zero 0
	.end_amdhsa_kernel
	.section	.text._ZL23rocblas_gemvt_sn_kernelILb0ELi256ELi4El19rocblas_complex_numIfES1_S1_EviiT4_lPKT3_lilS5_lilPT5_i,"axG",@progbits,_ZL23rocblas_gemvt_sn_kernelILb0ELi256ELi4El19rocblas_complex_numIfES1_S1_EviiT4_lPKT3_lilS5_lilPT5_i,comdat
.Lfunc_end122:
	.size	_ZL23rocblas_gemvt_sn_kernelILb0ELi256ELi4El19rocblas_complex_numIfES1_S1_EviiT4_lPKT3_lilS5_lilPT5_i, .Lfunc_end122-_ZL23rocblas_gemvt_sn_kernelILb0ELi256ELi4El19rocblas_complex_numIfES1_S1_EviiT4_lPKT3_lilS5_lilPT5_i
                                        ; -- End function
	.set _ZL23rocblas_gemvt_sn_kernelILb0ELi256ELi4El19rocblas_complex_numIfES1_S1_EviiT4_lPKT3_lilS5_lilPT5_i.num_vgpr, 104
	.set _ZL23rocblas_gemvt_sn_kernelILb0ELi256ELi4El19rocblas_complex_numIfES1_S1_EviiT4_lPKT3_lilS5_lilPT5_i.num_agpr, 0
	.set _ZL23rocblas_gemvt_sn_kernelILb0ELi256ELi4El19rocblas_complex_numIfES1_S1_EviiT4_lPKT3_lilS5_lilPT5_i.numbered_sgpr, 78
	.set _ZL23rocblas_gemvt_sn_kernelILb0ELi256ELi4El19rocblas_complex_numIfES1_S1_EviiT4_lPKT3_lilS5_lilPT5_i.num_named_barrier, 0
	.set _ZL23rocblas_gemvt_sn_kernelILb0ELi256ELi4El19rocblas_complex_numIfES1_S1_EviiT4_lPKT3_lilS5_lilPT5_i.private_seg_size, 0
	.set _ZL23rocblas_gemvt_sn_kernelILb0ELi256ELi4El19rocblas_complex_numIfES1_S1_EviiT4_lPKT3_lilS5_lilPT5_i.uses_vcc, 1
	.set _ZL23rocblas_gemvt_sn_kernelILb0ELi256ELi4El19rocblas_complex_numIfES1_S1_EviiT4_lPKT3_lilS5_lilPT5_i.uses_flat_scratch, 0
	.set _ZL23rocblas_gemvt_sn_kernelILb0ELi256ELi4El19rocblas_complex_numIfES1_S1_EviiT4_lPKT3_lilS5_lilPT5_i.has_dyn_sized_stack, 0
	.set _ZL23rocblas_gemvt_sn_kernelILb0ELi256ELi4El19rocblas_complex_numIfES1_S1_EviiT4_lPKT3_lilS5_lilPT5_i.has_recursion, 0
	.set _ZL23rocblas_gemvt_sn_kernelILb0ELi256ELi4El19rocblas_complex_numIfES1_S1_EviiT4_lPKT3_lilS5_lilPT5_i.has_indirect_call, 0
	.section	.AMDGPU.csdata,"",@progbits
; Kernel info:
; codeLenInByte = 5424
; TotalNumSgprs: 80
; NumVgprs: 104
; ScratchSize: 0
; MemoryBound: 0
; FloatMode: 240
; IeeeMode: 1
; LDSByteSize: 8448 bytes/workgroup (compile time only)
; SGPRBlocks: 0
; VGPRBlocks: 6
; NumSGPRsForWavesPerEU: 80
; NumVGPRsForWavesPerEU: 104
; NamedBarCnt: 0
; Occupancy: 9
; WaveLimiterHint : 0
; COMPUTE_PGM_RSRC2:SCRATCH_EN: 0
; COMPUTE_PGM_RSRC2:USER_SGPR: 4
; COMPUTE_PGM_RSRC2:TRAP_HANDLER: 0
; COMPUTE_PGM_RSRC2:TGID_X_EN: 1
; COMPUTE_PGM_RSRC2:TGID_Y_EN: 0
; COMPUTE_PGM_RSRC2:TGID_Z_EN: 1
; COMPUTE_PGM_RSRC2:TIDIG_COMP_CNT: 2
	.section	.text._ZL23rocblas_gemvt_sn_reduceILi256ELi8E19rocblas_complex_numIfES1_S1_EviT2_lPT3_lilPT1_i,"axG",@progbits,_ZL23rocblas_gemvt_sn_reduceILi256ELi8E19rocblas_complex_numIfES1_S1_EviT2_lPT3_lilPT1_i,comdat
	.globl	_ZL23rocblas_gemvt_sn_reduceILi256ELi8E19rocblas_complex_numIfES1_S1_EviT2_lPT3_lilPT1_i ; -- Begin function _ZL23rocblas_gemvt_sn_reduceILi256ELi8E19rocblas_complex_numIfES1_S1_EviT2_lPT3_lilPT1_i
	.p2align	8
	.type	_ZL23rocblas_gemvt_sn_reduceILi256ELi8E19rocblas_complex_numIfES1_S1_EviT2_lPT3_lilPT1_i,@function
_ZL23rocblas_gemvt_sn_reduceILi256ELi8E19rocblas_complex_numIfES1_S1_EviT2_lPT3_lilPT1_i: ; @_ZL23rocblas_gemvt_sn_reduceILi256ELi8E19rocblas_complex_numIfES1_S1_EviT2_lPT3_lilPT1_i
; %bb.0:
	s_load_b32 s30, s[0:1], 0x40
	s_bfe_u32 s2, ttmp6, 0x40014
	s_lshr_b32 s3, ttmp7, 16
	s_add_co_i32 s2, s2, 1
	s_bfe_u32 s5, ttmp6, 0x40008
	s_mul_i32 s4, s3, s2
	s_getreg_b32 s2, hwreg(HW_REG_IB_STS2, 6, 4)
	s_add_co_i32 s5, s5, s4
	s_cmp_eq_u32 s2, 0
	s_mov_b32 s7, 0
	s_cselect_b32 s6, s3, s5
	s_wait_kmcnt 0x0
	s_cmp_ge_u32 s6, s30
	s_cbranch_scc1 .LBB123_21
; %bb.1:
	s_clause 0x5
	s_load_b96 s[12:14], s[0:1], 0x0
	s_load_b32 s31, s[0:1], 0x4c
	s_load_b32 s3, s[0:1], 0x54
	;; [unrolled: 1-line block ×3, first 2 shown]
	s_load_b128 s[24:27], s[0:1], 0x18
	s_load_b128 s[8:11], s[0:1], 0x30
	v_mbcnt_lo_u32_b32 v1, -1, 0
	s_wait_xcnt 0x0
	s_bfe_u32 s0, ttmp6, 0x40010
	s_and_b32 s4, ttmp7, 0xffff
	s_add_co_i32 s0, s0, 1
	s_bfe_u32 s1, ttmp6, 0x40004
	v_cmp_gt_u32_e32 vcc_lo, 24, v1
	s_mul_i32 s0, s4, s0
	v_dual_lshlrev_b32 v10, 3, v0 :: v_dual_bitop2_b32 v4, 31, v0 bitop3:0x40
	s_add_co_i32 s5, s1, s0
	v_cndmask_b32_e64 v5, 0, 8, vcc_lo
	v_cmp_gt_u32_e32 vcc_lo, 28, v1
	s_delay_alu instid0(VALU_DEP_3)
	v_dual_mov_b32 v3, 0 :: v_dual_lshlrev_b32 v11, 3, v4
	s_wait_kmcnt 0x0
	s_ashr_i32 s19, s12, 31
	v_add_lshl_u32 v13, v5, v1, 2
	v_cndmask_b32_e64 v5, 0, 4, vcc_lo
	v_cmp_gt_u32_e32 vcc_lo, 30, v1
	s_ashr_i32 s29, s28, 31
	s_lshl_b64 s[0:1], s[26:27], 3
	s_cmp_eq_u32 s2, 0
	s_add_nc_u64 s[22:23], s[24:25], s[0:1]
	v_cndmask_b32_e64 v6, 0, 2, vcc_lo
	v_cmp_ne_u32_e32 vcc_lo, 31, v1
	s_cselect_b32 s20, s4, s5
	s_lshr_b32 s2, s19, 29
	v_lshl_or_b32 v12, v1, 2, 64
	s_add_co_i32 s0, s12, s2
	v_add_co_ci_u32_e64 v7, null, 0, v1, vcc_lo
	v_add_lshl_u32 v14, v5, v1, 2
	v_add_lshl_u32 v15, v6, v1, 2
	s_delay_alu instid0(VALU_DEP_3)
	v_dual_lshrrev_b32 v1, 2, v0 :: v_dual_lshlrev_b32 v16, 2, v7
	s_and_b32 s33, s0, -8
	s_and_b32 s24, s3, 0xffff
	s_sub_co_i32 s1, s12, s33
	s_lshl_b32 s34, s24, 3
	v_xad_u32 v2, v0, -1, s12
	v_cmp_gt_u32_e64 s1, s1, v0
	v_cmp_gt_u32_e64 s2, 32, v0
	s_cmp_neq_f32 s13, 0
	v_and_b32_e32 v17, 56, v1
	v_cmp_gt_u32_e64 s4, 8, v0
	v_cmp_eq_u32_e64 s5, 0, v0
	v_dual_mov_b32 v1, v3 :: v_dual_lshlrev_b32 v0, 6, v0
	s_mov_b32 s18, s12
	s_cselect_b32 s12, -1, 0
	s_cmp_neq_f32 s14, 0
	v_cmp_eq_u32_e64 s3, 0, v4
	v_add_nc_u64_e32 v[0:1], s[10:11], v[0:1]
	v_mov_b64_e32 v[4:5], 0
	s_mov_b32 s21, s7
	v_cmp_gt_i32_e64 s0, s33, v10
	s_cselect_b32 s15, -1, 0
	s_mul_u64 s[26:27], s[28:29], s[20:21]
	s_mul_i32 s21, s6, s31
	s_mov_b32 s16, s13
	s_mov_b32 s17, s14
	s_or_b32 s35, s12, s15
	s_mov_b32 s12, s14
	s_lshl_b64 s[14:15], s[18:19], 3
	s_add_co_i32 s21, s20, s21
	s_lshl_b32 s36, s31, 16
	s_lshl_b32 s24, s24, 6
	s_mov_b32 s25, s7
	s_lshl_b64 s[26:27], s[26:27], 3
	s_branch .LBB123_4
.LBB123_2:                              ;   in Loop: Header=BB123_4 Depth=1
	s_wait_dscnt 0x0
	global_store_b64 v3, v[6:7], s[28:29]
.LBB123_3:                              ;   in Loop: Header=BB123_4 Depth=1
	s_wait_xcnt 0x0
	s_or_b32 exec_lo, exec_lo, s37
	s_add_co_i32 s6, s6, 0x10000
	s_add_co_i32 s21, s21, s36
	s_cmp_lt_u32 s6, s30
	s_cbranch_scc0 .LBB123_21
.LBB123_4:                              ; =>This Loop Header: Depth=1
                                        ;     Child Loop BB123_14 Depth 2
	s_wait_dscnt 0x0
	v_mov_b64_e32 v[6:7], 0
	s_and_saveexec_b32 s28, s0
	s_cbranch_execnz .LBB123_13
; %bb.5:                                ;   in Loop: Header=BB123_4 Depth=1
	s_or_b32 exec_lo, exec_lo, s28
	s_and_saveexec_b32 s28, s1
	s_cbranch_execnz .LBB123_16
.LBB123_6:                              ;   in Loop: Header=BB123_4 Depth=1
	s_or_b32 exec_lo, exec_lo, s28
	s_and_saveexec_b32 s28, s2
.LBB123_7:                              ;   in Loop: Header=BB123_4 Depth=1
	ds_store_b64 v11, v[4:5]
.LBB123_8:                              ;   in Loop: Header=BB123_4 Depth=1
	s_or_b32 exec_lo, exec_lo, s28
	ds_bpermute_b32 v8, v12, v6
	ds_bpermute_b32 v9, v12, v7
	s_wait_dscnt 0x0
	s_barrier_signal -1
	s_barrier_wait -1
	v_pk_add_f32 v[6:7], v[6:7], v[8:9]
	ds_bpermute_b32 v8, v13, v6
	ds_bpermute_b32 v9, v13, v7
	s_wait_dscnt 0x0
	v_pk_add_f32 v[6:7], v[6:7], v[8:9]
	ds_bpermute_b32 v8, v14, v6
	ds_bpermute_b32 v9, v14, v7
	s_wait_dscnt 0x0
	;; [unrolled: 4-line block ×3, first 2 shown]
	v_pk_add_f32 v[6:7], v[6:7], v[8:9]
	ds_bpermute_b32 v8, v16, v6
	ds_bpermute_b32 v9, v16, v7
	s_and_saveexec_b32 s28, s3
	s_cbranch_execz .LBB123_10
; %bb.9:                                ;   in Loop: Header=BB123_4 Depth=1
	s_wait_dscnt 0x0
	v_pk_add_f32 v[6:7], v[6:7], v[8:9]
	ds_store_b64 v17, v[6:7]
.LBB123_10:                             ;   in Loop: Header=BB123_4 Depth=1
	s_or_b32 exec_lo, exec_lo, s28
	v_mov_b64_e32 v[6:7], 0
	s_wait_dscnt 0x0
	s_barrier_signal -1
	s_barrier_wait -1
	s_and_saveexec_b32 s28, s4
	s_cbranch_execnz .LBB123_17
; %bb.11:                               ;   in Loop: Header=BB123_4 Depth=1
	s_or_b32 exec_lo, exec_lo, s28
	s_and_saveexec_b32 s28, s2
	s_cbranch_execnz .LBB123_18
.LBB123_12:                             ;   in Loop: Header=BB123_4 Depth=1
	s_or_b32 exec_lo, exec_lo, s28
	s_and_saveexec_b32 s37, s5
	s_cbranch_execz .LBB123_3
	s_branch .LBB123_19
.LBB123_13:                             ;   in Loop: Header=BB123_4 Depth=1
	v_mad_nc_u64_u32 v[8:9], s14, s21, v[0:1]
	v_dual_mov_b32 v6, 0 :: v_dual_mov_b32 v18, v10
	s_mov_b32 s29, 0
	s_delay_alu instid0(VALU_DEP_1) | instskip(NEXT) | instid1(VALU_DEP_3)
	v_mov_b32_e32 v7, v6
	v_mad_u32 v9, s15, s21, v9
.LBB123_14:                             ;   Parent Loop BB123_4 Depth=1
                                        ; =>  This Inner Loop Header: Depth=2
	s_clause 0x3
	global_load_b128 v[20:23], v[8:9], off
	global_load_b128 v[24:27], v[8:9], off offset:16
	global_load_b128 v[28:31], v[8:9], off offset:32
	;; [unrolled: 1-line block ×3, first 2 shown]
	v_add_nc_u32_e32 v18, s34, v18
	s_wait_xcnt 0x0
	v_add_nc_u64_e32 v[8:9], s[24:25], v[8:9]
	s_delay_alu instid0(VALU_DEP_2) | instskip(SKIP_3) | instid1(VALU_DEP_1)
	v_cmp_le_i32_e32 vcc_lo, s33, v18
	s_or_b32 s29, vcc_lo, s29
	s_wait_loadcnt 0x3
	v_pk_add_f32 v[6:7], v[6:7], v[20:21]
	v_pk_add_f32 v[6:7], v[6:7], v[22:23]
	s_wait_loadcnt 0x2
	s_delay_alu instid0(VALU_DEP_1) | instskip(NEXT) | instid1(VALU_DEP_1)
	v_pk_add_f32 v[6:7], v[6:7], v[24:25]
	v_pk_add_f32 v[6:7], v[6:7], v[26:27]
	s_wait_loadcnt 0x1
	s_delay_alu instid0(VALU_DEP_1) | instskip(NEXT) | instid1(VALU_DEP_1)
	;; [unrolled: 4-line block ×3, first 2 shown]
	v_pk_add_f32 v[6:7], v[6:7], v[32:33]
	v_pk_add_f32 v[6:7], v[6:7], v[34:35]
	s_and_not1_b32 exec_lo, exec_lo, s29
	s_cbranch_execnz .LBB123_14
; %bb.15:                               ;   in Loop: Header=BB123_4 Depth=1
	s_or_b32 exec_lo, exec_lo, s29
	s_delay_alu instid0(SALU_CYCLE_1)
	s_or_b32 exec_lo, exec_lo, s28
	s_and_saveexec_b32 s28, s1
	s_cbranch_execz .LBB123_6
.LBB123_16:                             ;   in Loop: Header=BB123_4 Depth=1
	s_mul_i32 s29, s31, s6
	s_mov_b32 s39, s7
	s_add_co_i32 s38, s29, s20
	s_delay_alu instid0(SALU_CYCLE_1) | instskip(NEXT) | instid1(SALU_CYCLE_1)
	s_mul_u64 s[38:39], s[38:39], s[18:19]
	s_lshl_b64 s[38:39], s[38:39], 3
	s_delay_alu instid0(SALU_CYCLE_1) | instskip(NEXT) | instid1(SALU_CYCLE_1)
	s_add_nc_u64 s[38:39], s[10:11], s[38:39]
	v_lshl_add_u64 v[8:9], v[2:3], 3, s[38:39]
	global_load_b64 v[8:9], v[8:9], off
	s_wait_loadcnt 0x0
	v_pk_add_f32 v[6:7], v[6:7], v[8:9]
	s_wait_xcnt 0x0
	s_or_b32 exec_lo, exec_lo, s28
	s_and_saveexec_b32 s28, s2
	s_cbranch_execnz .LBB123_7
	s_branch .LBB123_8
.LBB123_17:                             ;   in Loop: Header=BB123_4 Depth=1
	ds_load_b64 v[6:7], v11
	s_or_b32 exec_lo, exec_lo, s28
	s_and_saveexec_b32 s28, s2
	s_cbranch_execz .LBB123_12
.LBB123_18:                             ;   in Loop: Header=BB123_4 Depth=1
	s_wait_dscnt 0x0
	ds_bpermute_b32 v8, v14, v6
	ds_bpermute_b32 v9, v14, v7
	s_wait_dscnt 0x0
	v_pk_add_f32 v[6:7], v[6:7], v[8:9]
	ds_bpermute_b32 v8, v15, v6
	ds_bpermute_b32 v9, v15, v7
	s_wait_dscnt 0x0
	v_pk_add_f32 v[6:7], v[6:7], v[8:9]
	;; [unrolled: 4-line block ×3, first 2 shown]
	s_or_b32 exec_lo, exec_lo, s28
	s_and_saveexec_b32 s37, s5
	s_cbranch_execz .LBB123_3
.LBB123_19:                             ;   in Loop: Header=BB123_4 Depth=1
	s_mul_u64 s[28:29], s[8:9], s[6:7]
	s_and_not1_b32 vcc_lo, exec_lo, s35
	s_lshl_b64 s[28:29], s[28:29], 3
	s_delay_alu instid0(SALU_CYCLE_1) | instskip(NEXT) | instid1(SALU_CYCLE_1)
	s_add_nc_u64 s[28:29], s[22:23], s[28:29]
	s_add_nc_u64 s[28:29], s[28:29], s[26:27]
	s_cbranch_vccnz .LBB123_2
; %bb.20:                               ;   in Loop: Header=BB123_4 Depth=1
	global_load_b64 v[8:9], v3, s[28:29]
	v_mov_b64_e32 v[18:19], s[12:13]
	v_mov_b64_e32 v[20:21], s[16:17]
	s_wait_loadcnt 0x0
	s_delay_alu instid0(VALU_DEP_2) | instskip(NEXT) | instid1(VALU_DEP_1)
	v_pk_mul_f32 v[18:19], v[18:19], v[8:9] op_sel:[0,1]
	v_pk_fma_f32 v[22:23], v[20:21], v[8:9], v[18:19] op_sel_hi:[1,0,1]
	v_pk_fma_f32 v[8:9], v[20:21], v[8:9], v[18:19] neg_lo:[0,0,1] neg_hi:[0,0,1]
	s_delay_alu instid0(VALU_DEP_2) | instskip(SKIP_1) | instid1(VALU_DEP_1)
	v_mov_b32_e32 v9, v23
	s_wait_dscnt 0x0
	v_pk_add_f32 v[6:7], v[6:7], v[8:9]
	s_branch .LBB123_2
.LBB123_21:
	s_endpgm
	.section	.rodata,"a",@progbits
	.p2align	6, 0x0
	.amdhsa_kernel _ZL23rocblas_gemvt_sn_reduceILi256ELi8E19rocblas_complex_numIfES1_S1_EviT2_lPT3_lilPT1_i
		.amdhsa_group_segment_fixed_size 256
		.amdhsa_private_segment_fixed_size 0
		.amdhsa_kernarg_size 328
		.amdhsa_user_sgpr_count 2
		.amdhsa_user_sgpr_dispatch_ptr 0
		.amdhsa_user_sgpr_queue_ptr 0
		.amdhsa_user_sgpr_kernarg_segment_ptr 1
		.amdhsa_user_sgpr_dispatch_id 0
		.amdhsa_user_sgpr_kernarg_preload_length 0
		.amdhsa_user_sgpr_kernarg_preload_offset 0
		.amdhsa_user_sgpr_private_segment_size 0
		.amdhsa_wavefront_size32 1
		.amdhsa_uses_dynamic_stack 0
		.amdhsa_enable_private_segment 0
		.amdhsa_system_sgpr_workgroup_id_x 1
		.amdhsa_system_sgpr_workgroup_id_y 1
		.amdhsa_system_sgpr_workgroup_id_z 1
		.amdhsa_system_sgpr_workgroup_info 0
		.amdhsa_system_vgpr_workitem_id 0
		.amdhsa_next_free_vgpr 36
		.amdhsa_next_free_sgpr 40
		.amdhsa_named_barrier_count 0
		.amdhsa_reserve_vcc 1
		.amdhsa_float_round_mode_32 0
		.amdhsa_float_round_mode_16_64 0
		.amdhsa_float_denorm_mode_32 3
		.amdhsa_float_denorm_mode_16_64 3
		.amdhsa_fp16_overflow 0
		.amdhsa_memory_ordered 1
		.amdhsa_forward_progress 1
		.amdhsa_inst_pref_size 11
		.amdhsa_round_robin_scheduling 0
		.amdhsa_exception_fp_ieee_invalid_op 0
		.amdhsa_exception_fp_denorm_src 0
		.amdhsa_exception_fp_ieee_div_zero 0
		.amdhsa_exception_fp_ieee_overflow 0
		.amdhsa_exception_fp_ieee_underflow 0
		.amdhsa_exception_fp_ieee_inexact 0
		.amdhsa_exception_int_div_zero 0
	.end_amdhsa_kernel
	.section	.text._ZL23rocblas_gemvt_sn_reduceILi256ELi8E19rocblas_complex_numIfES1_S1_EviT2_lPT3_lilPT1_i,"axG",@progbits,_ZL23rocblas_gemvt_sn_reduceILi256ELi8E19rocblas_complex_numIfES1_S1_EviT2_lPT3_lilPT1_i,comdat
.Lfunc_end123:
	.size	_ZL23rocblas_gemvt_sn_reduceILi256ELi8E19rocblas_complex_numIfES1_S1_EviT2_lPT3_lilPT1_i, .Lfunc_end123-_ZL23rocblas_gemvt_sn_reduceILi256ELi8E19rocblas_complex_numIfES1_S1_EviT2_lPT3_lilPT1_i
                                        ; -- End function
	.set _ZL23rocblas_gemvt_sn_reduceILi256ELi8E19rocblas_complex_numIfES1_S1_EviT2_lPT3_lilPT1_i.num_vgpr, 36
	.set _ZL23rocblas_gemvt_sn_reduceILi256ELi8E19rocblas_complex_numIfES1_S1_EviT2_lPT3_lilPT1_i.num_agpr, 0
	.set _ZL23rocblas_gemvt_sn_reduceILi256ELi8E19rocblas_complex_numIfES1_S1_EviT2_lPT3_lilPT1_i.numbered_sgpr, 40
	.set _ZL23rocblas_gemvt_sn_reduceILi256ELi8E19rocblas_complex_numIfES1_S1_EviT2_lPT3_lilPT1_i.num_named_barrier, 0
	.set _ZL23rocblas_gemvt_sn_reduceILi256ELi8E19rocblas_complex_numIfES1_S1_EviT2_lPT3_lilPT1_i.private_seg_size, 0
	.set _ZL23rocblas_gemvt_sn_reduceILi256ELi8E19rocblas_complex_numIfES1_S1_EviT2_lPT3_lilPT1_i.uses_vcc, 1
	.set _ZL23rocblas_gemvt_sn_reduceILi256ELi8E19rocblas_complex_numIfES1_S1_EviT2_lPT3_lilPT1_i.uses_flat_scratch, 0
	.set _ZL23rocblas_gemvt_sn_reduceILi256ELi8E19rocblas_complex_numIfES1_S1_EviT2_lPT3_lilPT1_i.has_dyn_sized_stack, 0
	.set _ZL23rocblas_gemvt_sn_reduceILi256ELi8E19rocblas_complex_numIfES1_S1_EviT2_lPT3_lilPT1_i.has_recursion, 0
	.set _ZL23rocblas_gemvt_sn_reduceILi256ELi8E19rocblas_complex_numIfES1_S1_EviT2_lPT3_lilPT1_i.has_indirect_call, 0
	.section	.AMDGPU.csdata,"",@progbits
; Kernel info:
; codeLenInByte = 1360
; TotalNumSgprs: 42
; NumVgprs: 36
; ScratchSize: 0
; MemoryBound: 0
; FloatMode: 240
; IeeeMode: 1
; LDSByteSize: 256 bytes/workgroup (compile time only)
; SGPRBlocks: 0
; VGPRBlocks: 2
; NumSGPRsForWavesPerEU: 42
; NumVGPRsForWavesPerEU: 36
; NamedBarCnt: 0
; Occupancy: 16
; WaveLimiterHint : 0
; COMPUTE_PGM_RSRC2:SCRATCH_EN: 0
; COMPUTE_PGM_RSRC2:USER_SGPR: 2
; COMPUTE_PGM_RSRC2:TRAP_HANDLER: 0
; COMPUTE_PGM_RSRC2:TGID_X_EN: 1
; COMPUTE_PGM_RSRC2:TGID_Y_EN: 1
; COMPUTE_PGM_RSRC2:TGID_Z_EN: 1
; COMPUTE_PGM_RSRC2:TIDIG_COMP_CNT: 0
	.section	.text._ZL32rocblas_gemvt_warp_reduce_kernelILb0ELi256Ei19rocblas_complex_numIfEPKS1_S1_EviiT3_lPKT2_lT1_lS7_lS8_lS4_lPT4_lS8_li,"axG",@progbits,_ZL32rocblas_gemvt_warp_reduce_kernelILb0ELi256Ei19rocblas_complex_numIfEPKS1_S1_EviiT3_lPKT2_lT1_lS7_lS8_lS4_lPT4_lS8_li,comdat
	.globl	_ZL32rocblas_gemvt_warp_reduce_kernelILb0ELi256Ei19rocblas_complex_numIfEPKS1_S1_EviiT3_lPKT2_lT1_lS7_lS8_lS4_lPT4_lS8_li ; -- Begin function _ZL32rocblas_gemvt_warp_reduce_kernelILb0ELi256Ei19rocblas_complex_numIfEPKS1_S1_EviiT3_lPKT2_lT1_lS7_lS8_lS4_lPT4_lS8_li
	.p2align	8
	.type	_ZL32rocblas_gemvt_warp_reduce_kernelILb0ELi256Ei19rocblas_complex_numIfEPKS1_S1_EviiT3_lPKT2_lT1_lS7_lS8_lS4_lPT4_lS8_li,@function
_ZL32rocblas_gemvt_warp_reduce_kernelILb0ELi256Ei19rocblas_complex_numIfEPKS1_S1_EviiT3_lPKT2_lT1_lS7_lS8_lS4_lPT4_lS8_li: ; @_ZL32rocblas_gemvt_warp_reduce_kernelILb0ELi256Ei19rocblas_complex_numIfEPKS1_S1_EviiT3_lPKT2_lT1_lS7_lS8_lS4_lPT4_lS8_li
; %bb.0:
	s_load_b32 s33, s[0:1], 0x88
	s_bfe_u32 s2, ttmp6, 0x40014
	s_lshr_b32 s3, ttmp7, 16
	s_add_co_i32 s2, s2, 1
	s_bfe_u32 s5, ttmp6, 0x40008
	s_mul_i32 s4, s3, s2
	s_getreg_b32 s2, hwreg(HW_REG_IB_STS2, 6, 4)
	s_add_co_i32 s5, s5, s4
	s_cmp_eq_u32 s2, 0
	s_mov_b32 s35, 0
	s_cselect_b32 s34, s3, s5
	s_wait_kmcnt 0x0
	s_cmp_ge_u32 s34, s33
	s_cbranch_scc1 .LBB124_31
; %bb.1:
	s_clause 0x7
	s_load_b96 s[4:6], s[0:1], 0x40
	s_load_b96 s[8:10], s[0:1], 0x70
	s_load_b256 s[12:19], s[0:1], 0x8
	s_load_b32 s7, s[0:1], 0x0
	s_load_b32 s3, s[0:1], 0x28
	s_load_b128 s[28:31], s[0:1], 0x30
	s_load_b256 s[20:27], s[0:1], 0x50
	s_load_b64 s[36:37], s[0:1], 0x80
	s_wait_xcnt 0x0
	s_bfe_u32 s1, ttmp6, 0x4000c
	s_and_b32 s11, ttmp6, 15
	s_add_co_i32 s1, s1, 1
	v_dual_mov_b32 v3, 0 :: v_dual_bitop2_b32 v2, 31, v0 bitop3:0x40
	s_mul_i32 s1, ttmp9, s1
	v_lshrrev_b32_e32 v8, 2, v0
	s_add_co_i32 s11, s11, s1
	v_mov_b64_e32 v[10:11], 0
	v_lshlrev_b32_e32 v1, 3, v2
	v_cmp_eq_u32_e64 s0, 0, v0
	v_and_b32_e32 v21, 56, v8
	s_wait_kmcnt 0x0
	s_lshl_b64 s[4:5], s[4:5], 3
	s_lshl_b64 s[8:9], s[8:9], 3
	;; [unrolled: 1-line block ×3, first 2 shown]
	s_cmp_eq_u32 s2, 0
	v_cmp_gt_i32_e32 vcc_lo, s7, v0
	s_cselect_b32 s11, ttmp9, s11
	s_ashr_i32 s2, s7, 31
	s_add_nc_u64 s[30:31], s[30:31], s[4:5]
	s_lshr_b32 s2, s2, 24
	s_add_nc_u64 s[4:5], s[16:17], s[38:39]
	s_add_co_i32 s2, s7, s2
	s_add_nc_u64 s[26:27], s[26:27], s[8:9]
	s_and_b32 s18, s2, 0xffffff00
	s_delay_alu instid0(SALU_CYCLE_1)
	v_dual_cndmask_b32 v4, 0, v0, vcc_lo :: v_dual_bitop2_b32 v5, s18, v0 bitop3:0x54
	v_cmp_eq_u32_e64 s2, 0, v2
	s_mul_i32 s8, s10, s11
	s_mul_i32 s10, s3, s11
	v_lshlrev_b32_e32 v2, 3, v4
	v_mul_lo_u32 v4, s6, v5
	s_ashr_i32 s11, s10, 31
	v_mul_lo_u32 v20, v0, s6
	s_lshl_b64 s[10:11], s[10:11], 3
	v_add_nc_u64_e32 v[6:7], s[4:5], v[2:3]
	v_cmp_gt_i32_e64 s4, s7, v5
	v_cmp_gt_u32_e64 s1, 32, v0
	v_cmp_gt_i32_e64 s3, s18, v0
	v_cmp_gt_u32_e64 s5, 8, v0
	s_ashr_i32 s9, s8, 31
	s_ashr_i32 s19, s18, 31
	v_add_nc_u64_e32 v[6:7], s[10:11], v[6:7]
	s_add_nc_u64 s[10:11], s[38:39], s[10:11]
	v_ashrrev_i32_e32 v5, 31, v4
	s_add_nc_u64 s[10:11], s[16:17], s[10:11]
	s_lshl_b32 s38, s6, 8
	v_add_nc_u64_e32 v[8:9], s[10:11], v[2:3]
	v_mbcnt_lo_u32_b32 v2, -1, 0
	s_lshl_b64 s[10:11], s[28:29], 3
	s_lshl_b64 s[16:17], s[8:9], 3
	s_branch .LBB124_5
.LBB124_2:                              ;   in Loop: Header=BB124_5 Depth=1
	s_delay_alu instid0(VALU_DEP_1)
	v_mov_b32_e32 v19, v15
	global_store_b64 v3, v[18:19], s[6:7]
.LBB124_3:                              ;   in Loop: Header=BB124_5 Depth=1
	s_wait_xcnt 0x0
	s_or_b32 exec_lo, exec_lo, s39
.LBB124_4:                              ;   in Loop: Header=BB124_5 Depth=1
	s_add_co_i32 s34, s34, 0x10000
	s_delay_alu instid0(SALU_CYCLE_1)
	s_cmp_lt_u32 s34, s33
	s_cbranch_scc0 .LBB124_31
.LBB124_5:                              ; =>This Loop Header: Depth=1
                                        ;     Child Loop BB124_24 Depth 2
	s_mul_u64 s[6:7], s[14:15], s[34:35]
	s_mul_u64 s[8:9], s[24:25], s[34:35]
	s_lshl_b64 s[6:7], s[6:7], 3
	s_lshl_b64 s[8:9], s[8:9], 3
	s_add_nc_u64 s[6:7], s[12:13], s[6:7]
	s_add_nc_u64 s[8:9], s[22:23], s[8:9]
	s_clause 0x1
	global_load_b64 v[14:15], v3, s[6:7]
	global_load_b64 v[12:13], v3, s[8:9]
	s_wait_loadcnt 0x1
	v_cmp_eq_f32_e32 vcc_lo, 0, v14
	s_wait_xcnt 0x1
	v_cmp_eq_f32_e64 s6, 0, v15
	s_wait_loadcnt 0x0
	v_cmp_eq_f32_e64 s7, 1.0, v12
	s_wait_xcnt 0x0
	v_cmp_eq_f32_e64 s8, 0, v13
	s_and_b32 s6, vcc_lo, s6
	s_and_b32 s7, s7, s8
	s_delay_alu instid0(SALU_CYCLE_1) | instskip(NEXT) | instid1(SALU_CYCLE_1)
	s_and_b32 s6, s6, s7
	s_and_b32 vcc_lo, exec_lo, s6
	s_cbranch_vccnz .LBB124_4
; %bb.6:                                ;   in Loop: Header=BB124_5 Depth=1
	s_wait_dscnt 0x0
	v_or_b32_e32 v16, v14, v15
	s_mul_u64 s[6:7], s[36:37], s[34:35]
	s_delay_alu instid0(SALU_CYCLE_1) | instskip(NEXT) | instid1(SALU_CYCLE_1)
	s_lshl_b64 s[6:7], s[6:7], 3
	s_add_nc_u64 s[8:9], s[26:27], s[6:7]
	s_delay_alu instid0(VALU_DEP_1) | instskip(SKIP_1) | instid1(VALU_DEP_1)
	v_and_b32_e32 v16, 0x7fffffff, v16
	s_mov_b32 s6, -1
	v_cmp_ne_u32_e32 vcc_lo, 0, v16
	s_cbranch_vccnz .LBB124_13
; %bb.7:                                ;   in Loop: Header=BB124_5 Depth=1
	s_and_saveexec_b32 s39, s0
	s_cbranch_execz .LBB124_12
; %bb.8:                                ;   in Loop: Header=BB124_5 Depth=1
	v_cmp_neq_f32_e32 vcc_lo, 0, v12
	v_cmp_neq_f32_e64 s6, 0, v13
	s_or_b32 s6, vcc_lo, s6
	s_delay_alu instid0(SALU_CYCLE_1)
	s_and_not1_b32 vcc_lo, exec_lo, s6
	s_add_nc_u64 s[6:7], s[8:9], s[16:17]
	s_cbranch_vccnz .LBB124_10
; %bb.9:                                ;   in Loop: Header=BB124_5 Depth=1
	global_load_b64 v[16:17], v3, s[6:7]
	s_wait_loadcnt 0x0
	v_pk_mul_f32 v[18:19], v[12:13], v[16:17] op_sel:[1,1] op_sel_hi:[0,1]
	s_delay_alu instid0(VALU_DEP_1) | instskip(SKIP_1) | instid1(VALU_DEP_2)
	v_pk_fma_f32 v[22:23], v[12:13], v[16:17], v[18:19] op_sel_hi:[1,0,1]
	v_pk_fma_f32 v[16:17], v[12:13], v[16:17], v[18:19] neg_lo:[0,0,1] neg_hi:[0,0,1]
	v_mov_b32_e32 v17, v23
	s_branch .LBB124_11
.LBB124_10:                             ;   in Loop: Header=BB124_5 Depth=1
	v_dual_mov_b32 v17, 0 :: v_dual_mov_b32 v16, 0
.LBB124_11:                             ;   in Loop: Header=BB124_5 Depth=1
	global_store_b64 v3, v[16:17], s[6:7]
.LBB124_12:                             ;   in Loop: Header=BB124_5 Depth=1
	s_wait_xcnt 0x0
	s_or_b32 exec_lo, exec_lo, s39
	s_mov_b32 s6, 0
.LBB124_13:                             ;   in Loop: Header=BB124_5 Depth=1
	s_delay_alu instid0(SALU_CYCLE_1)
	s_and_not1_b32 vcc_lo, exec_lo, s6
	s_cbranch_vccnz .LBB124_4
; %bb.14:                               ;   in Loop: Header=BB124_5 Depth=1
	v_mov_b64_e32 v[16:17], 0
	s_mul_u64 s[6:7], s[20:21], s[34:35]
	s_delay_alu instid0(SALU_CYCLE_1) | instskip(NEXT) | instid1(SALU_CYCLE_1)
	s_lshl_b64 s[6:7], s[6:7], 3
	s_add_nc_u64 s[6:7], s[30:31], s[6:7]
	s_and_saveexec_b32 s39, s3
	s_cbranch_execnz .LBB124_23
; %bb.15:                               ;   in Loop: Header=BB124_5 Depth=1
	s_or_b32 exec_lo, exec_lo, s39
	s_and_saveexec_b32 s39, s4
	s_cbranch_execnz .LBB124_26
.LBB124_16:                             ;   in Loop: Header=BB124_5 Depth=1
	s_or_b32 exec_lo, exec_lo, s39
	s_and_saveexec_b32 s6, s1
.LBB124_17:                             ;   in Loop: Header=BB124_5 Depth=1
	ds_store_b64 v1, v[10:11]
.LBB124_18:                             ;   in Loop: Header=BB124_5 Depth=1
	s_or_b32 exec_lo, exec_lo, s6
	v_lshl_or_b32 v19, v2, 2, 64
	v_cmp_gt_u32_e32 vcc_lo, 24, v2
	s_wait_storecnt_dscnt 0x0
	s_barrier_signal -1
	s_barrier_wait -1
	ds_bpermute_b32 v18, v19, v16
	ds_bpermute_b32 v19, v19, v17
	v_cndmask_b32_e64 v22, 0, 8, vcc_lo
	v_cmp_gt_u32_e32 vcc_lo, 28, v2
	s_wait_dscnt 0x0
	s_delay_alu instid0(VALU_DEP_2)
	v_add_lshl_u32 v22, v22, v2, 2
	v_pk_add_f32 v[16:17], v[16:17], v[18:19]
	ds_bpermute_b32 v18, v22, v16
	ds_bpermute_b32 v19, v22, v17
	v_cndmask_b32_e64 v22, 0, 4, vcc_lo
	v_cmp_gt_u32_e32 vcc_lo, 30, v2
	s_delay_alu instid0(VALU_DEP_2) | instskip(SKIP_2) | instid1(VALU_DEP_2)
	v_add_lshl_u32 v22, v22, v2, 2
	v_cndmask_b32_e64 v23, 0, 2, vcc_lo
	v_cmp_ne_u32_e32 vcc_lo, 31, v2
	v_add_lshl_u32 v23, v23, v2, 2
	v_add_co_ci_u32_e64 v24, null, 0, v2, vcc_lo
	s_delay_alu instid0(VALU_DEP_1)
	v_lshlrev_b32_e32 v24, 2, v24
	s_wait_dscnt 0x0
	v_pk_add_f32 v[16:17], v[16:17], v[18:19]
	ds_bpermute_b32 v18, v22, v16
	ds_bpermute_b32 v19, v22, v17
	s_wait_dscnt 0x0
	v_pk_add_f32 v[16:17], v[16:17], v[18:19]
	ds_bpermute_b32 v18, v23, v16
	ds_bpermute_b32 v19, v23, v17
	;; [unrolled: 4-line block ×3, first 2 shown]
	s_and_saveexec_b32 s6, s2
	s_cbranch_execz .LBB124_20
; %bb.19:                               ;   in Loop: Header=BB124_5 Depth=1
	s_wait_dscnt 0x0
	v_pk_add_f32 v[16:17], v[16:17], v[18:19]
	ds_store_b64 v21, v[16:17]
.LBB124_20:                             ;   in Loop: Header=BB124_5 Depth=1
	s_or_b32 exec_lo, exec_lo, s6
	v_mov_b64_e32 v[16:17], 0
	s_wait_dscnt 0x0
	s_barrier_signal -1
	s_barrier_wait -1
	s_and_saveexec_b32 s6, s5
	s_cbranch_execnz .LBB124_27
; %bb.21:                               ;   in Loop: Header=BB124_5 Depth=1
	s_or_b32 exec_lo, exec_lo, s6
	s_and_saveexec_b32 s6, s1
	s_cbranch_execnz .LBB124_28
.LBB124_22:                             ;   in Loop: Header=BB124_5 Depth=1
	s_or_b32 exec_lo, exec_lo, s6
	s_and_saveexec_b32 s39, s0
	s_cbranch_execz .LBB124_3
	s_branch .LBB124_29
.LBB124_23:                             ;   in Loop: Header=BB124_5 Depth=1
	v_mad_nc_u64_u32 v[18:19], s10, s34, v[8:9]
	v_dual_mov_b32 v16, 0 :: v_dual_mov_b32 v22, v20
	v_mov_b32_e32 v23, v0
	s_mov_b32 s40, 0
	s_delay_alu instid0(VALU_DEP_2) | instskip(NEXT) | instid1(VALU_DEP_4)
	v_mov_b32_e32 v17, v16
	v_mad_u32 v19, s11, s34, v19
.LBB124_24:                             ;   Parent Loop BB124_5 Depth=1
                                        ; =>  This Inner Loop Header: Depth=2
	global_load_b64 v[24:25], v[18:19], off
	global_load_b64 v[26:27], v22, s[6:7] scale_offset
	v_add_nc_u32_e32 v23, 0x100, v23
	s_wait_xcnt 0x1
	v_add_nc_u64_e32 v[18:19], 0x800, v[18:19]
	s_wait_xcnt 0x0
	v_add_nc_u32_e32 v22, s38, v22
	v_cmp_le_i32_e32 vcc_lo, s18, v23
	s_or_b32 s40, vcc_lo, s40
	s_wait_loadcnt 0x0
	v_pk_mul_f32 v[28:29], v[26:27], v[24:25] op_sel:[1,1] op_sel_hi:[0,1]
	s_delay_alu instid0(VALU_DEP_1) | instskip(SKIP_1) | instid1(VALU_DEP_2)
	v_pk_fma_f32 v[30:31], v[26:27], v[24:25], v[28:29] op_sel_hi:[1,0,1]
	v_pk_fma_f32 v[24:25], v[26:27], v[24:25], v[28:29] neg_lo:[0,0,1] neg_hi:[0,0,1]
	v_mov_b32_e32 v25, v31
	s_delay_alu instid0(VALU_DEP_1)
	v_pk_add_f32 v[16:17], v[16:17], v[24:25]
	s_and_not1_b32 exec_lo, exec_lo, s40
	s_cbranch_execnz .LBB124_24
; %bb.25:                               ;   in Loop: Header=BB124_5 Depth=1
	s_or_b32 exec_lo, exec_lo, s40
	s_delay_alu instid0(SALU_CYCLE_1)
	s_or_b32 exec_lo, exec_lo, s39
	s_and_saveexec_b32 s39, s4
	s_cbranch_execz .LBB124_16
.LBB124_26:                             ;   in Loop: Header=BB124_5 Depth=1
	s_mul_u64 s[40:41], s[28:29], s[34:35]
	v_lshl_add_u64 v[22:23], v[4:5], 3, s[6:7]
	v_lshl_add_u64 v[18:19], s[40:41], 3, v[6:7]
	s_delay_alu instid0(VALU_DEP_1)
	v_lshl_add_u64 v[18:19], s[18:19], 3, v[18:19]
	global_load_b64 v[24:25], v[18:19], off
	global_load_b64 v[26:27], v[22:23], off
	s_wait_loadcnt 0x0
	s_wait_xcnt 0x1
	v_pk_mul_f32 v[18:19], v[26:27], v[24:25] op_sel:[1,1] op_sel_hi:[0,1]
	s_wait_xcnt 0x0
	s_delay_alu instid0(VALU_DEP_1) | instskip(SKIP_1) | instid1(VALU_DEP_2)
	v_pk_fma_f32 v[22:23], v[26:27], v[24:25], v[18:19] op_sel_hi:[1,0,1]
	v_pk_fma_f32 v[18:19], v[26:27], v[24:25], v[18:19] neg_lo:[0,0,1] neg_hi:[0,0,1]
	v_mov_b32_e32 v19, v23
	s_delay_alu instid0(VALU_DEP_1)
	v_pk_add_f32 v[16:17], v[16:17], v[18:19]
	s_or_b32 exec_lo, exec_lo, s39
	s_and_saveexec_b32 s6, s1
	s_cbranch_execnz .LBB124_17
	s_branch .LBB124_18
.LBB124_27:                             ;   in Loop: Header=BB124_5 Depth=1
	ds_load_b64 v[16:17], v1
	s_or_b32 exec_lo, exec_lo, s6
	s_and_saveexec_b32 s6, s1
	s_cbranch_execz .LBB124_22
.LBB124_28:                             ;   in Loop: Header=BB124_5 Depth=1
	s_wait_dscnt 0x0
	ds_bpermute_b32 v18, v22, v16
	ds_bpermute_b32 v19, v22, v17
	s_wait_dscnt 0x0
	v_pk_add_f32 v[16:17], v[16:17], v[18:19]
	ds_bpermute_b32 v18, v23, v16
	ds_bpermute_b32 v19, v23, v17
	s_wait_dscnt 0x0
	v_pk_add_f32 v[16:17], v[16:17], v[18:19]
	ds_bpermute_b32 v18, v24, v16
	ds_bpermute_b32 v19, v24, v17
	s_wait_dscnt 0x0
	v_pk_add_f32 v[16:17], v[16:17], v[18:19]
	s_or_b32 exec_lo, exec_lo, s6
	s_and_saveexec_b32 s39, s0
	s_cbranch_execz .LBB124_3
.LBB124_29:                             ;   in Loop: Header=BB124_5 Depth=1
	s_wait_dscnt 0x0
	v_pk_mul_f32 v[22:23], v[16:17], v[14:15] op_sel:[1,1] op_sel_hi:[1,0]
	v_cmp_neq_f32_e32 vcc_lo, 0, v12
	v_cmp_neq_f32_e64 s6, 0, v13
	s_delay_alu instid0(VALU_DEP_3) | instskip(SKIP_2) | instid1(SALU_CYCLE_1)
	v_pk_fma_f32 v[18:19], v[16:17], v[14:15], v[22:23] op_sel_hi:[0,1,1] neg_lo:[0,0,1] neg_hi:[0,0,1]
	v_pk_fma_f32 v[14:15], v[16:17], v[14:15], v[22:23] op_sel_hi:[0,1,1]
	s_or_b32 s6, vcc_lo, s6
	s_and_not1_b32 vcc_lo, exec_lo, s6
	s_add_nc_u64 s[6:7], s[8:9], s[16:17]
	s_cbranch_vccnz .LBB124_2
; %bb.30:                               ;   in Loop: Header=BB124_5 Depth=1
	global_load_b64 v[16:17], v3, s[6:7]
	s_wait_loadcnt 0x0
	v_pk_mul_f32 v[22:23], v[12:13], v[16:17] op_sel:[1,1] op_sel_hi:[0,1]
	s_delay_alu instid0(VALU_DEP_1) | instskip(SKIP_1) | instid1(VALU_DEP_2)
	v_pk_fma_f32 v[24:25], v[12:13], v[16:17], v[22:23] op_sel_hi:[1,0,1]
	v_pk_fma_f32 v[12:13], v[12:13], v[16:17], v[22:23] neg_lo:[0,0,1] neg_hi:[0,0,1]
	v_dual_mov_b32 v19, v15 :: v_dual_mov_b32 v13, v25
	s_delay_alu instid0(VALU_DEP_1) | instskip(NEXT) | instid1(VALU_DEP_1)
	v_pk_add_f32 v[18:19], v[18:19], v[12:13]
	v_mov_b32_e32 v15, v19
	s_branch .LBB124_2
.LBB124_31:
	s_endpgm
	.section	.rodata,"a",@progbits
	.p2align	6, 0x0
	.amdhsa_kernel _ZL32rocblas_gemvt_warp_reduce_kernelILb0ELi256Ei19rocblas_complex_numIfEPKS1_S1_EviiT3_lPKT2_lT1_lS7_lS8_lS4_lPT4_lS8_li
		.amdhsa_group_segment_fixed_size 256
		.amdhsa_private_segment_fixed_size 0
		.amdhsa_kernarg_size 140
		.amdhsa_user_sgpr_count 2
		.amdhsa_user_sgpr_dispatch_ptr 0
		.amdhsa_user_sgpr_queue_ptr 0
		.amdhsa_user_sgpr_kernarg_segment_ptr 1
		.amdhsa_user_sgpr_dispatch_id 0
		.amdhsa_user_sgpr_kernarg_preload_length 0
		.amdhsa_user_sgpr_kernarg_preload_offset 0
		.amdhsa_user_sgpr_private_segment_size 0
		.amdhsa_wavefront_size32 1
		.amdhsa_uses_dynamic_stack 0
		.amdhsa_enable_private_segment 0
		.amdhsa_system_sgpr_workgroup_id_x 1
		.amdhsa_system_sgpr_workgroup_id_y 0
		.amdhsa_system_sgpr_workgroup_id_z 1
		.amdhsa_system_sgpr_workgroup_info 0
		.amdhsa_system_vgpr_workitem_id 0
		.amdhsa_next_free_vgpr 32
		.amdhsa_next_free_sgpr 42
		.amdhsa_named_barrier_count 0
		.amdhsa_reserve_vcc 1
		.amdhsa_float_round_mode_32 0
		.amdhsa_float_round_mode_16_64 0
		.amdhsa_float_denorm_mode_32 3
		.amdhsa_float_denorm_mode_16_64 3
		.amdhsa_fp16_overflow 0
		.amdhsa_memory_ordered 1
		.amdhsa_forward_progress 1
		.amdhsa_inst_pref_size 14
		.amdhsa_round_robin_scheduling 0
		.amdhsa_exception_fp_ieee_invalid_op 0
		.amdhsa_exception_fp_denorm_src 0
		.amdhsa_exception_fp_ieee_div_zero 0
		.amdhsa_exception_fp_ieee_overflow 0
		.amdhsa_exception_fp_ieee_underflow 0
		.amdhsa_exception_fp_ieee_inexact 0
		.amdhsa_exception_int_div_zero 0
	.end_amdhsa_kernel
	.section	.text._ZL32rocblas_gemvt_warp_reduce_kernelILb0ELi256Ei19rocblas_complex_numIfEPKS1_S1_EviiT3_lPKT2_lT1_lS7_lS8_lS4_lPT4_lS8_li,"axG",@progbits,_ZL32rocblas_gemvt_warp_reduce_kernelILb0ELi256Ei19rocblas_complex_numIfEPKS1_S1_EviiT3_lPKT2_lT1_lS7_lS8_lS4_lPT4_lS8_li,comdat
.Lfunc_end124:
	.size	_ZL32rocblas_gemvt_warp_reduce_kernelILb0ELi256Ei19rocblas_complex_numIfEPKS1_S1_EviiT3_lPKT2_lT1_lS7_lS8_lS4_lPT4_lS8_li, .Lfunc_end124-_ZL32rocblas_gemvt_warp_reduce_kernelILb0ELi256Ei19rocblas_complex_numIfEPKS1_S1_EviiT3_lPKT2_lT1_lS7_lS8_lS4_lPT4_lS8_li
                                        ; -- End function
	.set _ZL32rocblas_gemvt_warp_reduce_kernelILb0ELi256Ei19rocblas_complex_numIfEPKS1_S1_EviiT3_lPKT2_lT1_lS7_lS8_lS4_lPT4_lS8_li.num_vgpr, 32
	.set _ZL32rocblas_gemvt_warp_reduce_kernelILb0ELi256Ei19rocblas_complex_numIfEPKS1_S1_EviiT3_lPKT2_lT1_lS7_lS8_lS4_lPT4_lS8_li.num_agpr, 0
	.set _ZL32rocblas_gemvt_warp_reduce_kernelILb0ELi256Ei19rocblas_complex_numIfEPKS1_S1_EviiT3_lPKT2_lT1_lS7_lS8_lS4_lPT4_lS8_li.numbered_sgpr, 42
	.set _ZL32rocblas_gemvt_warp_reduce_kernelILb0ELi256Ei19rocblas_complex_numIfEPKS1_S1_EviiT3_lPKT2_lT1_lS7_lS8_lS4_lPT4_lS8_li.num_named_barrier, 0
	.set _ZL32rocblas_gemvt_warp_reduce_kernelILb0ELi256Ei19rocblas_complex_numIfEPKS1_S1_EviiT3_lPKT2_lT1_lS7_lS8_lS4_lPT4_lS8_li.private_seg_size, 0
	.set _ZL32rocblas_gemvt_warp_reduce_kernelILb0ELi256Ei19rocblas_complex_numIfEPKS1_S1_EviiT3_lPKT2_lT1_lS7_lS8_lS4_lPT4_lS8_li.uses_vcc, 1
	.set _ZL32rocblas_gemvt_warp_reduce_kernelILb0ELi256Ei19rocblas_complex_numIfEPKS1_S1_EviiT3_lPKT2_lT1_lS7_lS8_lS4_lPT4_lS8_li.uses_flat_scratch, 0
	.set _ZL32rocblas_gemvt_warp_reduce_kernelILb0ELi256Ei19rocblas_complex_numIfEPKS1_S1_EviiT3_lPKT2_lT1_lS7_lS8_lS4_lPT4_lS8_li.has_dyn_sized_stack, 0
	.set _ZL32rocblas_gemvt_warp_reduce_kernelILb0ELi256Ei19rocblas_complex_numIfEPKS1_S1_EviiT3_lPKT2_lT1_lS7_lS8_lS4_lPT4_lS8_li.has_recursion, 0
	.set _ZL32rocblas_gemvt_warp_reduce_kernelILb0ELi256Ei19rocblas_complex_numIfEPKS1_S1_EviiT3_lPKT2_lT1_lS7_lS8_lS4_lPT4_lS8_li.has_indirect_call, 0
	.section	.AMDGPU.csdata,"",@progbits
; Kernel info:
; codeLenInByte = 1708
; TotalNumSgprs: 44
; NumVgprs: 32
; ScratchSize: 0
; MemoryBound: 0
; FloatMode: 240
; IeeeMode: 1
; LDSByteSize: 256 bytes/workgroup (compile time only)
; SGPRBlocks: 0
; VGPRBlocks: 1
; NumSGPRsForWavesPerEU: 44
; NumVGPRsForWavesPerEU: 32
; NamedBarCnt: 0
; Occupancy: 16
; WaveLimiterHint : 0
; COMPUTE_PGM_RSRC2:SCRATCH_EN: 0
; COMPUTE_PGM_RSRC2:USER_SGPR: 2
; COMPUTE_PGM_RSRC2:TRAP_HANDLER: 0
; COMPUTE_PGM_RSRC2:TGID_X_EN: 1
; COMPUTE_PGM_RSRC2:TGID_Y_EN: 0
; COMPUTE_PGM_RSRC2:TGID_Z_EN: 1
; COMPUTE_PGM_RSRC2:TIDIG_COMP_CNT: 0
	.section	.text._ZL32rocblas_gemvt_warp_reduce_kernelILb0ELi256El19rocblas_complex_numIfEPKS1_S1_EviiT3_lPKT2_lT1_lS7_lS8_lS4_lPT4_lS8_li,"axG",@progbits,_ZL32rocblas_gemvt_warp_reduce_kernelILb0ELi256El19rocblas_complex_numIfEPKS1_S1_EviiT3_lPKT2_lT1_lS7_lS8_lS4_lPT4_lS8_li,comdat
	.globl	_ZL32rocblas_gemvt_warp_reduce_kernelILb0ELi256El19rocblas_complex_numIfEPKS1_S1_EviiT3_lPKT2_lT1_lS7_lS8_lS4_lPT4_lS8_li ; -- Begin function _ZL32rocblas_gemvt_warp_reduce_kernelILb0ELi256El19rocblas_complex_numIfEPKS1_S1_EviiT3_lPKT2_lT1_lS7_lS8_lS4_lPT4_lS8_li
	.p2align	8
	.type	_ZL32rocblas_gemvt_warp_reduce_kernelILb0ELi256El19rocblas_complex_numIfEPKS1_S1_EviiT3_lPKT2_lT1_lS7_lS8_lS4_lPT4_lS8_li,@function
_ZL32rocblas_gemvt_warp_reduce_kernelILb0ELi256El19rocblas_complex_numIfEPKS1_S1_EviiT3_lPKT2_lT1_lS7_lS8_lS4_lPT4_lS8_li: ; @_ZL32rocblas_gemvt_warp_reduce_kernelILb0ELi256El19rocblas_complex_numIfEPKS1_S1_EviiT3_lPKT2_lT1_lS7_lS8_lS4_lPT4_lS8_li
; %bb.0:
	s_load_b32 s33, s[0:1], 0x88
	s_bfe_u32 s2, ttmp6, 0x40014
	s_lshr_b32 s3, ttmp7, 16
	s_add_co_i32 s2, s2, 1
	s_bfe_u32 s5, ttmp6, 0x40008
	s_mul_i32 s4, s3, s2
	s_getreg_b32 s2, hwreg(HW_REG_IB_STS2, 6, 4)
	s_add_co_i32 s5, s5, s4
	s_cmp_eq_u32 s2, 0
	s_mov_b32 s11, 0
	s_cselect_b32 s10, s3, s5
	s_wait_kmcnt 0x0
	s_cmp_ge_u32 s10, s33
	s_cbranch_scc1 .LBB125_31
; %bb.1:
	s_clause 0x2
	s_load_b512 s[12:27], s[0:1], 0x8
	s_load_b512 s[36:51], s[0:1], 0x48
	s_load_b32 s28, s[0:1], 0x0
	s_wait_xcnt 0x0
	s_bfe_u32 s0, ttmp6, 0x4000c
	s_and_b32 s1, ttmp6, 15
	s_add_co_i32 s0, s0, 1
	v_mov_b64_e32 v[10:11], 0
	s_mul_i32 s0, ttmp9, s0
	s_delay_alu instid0(SALU_CYCLE_1)
	s_add_co_i32 s3, s1, s0
	s_wait_kmcnt 0x0
	s_lshl_b64 s[0:1], s[26:27], 3
	s_lshl_b64 s[4:5], s[46:47], 3
	;; [unrolled: 1-line block ×3, first 2 shown]
	s_cmp_eq_u32 s2, 0
	v_cmp_gt_i32_e32 vcc_lo, s28, v0
	s_cselect_b32 s2, ttmp9, s3
	s_ashr_i32 s3, s28, 31
	s_add_nc_u64 s[8:9], s[16:17], s[6:7]
	s_lshr_b32 s3, s3, 24
	s_add_nc_u64 s[26:27], s[44:45], s[4:5]
	s_add_co_i32 s3, s28, s3
	s_add_nc_u64 s[24:25], s[24:25], s[0:1]
	s_and_b32 s18, s3, 0xffffff00
	s_delay_alu instid0(SALU_CYCLE_1) | instskip(SKIP_3) | instid1(VALU_DEP_3)
	v_dual_mov_b32 v3, 0 :: v_dual_bitop2_b32 v8, s18, v0 bitop3:0x54
	v_cndmask_b32_e32 v2, 0, v0, vcc_lo
	s_ashr_i32 s3, s2, 31
	v_cmp_eq_u32_e64 s0, 0, v0
	v_dual_mov_b32 v1, v3 :: v_dual_ashrrev_i32 v9, 31, v8
	s_delay_alu instid0(VALU_DEP_3) | instskip(SKIP_2) | instid1(VALU_DEP_2)
	v_lshlrev_b32_e32 v2, 3, v2
	s_mul_u64 s[4:5], s[20:21], s[2:3]
	s_mul_u64 s[30:31], s[48:49], s[2:3]
	v_mul_u64_e32 v[12:13], s[36:37], v[0:1]
	v_mul_u64_e32 v[4:5], s[36:37], v[8:9]
	v_add_nc_u64_e32 v[6:7], s[8:9], v[2:3]
	s_lshl_b64 s[8:9], s[4:5], 3
	v_and_b32_e32 v9, 31, v0
	v_cmp_gt_i32_e64 s2, s28, v8
	v_lshrrev_b32_e32 v8, 2, v0
	s_add_nc_u64 s[6:7], s[8:9], s[6:7]
	v_cmp_gt_i32_e64 s1, s18, v0
	s_add_nc_u64 s[6:7], s[16:17], s[6:7]
	v_add_nc_u64_e32 v[6:7], s[8:9], v[6:7]
	v_dual_lshlrev_b32 v1, 3, v9 :: v_dual_bitop2_b32 v24, 56, v8 bitop3:0x40
	v_cmp_eq_u32_e64 s4, 0, v9
	v_add_nc_u64_e32 v[8:9], s[6:7], v[2:3]
	v_cmp_gt_u32_e64 s3, 32, v0
	v_cmp_gt_u32_e64 s5, 8, v0
	v_mbcnt_lo_u32_b32 v2, -1, 0
	s_ashr_i32 s19, s18, 31
	s_lshl_b64 s[16:17], s[22:23], 3
	s_lshl_b64 s[20:21], s[38:39], 3
	;; [unrolled: 1-line block ×4, first 2 shown]
	v_lshl_add_u64 v[12:13], v[12:13], 3, s[24:25]
	s_branch .LBB125_5
.LBB125_2:                              ;   in Loop: Header=BB125_5 Depth=1
	s_delay_alu instid0(VALU_DEP_1)
	v_mov_b32_e32 v21, v17
	global_store_b64 v3, v[20:21], s[6:7]
.LBB125_3:                              ;   in Loop: Header=BB125_5 Depth=1
	s_wait_xcnt 0x0
	s_or_b32 exec_lo, exec_lo, s34
.LBB125_4:                              ;   in Loop: Header=BB125_5 Depth=1
	s_add_co_i32 s10, s10, 0x10000
	s_delay_alu instid0(SALU_CYCLE_1)
	s_cmp_lt_u32 s10, s33
	s_cbranch_scc0 .LBB125_31
.LBB125_5:                              ; =>This Loop Header: Depth=1
                                        ;     Child Loop BB125_24 Depth 2
	s_mul_u64 s[6:7], s[14:15], s[10:11]
	s_mul_u64 s[8:9], s[42:43], s[10:11]
	s_lshl_b64 s[6:7], s[6:7], 3
	s_lshl_b64 s[8:9], s[8:9], 3
	s_add_nc_u64 s[6:7], s[12:13], s[6:7]
	s_add_nc_u64 s[8:9], s[40:41], s[8:9]
	s_clause 0x1
	global_load_b64 v[16:17], v3, s[6:7]
	global_load_b64 v[14:15], v3, s[8:9]
	s_wait_loadcnt 0x1
	v_cmp_eq_f32_e32 vcc_lo, 0, v16
	s_wait_xcnt 0x1
	v_cmp_eq_f32_e64 s6, 0, v17
	s_wait_loadcnt 0x0
	v_cmp_eq_f32_e64 s7, 1.0, v14
	s_wait_xcnt 0x0
	v_cmp_eq_f32_e64 s8, 0, v15
	s_and_b32 s6, vcc_lo, s6
	s_and_b32 s7, s7, s8
	s_delay_alu instid0(SALU_CYCLE_1) | instskip(NEXT) | instid1(SALU_CYCLE_1)
	s_and_b32 s6, s6, s7
	s_and_b32 vcc_lo, exec_lo, s6
	s_cbranch_vccnz .LBB125_4
; %bb.6:                                ;   in Loop: Header=BB125_5 Depth=1
	s_wait_dscnt 0x0
	v_or_b32_e32 v18, v16, v17
	s_mul_u64 s[6:7], s[50:51], s[10:11]
	s_delay_alu instid0(SALU_CYCLE_1) | instskip(NEXT) | instid1(SALU_CYCLE_1)
	s_lshl_b64 s[6:7], s[6:7], 3
	s_add_nc_u64 s[8:9], s[26:27], s[6:7]
	s_delay_alu instid0(VALU_DEP_1) | instskip(SKIP_1) | instid1(VALU_DEP_1)
	v_and_b32_e32 v18, 0x7fffffff, v18
	s_mov_b32 s6, -1
	v_cmp_ne_u32_e32 vcc_lo, 0, v18
	s_cbranch_vccnz .LBB125_13
; %bb.7:                                ;   in Loop: Header=BB125_5 Depth=1
	s_and_saveexec_b32 s7, s0
	s_cbranch_execz .LBB125_12
; %bb.8:                                ;   in Loop: Header=BB125_5 Depth=1
	v_cmp_neq_f32_e32 vcc_lo, 0, v14
	v_cmp_neq_f32_e64 s6, 0, v15
	s_or_b32 s6, vcc_lo, s6
	s_delay_alu instid0(SALU_CYCLE_1)
	s_and_not1_b32 vcc_lo, exec_lo, s6
	s_cbranch_vccnz .LBB125_10
; %bb.9:                                ;   in Loop: Header=BB125_5 Depth=1
	s_add_nc_u64 s[34:35], s[8:9], s[30:31]
	global_load_b64 v[18:19], v3, s[34:35]
	s_wait_loadcnt 0x0
	v_pk_mul_f32 v[20:21], v[14:15], v[18:19] op_sel:[1,1] op_sel_hi:[0,1]
	s_delay_alu instid0(VALU_DEP_1) | instskip(SKIP_1) | instid1(VALU_DEP_2)
	v_pk_fma_f32 v[22:23], v[14:15], v[18:19], v[20:21] op_sel_hi:[1,0,1]
	v_pk_fma_f32 v[18:19], v[14:15], v[18:19], v[20:21] neg_lo:[0,0,1] neg_hi:[0,0,1]
	v_mov_b32_e32 v19, v23
	s_branch .LBB125_11
.LBB125_10:                             ;   in Loop: Header=BB125_5 Depth=1
	v_dual_mov_b32 v19, 0 :: v_dual_mov_b32 v18, 0
.LBB125_11:                             ;   in Loop: Header=BB125_5 Depth=1
	s_wait_xcnt 0x0
	s_add_nc_u64 s[34:35], s[8:9], s[30:31]
	global_store_b64 v3, v[18:19], s[34:35]
.LBB125_12:                             ;   in Loop: Header=BB125_5 Depth=1
	s_wait_xcnt 0x0
	s_or_b32 exec_lo, exec_lo, s7
	s_mov_b32 s6, 0
.LBB125_13:                             ;   in Loop: Header=BB125_5 Depth=1
	s_delay_alu instid0(SALU_CYCLE_1)
	s_and_not1_b32 vcc_lo, exec_lo, s6
	s_cbranch_vccnz .LBB125_4
; %bb.14:                               ;   in Loop: Header=BB125_5 Depth=1
	v_mov_b64_e32 v[18:19], 0
	s_and_saveexec_b32 s6, s1
	s_cbranch_execnz .LBB125_23
; %bb.15:                               ;   in Loop: Header=BB125_5 Depth=1
	s_or_b32 exec_lo, exec_lo, s6
	s_and_saveexec_b32 s6, s2
	s_cbranch_execnz .LBB125_26
.LBB125_16:                             ;   in Loop: Header=BB125_5 Depth=1
	s_or_b32 exec_lo, exec_lo, s6
	s_and_saveexec_b32 s6, s3
.LBB125_17:                             ;   in Loop: Header=BB125_5 Depth=1
	ds_store_b64 v1, v[10:11]
.LBB125_18:                             ;   in Loop: Header=BB125_5 Depth=1
	s_or_b32 exec_lo, exec_lo, s6
	v_lshl_or_b32 v21, v2, 2, 64
	v_cmp_gt_u32_e32 vcc_lo, 24, v2
	s_wait_storecnt_dscnt 0x0
	s_barrier_signal -1
	s_barrier_wait -1
	ds_bpermute_b32 v20, v21, v18
	ds_bpermute_b32 v21, v21, v19
	v_cndmask_b32_e64 v22, 0, 8, vcc_lo
	v_cmp_gt_u32_e32 vcc_lo, 28, v2
	s_wait_dscnt 0x0
	s_delay_alu instid0(VALU_DEP_2)
	v_add_lshl_u32 v22, v22, v2, 2
	v_pk_add_f32 v[18:19], v[18:19], v[20:21]
	ds_bpermute_b32 v20, v22, v18
	ds_bpermute_b32 v21, v22, v19
	v_cndmask_b32_e64 v22, 0, 4, vcc_lo
	v_cmp_gt_u32_e32 vcc_lo, 30, v2
	s_delay_alu instid0(VALU_DEP_2) | instskip(SKIP_2) | instid1(VALU_DEP_2)
	v_add_lshl_u32 v22, v22, v2, 2
	v_cndmask_b32_e64 v23, 0, 2, vcc_lo
	v_cmp_ne_u32_e32 vcc_lo, 31, v2
	v_add_lshl_u32 v23, v23, v2, 2
	v_add_co_ci_u32_e64 v25, null, 0, v2, vcc_lo
	s_delay_alu instid0(VALU_DEP_1)
	v_lshlrev_b32_e32 v25, 2, v25
	s_wait_dscnt 0x0
	v_pk_add_f32 v[18:19], v[18:19], v[20:21]
	ds_bpermute_b32 v20, v22, v18
	ds_bpermute_b32 v21, v22, v19
	s_wait_dscnt 0x0
	v_pk_add_f32 v[18:19], v[18:19], v[20:21]
	ds_bpermute_b32 v20, v23, v18
	ds_bpermute_b32 v21, v23, v19
	;; [unrolled: 4-line block ×3, first 2 shown]
	s_and_saveexec_b32 s6, s4
	s_cbranch_execz .LBB125_20
; %bb.19:                               ;   in Loop: Header=BB125_5 Depth=1
	s_wait_dscnt 0x0
	v_pk_add_f32 v[18:19], v[18:19], v[20:21]
	ds_store_b64 v24, v[18:19]
.LBB125_20:                             ;   in Loop: Header=BB125_5 Depth=1
	s_or_b32 exec_lo, exec_lo, s6
	v_mov_b64_e32 v[18:19], 0
	s_wait_dscnt 0x0
	s_barrier_signal -1
	s_barrier_wait -1
	s_and_saveexec_b32 s6, s5
	s_cbranch_execnz .LBB125_27
; %bb.21:                               ;   in Loop: Header=BB125_5 Depth=1
	s_or_b32 exec_lo, exec_lo, s6
	s_and_saveexec_b32 s6, s3
	s_cbranch_execnz .LBB125_28
.LBB125_22:                             ;   in Loop: Header=BB125_5 Depth=1
	s_or_b32 exec_lo, exec_lo, s6
	s_and_saveexec_b32 s34, s0
	s_cbranch_execz .LBB125_3
	s_branch .LBB125_29
.LBB125_23:                             ;   in Loop: Header=BB125_5 Depth=1
	v_mad_nc_u64_u32 v[20:21], s16, s10, v[8:9]
	v_mad_nc_u64_u32 v[22:23], s20, s10, v[12:13]
	v_dual_mov_b32 v18, 0 :: v_dual_mov_b32 v25, v0
	s_mov_b32 s7, 0
	s_delay_alu instid0(VALU_DEP_1) | instskip(NEXT) | instid1(VALU_DEP_4)
	v_mov_b32_e32 v19, v18
	v_mad_u32 v21, s17, s10, v21
	s_delay_alu instid0(VALU_DEP_4)
	v_mad_u32 v23, s21, s10, v23
.LBB125_24:                             ;   Parent Loop BB125_5 Depth=1
                                        ; =>  This Inner Loop Header: Depth=2
	global_load_b64 v[26:27], v[20:21], off
	global_load_b64 v[28:29], v[22:23], off
	v_add_nc_u32_e32 v25, 0x100, v25
	s_wait_xcnt 0x1
	v_add_nc_u64_e32 v[20:21], 0x800, v[20:21]
	s_wait_xcnt 0x0
	v_add_nc_u64_e32 v[22:23], s[28:29], v[22:23]
	v_cmp_le_i32_e32 vcc_lo, s18, v25
	s_or_b32 s7, vcc_lo, s7
	s_wait_loadcnt 0x0
	v_pk_mul_f32 v[30:31], v[28:29], v[26:27] op_sel:[1,1] op_sel_hi:[0,1]
	s_delay_alu instid0(VALU_DEP_1) | instskip(SKIP_1) | instid1(VALU_DEP_2)
	v_pk_fma_f32 v[32:33], v[28:29], v[26:27], v[30:31] op_sel_hi:[1,0,1]
	v_pk_fma_f32 v[26:27], v[28:29], v[26:27], v[30:31] neg_lo:[0,0,1] neg_hi:[0,0,1]
	v_mov_b32_e32 v27, v33
	s_delay_alu instid0(VALU_DEP_1)
	v_pk_add_f32 v[18:19], v[18:19], v[26:27]
	s_and_not1_b32 exec_lo, exec_lo, s7
	s_cbranch_execnz .LBB125_24
; %bb.25:                               ;   in Loop: Header=BB125_5 Depth=1
	s_or_b32 exec_lo, exec_lo, s7
	s_delay_alu instid0(SALU_CYCLE_1)
	s_or_b32 exec_lo, exec_lo, s6
	s_and_saveexec_b32 s6, s2
	s_cbranch_execz .LBB125_16
.LBB125_26:                             ;   in Loop: Header=BB125_5 Depth=1
	s_mul_u64 s[34:35], s[22:23], s[10:11]
	s_mul_u64 s[36:37], s[38:39], s[10:11]
	v_lshl_add_u64 v[20:21], s[34:35], 3, v[6:7]
	s_lshl_b64 s[34:35], s[36:37], 3
	s_delay_alu instid0(SALU_CYCLE_1) | instskip(NEXT) | instid1(SALU_CYCLE_1)
	s_add_nc_u64 s[34:35], s[24:25], s[34:35]
	v_lshl_add_u64 v[22:23], v[4:5], 3, s[34:35]
	s_delay_alu instid0(VALU_DEP_2)
	v_lshl_add_u64 v[20:21], s[18:19], 3, v[20:21]
	global_load_b64 v[26:27], v[20:21], off
	global_load_b64 v[28:29], v[22:23], off
	s_wait_loadcnt 0x0
	s_wait_xcnt 0x1
	v_pk_mul_f32 v[20:21], v[28:29], v[26:27] op_sel:[1,1] op_sel_hi:[0,1]
	s_wait_xcnt 0x0
	s_delay_alu instid0(VALU_DEP_1) | instskip(SKIP_1) | instid1(VALU_DEP_2)
	v_pk_fma_f32 v[22:23], v[28:29], v[26:27], v[20:21] op_sel_hi:[1,0,1]
	v_pk_fma_f32 v[20:21], v[28:29], v[26:27], v[20:21] neg_lo:[0,0,1] neg_hi:[0,0,1]
	v_mov_b32_e32 v21, v23
	s_delay_alu instid0(VALU_DEP_1)
	v_pk_add_f32 v[18:19], v[18:19], v[20:21]
	s_or_b32 exec_lo, exec_lo, s6
	s_and_saveexec_b32 s6, s3
	s_cbranch_execnz .LBB125_17
	s_branch .LBB125_18
.LBB125_27:                             ;   in Loop: Header=BB125_5 Depth=1
	ds_load_b64 v[18:19], v1
	s_or_b32 exec_lo, exec_lo, s6
	s_and_saveexec_b32 s6, s3
	s_cbranch_execz .LBB125_22
.LBB125_28:                             ;   in Loop: Header=BB125_5 Depth=1
	s_wait_dscnt 0x0
	ds_bpermute_b32 v20, v22, v18
	ds_bpermute_b32 v21, v22, v19
	s_wait_dscnt 0x0
	v_pk_add_f32 v[18:19], v[18:19], v[20:21]
	ds_bpermute_b32 v20, v23, v18
	ds_bpermute_b32 v21, v23, v19
	s_wait_dscnt 0x0
	v_pk_add_f32 v[18:19], v[18:19], v[20:21]
	;; [unrolled: 4-line block ×3, first 2 shown]
	s_or_b32 exec_lo, exec_lo, s6
	s_and_saveexec_b32 s34, s0
	s_cbranch_execz .LBB125_3
.LBB125_29:                             ;   in Loop: Header=BB125_5 Depth=1
	s_wait_dscnt 0x0
	v_pk_mul_f32 v[22:23], v[18:19], v[16:17] op_sel:[1,1] op_sel_hi:[1,0]
	v_cmp_neq_f32_e32 vcc_lo, 0, v14
	v_cmp_neq_f32_e64 s6, 0, v15
	s_delay_alu instid0(VALU_DEP_3) | instskip(SKIP_2) | instid1(SALU_CYCLE_1)
	v_pk_fma_f32 v[20:21], v[18:19], v[16:17], v[22:23] op_sel_hi:[0,1,1] neg_lo:[0,0,1] neg_hi:[0,0,1]
	v_pk_fma_f32 v[16:17], v[18:19], v[16:17], v[22:23] op_sel_hi:[0,1,1]
	s_or_b32 s6, vcc_lo, s6
	s_and_not1_b32 vcc_lo, exec_lo, s6
	s_add_nc_u64 s[6:7], s[8:9], s[30:31]
	s_cbranch_vccnz .LBB125_2
; %bb.30:                               ;   in Loop: Header=BB125_5 Depth=1
	global_load_b64 v[18:19], v3, s[6:7]
	s_wait_loadcnt 0x0
	v_pk_mul_f32 v[22:23], v[14:15], v[18:19] op_sel:[1,1] op_sel_hi:[0,1]
	s_delay_alu instid0(VALU_DEP_1) | instskip(SKIP_1) | instid1(VALU_DEP_2)
	v_pk_fma_f32 v[26:27], v[14:15], v[18:19], v[22:23] op_sel_hi:[1,0,1]
	v_pk_fma_f32 v[14:15], v[14:15], v[18:19], v[22:23] neg_lo:[0,0,1] neg_hi:[0,0,1]
	v_dual_mov_b32 v21, v17 :: v_dual_mov_b32 v15, v27
	s_delay_alu instid0(VALU_DEP_1) | instskip(NEXT) | instid1(VALU_DEP_1)
	v_pk_add_f32 v[20:21], v[20:21], v[14:15]
	v_mov_b32_e32 v17, v21
	s_branch .LBB125_2
.LBB125_31:
	s_endpgm
	.section	.rodata,"a",@progbits
	.p2align	6, 0x0
	.amdhsa_kernel _ZL32rocblas_gemvt_warp_reduce_kernelILb0ELi256El19rocblas_complex_numIfEPKS1_S1_EviiT3_lPKT2_lT1_lS7_lS8_lS4_lPT4_lS8_li
		.amdhsa_group_segment_fixed_size 256
		.amdhsa_private_segment_fixed_size 0
		.amdhsa_kernarg_size 140
		.amdhsa_user_sgpr_count 2
		.amdhsa_user_sgpr_dispatch_ptr 0
		.amdhsa_user_sgpr_queue_ptr 0
		.amdhsa_user_sgpr_kernarg_segment_ptr 1
		.amdhsa_user_sgpr_dispatch_id 0
		.amdhsa_user_sgpr_kernarg_preload_length 0
		.amdhsa_user_sgpr_kernarg_preload_offset 0
		.amdhsa_user_sgpr_private_segment_size 0
		.amdhsa_wavefront_size32 1
		.amdhsa_uses_dynamic_stack 0
		.amdhsa_enable_private_segment 0
		.amdhsa_system_sgpr_workgroup_id_x 1
		.amdhsa_system_sgpr_workgroup_id_y 0
		.amdhsa_system_sgpr_workgroup_id_z 1
		.amdhsa_system_sgpr_workgroup_info 0
		.amdhsa_system_vgpr_workitem_id 0
		.amdhsa_next_free_vgpr 34
		.amdhsa_next_free_sgpr 52
		.amdhsa_named_barrier_count 0
		.amdhsa_reserve_vcc 1
		.amdhsa_float_round_mode_32 0
		.amdhsa_float_round_mode_16_64 0
		.amdhsa_float_denorm_mode_32 3
		.amdhsa_float_denorm_mode_16_64 3
		.amdhsa_fp16_overflow 0
		.amdhsa_memory_ordered 1
		.amdhsa_forward_progress 1
		.amdhsa_inst_pref_size 14
		.amdhsa_round_robin_scheduling 0
		.amdhsa_exception_fp_ieee_invalid_op 0
		.amdhsa_exception_fp_denorm_src 0
		.amdhsa_exception_fp_ieee_div_zero 0
		.amdhsa_exception_fp_ieee_overflow 0
		.amdhsa_exception_fp_ieee_underflow 0
		.amdhsa_exception_fp_ieee_inexact 0
		.amdhsa_exception_int_div_zero 0
	.end_amdhsa_kernel
	.section	.text._ZL32rocblas_gemvt_warp_reduce_kernelILb0ELi256El19rocblas_complex_numIfEPKS1_S1_EviiT3_lPKT2_lT1_lS7_lS8_lS4_lPT4_lS8_li,"axG",@progbits,_ZL32rocblas_gemvt_warp_reduce_kernelILb0ELi256El19rocblas_complex_numIfEPKS1_S1_EviiT3_lPKT2_lT1_lS7_lS8_lS4_lPT4_lS8_li,comdat
.Lfunc_end125:
	.size	_ZL32rocblas_gemvt_warp_reduce_kernelILb0ELi256El19rocblas_complex_numIfEPKS1_S1_EviiT3_lPKT2_lT1_lS7_lS8_lS4_lPT4_lS8_li, .Lfunc_end125-_ZL32rocblas_gemvt_warp_reduce_kernelILb0ELi256El19rocblas_complex_numIfEPKS1_S1_EviiT3_lPKT2_lT1_lS7_lS8_lS4_lPT4_lS8_li
                                        ; -- End function
	.set _ZL32rocblas_gemvt_warp_reduce_kernelILb0ELi256El19rocblas_complex_numIfEPKS1_S1_EviiT3_lPKT2_lT1_lS7_lS8_lS4_lPT4_lS8_li.num_vgpr, 34
	.set _ZL32rocblas_gemvt_warp_reduce_kernelILb0ELi256El19rocblas_complex_numIfEPKS1_S1_EviiT3_lPKT2_lT1_lS7_lS8_lS4_lPT4_lS8_li.num_agpr, 0
	.set _ZL32rocblas_gemvt_warp_reduce_kernelILb0ELi256El19rocblas_complex_numIfEPKS1_S1_EviiT3_lPKT2_lT1_lS7_lS8_lS4_lPT4_lS8_li.numbered_sgpr, 52
	.set _ZL32rocblas_gemvt_warp_reduce_kernelILb0ELi256El19rocblas_complex_numIfEPKS1_S1_EviiT3_lPKT2_lT1_lS7_lS8_lS4_lPT4_lS8_li.num_named_barrier, 0
	.set _ZL32rocblas_gemvt_warp_reduce_kernelILb0ELi256El19rocblas_complex_numIfEPKS1_S1_EviiT3_lPKT2_lT1_lS7_lS8_lS4_lPT4_lS8_li.private_seg_size, 0
	.set _ZL32rocblas_gemvt_warp_reduce_kernelILb0ELi256El19rocblas_complex_numIfEPKS1_S1_EviiT3_lPKT2_lT1_lS7_lS8_lS4_lPT4_lS8_li.uses_vcc, 1
	.set _ZL32rocblas_gemvt_warp_reduce_kernelILb0ELi256El19rocblas_complex_numIfEPKS1_S1_EviiT3_lPKT2_lT1_lS7_lS8_lS4_lPT4_lS8_li.uses_flat_scratch, 0
	.set _ZL32rocblas_gemvt_warp_reduce_kernelILb0ELi256El19rocblas_complex_numIfEPKS1_S1_EviiT3_lPKT2_lT1_lS7_lS8_lS4_lPT4_lS8_li.has_dyn_sized_stack, 0
	.set _ZL32rocblas_gemvt_warp_reduce_kernelILb0ELi256El19rocblas_complex_numIfEPKS1_S1_EviiT3_lPKT2_lT1_lS7_lS8_lS4_lPT4_lS8_li.has_recursion, 0
	.set _ZL32rocblas_gemvt_warp_reduce_kernelILb0ELi256El19rocblas_complex_numIfEPKS1_S1_EviiT3_lPKT2_lT1_lS7_lS8_lS4_lPT4_lS8_li.has_indirect_call, 0
	.section	.AMDGPU.csdata,"",@progbits
; Kernel info:
; codeLenInByte = 1704
; TotalNumSgprs: 54
; NumVgprs: 34
; ScratchSize: 0
; MemoryBound: 0
; FloatMode: 240
; IeeeMode: 1
; LDSByteSize: 256 bytes/workgroup (compile time only)
; SGPRBlocks: 0
; VGPRBlocks: 2
; NumSGPRsForWavesPerEU: 54
; NumVGPRsForWavesPerEU: 34
; NamedBarCnt: 0
; Occupancy: 16
; WaveLimiterHint : 0
; COMPUTE_PGM_RSRC2:SCRATCH_EN: 0
; COMPUTE_PGM_RSRC2:USER_SGPR: 2
; COMPUTE_PGM_RSRC2:TRAP_HANDLER: 0
; COMPUTE_PGM_RSRC2:TGID_X_EN: 1
; COMPUTE_PGM_RSRC2:TGID_Y_EN: 0
; COMPUTE_PGM_RSRC2:TGID_Z_EN: 1
; COMPUTE_PGM_RSRC2:TIDIG_COMP_CNT: 0
	.section	.text._ZL32rocblas_gemvt_warp_reduce_kernelILb0ELi256Ei19rocblas_complex_numIfES1_S1_EviiT3_lPKT2_lT1_lS5_lS6_lS2_lPT4_lS6_li,"axG",@progbits,_ZL32rocblas_gemvt_warp_reduce_kernelILb0ELi256Ei19rocblas_complex_numIfES1_S1_EviiT3_lPKT2_lT1_lS5_lS6_lS2_lPT4_lS6_li,comdat
	.globl	_ZL32rocblas_gemvt_warp_reduce_kernelILb0ELi256Ei19rocblas_complex_numIfES1_S1_EviiT3_lPKT2_lT1_lS5_lS6_lS2_lPT4_lS6_li ; -- Begin function _ZL32rocblas_gemvt_warp_reduce_kernelILb0ELi256Ei19rocblas_complex_numIfES1_S1_EviiT3_lPKT2_lT1_lS5_lS6_lS2_lPT4_lS6_li
	.p2align	8
	.type	_ZL32rocblas_gemvt_warp_reduce_kernelILb0ELi256Ei19rocblas_complex_numIfES1_S1_EviiT3_lPKT2_lT1_lS5_lS6_lS2_lPT4_lS6_li,@function
_ZL32rocblas_gemvt_warp_reduce_kernelILb0ELi256Ei19rocblas_complex_numIfES1_S1_EviiT3_lPKT2_lT1_lS5_lS6_lS2_lPT4_lS6_li: ; @_ZL32rocblas_gemvt_warp_reduce_kernelILb0ELi256Ei19rocblas_complex_numIfES1_S1_EviiT3_lPKT2_lT1_lS5_lS6_lS2_lPT4_lS6_li
; %bb.0:
	s_load_b32 s33, s[0:1], 0x88
	s_bfe_u32 s2, ttmp6, 0x40014
	s_lshr_b32 s3, ttmp7, 16
	s_add_co_i32 s2, s2, 1
	s_bfe_u32 s4, ttmp6, 0x40008
	s_mul_i32 s2, s3, s2
	s_getreg_b32 s23, hwreg(HW_REG_IB_STS2, 6, 4)
	s_add_co_i32 s4, s4, s2
	s_cmp_eq_u32 s23, 0
	s_mov_b32 s25, 0
	s_cselect_b32 s24, s3, s4
	s_wait_kmcnt 0x0
	s_cmp_ge_u32 s24, s33
	s_cbranch_scc1 .LBB126_31
; %bb.1:
	s_clause 0x7
	s_load_b96 s[20:22], s[0:1], 0x40
	s_load_b128 s[4:7], s[0:1], 0x68
	s_load_b128 s[16:19], s[0:1], 0x18
	s_load_b64 s[26:27], s[0:1], 0x8
	s_load_b128 s[8:11], s[0:1], 0x50
	s_load_b128 s[12:15], s[0:1], 0x30
	s_load_b32 s41, s[0:1], 0x0
	s_load_b32 s36, s[0:1], 0x28
	v_dual_mov_b32 v3, 0 :: v_dual_bitop2_b32 v2, 31, v0 bitop3:0x40
	v_lshrrev_b32_e32 v6, 2, v0
	v_mov_b64_e32 v[4:5], 0
	v_cmp_gt_u32_e64 s2, 8, v0
	s_delay_alu instid0(VALU_DEP_4)
	v_lshlrev_b32_e32 v1, 3, v2
	s_wait_kmcnt 0x0
	s_lshl_b64 s[30:31], s[20:21], 3
	s_lshl_b64 s[28:29], s[6:7], 3
	;; [unrolled: 1-line block ×3, first 2 shown]
	s_cmp_neq_f32 s26, 0
	s_add_nc_u64 s[28:29], s[4:5], s[28:29]
	s_add_nc_u64 s[14:15], s[14:15], s[30:31]
	v_cmp_gt_i32_e32 vcc_lo, s41, v0
	s_cselect_b32 s3, -1, 0
	s_cmp_neq_f32 s27, 0
	v_and_b32_e32 v16, 56, v6
	s_clause 0x1
	s_load_b32 s37, s[0:1], 0x78
	s_load_b64 s[6:7], s[0:1], 0x80
	v_mul_lo_u32 v17, v0, s22
	s_cselect_b32 s18, -1, 0
	s_wait_xcnt 0x0
	v_cmp_eq_u32_e64 s0, 0, v0
	s_or_b32 s40, s3, s18
	s_cmp_neq_f32 s10, 1.0
	v_cmp_eq_u32_e64 s3, 0, v2
	v_cndmask_b32_e32 v2, 0, v0, vcc_lo
	v_cmp_gt_u32_e64 s1, 32, v0
	s_cselect_b32 s42, -1, 0
	s_cmp_neq_f32 s11, 0
	s_mov_b32 s18, s11
	v_lshlrev_b32_e32 v2, 3, v2
	s_mov_b32 s21, s26
	s_cselect_b32 s43, -1, 0
	s_or_b32 s19, s26, s27
	s_delay_alu instid0(SALU_CYCLE_1)
	s_and_b32 s20, s19, 0x7fffffff
	s_mov_b32 s19, s10
	s_cmp_eq_u32 s20, 0
	s_mov_b32 s20, s27
	s_cselect_b32 s38, -1, 0
	s_cmp_neq_f32 s10, 0
	s_cselect_b32 s30, -1, 0
	s_bfe_u32 s31, ttmp6, 0x4000c
	s_and_b32 s4, ttmp6, 15
	s_add_co_i32 s31, s31, 1
	s_or_b32 s39, s30, s43
	s_mul_i32 s5, ttmp9, s31
	s_delay_alu instid0(SALU_CYCLE_1)
	s_add_co_i32 s4, s4, s5
	s_cmp_eq_u32 s23, 0
	s_cselect_b32 s23, ttmp9, s4
	s_ashr_i32 s30, s41, 31
	s_add_nc_u64 s[4:5], s[16:17], s[34:35]
	s_lshr_b32 s30, s30, 24
	v_add_nc_u64_e32 v[8:9], s[4:5], v[2:3]
	s_add_co_i32 s4, s41, s30
	s_or_b32 s31, s40, s42
	s_and_b32 s30, s4, 0xffffff00
	s_mul_i32 s4, s36, s23
	v_or_b32_e32 v7, s30, v0
	s_ashr_i32 s5, s4, 31
	s_wait_kmcnt 0x0
	s_mul_i32 s36, s37, s23
	s_lshl_b64 s[4:5], s[4:5], 3
	s_ashr_i32 s37, s36, 31
	v_mul_lo_u32 v6, s22, v7
	s_add_nc_u64 s[34:35], s[34:35], s[4:5]
	v_add_nc_u64_e32 v[8:9], s[4:5], v[8:9]
	s_add_nc_u64 s[16:17], s[16:17], s[34:35]
	v_cmp_gt_i32_e64 s4, s30, v0
	v_add_nc_u64_e32 v[10:11], s[16:17], v[2:3]
	v_cmp_gt_i32_e64 s5, s41, v7
	v_mbcnt_lo_u32_b32 v2, -1, 0
	s_or_b32 s40, s31, s43
	s_ashr_i32 s31, s30, 31
	s_lshl_b64 s[16:17], s[12:13], 3
	v_ashrrev_i32_e32 v7, 31, v6
	s_lshl_b32 s41, s22, 8
	s_lshl_b64 s[22:23], s[36:37], 3
	s_branch .LBB126_5
.LBB126_2:                              ;   in Loop: Header=BB126_5 Depth=1
	s_delay_alu instid0(VALU_DEP_1)
	v_mov_b32_e32 v15, v13
	global_store_b64 v3, v[14:15], s[34:35]
.LBB126_3:                              ;   in Loop: Header=BB126_5 Depth=1
	s_wait_xcnt 0x0
	s_or_b32 exec_lo, exec_lo, s36
.LBB126_4:                              ;   in Loop: Header=BB126_5 Depth=1
	s_add_co_i32 s24, s24, 0x10000
	s_delay_alu instid0(SALU_CYCLE_1)
	s_cmp_lt_u32 s24, s33
	s_cbranch_scc0 .LBB126_31
.LBB126_5:                              ; =>This Loop Header: Depth=1
                                        ;     Child Loop BB126_24 Depth 2
	s_and_not1_b32 vcc_lo, exec_lo, s40
	s_cbranch_vccnz .LBB126_4
; %bb.6:                                ;   in Loop: Header=BB126_5 Depth=1
	s_mul_u64 s[34:35], s[6:7], s[24:25]
	s_and_not1_b32 vcc_lo, exec_lo, s38
	s_lshl_b64 s[34:35], s[34:35], 3
	s_mov_b32 s36, -1
	s_add_nc_u64 s[34:35], s[28:29], s[34:35]
	s_cbranch_vccnz .LBB126_13
; %bb.7:                                ;   in Loop: Header=BB126_5 Depth=1
	s_and_saveexec_b32 s36, s0
	s_cbranch_execz .LBB126_12
; %bb.8:                                ;   in Loop: Header=BB126_5 Depth=1
	s_and_not1_b32 vcc_lo, exec_lo, s39
	s_cbranch_vccnz .LBB126_10
; %bb.9:                                ;   in Loop: Header=BB126_5 Depth=1
	s_add_nc_u64 s[42:43], s[34:35], s[22:23]
	v_mov_b64_e32 v[14:15], s[18:19]
	s_wait_dscnt 0x0
	global_load_b64 v[12:13], v3, s[42:43]
	v_mov_b64_e32 v[18:19], s[10:11]
	s_wait_loadcnt 0x0
	v_pk_mul_f32 v[14:15], v[14:15], v[12:13] op_sel:[0,1]
	s_delay_alu instid0(VALU_DEP_1) | instskip(SKIP_1) | instid1(VALU_DEP_2)
	v_pk_fma_f32 v[20:21], v[18:19], v[12:13], v[14:15] op_sel_hi:[1,0,1]
	v_pk_fma_f32 v[12:13], v[18:19], v[12:13], v[14:15] neg_lo:[0,0,1] neg_hi:[0,0,1]
	v_mov_b32_e32 v13, v21
	s_branch .LBB126_11
.LBB126_10:                             ;   in Loop: Header=BB126_5 Depth=1
	s_wait_dscnt 0x0
	v_dual_mov_b32 v13, 0 :: v_dual_mov_b32 v12, 0
.LBB126_11:                             ;   in Loop: Header=BB126_5 Depth=1
	s_wait_xcnt 0x0
	s_add_nc_u64 s[42:43], s[34:35], s[22:23]
	global_store_b64 v3, v[12:13], s[42:43]
.LBB126_12:                             ;   in Loop: Header=BB126_5 Depth=1
	s_wait_xcnt 0x0
	s_or_b32 exec_lo, exec_lo, s36
	s_mov_b32 s36, 0
.LBB126_13:                             ;   in Loop: Header=BB126_5 Depth=1
	s_delay_alu instid0(SALU_CYCLE_1)
	s_and_not1_b32 vcc_lo, exec_lo, s36
	s_cbranch_vccnz .LBB126_4
; %bb.14:                               ;   in Loop: Header=BB126_5 Depth=1
	s_wait_dscnt 0x0
	v_mov_b64_e32 v[12:13], 0
	s_mul_u64 s[36:37], s[8:9], s[24:25]
	s_delay_alu instid0(SALU_CYCLE_1) | instskip(NEXT) | instid1(SALU_CYCLE_1)
	s_lshl_b64 s[36:37], s[36:37], 3
	s_add_nc_u64 s[36:37], s[14:15], s[36:37]
	s_and_saveexec_b32 s42, s4
	s_cbranch_execnz .LBB126_23
; %bb.15:                               ;   in Loop: Header=BB126_5 Depth=1
	s_or_b32 exec_lo, exec_lo, s42
	s_and_saveexec_b32 s42, s5
	s_cbranch_execnz .LBB126_26
.LBB126_16:                             ;   in Loop: Header=BB126_5 Depth=1
	s_or_b32 exec_lo, exec_lo, s42
	s_and_saveexec_b32 s36, s1
.LBB126_17:                             ;   in Loop: Header=BB126_5 Depth=1
	ds_store_b64 v1, v[4:5]
.LBB126_18:                             ;   in Loop: Header=BB126_5 Depth=1
	s_or_b32 exec_lo, exec_lo, s36
	v_lshl_or_b32 v15, v2, 2, 64
	v_cmp_gt_u32_e32 vcc_lo, 24, v2
	s_wait_storecnt_dscnt 0x0
	s_barrier_signal -1
	s_barrier_wait -1
	ds_bpermute_b32 v14, v15, v12
	ds_bpermute_b32 v15, v15, v13
	v_cndmask_b32_e64 v18, 0, 8, vcc_lo
	v_cmp_gt_u32_e32 vcc_lo, 28, v2
	s_wait_dscnt 0x0
	s_delay_alu instid0(VALU_DEP_2)
	v_add_lshl_u32 v18, v18, v2, 2
	v_pk_add_f32 v[12:13], v[12:13], v[14:15]
	ds_bpermute_b32 v14, v18, v12
	ds_bpermute_b32 v15, v18, v13
	v_cndmask_b32_e64 v18, 0, 4, vcc_lo
	v_cmp_gt_u32_e32 vcc_lo, 30, v2
	s_delay_alu instid0(VALU_DEP_2) | instskip(SKIP_2) | instid1(VALU_DEP_2)
	v_add_lshl_u32 v18, v18, v2, 2
	v_cndmask_b32_e64 v19, 0, 2, vcc_lo
	v_cmp_ne_u32_e32 vcc_lo, 31, v2
	v_add_lshl_u32 v19, v19, v2, 2
	v_add_co_ci_u32_e64 v20, null, 0, v2, vcc_lo
	s_delay_alu instid0(VALU_DEP_1)
	v_lshlrev_b32_e32 v20, 2, v20
	s_wait_dscnt 0x0
	v_pk_add_f32 v[12:13], v[12:13], v[14:15]
	ds_bpermute_b32 v14, v18, v12
	ds_bpermute_b32 v15, v18, v13
	s_wait_dscnt 0x0
	v_pk_add_f32 v[12:13], v[12:13], v[14:15]
	ds_bpermute_b32 v14, v19, v12
	ds_bpermute_b32 v15, v19, v13
	;; [unrolled: 4-line block ×3, first 2 shown]
	s_and_saveexec_b32 s36, s3
	s_cbranch_execz .LBB126_20
; %bb.19:                               ;   in Loop: Header=BB126_5 Depth=1
	s_wait_dscnt 0x0
	v_pk_add_f32 v[12:13], v[12:13], v[14:15]
	ds_store_b64 v16, v[12:13]
.LBB126_20:                             ;   in Loop: Header=BB126_5 Depth=1
	s_or_b32 exec_lo, exec_lo, s36
	v_mov_b64_e32 v[12:13], 0
	s_wait_dscnt 0x0
	s_barrier_signal -1
	s_barrier_wait -1
	s_and_saveexec_b32 s36, s2
	s_cbranch_execnz .LBB126_27
; %bb.21:                               ;   in Loop: Header=BB126_5 Depth=1
	s_or_b32 exec_lo, exec_lo, s36
	s_and_saveexec_b32 s36, s1
	s_cbranch_execnz .LBB126_28
.LBB126_22:                             ;   in Loop: Header=BB126_5 Depth=1
	s_or_b32 exec_lo, exec_lo, s36
	s_and_saveexec_b32 s36, s0
	s_cbranch_execz .LBB126_3
	s_branch .LBB126_29
.LBB126_23:                             ;   in Loop: Header=BB126_5 Depth=1
	v_mad_nc_u64_u32 v[14:15], s16, s24, v[10:11]
	v_dual_mov_b32 v12, 0 :: v_dual_mov_b32 v18, v17
	v_mov_b32_e32 v19, v0
	s_mov_b32 s43, 0
	s_delay_alu instid0(VALU_DEP_2) | instskip(NEXT) | instid1(VALU_DEP_4)
	v_mov_b32_e32 v13, v12
	v_mad_u32 v15, s17, s24, v15
.LBB126_24:                             ;   Parent Loop BB126_5 Depth=1
                                        ; =>  This Inner Loop Header: Depth=2
	global_load_b64 v[20:21], v[14:15], off
	global_load_b64 v[22:23], v18, s[36:37] scale_offset
	v_add_nc_u32_e32 v19, 0x100, v19
	s_wait_xcnt 0x1
	v_add_nc_u64_e32 v[14:15], 0x800, v[14:15]
	s_wait_xcnt 0x0
	v_add_nc_u32_e32 v18, s41, v18
	v_cmp_le_i32_e32 vcc_lo, s30, v19
	s_or_b32 s43, vcc_lo, s43
	s_wait_loadcnt 0x0
	v_pk_mul_f32 v[24:25], v[22:23], v[20:21] op_sel:[1,1] op_sel_hi:[0,1]
	s_delay_alu instid0(VALU_DEP_1) | instskip(SKIP_1) | instid1(VALU_DEP_2)
	v_pk_fma_f32 v[26:27], v[22:23], v[20:21], v[24:25] op_sel_hi:[1,0,1]
	v_pk_fma_f32 v[20:21], v[22:23], v[20:21], v[24:25] neg_lo:[0,0,1] neg_hi:[0,0,1]
	v_mov_b32_e32 v21, v27
	s_delay_alu instid0(VALU_DEP_1)
	v_pk_add_f32 v[12:13], v[12:13], v[20:21]
	s_and_not1_b32 exec_lo, exec_lo, s43
	s_cbranch_execnz .LBB126_24
; %bb.25:                               ;   in Loop: Header=BB126_5 Depth=1
	s_or_b32 exec_lo, exec_lo, s43
	s_delay_alu instid0(SALU_CYCLE_1)
	s_or_b32 exec_lo, exec_lo, s42
	s_and_saveexec_b32 s42, s5
	s_cbranch_execz .LBB126_16
.LBB126_26:                             ;   in Loop: Header=BB126_5 Depth=1
	s_mul_u64 s[44:45], s[12:13], s[24:25]
	v_lshl_add_u64 v[18:19], v[6:7], 3, s[36:37]
	v_lshl_add_u64 v[14:15], s[44:45], 3, v[8:9]
	s_delay_alu instid0(VALU_DEP_1)
	v_lshl_add_u64 v[14:15], s[30:31], 3, v[14:15]
	global_load_b64 v[20:21], v[14:15], off
	global_load_b64 v[22:23], v[18:19], off
	s_wait_loadcnt 0x0
	s_wait_xcnt 0x1
	v_pk_mul_f32 v[14:15], v[22:23], v[20:21] op_sel:[1,1] op_sel_hi:[0,1]
	s_wait_xcnt 0x0
	s_delay_alu instid0(VALU_DEP_1) | instskip(SKIP_1) | instid1(VALU_DEP_2)
	v_pk_fma_f32 v[18:19], v[22:23], v[20:21], v[14:15] op_sel_hi:[1,0,1]
	v_pk_fma_f32 v[14:15], v[22:23], v[20:21], v[14:15] neg_lo:[0,0,1] neg_hi:[0,0,1]
	v_mov_b32_e32 v15, v19
	s_delay_alu instid0(VALU_DEP_1)
	v_pk_add_f32 v[12:13], v[12:13], v[14:15]
	s_or_b32 exec_lo, exec_lo, s42
	s_and_saveexec_b32 s36, s1
	s_cbranch_execnz .LBB126_17
	s_branch .LBB126_18
.LBB126_27:                             ;   in Loop: Header=BB126_5 Depth=1
	ds_load_b64 v[12:13], v1
	s_or_b32 exec_lo, exec_lo, s36
	s_and_saveexec_b32 s36, s1
	s_cbranch_execz .LBB126_22
.LBB126_28:                             ;   in Loop: Header=BB126_5 Depth=1
	s_wait_dscnt 0x0
	ds_bpermute_b32 v14, v18, v12
	ds_bpermute_b32 v15, v18, v13
	s_wait_dscnt 0x0
	v_pk_add_f32 v[12:13], v[12:13], v[14:15]
	ds_bpermute_b32 v14, v19, v12
	ds_bpermute_b32 v15, v19, v13
	s_wait_dscnt 0x0
	v_pk_add_f32 v[12:13], v[12:13], v[14:15]
	;; [unrolled: 4-line block ×3, first 2 shown]
	s_or_b32 exec_lo, exec_lo, s36
	s_and_saveexec_b32 s36, s0
	s_cbranch_execz .LBB126_3
.LBB126_29:                             ;   in Loop: Header=BB126_5 Depth=1
	v_mov_b64_e32 v[14:15], s[20:21]
	v_mov_b64_e32 v[18:19], s[26:27]
	s_and_not1_b32 vcc_lo, exec_lo, s39
	s_add_nc_u64 s[34:35], s[34:35], s[22:23]
	s_wait_dscnt 0x0
	s_delay_alu instid0(VALU_DEP_2) | instskip(NEXT) | instid1(VALU_DEP_1)
	v_pk_mul_f32 v[20:21], v[12:13], v[14:15] op_sel:[1,0]
	v_pk_fma_f32 v[14:15], v[12:13], v[18:19], v[20:21] op_sel_hi:[0,1,1] neg_lo:[0,0,1] neg_hi:[0,0,1]
	v_pk_fma_f32 v[12:13], v[12:13], v[18:19], v[20:21] op_sel_hi:[0,1,1]
	s_cbranch_vccnz .LBB126_2
; %bb.30:                               ;   in Loop: Header=BB126_5 Depth=1
	global_load_b64 v[18:19], v3, s[34:35]
	v_mov_b64_e32 v[20:21], s[18:19]
	v_mov_b64_e32 v[22:23], s[10:11]
	s_wait_loadcnt 0x0
	s_delay_alu instid0(VALU_DEP_2) | instskip(NEXT) | instid1(VALU_DEP_1)
	v_pk_mul_f32 v[20:21], v[20:21], v[18:19] op_sel:[0,1]
	v_pk_fma_f32 v[24:25], v[22:23], v[18:19], v[20:21] op_sel_hi:[1,0,1]
	v_mov_b32_e32 v15, v13
	v_pk_fma_f32 v[12:13], v[22:23], v[18:19], v[20:21] neg_lo:[0,0,1] neg_hi:[0,0,1]
	s_delay_alu instid0(VALU_DEP_3) | instskip(NEXT) | instid1(VALU_DEP_1)
	v_mov_b32_e32 v13, v25
	v_pk_add_f32 v[14:15], v[14:15], v[12:13]
	s_delay_alu instid0(VALU_DEP_1)
	v_mov_b32_e32 v13, v15
	s_branch .LBB126_2
.LBB126_31:
	s_endpgm
	.section	.rodata,"a",@progbits
	.p2align	6, 0x0
	.amdhsa_kernel _ZL32rocblas_gemvt_warp_reduce_kernelILb0ELi256Ei19rocblas_complex_numIfES1_S1_EviiT3_lPKT2_lT1_lS5_lS6_lS2_lPT4_lS6_li
		.amdhsa_group_segment_fixed_size 256
		.amdhsa_private_segment_fixed_size 0
		.amdhsa_kernarg_size 140
		.amdhsa_user_sgpr_count 2
		.amdhsa_user_sgpr_dispatch_ptr 0
		.amdhsa_user_sgpr_queue_ptr 0
		.amdhsa_user_sgpr_kernarg_segment_ptr 1
		.amdhsa_user_sgpr_dispatch_id 0
		.amdhsa_user_sgpr_kernarg_preload_length 0
		.amdhsa_user_sgpr_kernarg_preload_offset 0
		.amdhsa_user_sgpr_private_segment_size 0
		.amdhsa_wavefront_size32 1
		.amdhsa_uses_dynamic_stack 0
		.amdhsa_enable_private_segment 0
		.amdhsa_system_sgpr_workgroup_id_x 1
		.amdhsa_system_sgpr_workgroup_id_y 0
		.amdhsa_system_sgpr_workgroup_id_z 1
		.amdhsa_system_sgpr_workgroup_info 0
		.amdhsa_system_vgpr_workitem_id 0
		.amdhsa_next_free_vgpr 28
		.amdhsa_next_free_sgpr 46
		.amdhsa_named_barrier_count 0
		.amdhsa_reserve_vcc 1
		.amdhsa_float_round_mode_32 0
		.amdhsa_float_round_mode_16_64 0
		.amdhsa_float_denorm_mode_32 3
		.amdhsa_float_denorm_mode_16_64 3
		.amdhsa_fp16_overflow 0
		.amdhsa_memory_ordered 1
		.amdhsa_forward_progress 1
		.amdhsa_inst_pref_size 14
		.amdhsa_round_robin_scheduling 0
		.amdhsa_exception_fp_ieee_invalid_op 0
		.amdhsa_exception_fp_denorm_src 0
		.amdhsa_exception_fp_ieee_div_zero 0
		.amdhsa_exception_fp_ieee_overflow 0
		.amdhsa_exception_fp_ieee_underflow 0
		.amdhsa_exception_fp_ieee_inexact 0
		.amdhsa_exception_int_div_zero 0
	.end_amdhsa_kernel
	.section	.text._ZL32rocblas_gemvt_warp_reduce_kernelILb0ELi256Ei19rocblas_complex_numIfES1_S1_EviiT3_lPKT2_lT1_lS5_lS6_lS2_lPT4_lS6_li,"axG",@progbits,_ZL32rocblas_gemvt_warp_reduce_kernelILb0ELi256Ei19rocblas_complex_numIfES1_S1_EviiT3_lPKT2_lT1_lS5_lS6_lS2_lPT4_lS6_li,comdat
.Lfunc_end126:
	.size	_ZL32rocblas_gemvt_warp_reduce_kernelILb0ELi256Ei19rocblas_complex_numIfES1_S1_EviiT3_lPKT2_lT1_lS5_lS6_lS2_lPT4_lS6_li, .Lfunc_end126-_ZL32rocblas_gemvt_warp_reduce_kernelILb0ELi256Ei19rocblas_complex_numIfES1_S1_EviiT3_lPKT2_lT1_lS5_lS6_lS2_lPT4_lS6_li
                                        ; -- End function
	.set _ZL32rocblas_gemvt_warp_reduce_kernelILb0ELi256Ei19rocblas_complex_numIfES1_S1_EviiT3_lPKT2_lT1_lS5_lS6_lS2_lPT4_lS6_li.num_vgpr, 28
	.set _ZL32rocblas_gemvt_warp_reduce_kernelILb0ELi256Ei19rocblas_complex_numIfES1_S1_EviiT3_lPKT2_lT1_lS5_lS6_lS2_lPT4_lS6_li.num_agpr, 0
	.set _ZL32rocblas_gemvt_warp_reduce_kernelILb0ELi256Ei19rocblas_complex_numIfES1_S1_EviiT3_lPKT2_lT1_lS5_lS6_lS2_lPT4_lS6_li.numbered_sgpr, 46
	.set _ZL32rocblas_gemvt_warp_reduce_kernelILb0ELi256Ei19rocblas_complex_numIfES1_S1_EviiT3_lPKT2_lT1_lS5_lS6_lS2_lPT4_lS6_li.num_named_barrier, 0
	.set _ZL32rocblas_gemvt_warp_reduce_kernelILb0ELi256Ei19rocblas_complex_numIfES1_S1_EviiT3_lPKT2_lT1_lS5_lS6_lS2_lPT4_lS6_li.private_seg_size, 0
	.set _ZL32rocblas_gemvt_warp_reduce_kernelILb0ELi256Ei19rocblas_complex_numIfES1_S1_EviiT3_lPKT2_lT1_lS5_lS6_lS2_lPT4_lS6_li.uses_vcc, 1
	.set _ZL32rocblas_gemvt_warp_reduce_kernelILb0ELi256Ei19rocblas_complex_numIfES1_S1_EviiT3_lPKT2_lT1_lS5_lS6_lS2_lPT4_lS6_li.uses_flat_scratch, 0
	.set _ZL32rocblas_gemvt_warp_reduce_kernelILb0ELi256Ei19rocblas_complex_numIfES1_S1_EviiT3_lPKT2_lT1_lS5_lS6_lS2_lPT4_lS6_li.has_dyn_sized_stack, 0
	.set _ZL32rocblas_gemvt_warp_reduce_kernelILb0ELi256Ei19rocblas_complex_numIfES1_S1_EviiT3_lPKT2_lT1_lS5_lS6_lS2_lPT4_lS6_li.has_recursion, 0
	.set _ZL32rocblas_gemvt_warp_reduce_kernelILb0ELi256Ei19rocblas_complex_numIfES1_S1_EviiT3_lPKT2_lT1_lS5_lS6_lS2_lPT4_lS6_li.has_indirect_call, 0
	.section	.AMDGPU.csdata,"",@progbits
; Kernel info:
; codeLenInByte = 1700
; TotalNumSgprs: 48
; NumVgprs: 28
; ScratchSize: 0
; MemoryBound: 0
; FloatMode: 240
; IeeeMode: 1
; LDSByteSize: 256 bytes/workgroup (compile time only)
; SGPRBlocks: 0
; VGPRBlocks: 1
; NumSGPRsForWavesPerEU: 48
; NumVGPRsForWavesPerEU: 28
; NamedBarCnt: 0
; Occupancy: 16
; WaveLimiterHint : 1
; COMPUTE_PGM_RSRC2:SCRATCH_EN: 0
; COMPUTE_PGM_RSRC2:USER_SGPR: 2
; COMPUTE_PGM_RSRC2:TRAP_HANDLER: 0
; COMPUTE_PGM_RSRC2:TGID_X_EN: 1
; COMPUTE_PGM_RSRC2:TGID_Y_EN: 0
; COMPUTE_PGM_RSRC2:TGID_Z_EN: 1
; COMPUTE_PGM_RSRC2:TIDIG_COMP_CNT: 0
	.section	.text._ZL32rocblas_gemvt_warp_reduce_kernelILb0ELi256El19rocblas_complex_numIfES1_S1_EviiT3_lPKT2_lT1_lS5_lS6_lS2_lPT4_lS6_li,"axG",@progbits,_ZL32rocblas_gemvt_warp_reduce_kernelILb0ELi256El19rocblas_complex_numIfES1_S1_EviiT3_lPKT2_lT1_lS5_lS6_lS2_lPT4_lS6_li,comdat
	.globl	_ZL32rocblas_gemvt_warp_reduce_kernelILb0ELi256El19rocblas_complex_numIfES1_S1_EviiT3_lPKT2_lT1_lS5_lS6_lS2_lPT4_lS6_li ; -- Begin function _ZL32rocblas_gemvt_warp_reduce_kernelILb0ELi256El19rocblas_complex_numIfES1_S1_EviiT3_lPKT2_lT1_lS5_lS6_lS2_lPT4_lS6_li
	.p2align	8
	.type	_ZL32rocblas_gemvt_warp_reduce_kernelILb0ELi256El19rocblas_complex_numIfES1_S1_EviiT3_lPKT2_lT1_lS5_lS6_lS2_lPT4_lS6_li,@function
_ZL32rocblas_gemvt_warp_reduce_kernelILb0ELi256El19rocblas_complex_numIfES1_S1_EviiT3_lPKT2_lT1_lS5_lS6_lS2_lPT4_lS6_li: ; @_ZL32rocblas_gemvt_warp_reduce_kernelILb0ELi256El19rocblas_complex_numIfES1_S1_EviiT3_lPKT2_lT1_lS5_lS6_lS2_lPT4_lS6_li
; %bb.0:
	s_load_b32 s33, s[0:1], 0x88
	s_bfe_u32 s2, ttmp6, 0x40014
	s_lshr_b32 s3, ttmp7, 16
	s_add_co_i32 s2, s2, 1
	s_bfe_u32 s5, ttmp6, 0x40008
	s_mul_i32 s4, s3, s2
	s_getreg_b32 s2, hwreg(HW_REG_IB_STS2, 6, 4)
	s_add_co_i32 s5, s5, s4
	s_cmp_eq_u32 s2, 0
	s_mov_b32 s7, 0
	s_cselect_b32 s6, s3, s5
	s_wait_kmcnt 0x0
	s_cmp_ge_u32 s6, s33
	s_cbranch_scc1 .LBB127_31
; %bb.1:
	s_clause 0x4
	s_load_b512 s[8:23], s[0:1], 0x18
	s_load_b256 s[24:31], s[0:1], 0x68
	s_load_b64 s[34:35], s[0:1], 0x8
	s_load_b64 s[36:37], s[0:1], 0x58
	s_load_b32 s43, s[0:1], 0x0
	v_mov_b64_e32 v[12:13], 0
	s_wait_kmcnt 0x0
	s_lshl_b64 s[4:5], s[18:19], 3
	s_lshl_b64 s[18:19], s[26:27], 3
	;; [unrolled: 1-line block ×3, first 2 shown]
	s_cmp_neq_f32 s34, 0
	v_cmp_gt_i32_e32 vcc_lo, s43, v0
	v_mov_b32_e32 v3, 0
	s_add_nc_u64 s[18:19], s[24:25], s[18:19]
	s_cselect_b32 s3, -1, 0
	s_cmp_neq_f32 s35, 0
	s_delay_alu instid0(VALU_DEP_1) | instskip(SKIP_1) | instid1(SALU_CYCLE_1)
	v_dual_cndmask_b32 v2, 0, v0 :: v_dual_mov_b32 v1, v3
	s_cselect_b32 s10, -1, 0
	s_or_b32 s38, s3, s10
	s_cmp_neq_f32 s36, 1.0
	s_add_nc_u64 s[10:11], s[16:17], s[4:5]
	v_lshlrev_b32_e32 v2, 3, v2
	v_mul_u64_e32 v[10:11], s[20:21], v[0:1]
	s_cselect_b32 s39, -1, 0
	s_cmp_neq_f32 s37, 0
	s_cselect_b32 s42, -1, 0
	s_or_b32 s3, s34, s35
	s_delay_alu instid0(SALU_CYCLE_1) | instskip(NEXT) | instid1(SALU_CYCLE_1)
	s_bitset0_b32 s3, 31
	s_cmp_eq_u32 s3, 0
	s_cselect_b32 s40, -1, 0
	s_cmp_neq_f32 s36, 0
	s_cselect_b32 s0, -1, 0
	s_bfe_u32 s1, ttmp6, 0x4000c
	s_and_b32 s3, ttmp6, 15
	s_add_co_i32 s1, s1, 1
	s_or_b32 s41, s0, s42
	s_mul_i32 s1, ttmp9, s1
	s_delay_alu instid0(SALU_CYCLE_1)
	s_add_co_i32 s3, s3, s1
	s_cmp_eq_u32 s2, 0
	s_cselect_b32 s2, ttmp9, s3
	s_ashr_i32 s0, s43, 31
	s_ashr_i32 s3, s2, 31
	s_lshr_b32 s0, s0, 24
	s_mul_u64 s[4:5], s[12:13], s[2:3]
	s_add_co_i32 s0, s43, s0
	s_lshl_b64 s[24:25], s[4:5], 3
	s_and_b32 s16, s0, 0xffffff00
	s_add_nc_u64 s[0:1], s[8:9], s[26:27]
	v_or_b32_e32 v8, s16, v0
	v_add_nc_u64_e32 v[6:7], s[0:1], v[2:3]
	s_mul_u64 s[28:29], s[28:29], s[2:3]
	s_add_nc_u64 s[26:27], s[24:25], s[26:27]
	v_cmp_eq_u32_e64 s0, 0, v0
	v_ashrrev_i32_e32 v9, 31, v8
	s_add_nc_u64 s[8:9], s[8:9], s[26:27]
	v_cmp_gt_i32_e64 s1, s16, v0
	v_add_nc_u64_e32 v[6:7], s[24:25], v[6:7]
	v_cmp_gt_u32_e64 s3, 32, v0
	v_mul_u64_e32 v[4:5], s[20:21], v[8:9]
	v_and_b32_e32 v9, 31, v0
	v_cmp_gt_u32_e64 s5, 8, v0
	v_lshl_add_u64 v[10:11], v[10:11], 3, s[10:11]
	s_or_b32 s38, s38, s39
	s_ashr_i32 s17, s16, 31
	v_lshlrev_b32_e32 v1, 3, v9
	v_cmp_gt_i32_e64 s2, s43, v8
	v_lshrrev_b32_e32 v8, 2, v0
	v_cmp_eq_u32_e64 s4, 0, v9
	s_mov_b32 s12, s37
	s_mov_b32 s13, s36
	;; [unrolled: 1-line block ×3, first 2 shown]
	v_and_b32_e32 v20, 56, v8
	v_add_nc_u64_e32 v[8:9], s[8:9], v[2:3]
	v_mbcnt_lo_u32_b32 v2, -1, 0
	s_mov_b32 s25, s34
	s_lshl_b64 s[8:9], s[14:15], 3
	s_or_b32 s42, s38, s42
	s_lshl_b64 s[26:27], s[22:23], 3
	s_lshl_b64 s[20:21], s[20:21], 11
	;; [unrolled: 1-line block ×3, first 2 shown]
	s_branch .LBB127_5
.LBB127_2:                              ;   in Loop: Header=BB127_5 Depth=1
	s_delay_alu instid0(VALU_DEP_1)
	v_mov_b32_e32 v17, v15
	global_store_b64 v3, v[16:17], s[38:39]
.LBB127_3:                              ;   in Loop: Header=BB127_5 Depth=1
	s_wait_xcnt 0x0
	s_or_b32 exec_lo, exec_lo, s43
.LBB127_4:                              ;   in Loop: Header=BB127_5 Depth=1
	s_add_co_i32 s6, s6, 0x10000
	s_delay_alu instid0(SALU_CYCLE_1)
	s_cmp_lt_u32 s6, s33
	s_cbranch_scc0 .LBB127_31
.LBB127_5:                              ; =>This Loop Header: Depth=1
                                        ;     Child Loop BB127_24 Depth 2
	s_and_not1_b32 vcc_lo, exec_lo, s42
	s_cbranch_vccnz .LBB127_4
; %bb.6:                                ;   in Loop: Header=BB127_5 Depth=1
	s_mul_u64 s[38:39], s[30:31], s[6:7]
	s_and_not1_b32 vcc_lo, exec_lo, s40
	s_lshl_b64 s[38:39], s[38:39], 3
	s_mov_b32 s43, -1
	s_add_nc_u64 s[38:39], s[18:19], s[38:39]
	s_cbranch_vccnz .LBB127_13
; %bb.7:                                ;   in Loop: Header=BB127_5 Depth=1
	s_and_saveexec_b32 s43, s0
	s_cbranch_execz .LBB127_12
; %bb.8:                                ;   in Loop: Header=BB127_5 Depth=1
	s_and_not1_b32 vcc_lo, exec_lo, s41
	s_cbranch_vccnz .LBB127_10
; %bb.9:                                ;   in Loop: Header=BB127_5 Depth=1
	s_add_nc_u64 s[44:45], s[38:39], s[28:29]
	v_mov_b64_e32 v[16:17], s[12:13]
	s_wait_dscnt 0x0
	global_load_b64 v[14:15], v3, s[44:45]
	v_mov_b64_e32 v[18:19], s[36:37]
	s_wait_loadcnt 0x0
	v_pk_mul_f32 v[16:17], v[16:17], v[14:15] op_sel:[0,1]
	s_delay_alu instid0(VALU_DEP_1) | instskip(SKIP_1) | instid1(VALU_DEP_2)
	v_pk_fma_f32 v[22:23], v[18:19], v[14:15], v[16:17] op_sel_hi:[1,0,1]
	v_pk_fma_f32 v[14:15], v[18:19], v[14:15], v[16:17] neg_lo:[0,0,1] neg_hi:[0,0,1]
	v_mov_b32_e32 v15, v23
	s_branch .LBB127_11
.LBB127_10:                             ;   in Loop: Header=BB127_5 Depth=1
	s_wait_dscnt 0x0
	v_dual_mov_b32 v15, 0 :: v_dual_mov_b32 v14, 0
.LBB127_11:                             ;   in Loop: Header=BB127_5 Depth=1
	s_wait_xcnt 0x0
	s_add_nc_u64 s[44:45], s[38:39], s[28:29]
	global_store_b64 v3, v[14:15], s[44:45]
.LBB127_12:                             ;   in Loop: Header=BB127_5 Depth=1
	s_wait_xcnt 0x0
	s_or_b32 exec_lo, exec_lo, s43
	s_mov_b32 s43, 0
.LBB127_13:                             ;   in Loop: Header=BB127_5 Depth=1
	s_delay_alu instid0(SALU_CYCLE_1)
	s_and_not1_b32 vcc_lo, exec_lo, s43
	s_cbranch_vccnz .LBB127_4
; %bb.14:                               ;   in Loop: Header=BB127_5 Depth=1
	s_wait_dscnt 0x0
	v_mov_b64_e32 v[14:15], 0
	s_and_saveexec_b32 s43, s1
	s_cbranch_execnz .LBB127_23
; %bb.15:                               ;   in Loop: Header=BB127_5 Depth=1
	s_or_b32 exec_lo, exec_lo, s43
	s_and_saveexec_b32 s43, s2
	s_cbranch_execnz .LBB127_26
.LBB127_16:                             ;   in Loop: Header=BB127_5 Depth=1
	s_or_b32 exec_lo, exec_lo, s43
	s_and_saveexec_b32 s43, s3
.LBB127_17:                             ;   in Loop: Header=BB127_5 Depth=1
	ds_store_b64 v1, v[12:13]
.LBB127_18:                             ;   in Loop: Header=BB127_5 Depth=1
	s_or_b32 exec_lo, exec_lo, s43
	v_lshl_or_b32 v17, v2, 2, 64
	v_cmp_gt_u32_e32 vcc_lo, 24, v2
	s_wait_storecnt_dscnt 0x0
	s_barrier_signal -1
	s_barrier_wait -1
	ds_bpermute_b32 v16, v17, v14
	ds_bpermute_b32 v17, v17, v15
	v_cndmask_b32_e64 v18, 0, 8, vcc_lo
	v_cmp_gt_u32_e32 vcc_lo, 28, v2
	s_wait_dscnt 0x0
	s_delay_alu instid0(VALU_DEP_2)
	v_add_lshl_u32 v18, v18, v2, 2
	v_pk_add_f32 v[14:15], v[14:15], v[16:17]
	ds_bpermute_b32 v16, v18, v14
	ds_bpermute_b32 v17, v18, v15
	v_cndmask_b32_e64 v18, 0, 4, vcc_lo
	v_cmp_gt_u32_e32 vcc_lo, 30, v2
	s_delay_alu instid0(VALU_DEP_2) | instskip(SKIP_2) | instid1(VALU_DEP_2)
	v_add_lshl_u32 v18, v18, v2, 2
	v_cndmask_b32_e64 v19, 0, 2, vcc_lo
	v_cmp_ne_u32_e32 vcc_lo, 31, v2
	v_add_lshl_u32 v19, v19, v2, 2
	v_add_co_ci_u32_e64 v21, null, 0, v2, vcc_lo
	s_delay_alu instid0(VALU_DEP_1)
	v_lshlrev_b32_e32 v21, 2, v21
	s_wait_dscnt 0x0
	v_pk_add_f32 v[14:15], v[14:15], v[16:17]
	ds_bpermute_b32 v16, v18, v14
	ds_bpermute_b32 v17, v18, v15
	s_wait_dscnt 0x0
	v_pk_add_f32 v[14:15], v[14:15], v[16:17]
	ds_bpermute_b32 v16, v19, v14
	ds_bpermute_b32 v17, v19, v15
	;; [unrolled: 4-line block ×3, first 2 shown]
	s_and_saveexec_b32 s43, s4
	s_cbranch_execz .LBB127_20
; %bb.19:                               ;   in Loop: Header=BB127_5 Depth=1
	s_wait_dscnt 0x0
	v_pk_add_f32 v[14:15], v[14:15], v[16:17]
	ds_store_b64 v20, v[14:15]
.LBB127_20:                             ;   in Loop: Header=BB127_5 Depth=1
	s_or_b32 exec_lo, exec_lo, s43
	v_mov_b64_e32 v[14:15], 0
	s_wait_dscnt 0x0
	s_barrier_signal -1
	s_barrier_wait -1
	s_and_saveexec_b32 s43, s5
	s_cbranch_execnz .LBB127_27
; %bb.21:                               ;   in Loop: Header=BB127_5 Depth=1
	s_or_b32 exec_lo, exec_lo, s43
	s_and_saveexec_b32 s43, s3
	s_cbranch_execnz .LBB127_28
.LBB127_22:                             ;   in Loop: Header=BB127_5 Depth=1
	s_or_b32 exec_lo, exec_lo, s43
	s_and_saveexec_b32 s43, s0
	s_cbranch_execz .LBB127_3
	s_branch .LBB127_29
.LBB127_23:                             ;   in Loop: Header=BB127_5 Depth=1
	v_mad_nc_u64_u32 v[16:17], s8, s6, v[8:9]
	v_mad_nc_u64_u32 v[18:19], s26, s6, v[10:11]
	v_dual_mov_b32 v14, 0 :: v_dual_mov_b32 v21, v0
	s_mov_b32 s44, 0
	s_delay_alu instid0(VALU_DEP_1) | instskip(NEXT) | instid1(VALU_DEP_4)
	v_mov_b32_e32 v15, v14
	v_mad_u32 v17, s9, s6, v17
	s_delay_alu instid0(VALU_DEP_4)
	v_mad_u32 v19, s27, s6, v19
.LBB127_24:                             ;   Parent Loop BB127_5 Depth=1
                                        ; =>  This Inner Loop Header: Depth=2
	global_load_b64 v[22:23], v[16:17], off
	global_load_b64 v[24:25], v[18:19], off
	v_add_nc_u32_e32 v21, 0x100, v21
	s_wait_xcnt 0x1
	v_add_nc_u64_e32 v[16:17], 0x800, v[16:17]
	s_wait_xcnt 0x0
	v_add_nc_u64_e32 v[18:19], s[20:21], v[18:19]
	v_cmp_le_i32_e32 vcc_lo, s16, v21
	s_or_b32 s44, vcc_lo, s44
	s_wait_loadcnt 0x0
	v_pk_mul_f32 v[26:27], v[24:25], v[22:23] op_sel:[1,1] op_sel_hi:[0,1]
	s_delay_alu instid0(VALU_DEP_1) | instskip(SKIP_1) | instid1(VALU_DEP_2)
	v_pk_fma_f32 v[28:29], v[24:25], v[22:23], v[26:27] op_sel_hi:[1,0,1]
	v_pk_fma_f32 v[22:23], v[24:25], v[22:23], v[26:27] neg_lo:[0,0,1] neg_hi:[0,0,1]
	v_mov_b32_e32 v23, v29
	s_delay_alu instid0(VALU_DEP_1)
	v_pk_add_f32 v[14:15], v[14:15], v[22:23]
	s_and_not1_b32 exec_lo, exec_lo, s44
	s_cbranch_execnz .LBB127_24
; %bb.25:                               ;   in Loop: Header=BB127_5 Depth=1
	s_or_b32 exec_lo, exec_lo, s44
	s_delay_alu instid0(SALU_CYCLE_1)
	s_or_b32 exec_lo, exec_lo, s43
	s_and_saveexec_b32 s43, s2
	s_cbranch_execz .LBB127_16
.LBB127_26:                             ;   in Loop: Header=BB127_5 Depth=1
	s_mul_u64 s[44:45], s[14:15], s[6:7]
	s_mul_u64 s[46:47], s[22:23], s[6:7]
	v_lshl_add_u64 v[16:17], s[44:45], 3, v[6:7]
	s_lshl_b64 s[44:45], s[46:47], 3
	s_delay_alu instid0(SALU_CYCLE_1) | instskip(NEXT) | instid1(SALU_CYCLE_1)
	s_add_nc_u64 s[44:45], s[10:11], s[44:45]
	v_lshl_add_u64 v[18:19], v[4:5], 3, s[44:45]
	s_delay_alu instid0(VALU_DEP_2)
	v_lshl_add_u64 v[16:17], s[16:17], 3, v[16:17]
	global_load_b64 v[22:23], v[16:17], off
	global_load_b64 v[24:25], v[18:19], off
	s_wait_loadcnt 0x0
	s_wait_xcnt 0x1
	v_pk_mul_f32 v[16:17], v[24:25], v[22:23] op_sel:[1,1] op_sel_hi:[0,1]
	s_wait_xcnt 0x0
	s_delay_alu instid0(VALU_DEP_1) | instskip(SKIP_1) | instid1(VALU_DEP_2)
	v_pk_fma_f32 v[18:19], v[24:25], v[22:23], v[16:17] op_sel_hi:[1,0,1]
	v_pk_fma_f32 v[16:17], v[24:25], v[22:23], v[16:17] neg_lo:[0,0,1] neg_hi:[0,0,1]
	v_mov_b32_e32 v17, v19
	s_delay_alu instid0(VALU_DEP_1)
	v_pk_add_f32 v[14:15], v[14:15], v[16:17]
	s_or_b32 exec_lo, exec_lo, s43
	s_and_saveexec_b32 s43, s3
	s_cbranch_execnz .LBB127_17
	s_branch .LBB127_18
.LBB127_27:                             ;   in Loop: Header=BB127_5 Depth=1
	ds_load_b64 v[14:15], v1
	s_or_b32 exec_lo, exec_lo, s43
	s_and_saveexec_b32 s43, s3
	s_cbranch_execz .LBB127_22
.LBB127_28:                             ;   in Loop: Header=BB127_5 Depth=1
	s_wait_dscnt 0x0
	ds_bpermute_b32 v16, v18, v14
	ds_bpermute_b32 v17, v18, v15
	s_wait_dscnt 0x0
	v_pk_add_f32 v[14:15], v[14:15], v[16:17]
	ds_bpermute_b32 v16, v19, v14
	ds_bpermute_b32 v17, v19, v15
	s_wait_dscnt 0x0
	v_pk_add_f32 v[14:15], v[14:15], v[16:17]
	;; [unrolled: 4-line block ×3, first 2 shown]
	s_or_b32 exec_lo, exec_lo, s43
	s_and_saveexec_b32 s43, s0
	s_cbranch_execz .LBB127_3
.LBB127_29:                             ;   in Loop: Header=BB127_5 Depth=1
	v_mov_b64_e32 v[16:17], s[24:25]
	v_mov_b64_e32 v[18:19], s[34:35]
	s_and_not1_b32 vcc_lo, exec_lo, s41
	s_add_nc_u64 s[38:39], s[38:39], s[28:29]
	s_wait_dscnt 0x0
	s_delay_alu instid0(VALU_DEP_2) | instskip(NEXT) | instid1(VALU_DEP_1)
	v_pk_mul_f32 v[22:23], v[14:15], v[16:17] op_sel:[1,0]
	v_pk_fma_f32 v[16:17], v[14:15], v[18:19], v[22:23] op_sel_hi:[0,1,1] neg_lo:[0,0,1] neg_hi:[0,0,1]
	v_pk_fma_f32 v[14:15], v[14:15], v[18:19], v[22:23] op_sel_hi:[0,1,1]
	s_cbranch_vccnz .LBB127_2
; %bb.30:                               ;   in Loop: Header=BB127_5 Depth=1
	global_load_b64 v[18:19], v3, s[38:39]
	v_mov_b64_e32 v[22:23], s[12:13]
	v_mov_b64_e32 v[24:25], s[36:37]
	s_wait_loadcnt 0x0
	s_delay_alu instid0(VALU_DEP_2) | instskip(NEXT) | instid1(VALU_DEP_1)
	v_pk_mul_f32 v[22:23], v[22:23], v[18:19] op_sel:[0,1]
	v_pk_fma_f32 v[26:27], v[24:25], v[18:19], v[22:23] op_sel_hi:[1,0,1]
	v_mov_b32_e32 v17, v15
	v_pk_fma_f32 v[14:15], v[24:25], v[18:19], v[22:23] neg_lo:[0,0,1] neg_hi:[0,0,1]
	s_delay_alu instid0(VALU_DEP_3) | instskip(NEXT) | instid1(VALU_DEP_1)
	v_mov_b32_e32 v15, v27
	v_pk_add_f32 v[16:17], v[16:17], v[14:15]
	s_delay_alu instid0(VALU_DEP_1)
	v_mov_b32_e32 v15, v17
	s_branch .LBB127_2
.LBB127_31:
	s_endpgm
	.section	.rodata,"a",@progbits
	.p2align	6, 0x0
	.amdhsa_kernel _ZL32rocblas_gemvt_warp_reduce_kernelILb0ELi256El19rocblas_complex_numIfES1_S1_EviiT3_lPKT2_lT1_lS5_lS6_lS2_lPT4_lS6_li
		.amdhsa_group_segment_fixed_size 256
		.amdhsa_private_segment_fixed_size 0
		.amdhsa_kernarg_size 140
		.amdhsa_user_sgpr_count 2
		.amdhsa_user_sgpr_dispatch_ptr 0
		.amdhsa_user_sgpr_queue_ptr 0
		.amdhsa_user_sgpr_kernarg_segment_ptr 1
		.amdhsa_user_sgpr_dispatch_id 0
		.amdhsa_user_sgpr_kernarg_preload_length 0
		.amdhsa_user_sgpr_kernarg_preload_offset 0
		.amdhsa_user_sgpr_private_segment_size 0
		.amdhsa_wavefront_size32 1
		.amdhsa_uses_dynamic_stack 0
		.amdhsa_enable_private_segment 0
		.amdhsa_system_sgpr_workgroup_id_x 1
		.amdhsa_system_sgpr_workgroup_id_y 0
		.amdhsa_system_sgpr_workgroup_id_z 1
		.amdhsa_system_sgpr_workgroup_info 0
		.amdhsa_system_vgpr_workitem_id 0
		.amdhsa_next_free_vgpr 30
		.amdhsa_next_free_sgpr 48
		.amdhsa_named_barrier_count 0
		.amdhsa_reserve_vcc 1
		.amdhsa_float_round_mode_32 0
		.amdhsa_float_round_mode_16_64 0
		.amdhsa_float_denorm_mode_32 3
		.amdhsa_float_denorm_mode_16_64 3
		.amdhsa_fp16_overflow 0
		.amdhsa_memory_ordered 1
		.amdhsa_forward_progress 1
		.amdhsa_inst_pref_size 13
		.amdhsa_round_robin_scheduling 0
		.amdhsa_exception_fp_ieee_invalid_op 0
		.amdhsa_exception_fp_denorm_src 0
		.amdhsa_exception_fp_ieee_div_zero 0
		.amdhsa_exception_fp_ieee_overflow 0
		.amdhsa_exception_fp_ieee_underflow 0
		.amdhsa_exception_fp_ieee_inexact 0
		.amdhsa_exception_int_div_zero 0
	.end_amdhsa_kernel
	.section	.text._ZL32rocblas_gemvt_warp_reduce_kernelILb0ELi256El19rocblas_complex_numIfES1_S1_EviiT3_lPKT2_lT1_lS5_lS6_lS2_lPT4_lS6_li,"axG",@progbits,_ZL32rocblas_gemvt_warp_reduce_kernelILb0ELi256El19rocblas_complex_numIfES1_S1_EviiT3_lPKT2_lT1_lS5_lS6_lS2_lPT4_lS6_li,comdat
.Lfunc_end127:
	.size	_ZL32rocblas_gemvt_warp_reduce_kernelILb0ELi256El19rocblas_complex_numIfES1_S1_EviiT3_lPKT2_lT1_lS5_lS6_lS2_lPT4_lS6_li, .Lfunc_end127-_ZL32rocblas_gemvt_warp_reduce_kernelILb0ELi256El19rocblas_complex_numIfES1_S1_EviiT3_lPKT2_lT1_lS5_lS6_lS2_lPT4_lS6_li
                                        ; -- End function
	.set _ZL32rocblas_gemvt_warp_reduce_kernelILb0ELi256El19rocblas_complex_numIfES1_S1_EviiT3_lPKT2_lT1_lS5_lS6_lS2_lPT4_lS6_li.num_vgpr, 30
	.set _ZL32rocblas_gemvt_warp_reduce_kernelILb0ELi256El19rocblas_complex_numIfES1_S1_EviiT3_lPKT2_lT1_lS5_lS6_lS2_lPT4_lS6_li.num_agpr, 0
	.set _ZL32rocblas_gemvt_warp_reduce_kernelILb0ELi256El19rocblas_complex_numIfES1_S1_EviiT3_lPKT2_lT1_lS5_lS6_lS2_lPT4_lS6_li.numbered_sgpr, 48
	.set _ZL32rocblas_gemvt_warp_reduce_kernelILb0ELi256El19rocblas_complex_numIfES1_S1_EviiT3_lPKT2_lT1_lS5_lS6_lS2_lPT4_lS6_li.num_named_barrier, 0
	.set _ZL32rocblas_gemvt_warp_reduce_kernelILb0ELi256El19rocblas_complex_numIfES1_S1_EviiT3_lPKT2_lT1_lS5_lS6_lS2_lPT4_lS6_li.private_seg_size, 0
	.set _ZL32rocblas_gemvt_warp_reduce_kernelILb0ELi256El19rocblas_complex_numIfES1_S1_EviiT3_lPKT2_lT1_lS5_lS6_lS2_lPT4_lS6_li.uses_vcc, 1
	.set _ZL32rocblas_gemvt_warp_reduce_kernelILb0ELi256El19rocblas_complex_numIfES1_S1_EviiT3_lPKT2_lT1_lS5_lS6_lS2_lPT4_lS6_li.uses_flat_scratch, 0
	.set _ZL32rocblas_gemvt_warp_reduce_kernelILb0ELi256El19rocblas_complex_numIfES1_S1_EviiT3_lPKT2_lT1_lS5_lS6_lS2_lPT4_lS6_li.has_dyn_sized_stack, 0
	.set _ZL32rocblas_gemvt_warp_reduce_kernelILb0ELi256El19rocblas_complex_numIfES1_S1_EviiT3_lPKT2_lT1_lS5_lS6_lS2_lPT4_lS6_li.has_recursion, 0
	.set _ZL32rocblas_gemvt_warp_reduce_kernelILb0ELi256El19rocblas_complex_numIfES1_S1_EviiT3_lPKT2_lT1_lS5_lS6_lS2_lPT4_lS6_li.has_indirect_call, 0
	.section	.AMDGPU.csdata,"",@progbits
; Kernel info:
; codeLenInByte = 1656
; TotalNumSgprs: 50
; NumVgprs: 30
; ScratchSize: 0
; MemoryBound: 0
; FloatMode: 240
; IeeeMode: 1
; LDSByteSize: 256 bytes/workgroup (compile time only)
; SGPRBlocks: 0
; VGPRBlocks: 1
; NumSGPRsForWavesPerEU: 50
; NumVGPRsForWavesPerEU: 30
; NamedBarCnt: 0
; Occupancy: 16
; WaveLimiterHint : 1
; COMPUTE_PGM_RSRC2:SCRATCH_EN: 0
; COMPUTE_PGM_RSRC2:USER_SGPR: 2
; COMPUTE_PGM_RSRC2:TRAP_HANDLER: 0
; COMPUTE_PGM_RSRC2:TGID_X_EN: 1
; COMPUTE_PGM_RSRC2:TGID_Y_EN: 0
; COMPUTE_PGM_RSRC2:TGID_Z_EN: 1
; COMPUTE_PGM_RSRC2:TIDIG_COMP_CNT: 0
	.section	.text._ZL20rocblas_gemvt_kernelILb0ELi256E19rocblas_complex_numIfEPKS1_S1_EviiT2_lPKT1_lilS7_lilS4_lPT3_lili,"axG",@progbits,_ZL20rocblas_gemvt_kernelILb0ELi256E19rocblas_complex_numIfEPKS1_S1_EviiT2_lPKT1_lilS7_lilS4_lPT3_lili,comdat
	.globl	_ZL20rocblas_gemvt_kernelILb0ELi256E19rocblas_complex_numIfEPKS1_S1_EviiT2_lPKT1_lilS7_lilS4_lPT3_lili ; -- Begin function _ZL20rocblas_gemvt_kernelILb0ELi256E19rocblas_complex_numIfEPKS1_S1_EviiT2_lPKT1_lilS7_lilS4_lPT3_lili
	.p2align	8
	.type	_ZL20rocblas_gemvt_kernelILb0ELi256E19rocblas_complex_numIfEPKS1_S1_EviiT2_lPKT1_lilS7_lilS4_lPT3_lili,@function
_ZL20rocblas_gemvt_kernelILb0ELi256E19rocblas_complex_numIfEPKS1_S1_EviiT2_lPKT1_lilS7_lilS4_lPT3_lili: ; @_ZL20rocblas_gemvt_kernelILb0ELi256E19rocblas_complex_numIfEPKS1_S1_EviiT2_lPKT1_lilS7_lilS4_lPT3_lili
; %bb.0:
	s_load_b32 s33, s[0:1], 0x88
	s_bfe_u32 s2, ttmp6, 0x40014
	s_lshr_b32 s3, ttmp7, 16
	s_add_co_i32 s2, s2, 1
	s_bfe_u32 s4, ttmp6, 0x40008
	s_mul_i32 s2, s3, s2
	s_getreg_b32 s7, hwreg(HW_REG_IB_STS2, 6, 4)
	s_add_co_i32 s4, s4, s2
	s_cmp_eq_u32 s7, 0
	s_mov_b32 s35, 0
	s_cselect_b32 s34, s3, s4
	s_wait_kmcnt 0x0
	s_cmp_ge_u32 s34, s33
	s_cbranch_scc1 .LBB128_39
; %bb.1:
	s_clause 0x4
	s_load_b32 s2, s[0:1], 0x28
	s_load_b96 s[4:6], s[0:1], 0x40
	s_load_b96 s[8:10], s[0:1], 0x70
	s_load_b256 s[12:19], s[0:1], 0x8
	s_load_b32 s47, s[0:1], 0x0
	s_bfe_u32 s3, ttmp6, 0x4000c
	s_and_b32 s11, ttmp6, 15
	s_add_co_i32 s3, s3, 1
	s_load_b128 s[28:31], s[0:1], 0x30
	s_mul_i32 s3, ttmp9, s3
	s_load_b64 s[36:37], s[0:1], 0x80
	s_add_co_i32 s11, s11, s3
	s_load_b256 s[20:27], s[0:1], 0x50
	v_lshlrev_b32_e32 v18, 3, v0
	s_wait_kmcnt 0x0
	s_ashr_i32 s3, s2, 31
	s_ashr_i32 s39, s6, 31
	s_ashr_i32 s41, s10, 31
	s_lshl_b64 s[4:5], s[4:5], 3
	s_lshl_b64 s[8:9], s[8:9], 3
	;; [unrolled: 1-line block ×3, first 2 shown]
	s_cmp_eq_u32 s7, 0
	s_mov_b32 s38, s6
	s_cselect_b32 s44, ttmp9, s11
	s_ashr_i32 s7, s47, 31
	v_cmp_gt_i32_e32 vcc_lo, s47, v0
	s_lshr_b32 s0, s7, 24
	s_ashr_i32 s45, s44, 31
	s_add_co_i32 s0, s47, s0
	s_mul_u64 s[2:3], s[2:3], s[44:45]
	s_and_b32 s18, s0, 0xffffff00
	s_delay_alu instid0(SALU_CYCLE_1) | instskip(SKIP_3) | instid1(VALU_DEP_1)
	v_dual_mov_b32 v3, 0 :: v_dual_bitop2_b32 v8, s18, v0 bitop3:0x54
	s_add_nc_u64 s[0:1], s[16:17], s[42:43]
	s_add_nc_u64 s[26:27], s[26:27], s[8:9]
	s_lshl_b64 s[8:9], s[2:3], 3
	v_dual_mov_b32 v1, v3 :: v_dual_ashrrev_i32 v9, 31, v8
	s_mov_b32 s40, s10
	s_add_nc_u64 s[10:11], s[30:31], s[4:5]
	s_add_nc_u64 s[30:31], s[8:9], s[42:43]
	s_delay_alu instid0(VALU_DEP_1)
	v_mul_u64_e32 v[10:11], s[38:39], v[0:1]
	v_mul_u64_e32 v[4:5], s[38:39], v[8:9]
	v_cndmask_b32_e32 v1, 0, v0, vcc_lo
	s_add_nc_u64 s[16:17], s[16:17], s[30:31]
	v_cmp_gt_u32_e64 s2, 0x80, v0
	v_cmp_gt_u32_e64 s3, 64, v0
	;; [unrolled: 1-line block ×3, first 2 shown]
	v_lshlrev_b32_e32 v2, 3, v1
	v_cmp_gt_u32_e64 s5, 16, v0
	v_cmp_gt_u32_e64 s6, 8, v0
	;; [unrolled: 1-line block ×3, first 2 shown]
	s_mul_u64 s[40:41], s[40:41], s[44:45]
	v_add_nc_u64_e32 v[6:7], s[0:1], v[2:3]
	v_cmp_gt_i32_e64 s1, s47, v8
	v_add_nc_u64_e32 v[8:9], s[16:17], v[2:3]
	v_cmp_eq_u32_e64 s0, 0, v0
	s_cmp_gt_i32 s47, 0xff
	s_cselect_b32 s46, -1, 0
	v_add_nc_u64_e32 v[6:7], s[8:9], v[6:7]
	v_cmp_gt_u32_e64 s8, 2, v0
	s_ashr_i32 s19, s18, 31
	s_lshl_b64 s[16:17], s[20:21], 3
	s_lshl_b64 s[30:31], s[38:39], 11
	;; [unrolled: 1-line block ×4, first 2 shown]
	v_lshl_add_u64 v[0:1], v[10:11], 3, s[10:11]
	s_branch .LBB128_5
.LBB128_2:                              ;   in Loop: Header=BB128_5 Depth=1
	s_delay_alu instid0(VALU_DEP_1)
	v_mov_b32_e32 v13, v15
	global_store_b64 v3, v[12:13], s[42:43]
.LBB128_3:                              ;   in Loop: Header=BB128_5 Depth=1
	s_wait_xcnt 0x0
	s_or_b32 exec_lo, exec_lo, s47
.LBB128_4:                              ;   in Loop: Header=BB128_5 Depth=1
	s_add_co_i32 s34, s34, 0x10000
	s_delay_alu instid0(SALU_CYCLE_1)
	s_cmp_lt_u32 s34, s33
	s_cbranch_scc0 .LBB128_39
.LBB128_5:                              ; =>This Loop Header: Depth=1
                                        ;     Child Loop BB128_16 Depth 2
	s_mul_u64 s[42:43], s[14:15], s[34:35]
	s_delay_alu instid0(SALU_CYCLE_1) | instskip(NEXT) | instid1(SALU_CYCLE_1)
	s_lshl_b64 s[42:43], s[42:43], 3
	s_add_nc_u64 s[42:43], s[12:13], s[42:43]
	global_load_b64 v[12:13], v3, s[42:43]
	s_wait_xcnt 0x0
	s_mul_u64 s[42:43], s[24:25], s[34:35]
	s_delay_alu instid0(SALU_CYCLE_1) | instskip(NEXT) | instid1(SALU_CYCLE_1)
	s_lshl_b64 s[42:43], s[42:43], 3
	s_add_nc_u64 s[42:43], s[22:23], s[42:43]
	global_load_b64 v[10:11], v3, s[42:43]
	s_wait_loadcnt 0x1
	s_wait_xcnt 0x0
	v_readfirstlane_b32 s43, v13
	v_readfirstlane_b32 s42, v12
	s_cmp_eq_f32 s43, 0
	s_wait_loadcnt 0x0
	v_cmp_eq_f32_e32 vcc_lo, 1.0, v10
	v_cmp_eq_f32_e64 s9, 0, v11
	s_cselect_b32 s44, -1, 0
	s_cmp_eq_f32 s42, 0
	s_cselect_b32 s45, -1, 0
	s_and_b32 s9, vcc_lo, s9
	s_and_b32 s44, s45, s44
	s_delay_alu instid0(SALU_CYCLE_1) | instskip(NEXT) | instid1(SALU_CYCLE_1)
	s_and_b32 s9, s44, s9
	s_and_b32 vcc_lo, exec_lo, s9
	s_cbranch_vccnz .LBB128_4
; %bb.6:                                ;   in Loop: Header=BB128_5 Depth=1
	s_mul_u64 s[44:45], s[36:37], s[34:35]
	s_or_b32 s9, s42, s43
	s_lshl_b64 s[44:45], s[44:45], 3
	s_bitset0_b32 s9, 31
	s_add_nc_u64 s[44:45], s[26:27], s[44:45]
	s_cmp_lg_u32 s9, 0
	s_mov_b32 s9, -1
	s_cbranch_scc1 .LBB128_13
; %bb.7:                                ;   in Loop: Header=BB128_5 Depth=1
	s_and_saveexec_b32 s47, s0
	s_cbranch_execz .LBB128_12
; %bb.8:                                ;   in Loop: Header=BB128_5 Depth=1
	v_cmp_neq_f32_e32 vcc_lo, 0, v10
	v_cmp_neq_f32_e64 s9, 0, v11
	s_or_b32 s9, vcc_lo, s9
	s_delay_alu instid0(SALU_CYCLE_1)
	s_and_not1_b32 vcc_lo, exec_lo, s9
	s_cbranch_vccnz .LBB128_10
; %bb.9:                                ;   in Loop: Header=BB128_5 Depth=1
	s_add_nc_u64 s[48:49], s[44:45], s[40:41]
	global_load_b64 v[12:13], v3, s[48:49]
	s_wait_loadcnt 0x0
	v_pk_mul_f32 v[14:15], v[10:11], v[12:13] op_sel:[1,1] op_sel_hi:[0,1]
	s_delay_alu instid0(VALU_DEP_1) | instskip(SKIP_1) | instid1(VALU_DEP_2)
	v_pk_fma_f32 v[16:17], v[10:11], v[12:13], v[14:15] op_sel_hi:[1,0,1]
	v_pk_fma_f32 v[12:13], v[10:11], v[12:13], v[14:15] neg_lo:[0,0,1] neg_hi:[0,0,1]
	v_mov_b32_e32 v13, v17
	s_branch .LBB128_11
.LBB128_10:                             ;   in Loop: Header=BB128_5 Depth=1
	v_dual_mov_b32 v13, 0 :: v_dual_mov_b32 v12, 0
.LBB128_11:                             ;   in Loop: Header=BB128_5 Depth=1
	s_wait_xcnt 0x0
	s_add_nc_u64 s[48:49], s[44:45], s[40:41]
	global_store_b64 v3, v[12:13], s[48:49]
.LBB128_12:                             ;   in Loop: Header=BB128_5 Depth=1
	s_wait_xcnt 0x0
	s_or_b32 exec_lo, exec_lo, s47
	s_mov_b32 s9, 0
.LBB128_13:                             ;   in Loop: Header=BB128_5 Depth=1
	s_delay_alu instid0(SALU_CYCLE_1)
	s_and_not1_b32 vcc_lo, exec_lo, s9
	s_cbranch_vccnz .LBB128_4
; %bb.14:                               ;   in Loop: Header=BB128_5 Depth=1
	s_and_not1_b32 vcc_lo, exec_lo, s46
	s_cbranch_vccnz .LBB128_38
; %bb.15:                               ;   in Loop: Header=BB128_5 Depth=1
	v_mad_nc_u64_u32 v[14:15], s16, s34, v[0:1]
	v_mad_nc_u64_u32 v[16:17], s38, s34, v[8:9]
	v_mov_b32_e32 v12, 0
	s_mov_b32 s9, 0
	s_delay_alu instid0(VALU_DEP_1) | instskip(NEXT) | instid1(VALU_DEP_4)
	v_mov_b32_e32 v13, v12
	v_mad_u32 v15, s17, s34, v15
	s_delay_alu instid0(VALU_DEP_4)
	v_mad_u32 v17, s39, s34, v17
.LBB128_16:                             ;   Parent Loop BB128_5 Depth=1
                                        ; =>  This Inner Loop Header: Depth=2
	global_load_b64 v[20:21], v[16:17], off
	global_load_b64 v[22:23], v[14:15], off
	s_wait_xcnt 0x0
	v_add_nc_u64_e32 v[14:15], s[30:31], v[14:15]
	v_add_nc_u64_e32 v[16:17], 0x800, v[16:17]
	s_addk_co_i32 s9, 0x100
	s_delay_alu instid0(SALU_CYCLE_1) | instskip(SKIP_2) | instid1(VALU_DEP_1)
	s_cmp_ge_i32 s9, s18
	s_wait_loadcnt 0x0
	v_pk_mul_f32 v[24:25], v[22:23], v[20:21] op_sel:[1,1] op_sel_hi:[0,1]
	v_pk_fma_f32 v[26:27], v[22:23], v[20:21], v[24:25] op_sel_hi:[1,0,1]
	v_pk_fma_f32 v[20:21], v[22:23], v[20:21], v[24:25] neg_lo:[0,0,1] neg_hi:[0,0,1]
	s_delay_alu instid0(VALU_DEP_2) | instskip(NEXT) | instid1(VALU_DEP_1)
	v_mov_b32_e32 v21, v27
	v_pk_add_f32 v[12:13], v[12:13], v[20:21]
	s_cbranch_scc0 .LBB128_16
; %bb.17:                               ;   in Loop: Header=BB128_5 Depth=1
	s_and_saveexec_b32 s9, s1
	s_cbranch_execz .LBB128_19
.LBB128_18:                             ;   in Loop: Header=BB128_5 Depth=1
	s_mul_u64 s[48:49], s[28:29], s[34:35]
	s_mul_u64 s[50:51], s[20:21], s[34:35]
	v_lshl_add_u64 v[14:15], s[48:49], 3, v[6:7]
	s_lshl_b64 s[48:49], s[50:51], 3
	s_delay_alu instid0(SALU_CYCLE_1) | instskip(NEXT) | instid1(SALU_CYCLE_1)
	s_add_nc_u64 s[48:49], s[10:11], s[48:49]
	v_lshl_add_u64 v[16:17], v[4:5], 3, s[48:49]
	s_delay_alu instid0(VALU_DEP_2)
	v_lshl_add_u64 v[14:15], s[18:19], 3, v[14:15]
	global_load_b64 v[20:21], v[14:15], off
	global_load_b64 v[22:23], v[16:17], off
	s_wait_loadcnt 0x0
	s_wait_xcnt 0x1
	v_pk_mul_f32 v[14:15], v[22:23], v[20:21] op_sel:[1,1] op_sel_hi:[0,1]
	s_wait_xcnt 0x0
	s_delay_alu instid0(VALU_DEP_1) | instskip(SKIP_1) | instid1(VALU_DEP_2)
	v_pk_fma_f32 v[16:17], v[22:23], v[20:21], v[14:15] op_sel_hi:[1,0,1]
	v_pk_fma_f32 v[14:15], v[22:23], v[20:21], v[14:15] neg_lo:[0,0,1] neg_hi:[0,0,1]
	v_mov_b32_e32 v15, v17
	s_delay_alu instid0(VALU_DEP_1)
	v_pk_add_f32 v[12:13], v[12:13], v[14:15]
.LBB128_19:                             ;   in Loop: Header=BB128_5 Depth=1
	s_or_b32 exec_lo, exec_lo, s9
	ds_store_b64 v18, v[12:13]
	s_wait_storecnt_dscnt 0x0
	s_barrier_signal -1
	s_barrier_wait -1
	s_and_saveexec_b32 s9, s2
	s_cbranch_execz .LBB128_21
; %bb.20:                               ;   in Loop: Header=BB128_5 Depth=1
	ds_load_2addr_stride64_b64 v[12:15], v18 offset1:2
	s_wait_dscnt 0x0
	v_pk_add_f32 v[12:13], v[14:15], v[12:13]
	ds_store_b64 v18, v[12:13]
.LBB128_21:                             ;   in Loop: Header=BB128_5 Depth=1
	s_or_b32 exec_lo, exec_lo, s9
	s_wait_dscnt 0x0
	s_barrier_signal -1
	s_barrier_wait -1
	s_and_saveexec_b32 s9, s3
	s_cbranch_execz .LBB128_23
; %bb.22:                               ;   in Loop: Header=BB128_5 Depth=1
	ds_load_2addr_stride64_b64 v[12:15], v18 offset1:1
	s_wait_dscnt 0x0
	v_pk_add_f32 v[12:13], v[14:15], v[12:13]
	ds_store_b64 v18, v[12:13]
.LBB128_23:                             ;   in Loop: Header=BB128_5 Depth=1
	s_or_b32 exec_lo, exec_lo, s9
	s_wait_dscnt 0x0
	s_barrier_signal -1
	s_barrier_wait -1
	s_and_saveexec_b32 s9, s4
	s_cbranch_execz .LBB128_25
; %bb.24:                               ;   in Loop: Header=BB128_5 Depth=1
	ds_load_2addr_b64 v[12:15], v18 offset1:32
	s_wait_dscnt 0x0
	v_pk_add_f32 v[12:13], v[14:15], v[12:13]
	ds_store_b64 v18, v[12:13]
.LBB128_25:                             ;   in Loop: Header=BB128_5 Depth=1
	s_or_b32 exec_lo, exec_lo, s9
	s_wait_dscnt 0x0
	s_barrier_signal -1
	s_barrier_wait -1
	s_and_saveexec_b32 s9, s5
	s_cbranch_execz .LBB128_27
; %bb.26:                               ;   in Loop: Header=BB128_5 Depth=1
	ds_load_2addr_b64 v[12:15], v18 offset1:16
	s_wait_dscnt 0x0
	v_pk_add_f32 v[12:13], v[14:15], v[12:13]
	ds_store_b64 v18, v[12:13]
.LBB128_27:                             ;   in Loop: Header=BB128_5 Depth=1
	;; [unrolled: 12-line block ×5, first 2 shown]
	s_or_b32 exec_lo, exec_lo, s9
	s_wait_dscnt 0x0
	s_barrier_signal -1
	s_barrier_wait -1
	s_and_saveexec_b32 s9, s0
	s_cbranch_execz .LBB128_35
; %bb.34:                               ;   in Loop: Header=BB128_5 Depth=1
	ds_load_b128 v[12:15], v3
	s_wait_dscnt 0x0
	v_pk_add_f32 v[12:13], v[14:15], v[12:13]
	ds_store_b64 v3, v[12:13]
.LBB128_35:                             ;   in Loop: Header=BB128_5 Depth=1
	s_or_b32 exec_lo, exec_lo, s9
	s_wait_dscnt 0x0
	s_barrier_signal -1
	s_barrier_wait -1
	s_and_saveexec_b32 s47, s0
	s_cbranch_execz .LBB128_3
; %bb.36:                               ;   in Loop: Header=BB128_5 Depth=1
	ds_load_b64 v[14:15], v3
	v_mov_b64_e32 v[12:13], s[42:43]
	v_cmp_neq_f32_e32 vcc_lo, 0, v10
	v_cmp_neq_f32_e64 s9, 0, v11
	s_or_b32 s9, vcc_lo, s9
	s_delay_alu instid0(SALU_CYCLE_1) | instskip(SKIP_2) | instid1(VALU_DEP_1)
	s_and_not1_b32 vcc_lo, exec_lo, s9
	s_wait_dscnt 0x0
	v_pk_mul_f32 v[16:17], v[14:15], v[12:13] op_sel:[1,1] op_sel_hi:[0,1]
	v_pk_fma_f32 v[12:13], v[14:15], s[42:43], v[16:17] op_sel_hi:[1,0,1] neg_lo:[0,0,1] neg_hi:[0,0,1]
	v_pk_fma_f32 v[14:15], v[14:15], s[42:43], v[16:17] op_sel_hi:[1,0,1]
	s_add_nc_u64 s[42:43], s[44:45], s[40:41]
	s_cbranch_vccnz .LBB128_2
; %bb.37:                               ;   in Loop: Header=BB128_5 Depth=1
	global_load_b64 v[16:17], v3, s[42:43]
	s_wait_loadcnt 0x0
	v_pk_mul_f32 v[20:21], v[10:11], v[16:17] op_sel:[1,1] op_sel_hi:[0,1]
	s_delay_alu instid0(VALU_DEP_1) | instskip(SKIP_1) | instid1(VALU_DEP_2)
	v_pk_fma_f32 v[22:23], v[10:11], v[16:17], v[20:21] op_sel_hi:[1,0,1]
	v_pk_fma_f32 v[10:11], v[10:11], v[16:17], v[20:21] neg_lo:[0,0,1] neg_hi:[0,0,1]
	v_dual_mov_b32 v13, v15 :: v_dual_mov_b32 v11, v23
	s_delay_alu instid0(VALU_DEP_1) | instskip(NEXT) | instid1(VALU_DEP_1)
	v_pk_add_f32 v[12:13], v[12:13], v[10:11]
	v_mov_b32_e32 v15, v13
	s_branch .LBB128_2
.LBB128_38:                             ;   in Loop: Header=BB128_5 Depth=1
	v_mov_b64_e32 v[12:13], 0
	s_and_saveexec_b32 s9, s1
	s_cbranch_execnz .LBB128_18
	s_branch .LBB128_19
.LBB128_39:
	s_endpgm
	.section	.rodata,"a",@progbits
	.p2align	6, 0x0
	.amdhsa_kernel _ZL20rocblas_gemvt_kernelILb0ELi256E19rocblas_complex_numIfEPKS1_S1_EviiT2_lPKT1_lilS7_lilS4_lPT3_lili
		.amdhsa_group_segment_fixed_size 2048
		.amdhsa_private_segment_fixed_size 0
		.amdhsa_kernarg_size 140
		.amdhsa_user_sgpr_count 2
		.amdhsa_user_sgpr_dispatch_ptr 0
		.amdhsa_user_sgpr_queue_ptr 0
		.amdhsa_user_sgpr_kernarg_segment_ptr 1
		.amdhsa_user_sgpr_dispatch_id 0
		.amdhsa_user_sgpr_kernarg_preload_length 0
		.amdhsa_user_sgpr_kernarg_preload_offset 0
		.amdhsa_user_sgpr_private_segment_size 0
		.amdhsa_wavefront_size32 1
		.amdhsa_uses_dynamic_stack 0
		.amdhsa_enable_private_segment 0
		.amdhsa_system_sgpr_workgroup_id_x 1
		.amdhsa_system_sgpr_workgroup_id_y 0
		.amdhsa_system_sgpr_workgroup_id_z 1
		.amdhsa_system_sgpr_workgroup_info 0
		.amdhsa_system_vgpr_workitem_id 0
		.amdhsa_next_free_vgpr 28
		.amdhsa_next_free_sgpr 52
		.amdhsa_named_barrier_count 0
		.amdhsa_reserve_vcc 1
		.amdhsa_float_round_mode_32 0
		.amdhsa_float_round_mode_16_64 0
		.amdhsa_float_denorm_mode_32 3
		.amdhsa_float_denorm_mode_16_64 3
		.amdhsa_fp16_overflow 0
		.amdhsa_memory_ordered 1
		.amdhsa_forward_progress 1
		.amdhsa_inst_pref_size 14
		.amdhsa_round_robin_scheduling 0
		.amdhsa_exception_fp_ieee_invalid_op 0
		.amdhsa_exception_fp_denorm_src 0
		.amdhsa_exception_fp_ieee_div_zero 0
		.amdhsa_exception_fp_ieee_overflow 0
		.amdhsa_exception_fp_ieee_underflow 0
		.amdhsa_exception_fp_ieee_inexact 0
		.amdhsa_exception_int_div_zero 0
	.end_amdhsa_kernel
	.section	.text._ZL20rocblas_gemvt_kernelILb0ELi256E19rocblas_complex_numIfEPKS1_S1_EviiT2_lPKT1_lilS7_lilS4_lPT3_lili,"axG",@progbits,_ZL20rocblas_gemvt_kernelILb0ELi256E19rocblas_complex_numIfEPKS1_S1_EviiT2_lPKT1_lilS7_lilS4_lPT3_lili,comdat
.Lfunc_end128:
	.size	_ZL20rocblas_gemvt_kernelILb0ELi256E19rocblas_complex_numIfEPKS1_S1_EviiT2_lPKT1_lilS7_lilS4_lPT3_lili, .Lfunc_end128-_ZL20rocblas_gemvt_kernelILb0ELi256E19rocblas_complex_numIfEPKS1_S1_EviiT2_lPKT1_lilS7_lilS4_lPT3_lili
                                        ; -- End function
	.set _ZL20rocblas_gemvt_kernelILb0ELi256E19rocblas_complex_numIfEPKS1_S1_EviiT2_lPKT1_lilS7_lilS4_lPT3_lili.num_vgpr, 28
	.set _ZL20rocblas_gemvt_kernelILb0ELi256E19rocblas_complex_numIfEPKS1_S1_EviiT2_lPKT1_lilS7_lilS4_lPT3_lili.num_agpr, 0
	.set _ZL20rocblas_gemvt_kernelILb0ELi256E19rocblas_complex_numIfEPKS1_S1_EviiT2_lPKT1_lilS7_lilS4_lPT3_lili.numbered_sgpr, 52
	.set _ZL20rocblas_gemvt_kernelILb0ELi256E19rocblas_complex_numIfEPKS1_S1_EviiT2_lPKT1_lilS7_lilS4_lPT3_lili.num_named_barrier, 0
	.set _ZL20rocblas_gemvt_kernelILb0ELi256E19rocblas_complex_numIfEPKS1_S1_EviiT2_lPKT1_lilS7_lilS4_lPT3_lili.private_seg_size, 0
	.set _ZL20rocblas_gemvt_kernelILb0ELi256E19rocblas_complex_numIfEPKS1_S1_EviiT2_lPKT1_lilS7_lilS4_lPT3_lili.uses_vcc, 1
	.set _ZL20rocblas_gemvt_kernelILb0ELi256E19rocblas_complex_numIfEPKS1_S1_EviiT2_lPKT1_lilS7_lilS4_lPT3_lili.uses_flat_scratch, 0
	.set _ZL20rocblas_gemvt_kernelILb0ELi256E19rocblas_complex_numIfEPKS1_S1_EviiT2_lPKT1_lilS7_lilS4_lPT3_lili.has_dyn_sized_stack, 0
	.set _ZL20rocblas_gemvt_kernelILb0ELi256E19rocblas_complex_numIfEPKS1_S1_EviiT2_lPKT1_lilS7_lilS4_lPT3_lili.has_recursion, 0
	.set _ZL20rocblas_gemvt_kernelILb0ELi256E19rocblas_complex_numIfEPKS1_S1_EviiT2_lPKT1_lilS7_lilS4_lPT3_lili.has_indirect_call, 0
	.section	.AMDGPU.csdata,"",@progbits
; Kernel info:
; codeLenInByte = 1716
; TotalNumSgprs: 54
; NumVgprs: 28
; ScratchSize: 0
; MemoryBound: 0
; FloatMode: 240
; IeeeMode: 1
; LDSByteSize: 2048 bytes/workgroup (compile time only)
; SGPRBlocks: 0
; VGPRBlocks: 1
; NumSGPRsForWavesPerEU: 54
; NumVGPRsForWavesPerEU: 28
; NamedBarCnt: 0
; Occupancy: 16
; WaveLimiterHint : 0
; COMPUTE_PGM_RSRC2:SCRATCH_EN: 0
; COMPUTE_PGM_RSRC2:USER_SGPR: 2
; COMPUTE_PGM_RSRC2:TRAP_HANDLER: 0
; COMPUTE_PGM_RSRC2:TGID_X_EN: 1
; COMPUTE_PGM_RSRC2:TGID_Y_EN: 0
; COMPUTE_PGM_RSRC2:TGID_Z_EN: 1
; COMPUTE_PGM_RSRC2:TIDIG_COMP_CNT: 0
	.section	.text._ZL20rocblas_gemvt_kernelILb0ELi256E19rocblas_complex_numIfES1_S1_EviiT2_lPKT1_lilS5_lilS2_lPT3_lili,"axG",@progbits,_ZL20rocblas_gemvt_kernelILb0ELi256E19rocblas_complex_numIfES1_S1_EviiT2_lPKT1_lilS5_lilS2_lPT3_lili,comdat
	.globl	_ZL20rocblas_gemvt_kernelILb0ELi256E19rocblas_complex_numIfES1_S1_EviiT2_lPKT1_lilS5_lilS2_lPT3_lili ; -- Begin function _ZL20rocblas_gemvt_kernelILb0ELi256E19rocblas_complex_numIfES1_S1_EviiT2_lPKT1_lilS5_lilS2_lPT3_lili
	.p2align	8
	.type	_ZL20rocblas_gemvt_kernelILb0ELi256E19rocblas_complex_numIfES1_S1_EviiT2_lPKT1_lilS5_lilS2_lPT3_lili,@function
_ZL20rocblas_gemvt_kernelILb0ELi256E19rocblas_complex_numIfES1_S1_EviiT2_lPKT1_lilS5_lilS2_lPT3_lili: ; @_ZL20rocblas_gemvt_kernelILb0ELi256E19rocblas_complex_numIfES1_S1_EviiT2_lPKT1_lilS5_lilS2_lPT3_lili
; %bb.0:
	s_load_b32 s33, s[0:1], 0x88
	s_bfe_u32 s2, ttmp6, 0x40014
	s_lshr_b32 s3, ttmp7, 16
	s_add_co_i32 s2, s2, 1
	s_bfe_u32 s4, ttmp6, 0x40008
	s_mul_i32 s2, s3, s2
	s_getreg_b32 s11, hwreg(HW_REG_IB_STS2, 6, 4)
	s_add_co_i32 s4, s4, s2
	s_cmp_eq_u32 s11, 0
	s_mov_b32 s25, 0
	s_cselect_b32 s24, s3, s4
	s_wait_kmcnt 0x0
	s_cmp_ge_u32 s24, s33
	s_cbranch_scc1 .LBB129_39
; %bb.1:
	s_clause 0x8
	s_load_b32 s2, s[0:1], 0x28
	s_load_b96 s[8:10], s[0:1], 0x40
	s_load_b32 s30, s[0:1], 0x78
	s_load_b128 s[4:7], s[0:1], 0x68
	s_load_b128 s[20:23], s[0:1], 0x18
	s_load_b64 s[26:27], s[0:1], 0x8
	s_load_b128 s[12:15], s[0:1], 0x50
	s_load_b64 s[28:29], s[0:1], 0x80
	s_load_b128 s[16:19], s[0:1], 0x30
	v_lshlrev_b32_e32 v16, 3, v0
	s_wait_kmcnt 0x0
	s_ashr_i32 s3, s2, 31
	s_ashr_i32 s37, s10, 31
	;; [unrolled: 1-line block ×3, first 2 shown]
	s_lshl_b64 s[34:35], s[8:9], 3
	s_lshl_b64 s[6:7], s[6:7], 3
	;; [unrolled: 1-line block ×3, first 2 shown]
	s_cmp_neq_f32 s27, 0
	s_mov_b32 s36, s10
	s_cselect_b32 s8, -1, 0
	s_cmp_neq_f32 s26, 0
	s_cselect_b32 s9, -1, 0
	s_delay_alu instid0(SALU_CYCLE_1)
	s_or_b32 s46, s9, s8
	s_cmp_neq_f32 s14, 1.0
	s_load_b32 s8, s[0:1], 0x0
	s_cselect_b32 s47, -1, 0
	s_cmp_neq_f32 s15, 0
	s_cselect_b32 s48, -1, 0
	s_or_b32 s9, s26, s27
	s_delay_alu instid0(SALU_CYCLE_1) | instskip(NEXT) | instid1(SALU_CYCLE_1)
	s_bitset0_b32 s9, 31
	s_cmp_eq_u32 s9, 0
	s_cselect_b32 s9, -1, 0
	s_cmp_neq_f32 s14, 0
	s_wait_xcnt 0x0
	s_cselect_b32 s0, -1, 0
	s_bfe_u32 s1, ttmp6, 0x4000c
	s_and_b32 s10, ttmp6, 15
	s_add_co_i32 s1, s1, 1
	s_or_b32 s44, s0, s48
	s_mul_i32 s1, ttmp9, s1
	s_wait_kmcnt 0x0
	v_cmp_gt_i32_e32 vcc_lo, s8, v0
	s_add_co_i32 s0, s10, s1
	s_cmp_eq_u32 s11, 0
	s_add_nc_u64 s[10:11], s[18:19], s[34:35]
	s_cselect_b32 s34, ttmp9, s0
	s_ashr_i32 s0, s8, 31
	v_dual_mov_b32 v3, 0 :: v_dual_cndmask_b32 v2, 0, v0
	s_lshr_b32 s0, s0, 24
	s_ashr_i32 s35, s34, 31
	s_add_co_i32 s0, s8, s0
	s_delay_alu instid0(VALU_DEP_1) | instskip(SKIP_3) | instid1(VALU_DEP_2)
	v_dual_mov_b32 v1, v3 :: v_dual_lshlrev_b32 v2, 3, v2
	s_and_b32 s22, s0, 0xffffff00
	s_add_nc_u64 s[0:1], s[20:21], s[38:39]
	v_or_b32_e32 v10, s22, v0
	v_mul_u64_e32 v[8:9], s[36:37], v[0:1]
	s_mul_u64 s[2:3], s[2:3], s[34:35]
	v_add_nc_u64_e32 v[4:5], s[0:1], v[2:3]
	s_lshl_b64 s[40:41], s[2:3], 3
	v_ashrrev_i32_e32 v11, 31, v10
	s_add_nc_u64 s[38:39], s[40:41], s[38:39]
	s_add_nc_u64 s[18:19], s[4:5], s[6:7]
	;; [unrolled: 1-line block ×3, first 2 shown]
	v_cmp_eq_u32_e64 s0, 0, v0
	v_mul_u64_e32 v[6:7], s[36:37], v[10:11]
	v_add_nc_u64_e32 v[4:5], s[40:41], v[4:5]
	s_cmp_gt_i32 s8, 0xff
	v_cmp_gt_i32_e64 s1, s8, v10
	v_cmp_gt_u32_e64 s2, 0x80, v0
	v_cmp_gt_u32_e64 s3, 64, v0
	v_cmp_gt_u32_e64 s4, 32, v0
	v_cmp_gt_u32_e64 s5, 16, v0
	v_cmp_gt_u32_e64 s6, 8, v0
	v_cmp_gt_u32_e64 s7, 4, v0
	v_cmp_gt_u32_e64 s8, 2, v0
	s_mul_u64 s[42:43], s[30:31], s[34:35]
	s_cselect_b32 s45, -1, 0
	s_or_b32 s46, s46, s47
	s_ashr_i32 s23, s22, 31
	s_mov_b32 s30, s26
	s_mov_b32 s31, s26
	;; [unrolled: 1-line block ×5, first 2 shown]
	s_lshl_b64 s[20:21], s[12:13], 3
	s_or_b32 s46, s46, s48
	s_lshl_b64 s[36:37], s[36:37], 11
	v_lshl_add_u64 v[0:1], v[8:9], 3, s[10:11]
	v_add_nc_u64_e32 v[8:9], s[38:39], v[2:3]
	s_lshl_b64 s[38:39], s[16:17], 3
	s_lshl_b64 s[40:41], s[42:43], 3
	s_branch .LBB129_5
.LBB129_2:                              ;   in Loop: Header=BB129_5 Depth=1
	s_delay_alu instid0(VALU_DEP_1)
	v_mov_b32_e32 v11, v13
	global_store_b64 v3, v[10:11], s[42:43]
.LBB129_3:                              ;   in Loop: Header=BB129_5 Depth=1
	s_wait_xcnt 0x0
	s_or_b32 exec_lo, exec_lo, s47
.LBB129_4:                              ;   in Loop: Header=BB129_5 Depth=1
	s_add_co_i32 s24, s24, 0x10000
	s_delay_alu instid0(SALU_CYCLE_1)
	s_cmp_lt_u32 s24, s33
	s_cbranch_scc0 .LBB129_39
.LBB129_5:                              ; =>This Loop Header: Depth=1
                                        ;     Child Loop BB129_16 Depth 2
	s_and_not1_b32 vcc_lo, exec_lo, s46
	s_cbranch_vccnz .LBB129_4
; %bb.6:                                ;   in Loop: Header=BB129_5 Depth=1
	s_mul_u64 s[42:43], s[28:29], s[24:25]
	s_and_not1_b32 vcc_lo, exec_lo, s9
	s_lshl_b64 s[42:43], s[42:43], 3
	s_mov_b32 s47, -1
	s_add_nc_u64 s[42:43], s[18:19], s[42:43]
	s_cbranch_vccnz .LBB129_13
; %bb.7:                                ;   in Loop: Header=BB129_5 Depth=1
	s_and_saveexec_b32 s47, s0
	s_cbranch_execz .LBB129_12
; %bb.8:                                ;   in Loop: Header=BB129_5 Depth=1
	s_and_not1_b32 vcc_lo, exec_lo, s44
	s_cbranch_vccnz .LBB129_10
; %bb.9:                                ;   in Loop: Header=BB129_5 Depth=1
	s_add_nc_u64 s[48:49], s[42:43], s[40:41]
	v_mov_b64_e32 v[12:13], s[34:35]
	global_load_b64 v[10:11], v3, s[48:49]
	v_mov_b64_e32 v[14:15], s[14:15]
	s_wait_loadcnt 0x0
	v_pk_mul_f32 v[12:13], v[12:13], v[10:11] op_sel:[0,1]
	s_delay_alu instid0(VALU_DEP_1) | instskip(SKIP_1) | instid1(VALU_DEP_2)
	v_pk_fma_f32 v[18:19], v[14:15], v[10:11], v[12:13] op_sel_hi:[1,0,1]
	v_pk_fma_f32 v[10:11], v[14:15], v[10:11], v[12:13] neg_lo:[0,0,1] neg_hi:[0,0,1]
	v_mov_b32_e32 v11, v19
	s_branch .LBB129_11
.LBB129_10:                             ;   in Loop: Header=BB129_5 Depth=1
	v_dual_mov_b32 v11, 0 :: v_dual_mov_b32 v10, 0
.LBB129_11:                             ;   in Loop: Header=BB129_5 Depth=1
	s_wait_xcnt 0x0
	s_add_nc_u64 s[48:49], s[42:43], s[40:41]
	global_store_b64 v3, v[10:11], s[48:49]
.LBB129_12:                             ;   in Loop: Header=BB129_5 Depth=1
	s_wait_xcnt 0x0
	s_or_b32 exec_lo, exec_lo, s47
	s_mov_b32 s47, 0
.LBB129_13:                             ;   in Loop: Header=BB129_5 Depth=1
	s_delay_alu instid0(SALU_CYCLE_1)
	s_and_not1_b32 vcc_lo, exec_lo, s47
	s_cbranch_vccnz .LBB129_4
; %bb.14:                               ;   in Loop: Header=BB129_5 Depth=1
	s_and_not1_b32 vcc_lo, exec_lo, s45
	s_cbranch_vccnz .LBB129_38
; %bb.15:                               ;   in Loop: Header=BB129_5 Depth=1
	v_mad_nc_u64_u32 v[12:13], s20, s24, v[0:1]
	v_mad_nc_u64_u32 v[14:15], s38, s24, v[8:9]
	v_mov_b32_e32 v10, 0
	s_mov_b32 s47, 0
	s_delay_alu instid0(VALU_DEP_1) | instskip(NEXT) | instid1(VALU_DEP_4)
	v_mov_b32_e32 v11, v10
	v_mad_u32 v13, s21, s24, v13
	s_delay_alu instid0(VALU_DEP_4)
	v_mad_u32 v15, s39, s24, v15
.LBB129_16:                             ;   Parent Loop BB129_5 Depth=1
                                        ; =>  This Inner Loop Header: Depth=2
	global_load_b64 v[18:19], v[14:15], off
	global_load_b64 v[20:21], v[12:13], off
	s_wait_xcnt 0x0
	v_add_nc_u64_e32 v[12:13], s[36:37], v[12:13]
	v_add_nc_u64_e32 v[14:15], 0x800, v[14:15]
	s_addk_co_i32 s47, 0x100
	s_delay_alu instid0(SALU_CYCLE_1) | instskip(SKIP_2) | instid1(VALU_DEP_1)
	s_cmp_ge_i32 s47, s22
	s_wait_loadcnt 0x0
	v_pk_mul_f32 v[22:23], v[20:21], v[18:19] op_sel:[1,1] op_sel_hi:[0,1]
	v_pk_fma_f32 v[24:25], v[20:21], v[18:19], v[22:23] op_sel_hi:[1,0,1]
	v_pk_fma_f32 v[18:19], v[20:21], v[18:19], v[22:23] neg_lo:[0,0,1] neg_hi:[0,0,1]
	s_delay_alu instid0(VALU_DEP_2) | instskip(NEXT) | instid1(VALU_DEP_1)
	v_mov_b32_e32 v19, v25
	v_pk_add_f32 v[10:11], v[10:11], v[18:19]
	s_cbranch_scc0 .LBB129_16
; %bb.17:                               ;   in Loop: Header=BB129_5 Depth=1
	s_and_saveexec_b32 s47, s1
	s_cbranch_execz .LBB129_19
.LBB129_18:                             ;   in Loop: Header=BB129_5 Depth=1
	s_mul_u64 s[48:49], s[16:17], s[24:25]
	s_mul_u64 s[50:51], s[12:13], s[24:25]
	v_lshl_add_u64 v[12:13], s[48:49], 3, v[4:5]
	s_lshl_b64 s[48:49], s[50:51], 3
	s_delay_alu instid0(SALU_CYCLE_1) | instskip(NEXT) | instid1(SALU_CYCLE_1)
	s_add_nc_u64 s[48:49], s[10:11], s[48:49]
	v_lshl_add_u64 v[14:15], v[6:7], 3, s[48:49]
	s_delay_alu instid0(VALU_DEP_2)
	v_lshl_add_u64 v[12:13], s[22:23], 3, v[12:13]
	global_load_b64 v[18:19], v[12:13], off
	global_load_b64 v[20:21], v[14:15], off
	s_wait_loadcnt 0x0
	s_wait_xcnt 0x1
	v_pk_mul_f32 v[12:13], v[20:21], v[18:19] op_sel:[1,1] op_sel_hi:[0,1]
	s_wait_xcnt 0x0
	s_delay_alu instid0(VALU_DEP_1) | instskip(SKIP_1) | instid1(VALU_DEP_2)
	v_pk_fma_f32 v[14:15], v[20:21], v[18:19], v[12:13] op_sel_hi:[1,0,1]
	v_pk_fma_f32 v[12:13], v[20:21], v[18:19], v[12:13] neg_lo:[0,0,1] neg_hi:[0,0,1]
	v_mov_b32_e32 v13, v15
	s_delay_alu instid0(VALU_DEP_1)
	v_pk_add_f32 v[10:11], v[10:11], v[12:13]
.LBB129_19:                             ;   in Loop: Header=BB129_5 Depth=1
	s_or_b32 exec_lo, exec_lo, s47
	ds_store_b64 v16, v[10:11]
	s_wait_storecnt_dscnt 0x0
	s_barrier_signal -1
	s_barrier_wait -1
	s_and_saveexec_b32 s47, s2
	s_cbranch_execz .LBB129_21
; %bb.20:                               ;   in Loop: Header=BB129_5 Depth=1
	ds_load_2addr_stride64_b64 v[10:13], v16 offset1:2
	s_wait_dscnt 0x0
	v_pk_add_f32 v[10:11], v[12:13], v[10:11]
	ds_store_b64 v16, v[10:11]
.LBB129_21:                             ;   in Loop: Header=BB129_5 Depth=1
	s_or_b32 exec_lo, exec_lo, s47
	s_wait_dscnt 0x0
	s_barrier_signal -1
	s_barrier_wait -1
	s_and_saveexec_b32 s47, s3
	s_cbranch_execz .LBB129_23
; %bb.22:                               ;   in Loop: Header=BB129_5 Depth=1
	ds_load_2addr_stride64_b64 v[10:13], v16 offset1:1
	s_wait_dscnt 0x0
	v_pk_add_f32 v[10:11], v[12:13], v[10:11]
	ds_store_b64 v16, v[10:11]
.LBB129_23:                             ;   in Loop: Header=BB129_5 Depth=1
	s_or_b32 exec_lo, exec_lo, s47
	s_wait_dscnt 0x0
	s_barrier_signal -1
	s_barrier_wait -1
	s_and_saveexec_b32 s47, s4
	s_cbranch_execz .LBB129_25
; %bb.24:                               ;   in Loop: Header=BB129_5 Depth=1
	ds_load_2addr_b64 v[10:13], v16 offset1:32
	s_wait_dscnt 0x0
	v_pk_add_f32 v[10:11], v[12:13], v[10:11]
	ds_store_b64 v16, v[10:11]
.LBB129_25:                             ;   in Loop: Header=BB129_5 Depth=1
	s_or_b32 exec_lo, exec_lo, s47
	s_wait_dscnt 0x0
	s_barrier_signal -1
	s_barrier_wait -1
	s_and_saveexec_b32 s47, s5
	s_cbranch_execz .LBB129_27
; %bb.26:                               ;   in Loop: Header=BB129_5 Depth=1
	ds_load_2addr_b64 v[10:13], v16 offset1:16
	s_wait_dscnt 0x0
	v_pk_add_f32 v[10:11], v[12:13], v[10:11]
	ds_store_b64 v16, v[10:11]
.LBB129_27:                             ;   in Loop: Header=BB129_5 Depth=1
	;; [unrolled: 12-line block ×5, first 2 shown]
	s_or_b32 exec_lo, exec_lo, s47
	s_wait_dscnt 0x0
	s_barrier_signal -1
	s_barrier_wait -1
	s_and_saveexec_b32 s47, s0
	s_cbranch_execz .LBB129_35
; %bb.34:                               ;   in Loop: Header=BB129_5 Depth=1
	ds_load_b128 v[10:13], v3
	s_wait_dscnt 0x0
	v_pk_add_f32 v[10:11], v[12:13], v[10:11]
	ds_store_b64 v3, v[10:11]
.LBB129_35:                             ;   in Loop: Header=BB129_5 Depth=1
	s_or_b32 exec_lo, exec_lo, s47
	s_wait_dscnt 0x0
	s_barrier_signal -1
	s_barrier_wait -1
	s_and_saveexec_b32 s47, s0
	s_cbranch_execz .LBB129_3
; %bb.36:                               ;   in Loop: Header=BB129_5 Depth=1
	ds_load_b64 v[12:13], v3
	v_mov_b64_e32 v[10:11], s[26:27]
	v_mov_b64_e32 v[14:15], s[30:31]
	s_and_not1_b32 vcc_lo, exec_lo, s44
	s_add_nc_u64 s[42:43], s[42:43], s[40:41]
	s_wait_dscnt 0x0
	s_delay_alu instid0(VALU_DEP_2) | instskip(NEXT) | instid1(VALU_DEP_1)
	v_pk_mul_f32 v[18:19], v[12:13], v[10:11] op_sel:[1,0] op_sel_hi:[0,1]
	v_pk_fma_f32 v[10:11], v[12:13], v[14:15], v[18:19] neg_lo:[0,0,1] neg_hi:[0,0,1]
	v_pk_fma_f32 v[12:13], v[12:13], v[14:15], v[18:19]
	s_cbranch_vccnz .LBB129_2
; %bb.37:                               ;   in Loop: Header=BB129_5 Depth=1
	global_load_b64 v[14:15], v3, s[42:43]
	v_mov_b64_e32 v[18:19], s[34:35]
	v_mov_b64_e32 v[20:21], s[14:15]
	s_wait_loadcnt 0x0
	s_delay_alu instid0(VALU_DEP_2) | instskip(NEXT) | instid1(VALU_DEP_1)
	v_pk_mul_f32 v[18:19], v[18:19], v[14:15] op_sel:[0,1]
	v_pk_fma_f32 v[22:23], v[20:21], v[14:15], v[18:19] op_sel_hi:[1,0,1]
	v_mov_b32_e32 v11, v13
	v_pk_fma_f32 v[12:13], v[20:21], v[14:15], v[18:19] neg_lo:[0,0,1] neg_hi:[0,0,1]
	s_delay_alu instid0(VALU_DEP_3) | instskip(NEXT) | instid1(VALU_DEP_1)
	v_mov_b32_e32 v13, v23
	v_pk_add_f32 v[10:11], v[10:11], v[12:13]
	s_delay_alu instid0(VALU_DEP_1)
	v_mov_b32_e32 v13, v11
	s_branch .LBB129_2
.LBB129_38:                             ;   in Loop: Header=BB129_5 Depth=1
	v_mov_b64_e32 v[10:11], 0
	s_and_saveexec_b32 s47, s1
	s_cbranch_execnz .LBB129_18
	s_branch .LBB129_19
.LBB129_39:
	s_endpgm
	.section	.rodata,"a",@progbits
	.p2align	6, 0x0
	.amdhsa_kernel _ZL20rocblas_gemvt_kernelILb0ELi256E19rocblas_complex_numIfES1_S1_EviiT2_lPKT1_lilS5_lilS2_lPT3_lili
		.amdhsa_group_segment_fixed_size 2048
		.amdhsa_private_segment_fixed_size 0
		.amdhsa_kernarg_size 140
		.amdhsa_user_sgpr_count 2
		.amdhsa_user_sgpr_dispatch_ptr 0
		.amdhsa_user_sgpr_queue_ptr 0
		.amdhsa_user_sgpr_kernarg_segment_ptr 1
		.amdhsa_user_sgpr_dispatch_id 0
		.amdhsa_user_sgpr_kernarg_preload_length 0
		.amdhsa_user_sgpr_kernarg_preload_offset 0
		.amdhsa_user_sgpr_private_segment_size 0
		.amdhsa_wavefront_size32 1
		.amdhsa_uses_dynamic_stack 0
		.amdhsa_enable_private_segment 0
		.amdhsa_system_sgpr_workgroup_id_x 1
		.amdhsa_system_sgpr_workgroup_id_y 0
		.amdhsa_system_sgpr_workgroup_id_z 1
		.amdhsa_system_sgpr_workgroup_info 0
		.amdhsa_system_vgpr_workitem_id 0
		.amdhsa_next_free_vgpr 26
		.amdhsa_next_free_sgpr 52
		.amdhsa_named_barrier_count 0
		.amdhsa_reserve_vcc 1
		.amdhsa_float_round_mode_32 0
		.amdhsa_float_round_mode_16_64 0
		.amdhsa_float_denorm_mode_32 3
		.amdhsa_float_denorm_mode_16_64 3
		.amdhsa_fp16_overflow 0
		.amdhsa_memory_ordered 1
		.amdhsa_forward_progress 1
		.amdhsa_inst_pref_size 14
		.amdhsa_round_robin_scheduling 0
		.amdhsa_exception_fp_ieee_invalid_op 0
		.amdhsa_exception_fp_denorm_src 0
		.amdhsa_exception_fp_ieee_div_zero 0
		.amdhsa_exception_fp_ieee_overflow 0
		.amdhsa_exception_fp_ieee_underflow 0
		.amdhsa_exception_fp_ieee_inexact 0
		.amdhsa_exception_int_div_zero 0
	.end_amdhsa_kernel
	.section	.text._ZL20rocblas_gemvt_kernelILb0ELi256E19rocblas_complex_numIfES1_S1_EviiT2_lPKT1_lilS5_lilS2_lPT3_lili,"axG",@progbits,_ZL20rocblas_gemvt_kernelILb0ELi256E19rocblas_complex_numIfES1_S1_EviiT2_lPKT1_lilS5_lilS2_lPT3_lili,comdat
.Lfunc_end129:
	.size	_ZL20rocblas_gemvt_kernelILb0ELi256E19rocblas_complex_numIfES1_S1_EviiT2_lPKT1_lilS5_lilS2_lPT3_lili, .Lfunc_end129-_ZL20rocblas_gemvt_kernelILb0ELi256E19rocblas_complex_numIfES1_S1_EviiT2_lPKT1_lilS5_lilS2_lPT3_lili
                                        ; -- End function
	.set _ZL20rocblas_gemvt_kernelILb0ELi256E19rocblas_complex_numIfES1_S1_EviiT2_lPKT1_lilS5_lilS2_lPT3_lili.num_vgpr, 26
	.set _ZL20rocblas_gemvt_kernelILb0ELi256E19rocblas_complex_numIfES1_S1_EviiT2_lPKT1_lilS5_lilS2_lPT3_lili.num_agpr, 0
	.set _ZL20rocblas_gemvt_kernelILb0ELi256E19rocblas_complex_numIfES1_S1_EviiT2_lPKT1_lilS5_lilS2_lPT3_lili.numbered_sgpr, 52
	.set _ZL20rocblas_gemvt_kernelILb0ELi256E19rocblas_complex_numIfES1_S1_EviiT2_lPKT1_lilS5_lilS2_lPT3_lili.num_named_barrier, 0
	.set _ZL20rocblas_gemvt_kernelILb0ELi256E19rocblas_complex_numIfES1_S1_EviiT2_lPKT1_lilS5_lilS2_lPT3_lili.private_seg_size, 0
	.set _ZL20rocblas_gemvt_kernelILb0ELi256E19rocblas_complex_numIfES1_S1_EviiT2_lPKT1_lilS5_lilS2_lPT3_lili.uses_vcc, 1
	.set _ZL20rocblas_gemvt_kernelILb0ELi256E19rocblas_complex_numIfES1_S1_EviiT2_lPKT1_lilS5_lilS2_lPT3_lili.uses_flat_scratch, 0
	.set _ZL20rocblas_gemvt_kernelILb0ELi256E19rocblas_complex_numIfES1_S1_EviiT2_lPKT1_lilS5_lilS2_lPT3_lili.has_dyn_sized_stack, 0
	.set _ZL20rocblas_gemvt_kernelILb0ELi256E19rocblas_complex_numIfES1_S1_EviiT2_lPKT1_lilS5_lilS2_lPT3_lili.has_recursion, 0
	.set _ZL20rocblas_gemvt_kernelILb0ELi256E19rocblas_complex_numIfES1_S1_EviiT2_lPKT1_lilS5_lilS2_lPT3_lili.has_indirect_call, 0
	.section	.AMDGPU.csdata,"",@progbits
; Kernel info:
; codeLenInByte = 1676
; TotalNumSgprs: 54
; NumVgprs: 26
; ScratchSize: 0
; MemoryBound: 0
; FloatMode: 240
; IeeeMode: 1
; LDSByteSize: 2048 bytes/workgroup (compile time only)
; SGPRBlocks: 0
; VGPRBlocks: 1
; NumSGPRsForWavesPerEU: 54
; NumVGPRsForWavesPerEU: 26
; NamedBarCnt: 0
; Occupancy: 16
; WaveLimiterHint : 1
; COMPUTE_PGM_RSRC2:SCRATCH_EN: 0
; COMPUTE_PGM_RSRC2:USER_SGPR: 2
; COMPUTE_PGM_RSRC2:TRAP_HANDLER: 0
; COMPUTE_PGM_RSRC2:TGID_X_EN: 1
; COMPUTE_PGM_RSRC2:TGID_Y_EN: 0
; COMPUTE_PGM_RSRC2:TGID_Z_EN: 1
; COMPUTE_PGM_RSRC2:TIDIG_COMP_CNT: 0
	.section	.text._ZL32rocblas_gemvt_warp_reduce_kernelILb0ELi1024Ei19rocblas_complex_numIfEPKS1_S1_EviiT3_lPKT2_lT1_lS7_lS8_lS4_lPT4_lS8_li,"axG",@progbits,_ZL32rocblas_gemvt_warp_reduce_kernelILb0ELi1024Ei19rocblas_complex_numIfEPKS1_S1_EviiT3_lPKT2_lT1_lS7_lS8_lS4_lPT4_lS8_li,comdat
	.globl	_ZL32rocblas_gemvt_warp_reduce_kernelILb0ELi1024Ei19rocblas_complex_numIfEPKS1_S1_EviiT3_lPKT2_lT1_lS7_lS8_lS4_lPT4_lS8_li ; -- Begin function _ZL32rocblas_gemvt_warp_reduce_kernelILb0ELi1024Ei19rocblas_complex_numIfEPKS1_S1_EviiT3_lPKT2_lT1_lS7_lS8_lS4_lPT4_lS8_li
	.p2align	8
	.type	_ZL32rocblas_gemvt_warp_reduce_kernelILb0ELi1024Ei19rocblas_complex_numIfEPKS1_S1_EviiT3_lPKT2_lT1_lS7_lS8_lS4_lPT4_lS8_li,@function
_ZL32rocblas_gemvt_warp_reduce_kernelILb0ELi1024Ei19rocblas_complex_numIfEPKS1_S1_EviiT3_lPKT2_lT1_lS7_lS8_lS4_lPT4_lS8_li: ; @_ZL32rocblas_gemvt_warp_reduce_kernelILb0ELi1024Ei19rocblas_complex_numIfEPKS1_S1_EviiT3_lPKT2_lT1_lS7_lS8_lS4_lPT4_lS8_li
; %bb.0:
	s_load_b32 s33, s[0:1], 0x88
	s_bfe_u32 s2, ttmp6, 0x40014
	s_lshr_b32 s3, ttmp7, 16
	s_add_co_i32 s2, s2, 1
	s_bfe_u32 s5, ttmp6, 0x40008
	s_mul_i32 s4, s3, s2
	s_getreg_b32 s2, hwreg(HW_REG_IB_STS2, 6, 4)
	s_add_co_i32 s5, s5, s4
	s_cmp_eq_u32 s2, 0
	s_mov_b32 s35, 0
	s_cselect_b32 s34, s3, s5
	s_wait_kmcnt 0x0
	s_cmp_ge_u32 s34, s33
	s_cbranch_scc1 .LBB130_31
; %bb.1:
	s_clause 0x7
	s_load_b96 s[4:6], s[0:1], 0x40
	s_load_b96 s[28:30], s[0:1], 0x70
	s_load_b256 s[8:15], s[0:1], 0x8
	s_load_b32 s7, s[0:1], 0x0
	s_load_b32 s31, s[0:1], 0x28
	s_load_b128 s[24:27], s[0:1], 0x30
	s_load_b256 s[16:23], s[0:1], 0x50
	s_load_b64 s[36:37], s[0:1], 0x80
	s_wait_xcnt 0x0
	s_bfe_u32 s1, ttmp6, 0x4000c
	s_and_b32 s3, ttmp6, 15
	s_add_co_i32 s1, s1, 1
	v_dual_mov_b32 v3, 0 :: v_dual_bitop2_b32 v8, 31, v0 bitop3:0x40
	s_mul_i32 s1, ttmp9, s1
	v_mov_b64_e32 v[10:11], 0
	s_add_co_i32 s3, s3, s1
	v_cmp_eq_u32_e64 s0, 0, v0
	v_cmp_gt_u32_e64 s1, 32, v0
	v_mbcnt_lo_u32_b32 v21, -1, 0
	s_wait_kmcnt 0x0
	s_lshl_b64 s[4:5], s[4:5], 3
	s_lshl_b64 s[28:29], s[28:29], 3
	;; [unrolled: 1-line block ×3, first 2 shown]
	s_cmp_eq_u32 s2, 0
	v_cmp_gt_i32_e32 vcc_lo, s7, v0
	s_cselect_b32 s15, ttmp9, s3
	s_ashr_i32 s2, s7, 31
	v_lshrrev_b32_e32 v12, 2, v0
	s_lshr_b32 s2, s2, 22
	v_cndmask_b32_e32 v2, 0, v0, vcc_lo
	s_add_co_i32 s2, s7, s2
	v_lshlrev_b32_e32 v1, 3, v8
	s_and_b32 s14, s2, 0xfffffc00
	s_add_nc_u64 s[26:27], s[26:27], s[4:5]
	v_dual_lshlrev_b32 v2, 3, v2 :: v_dual_bitop2_b32 v5, s14, v0 bitop3:0x54
	s_mul_i32 s4, s31, s15
	s_add_nc_u64 s[2:3], s[12:13], s[38:39]
	s_ashr_i32 s5, s4, 31
	s_delay_alu instid0(VALU_DEP_1)
	v_mul_lo_u32 v4, s6, v5
	v_add_nc_u64_e32 v[6:7], s[2:3], v[2:3]
	s_lshl_b64 s[4:5], s[4:5], 3
	s_add_nc_u64 s[22:23], s[22:23], s[28:29]
	s_mul_i32 s28, s30, s15
	s_add_nc_u64 s[30:31], s[38:39], s[4:5]
	v_mul_lo_u32 v20, v0, s6
	s_add_nc_u64 s[12:13], s[12:13], s[30:31]
	v_add_nc_u64_e32 v[6:7], s[4:5], v[6:7]
	v_cmp_eq_u32_e64 s4, 0, v8
	v_add_nc_u64_e32 v[8:9], s[12:13], v[2:3]
	v_cmp_gt_i32_e64 s2, s14, v0
	v_cmp_gt_i32_e64 s3, s7, v5
	v_ashrrev_i32_e32 v5, 31, v4
	v_and_b32_e32 v2, 0xf8, v12
	s_ashr_i32 s29, s28, 31
	s_ashr_i32 s15, s14, 31
	s_lshl_b32 s38, s6, 10
	s_lshl_b64 s[12:13], s[24:25], 3
	s_lshl_b64 s[28:29], s[28:29], 3
	s_branch .LBB130_5
.LBB130_2:                              ;   in Loop: Header=BB130_5 Depth=1
	s_delay_alu instid0(VALU_DEP_1)
	v_mov_b32_e32 v19, v15
	global_store_b64 v3, v[18:19], s[6:7]
.LBB130_3:                              ;   in Loop: Header=BB130_5 Depth=1
	s_wait_xcnt 0x0
	s_or_b32 exec_lo, exec_lo, s30
.LBB130_4:                              ;   in Loop: Header=BB130_5 Depth=1
	s_add_co_i32 s34, s34, 0x10000
	s_delay_alu instid0(SALU_CYCLE_1)
	s_cmp_lt_u32 s34, s33
	s_cbranch_scc0 .LBB130_31
.LBB130_5:                              ; =>This Loop Header: Depth=1
                                        ;     Child Loop BB130_24 Depth 2
	s_mul_u64 s[6:7], s[10:11], s[34:35]
	s_wait_xcnt 0x0
	s_mul_u64 s[30:31], s[20:21], s[34:35]
	s_lshl_b64 s[6:7], s[6:7], 3
	s_lshl_b64 s[30:31], s[30:31], 3
	s_add_nc_u64 s[6:7], s[8:9], s[6:7]
	s_add_nc_u64 s[30:31], s[18:19], s[30:31]
	s_clause 0x1
	global_load_b64 v[14:15], v3, s[6:7]
	global_load_b64 v[12:13], v3, s[30:31]
	s_wait_loadcnt 0x1
	v_cmp_eq_f32_e32 vcc_lo, 0, v14
	v_cmp_eq_f32_e64 s5, 0, v15
	s_wait_loadcnt 0x0
	s_wait_xcnt 0x1
	v_cmp_eq_f32_e64 s6, 1.0, v12
	v_cmp_eq_f32_e64 s7, 0, v13
	s_and_b32 s5, vcc_lo, s5
	s_and_b32 s6, s6, s7
	s_delay_alu instid0(SALU_CYCLE_1) | instskip(NEXT) | instid1(SALU_CYCLE_1)
	s_and_b32 s5, s5, s6
	s_and_b32 vcc_lo, exec_lo, s5
	s_cbranch_vccnz .LBB130_4
; %bb.6:                                ;   in Loop: Header=BB130_5 Depth=1
	s_wait_dscnt 0x0
	v_or_b32_e32 v16, v14, v15
	s_mul_u64 s[6:7], s[36:37], s[34:35]
	s_mov_b32 s5, -1
	s_lshl_b64 s[6:7], s[6:7], 3
	s_delay_alu instid0(SALU_CYCLE_1) | instskip(SKIP_1) | instid1(VALU_DEP_1)
	s_add_nc_u64 s[6:7], s[22:23], s[6:7]
	v_and_b32_e32 v16, 0x7fffffff, v16
	v_cmp_ne_u32_e32 vcc_lo, 0, v16
	s_cbranch_vccnz .LBB130_13
; %bb.7:                                ;   in Loop: Header=BB130_5 Depth=1
	s_wait_xcnt 0x0
	s_and_saveexec_b32 s39, s0
	s_cbranch_execz .LBB130_12
; %bb.8:                                ;   in Loop: Header=BB130_5 Depth=1
	v_cmp_neq_f32_e32 vcc_lo, 0, v12
	v_cmp_neq_f32_e64 s5, 0, v13
	s_add_nc_u64 s[30:31], s[6:7], s[28:29]
	s_or_b32 s5, vcc_lo, s5
	s_delay_alu instid0(SALU_CYCLE_1)
	s_and_not1_b32 vcc_lo, exec_lo, s5
	s_cbranch_vccnz .LBB130_10
; %bb.9:                                ;   in Loop: Header=BB130_5 Depth=1
	global_load_b64 v[16:17], v3, s[30:31]
	s_wait_loadcnt 0x0
	v_pk_mul_f32 v[18:19], v[12:13], v[16:17] op_sel:[1,1] op_sel_hi:[0,1]
	s_delay_alu instid0(VALU_DEP_1) | instskip(SKIP_1) | instid1(VALU_DEP_2)
	v_pk_fma_f32 v[22:23], v[12:13], v[16:17], v[18:19] op_sel_hi:[1,0,1]
	v_pk_fma_f32 v[16:17], v[12:13], v[16:17], v[18:19] neg_lo:[0,0,1] neg_hi:[0,0,1]
	v_mov_b32_e32 v17, v23
	s_branch .LBB130_11
.LBB130_10:                             ;   in Loop: Header=BB130_5 Depth=1
	v_dual_mov_b32 v17, 0 :: v_dual_mov_b32 v16, 0
.LBB130_11:                             ;   in Loop: Header=BB130_5 Depth=1
	global_store_b64 v3, v[16:17], s[30:31]
.LBB130_12:                             ;   in Loop: Header=BB130_5 Depth=1
	s_wait_xcnt 0x0
	s_or_b32 exec_lo, exec_lo, s39
	s_mov_b32 s5, 0
.LBB130_13:                             ;   in Loop: Header=BB130_5 Depth=1
	s_delay_alu instid0(SALU_CYCLE_1)
	s_and_not1_b32 vcc_lo, exec_lo, s5
	s_cbranch_vccnz .LBB130_4
; %bb.14:                               ;   in Loop: Header=BB130_5 Depth=1
	v_mov_b64_e32 v[16:17], 0
	s_wait_xcnt 0x0
	s_mul_u64 s[30:31], s[16:17], s[34:35]
	s_delay_alu instid0(SALU_CYCLE_1) | instskip(NEXT) | instid1(SALU_CYCLE_1)
	s_lshl_b64 s[30:31], s[30:31], 3
	s_add_nc_u64 s[30:31], s[26:27], s[30:31]
	s_and_saveexec_b32 s5, s2
	s_cbranch_execnz .LBB130_23
; %bb.15:                               ;   in Loop: Header=BB130_5 Depth=1
	s_or_b32 exec_lo, exec_lo, s5
	s_and_saveexec_b32 s5, s3
	s_cbranch_execnz .LBB130_26
.LBB130_16:                             ;   in Loop: Header=BB130_5 Depth=1
	s_or_b32 exec_lo, exec_lo, s5
	s_and_saveexec_b32 s5, s1
.LBB130_17:                             ;   in Loop: Header=BB130_5 Depth=1
	ds_store_b64 v1, v[10:11]
.LBB130_18:                             ;   in Loop: Header=BB130_5 Depth=1
	s_or_b32 exec_lo, exec_lo, s5
	v_lshl_or_b32 v22, v21, 2, 64
	v_cmp_gt_u32_e32 vcc_lo, 24, v21
	s_wait_storecnt_dscnt 0x0
	s_barrier_signal -1
	s_barrier_wait -1
	ds_bpermute_b32 v18, v22, v16
	ds_bpermute_b32 v19, v22, v17
	v_cndmask_b32_e64 v23, 0, 8, vcc_lo
	v_cmp_gt_u32_e32 vcc_lo, 28, v21
	s_wait_dscnt 0x0
	s_delay_alu instid0(VALU_DEP_2) | instskip(SKIP_2) | instid1(VALU_DEP_2)
	v_add_lshl_u32 v23, v23, v21, 2
	v_cndmask_b32_e64 v24, 0, 4, vcc_lo
	v_cmp_gt_u32_e32 vcc_lo, 30, v21
	v_add_lshl_u32 v24, v24, v21, 2
	v_cndmask_b32_e64 v25, 0, 2, vcc_lo
	v_cmp_ne_u32_e32 vcc_lo, 31, v21
	s_delay_alu instid0(VALU_DEP_2) | instskip(SKIP_2) | instid1(VALU_DEP_2)
	v_add_lshl_u32 v25, v25, v21, 2
	v_add_co_ci_u32_e64 v26, null, 0, v21, vcc_lo
	v_pk_add_f32 v[16:17], v[16:17], v[18:19]
	v_lshlrev_b32_e32 v26, 2, v26
	ds_bpermute_b32 v18, v23, v16
	ds_bpermute_b32 v19, v23, v17
	s_wait_dscnt 0x0
	v_pk_add_f32 v[16:17], v[16:17], v[18:19]
	ds_bpermute_b32 v18, v24, v16
	ds_bpermute_b32 v19, v24, v17
	s_wait_dscnt 0x0
	v_pk_add_f32 v[16:17], v[16:17], v[18:19]
	;; [unrolled: 4-line block ×3, first 2 shown]
	ds_bpermute_b32 v18, v26, v16
	ds_bpermute_b32 v19, v26, v17
	s_and_saveexec_b32 s5, s4
	s_cbranch_execz .LBB130_20
; %bb.19:                               ;   in Loop: Header=BB130_5 Depth=1
	s_wait_dscnt 0x0
	v_pk_add_f32 v[16:17], v[16:17], v[18:19]
	ds_store_b64 v2, v[16:17]
.LBB130_20:                             ;   in Loop: Header=BB130_5 Depth=1
	s_or_b32 exec_lo, exec_lo, s5
	v_mov_b64_e32 v[16:17], 0
	s_wait_dscnt 0x0
	s_barrier_signal -1
	s_barrier_wait -1
	s_and_saveexec_b32 s5, s1
	s_cbranch_execnz .LBB130_27
; %bb.21:                               ;   in Loop: Header=BB130_5 Depth=1
	s_or_b32 exec_lo, exec_lo, s5
	s_and_saveexec_b32 s5, s1
	s_cbranch_execnz .LBB130_28
.LBB130_22:                             ;   in Loop: Header=BB130_5 Depth=1
	s_or_b32 exec_lo, exec_lo, s5
	s_and_saveexec_b32 s30, s0
	s_cbranch_execz .LBB130_3
	s_branch .LBB130_29
.LBB130_23:                             ;   in Loop: Header=BB130_5 Depth=1
	v_mad_nc_u64_u32 v[18:19], s12, s34, v[8:9]
	v_dual_mov_b32 v16, 0 :: v_dual_mov_b32 v22, v0
	v_mov_b32_e32 v23, v20
	s_mov_b32 s39, 0
	s_delay_alu instid0(VALU_DEP_2) | instskip(NEXT) | instid1(VALU_DEP_4)
	v_mov_b32_e32 v17, v16
	v_mad_u32 v19, s13, s34, v19
.LBB130_24:                             ;   Parent Loop BB130_5 Depth=1
                                        ; =>  This Inner Loop Header: Depth=2
	global_load_b64 v[24:25], v[18:19], off
	global_load_b64 v[26:27], v23, s[30:31] scale_offset
	s_wait_xcnt 0x1
	v_add_nc_u64_e32 v[18:19], 0x2000, v[18:19]
	s_wait_xcnt 0x0
	v_add_nc_u32_e32 v23, s38, v23
	s_wait_loadcnt 0x0
	v_pk_mul_f32 v[28:29], v[26:27], v[24:25] op_sel:[1,1] op_sel_hi:[0,1]
	s_delay_alu instid0(VALU_DEP_1) | instskip(SKIP_2) | instid1(VALU_DEP_3)
	v_pk_fma_f32 v[30:31], v[26:27], v[24:25], v[28:29] op_sel_hi:[1,0,1]
	v_add_nc_u32_e32 v22, 0x400, v22
	v_pk_fma_f32 v[24:25], v[26:27], v[24:25], v[28:29] neg_lo:[0,0,1] neg_hi:[0,0,1]
	v_mov_b32_e32 v25, v31
	s_delay_alu instid0(VALU_DEP_3) | instskip(NEXT) | instid1(VALU_DEP_2)
	v_cmp_le_i32_e32 vcc_lo, s14, v22
	v_pk_add_f32 v[16:17], v[16:17], v[24:25]
	s_or_b32 s39, vcc_lo, s39
	s_delay_alu instid0(SALU_CYCLE_1)
	s_and_not1_b32 exec_lo, exec_lo, s39
	s_cbranch_execnz .LBB130_24
; %bb.25:                               ;   in Loop: Header=BB130_5 Depth=1
	s_or_b32 exec_lo, exec_lo, s39
	s_delay_alu instid0(SALU_CYCLE_1)
	s_or_b32 exec_lo, exec_lo, s5
	s_and_saveexec_b32 s5, s3
	s_cbranch_execz .LBB130_16
.LBB130_26:                             ;   in Loop: Header=BB130_5 Depth=1
	s_mul_u64 s[40:41], s[24:25], s[34:35]
	v_lshl_add_u64 v[22:23], v[4:5], 3, s[30:31]
	v_lshl_add_u64 v[18:19], s[40:41], 3, v[6:7]
	s_delay_alu instid0(VALU_DEP_1)
	v_lshl_add_u64 v[18:19], s[14:15], 3, v[18:19]
	global_load_b64 v[24:25], v[18:19], off
	global_load_b64 v[26:27], v[22:23], off
	s_wait_loadcnt 0x0
	s_wait_xcnt 0x1
	v_pk_mul_f32 v[18:19], v[26:27], v[24:25] op_sel:[1,1] op_sel_hi:[0,1]
	s_wait_xcnt 0x0
	s_delay_alu instid0(VALU_DEP_1) | instskip(SKIP_1) | instid1(VALU_DEP_2)
	v_pk_fma_f32 v[22:23], v[26:27], v[24:25], v[18:19] op_sel_hi:[1,0,1]
	v_pk_fma_f32 v[18:19], v[26:27], v[24:25], v[18:19] neg_lo:[0,0,1] neg_hi:[0,0,1]
	v_mov_b32_e32 v19, v23
	s_delay_alu instid0(VALU_DEP_1)
	v_pk_add_f32 v[16:17], v[16:17], v[18:19]
	s_or_b32 exec_lo, exec_lo, s5
	s_and_saveexec_b32 s5, s1
	s_cbranch_execnz .LBB130_17
	s_branch .LBB130_18
.LBB130_27:                             ;   in Loop: Header=BB130_5 Depth=1
	ds_load_b64 v[16:17], v1
	s_or_b32 exec_lo, exec_lo, s5
	s_and_saveexec_b32 s5, s1
	s_cbranch_execz .LBB130_22
.LBB130_28:                             ;   in Loop: Header=BB130_5 Depth=1
	s_wait_dscnt 0x0
	ds_bpermute_b32 v18, v22, v16
	ds_bpermute_b32 v19, v22, v17
	s_wait_dscnt 0x0
	v_pk_add_f32 v[16:17], v[16:17], v[18:19]
	ds_bpermute_b32 v18, v23, v16
	ds_bpermute_b32 v19, v23, v17
	s_wait_dscnt 0x0
	v_pk_add_f32 v[16:17], v[16:17], v[18:19]
	;; [unrolled: 4-line block ×5, first 2 shown]
	s_or_b32 exec_lo, exec_lo, s5
	s_and_saveexec_b32 s30, s0
	s_cbranch_execz .LBB130_3
.LBB130_29:                             ;   in Loop: Header=BB130_5 Depth=1
	s_wait_dscnt 0x0
	v_pk_mul_f32 v[22:23], v[16:17], v[14:15] op_sel:[1,1] op_sel_hi:[1,0]
	v_cmp_neq_f32_e32 vcc_lo, 0, v12
	v_cmp_neq_f32_e64 s5, 0, v13
	s_add_nc_u64 s[6:7], s[6:7], s[28:29]
	v_pk_fma_f32 v[18:19], v[16:17], v[14:15], v[22:23] op_sel_hi:[0,1,1] neg_lo:[0,0,1] neg_hi:[0,0,1]
	v_pk_fma_f32 v[14:15], v[16:17], v[14:15], v[22:23] op_sel_hi:[0,1,1]
	s_or_b32 s5, vcc_lo, s5
	s_delay_alu instid0(SALU_CYCLE_1)
	s_and_not1_b32 vcc_lo, exec_lo, s5
	s_cbranch_vccnz .LBB130_2
; %bb.30:                               ;   in Loop: Header=BB130_5 Depth=1
	global_load_b64 v[16:17], v3, s[6:7]
	s_wait_loadcnt 0x0
	v_pk_mul_f32 v[22:23], v[12:13], v[16:17] op_sel:[1,1] op_sel_hi:[0,1]
	s_delay_alu instid0(VALU_DEP_1) | instskip(SKIP_1) | instid1(VALU_DEP_2)
	v_pk_fma_f32 v[24:25], v[12:13], v[16:17], v[22:23] op_sel_hi:[1,0,1]
	v_pk_fma_f32 v[12:13], v[12:13], v[16:17], v[22:23] neg_lo:[0,0,1] neg_hi:[0,0,1]
	v_dual_mov_b32 v19, v15 :: v_dual_mov_b32 v13, v25
	s_delay_alu instid0(VALU_DEP_1) | instskip(NEXT) | instid1(VALU_DEP_1)
	v_pk_add_f32 v[18:19], v[18:19], v[12:13]
	v_mov_b32_e32 v15, v19
	s_branch .LBB130_2
.LBB130_31:
	s_endpgm
	.section	.rodata,"a",@progbits
	.p2align	6, 0x0
	.amdhsa_kernel _ZL32rocblas_gemvt_warp_reduce_kernelILb0ELi1024Ei19rocblas_complex_numIfEPKS1_S1_EviiT3_lPKT2_lT1_lS7_lS8_lS4_lPT4_lS8_li
		.amdhsa_group_segment_fixed_size 256
		.amdhsa_private_segment_fixed_size 0
		.amdhsa_kernarg_size 140
		.amdhsa_user_sgpr_count 2
		.amdhsa_user_sgpr_dispatch_ptr 0
		.amdhsa_user_sgpr_queue_ptr 0
		.amdhsa_user_sgpr_kernarg_segment_ptr 1
		.amdhsa_user_sgpr_dispatch_id 0
		.amdhsa_user_sgpr_kernarg_preload_length 0
		.amdhsa_user_sgpr_kernarg_preload_offset 0
		.amdhsa_user_sgpr_private_segment_size 0
		.amdhsa_wavefront_size32 1
		.amdhsa_uses_dynamic_stack 0
		.amdhsa_enable_private_segment 0
		.amdhsa_system_sgpr_workgroup_id_x 1
		.amdhsa_system_sgpr_workgroup_id_y 0
		.amdhsa_system_sgpr_workgroup_id_z 1
		.amdhsa_system_sgpr_workgroup_info 0
		.amdhsa_system_vgpr_workitem_id 0
		.amdhsa_next_free_vgpr 32
		.amdhsa_next_free_sgpr 42
		.amdhsa_named_barrier_count 0
		.amdhsa_reserve_vcc 1
		.amdhsa_float_round_mode_32 0
		.amdhsa_float_round_mode_16_64 0
		.amdhsa_float_denorm_mode_32 3
		.amdhsa_float_denorm_mode_16_64 3
		.amdhsa_fp16_overflow 0
		.amdhsa_memory_ordered 1
		.amdhsa_forward_progress 1
		.amdhsa_inst_pref_size 14
		.amdhsa_round_robin_scheduling 0
		.amdhsa_exception_fp_ieee_invalid_op 0
		.amdhsa_exception_fp_denorm_src 0
		.amdhsa_exception_fp_ieee_div_zero 0
		.amdhsa_exception_fp_ieee_overflow 0
		.amdhsa_exception_fp_ieee_underflow 0
		.amdhsa_exception_fp_ieee_inexact 0
		.amdhsa_exception_int_div_zero 0
	.end_amdhsa_kernel
	.section	.text._ZL32rocblas_gemvt_warp_reduce_kernelILb0ELi1024Ei19rocblas_complex_numIfEPKS1_S1_EviiT3_lPKT2_lT1_lS7_lS8_lS4_lPT4_lS8_li,"axG",@progbits,_ZL32rocblas_gemvt_warp_reduce_kernelILb0ELi1024Ei19rocblas_complex_numIfEPKS1_S1_EviiT3_lPKT2_lT1_lS7_lS8_lS4_lPT4_lS8_li,comdat
.Lfunc_end130:
	.size	_ZL32rocblas_gemvt_warp_reduce_kernelILb0ELi1024Ei19rocblas_complex_numIfEPKS1_S1_EviiT3_lPKT2_lT1_lS7_lS8_lS4_lPT4_lS8_li, .Lfunc_end130-_ZL32rocblas_gemvt_warp_reduce_kernelILb0ELi1024Ei19rocblas_complex_numIfEPKS1_S1_EviiT3_lPKT2_lT1_lS7_lS8_lS4_lPT4_lS8_li
                                        ; -- End function
	.set _ZL32rocblas_gemvt_warp_reduce_kernelILb0ELi1024Ei19rocblas_complex_numIfEPKS1_S1_EviiT3_lPKT2_lT1_lS7_lS8_lS4_lPT4_lS8_li.num_vgpr, 32
	.set _ZL32rocblas_gemvt_warp_reduce_kernelILb0ELi1024Ei19rocblas_complex_numIfEPKS1_S1_EviiT3_lPKT2_lT1_lS7_lS8_lS4_lPT4_lS8_li.num_agpr, 0
	.set _ZL32rocblas_gemvt_warp_reduce_kernelILb0ELi1024Ei19rocblas_complex_numIfEPKS1_S1_EviiT3_lPKT2_lT1_lS7_lS8_lS4_lPT4_lS8_li.numbered_sgpr, 42
	.set _ZL32rocblas_gemvt_warp_reduce_kernelILb0ELi1024Ei19rocblas_complex_numIfEPKS1_S1_EviiT3_lPKT2_lT1_lS7_lS8_lS4_lPT4_lS8_li.num_named_barrier, 0
	.set _ZL32rocblas_gemvt_warp_reduce_kernelILb0ELi1024Ei19rocblas_complex_numIfEPKS1_S1_EviiT3_lPKT2_lT1_lS7_lS8_lS4_lPT4_lS8_li.private_seg_size, 0
	.set _ZL32rocblas_gemvt_warp_reduce_kernelILb0ELi1024Ei19rocblas_complex_numIfEPKS1_S1_EviiT3_lPKT2_lT1_lS7_lS8_lS4_lPT4_lS8_li.uses_vcc, 1
	.set _ZL32rocblas_gemvt_warp_reduce_kernelILb0ELi1024Ei19rocblas_complex_numIfEPKS1_S1_EviiT3_lPKT2_lT1_lS7_lS8_lS4_lPT4_lS8_li.uses_flat_scratch, 0
	.set _ZL32rocblas_gemvt_warp_reduce_kernelILb0ELi1024Ei19rocblas_complex_numIfEPKS1_S1_EviiT3_lPKT2_lT1_lS7_lS8_lS4_lPT4_lS8_li.has_dyn_sized_stack, 0
	.set _ZL32rocblas_gemvt_warp_reduce_kernelILb0ELi1024Ei19rocblas_complex_numIfEPKS1_S1_EviiT3_lPKT2_lT1_lS7_lS8_lS4_lPT4_lS8_li.has_recursion, 0
	.set _ZL32rocblas_gemvt_warp_reduce_kernelILb0ELi1024Ei19rocblas_complex_numIfEPKS1_S1_EviiT3_lPKT2_lT1_lS7_lS8_lS4_lPT4_lS8_li.has_indirect_call, 0
	.section	.AMDGPU.csdata,"",@progbits
; Kernel info:
; codeLenInByte = 1764
; TotalNumSgprs: 44
; NumVgprs: 32
; ScratchSize: 0
; MemoryBound: 0
; FloatMode: 240
; IeeeMode: 1
; LDSByteSize: 256 bytes/workgroup (compile time only)
; SGPRBlocks: 0
; VGPRBlocks: 1
; NumSGPRsForWavesPerEU: 44
; NumVGPRsForWavesPerEU: 32
; NamedBarCnt: 0
; Occupancy: 16
; WaveLimiterHint : 0
; COMPUTE_PGM_RSRC2:SCRATCH_EN: 0
; COMPUTE_PGM_RSRC2:USER_SGPR: 2
; COMPUTE_PGM_RSRC2:TRAP_HANDLER: 0
; COMPUTE_PGM_RSRC2:TGID_X_EN: 1
; COMPUTE_PGM_RSRC2:TGID_Y_EN: 0
; COMPUTE_PGM_RSRC2:TGID_Z_EN: 1
; COMPUTE_PGM_RSRC2:TIDIG_COMP_CNT: 0
	.section	.text._ZL32rocblas_gemvt_warp_reduce_kernelILb0ELi1024El19rocblas_complex_numIfEPKS1_S1_EviiT3_lPKT2_lT1_lS7_lS8_lS4_lPT4_lS8_li,"axG",@progbits,_ZL32rocblas_gemvt_warp_reduce_kernelILb0ELi1024El19rocblas_complex_numIfEPKS1_S1_EviiT3_lPKT2_lT1_lS7_lS8_lS4_lPT4_lS8_li,comdat
	.globl	_ZL32rocblas_gemvt_warp_reduce_kernelILb0ELi1024El19rocblas_complex_numIfEPKS1_S1_EviiT3_lPKT2_lT1_lS7_lS8_lS4_lPT4_lS8_li ; -- Begin function _ZL32rocblas_gemvt_warp_reduce_kernelILb0ELi1024El19rocblas_complex_numIfEPKS1_S1_EviiT3_lPKT2_lT1_lS7_lS8_lS4_lPT4_lS8_li
	.p2align	8
	.type	_ZL32rocblas_gemvt_warp_reduce_kernelILb0ELi1024El19rocblas_complex_numIfEPKS1_S1_EviiT3_lPKT2_lT1_lS7_lS8_lS4_lPT4_lS8_li,@function
_ZL32rocblas_gemvt_warp_reduce_kernelILb0ELi1024El19rocblas_complex_numIfEPKS1_S1_EviiT3_lPKT2_lT1_lS7_lS8_lS4_lPT4_lS8_li: ; @_ZL32rocblas_gemvt_warp_reduce_kernelILb0ELi1024El19rocblas_complex_numIfEPKS1_S1_EviiT3_lPKT2_lT1_lS7_lS8_lS4_lPT4_lS8_li
; %bb.0:
	s_load_b32 s30, s[0:1], 0x88
	s_bfe_u32 s2, ttmp6, 0x40014
	s_lshr_b32 s3, ttmp7, 16
	s_add_co_i32 s2, s2, 1
	s_bfe_u32 s5, ttmp6, 0x40008
	s_mul_i32 s4, s3, s2
	s_getreg_b32 s2, hwreg(HW_REG_IB_STS2, 6, 4)
	s_add_co_i32 s5, s5, s4
	s_cmp_eq_u32 s2, 0
	s_mov_b32 s25, 0
	s_cselect_b32 s24, s3, s5
	s_wait_kmcnt 0x0
	s_cmp_ge_u32 s24, s30
	s_cbranch_scc1 .LBB131_31
; %bb.1:
	s_clause 0x2
	s_load_b512 s[8:23], s[0:1], 0x8
	s_load_b512 s[36:51], s[0:1], 0x48
	s_load_b32 s26, s[0:1], 0x0
	s_wait_xcnt 0x0
	s_bfe_u32 s0, ttmp6, 0x4000c
	s_and_b32 s1, ttmp6, 15
	s_add_co_i32 s0, s0, 1
	v_mov_b64_e32 v[10:11], 0
	s_mul_i32 s0, ttmp9, s0
	s_delay_alu instid0(SALU_CYCLE_1)
	s_add_co_i32 s3, s1, s0
	s_wait_kmcnt 0x0
	s_lshl_b64 s[0:1], s[22:23], 3
	s_lshl_b64 s[4:5], s[46:47], 3
	;; [unrolled: 1-line block ×3, first 2 shown]
	s_cmp_eq_u32 s2, 0
	v_cmp_gt_i32_e32 vcc_lo, s26, v0
	s_cselect_b32 s2, ttmp9, s3
	s_ashr_i32 s3, s26, 31
	s_add_nc_u64 s[22:23], s[12:13], s[6:7]
	s_lshr_b32 s3, s3, 22
	s_add_nc_u64 s[20:21], s[20:21], s[0:1]
	s_add_co_i32 s3, s26, s3
	v_cmp_eq_u32_e64 s0, 0, v0
	s_and_b32 s14, s3, 0xfffffc00
	s_delay_alu instid0(SALU_CYCLE_1) | instskip(SKIP_3) | instid1(VALU_DEP_3)
	v_dual_mov_b32 v3, 0 :: v_dual_bitop2_b32 v8, s14, v0 bitop3:0x54
	v_cndmask_b32_e32 v2, 0, v0, vcc_lo
	s_ashr_i32 s3, s2, 31
	v_cmp_gt_i32_e64 s1, s14, v0
	v_dual_mov_b32 v1, v3 :: v_dual_ashrrev_i32 v9, 31, v8
	s_delay_alu instid0(VALU_DEP_3) | instskip(SKIP_2) | instid1(VALU_DEP_2)
	v_lshlrev_b32_e32 v2, 3, v2
	s_mul_u64 s[28:29], s[48:49], s[2:3]
	s_ashr_i32 s15, s14, 31
	v_mul_u64_e32 v[12:13], s[36:37], v[0:1]
	v_mul_u64_e32 v[4:5], s[36:37], v[8:9]
	v_add_nc_u64_e32 v[6:7], s[22:23], v[2:3]
	s_add_nc_u64 s[22:23], s[44:45], s[4:5]
	s_mul_u64 s[4:5], s[16:17], s[2:3]
	v_and_b32_e32 v9, 31, v0
	s_lshl_b64 s[4:5], s[4:5], 3
	v_cmp_gt_i32_e64 s2, s26, v8
	v_lshrrev_b32_e32 v8, 2, v0
	s_add_nc_u64 s[6:7], s[4:5], s[6:7]
	v_add_nc_u64_e32 v[6:7], s[4:5], v[6:7]
	s_add_nc_u64 s[6:7], s[12:13], s[6:7]
	v_lshlrev_b32_e32 v1, 3, v9
	v_cmp_eq_u32_e64 s4, 0, v9
	v_and_b32_e32 v24, 0xf8, v8
	v_add_nc_u64_e32 v[8:9], s[6:7], v[2:3]
	v_cmp_gt_u32_e64 s3, 32, v0
	v_mbcnt_lo_u32_b32 v2, -1, 0
	s_lshl_b64 s[12:13], s[18:19], 3
	s_lshl_b64 s[16:17], s[38:39], 3
	;; [unrolled: 1-line block ×4, first 2 shown]
	v_lshl_add_u64 v[12:13], v[12:13], 3, s[20:21]
	s_branch .LBB131_5
.LBB131_2:                              ;   in Loop: Header=BB131_5 Depth=1
	s_delay_alu instid0(VALU_DEP_1)
	v_mov_b32_e32 v21, v17
	global_store_b64 v3, v[20:21], s[6:7]
.LBB131_3:                              ;   in Loop: Header=BB131_5 Depth=1
	s_wait_xcnt 0x0
	s_or_b32 exec_lo, exec_lo, s31
.LBB131_4:                              ;   in Loop: Header=BB131_5 Depth=1
	s_add_co_i32 s24, s24, 0x10000
	s_delay_alu instid0(SALU_CYCLE_1)
	s_cmp_lt_u32 s24, s30
	s_cbranch_scc0 .LBB131_31
.LBB131_5:                              ; =>This Loop Header: Depth=1
                                        ;     Child Loop BB131_24 Depth 2
	s_mul_u64 s[6:7], s[10:11], s[24:25]
	s_wait_xcnt 0x0
	s_mul_u64 s[34:35], s[42:43], s[24:25]
	s_lshl_b64 s[6:7], s[6:7], 3
	s_lshl_b64 s[34:35], s[34:35], 3
	s_add_nc_u64 s[6:7], s[8:9], s[6:7]
	s_add_nc_u64 s[34:35], s[40:41], s[34:35]
	s_clause 0x1
	global_load_b64 v[16:17], v3, s[6:7]
	global_load_b64 v[14:15], v3, s[34:35]
	s_wait_loadcnt 0x1
	v_cmp_eq_f32_e32 vcc_lo, 0, v16
	v_cmp_eq_f32_e64 s5, 0, v17
	s_wait_loadcnt 0x0
	s_wait_xcnt 0x1
	v_cmp_eq_f32_e64 s6, 1.0, v14
	v_cmp_eq_f32_e64 s7, 0, v15
	s_and_b32 s5, vcc_lo, s5
	s_and_b32 s6, s6, s7
	s_delay_alu instid0(SALU_CYCLE_1) | instskip(NEXT) | instid1(SALU_CYCLE_1)
	s_and_b32 s5, s5, s6
	s_and_b32 vcc_lo, exec_lo, s5
	s_cbranch_vccnz .LBB131_4
; %bb.6:                                ;   in Loop: Header=BB131_5 Depth=1
	s_wait_dscnt 0x0
	v_or_b32_e32 v18, v16, v17
	s_mul_u64 s[6:7], s[50:51], s[24:25]
	s_mov_b32 s5, -1
	s_lshl_b64 s[6:7], s[6:7], 3
	s_delay_alu instid0(SALU_CYCLE_1) | instskip(SKIP_1) | instid1(VALU_DEP_1)
	s_add_nc_u64 s[6:7], s[22:23], s[6:7]
	v_and_b32_e32 v18, 0x7fffffff, v18
	v_cmp_ne_u32_e32 vcc_lo, 0, v18
	s_cbranch_vccnz .LBB131_13
; %bb.7:                                ;   in Loop: Header=BB131_5 Depth=1
	s_wait_xcnt 0x0
	s_and_saveexec_b32 s31, s0
	s_cbranch_execz .LBB131_12
; %bb.8:                                ;   in Loop: Header=BB131_5 Depth=1
	v_cmp_neq_f32_e32 vcc_lo, 0, v14
	v_cmp_neq_f32_e64 s5, 0, v15
	s_or_b32 s5, vcc_lo, s5
	s_delay_alu instid0(SALU_CYCLE_1)
	s_and_not1_b32 vcc_lo, exec_lo, s5
	s_cbranch_vccnz .LBB131_10
; %bb.9:                                ;   in Loop: Header=BB131_5 Depth=1
	s_add_nc_u64 s[34:35], s[6:7], s[28:29]
	global_load_b64 v[18:19], v3, s[34:35]
	s_wait_loadcnt 0x0
	v_pk_mul_f32 v[20:21], v[14:15], v[18:19] op_sel:[1,1] op_sel_hi:[0,1]
	s_delay_alu instid0(VALU_DEP_1) | instskip(SKIP_1) | instid1(VALU_DEP_2)
	v_pk_fma_f32 v[22:23], v[14:15], v[18:19], v[20:21] op_sel_hi:[1,0,1]
	v_pk_fma_f32 v[18:19], v[14:15], v[18:19], v[20:21] neg_lo:[0,0,1] neg_hi:[0,0,1]
	v_mov_b32_e32 v19, v23
	s_branch .LBB131_11
.LBB131_10:                             ;   in Loop: Header=BB131_5 Depth=1
	v_dual_mov_b32 v19, 0 :: v_dual_mov_b32 v18, 0
.LBB131_11:                             ;   in Loop: Header=BB131_5 Depth=1
	s_wait_xcnt 0x0
	s_add_nc_u64 s[34:35], s[6:7], s[28:29]
	global_store_b64 v3, v[18:19], s[34:35]
.LBB131_12:                             ;   in Loop: Header=BB131_5 Depth=1
	s_wait_xcnt 0x0
	s_or_b32 exec_lo, exec_lo, s31
	s_mov_b32 s5, 0
.LBB131_13:                             ;   in Loop: Header=BB131_5 Depth=1
	s_delay_alu instid0(SALU_CYCLE_1)
	s_and_not1_b32 vcc_lo, exec_lo, s5
	s_cbranch_vccnz .LBB131_4
; %bb.14:                               ;   in Loop: Header=BB131_5 Depth=1
	v_mov_b64_e32 v[18:19], 0
	s_wait_xcnt 0x0
	s_and_saveexec_b32 s5, s1
	s_cbranch_execnz .LBB131_23
; %bb.15:                               ;   in Loop: Header=BB131_5 Depth=1
	s_or_b32 exec_lo, exec_lo, s5
	s_and_saveexec_b32 s5, s2
	s_cbranch_execnz .LBB131_26
.LBB131_16:                             ;   in Loop: Header=BB131_5 Depth=1
	s_or_b32 exec_lo, exec_lo, s5
	s_and_saveexec_b32 s5, s3
.LBB131_17:                             ;   in Loop: Header=BB131_5 Depth=1
	ds_store_b64 v1, v[10:11]
.LBB131_18:                             ;   in Loop: Header=BB131_5 Depth=1
	s_or_b32 exec_lo, exec_lo, s5
	v_lshl_or_b32 v22, v2, 2, 64
	v_cmp_gt_u32_e32 vcc_lo, 24, v2
	s_wait_storecnt_dscnt 0x0
	s_barrier_signal -1
	s_barrier_wait -1
	ds_bpermute_b32 v20, v22, v18
	ds_bpermute_b32 v21, v22, v19
	v_cndmask_b32_e64 v23, 0, 8, vcc_lo
	v_cmp_gt_u32_e32 vcc_lo, 28, v2
	s_wait_dscnt 0x0
	s_delay_alu instid0(VALU_DEP_2) | instskip(SKIP_2) | instid1(VALU_DEP_2)
	v_add_lshl_u32 v23, v23, v2, 2
	v_cndmask_b32_e64 v25, 0, 4, vcc_lo
	v_cmp_gt_u32_e32 vcc_lo, 30, v2
	v_add_lshl_u32 v25, v25, v2, 2
	v_cndmask_b32_e64 v26, 0, 2, vcc_lo
	v_cmp_ne_u32_e32 vcc_lo, 31, v2
	s_delay_alu instid0(VALU_DEP_2) | instskip(SKIP_2) | instid1(VALU_DEP_2)
	v_add_lshl_u32 v26, v26, v2, 2
	v_add_co_ci_u32_e64 v27, null, 0, v2, vcc_lo
	v_pk_add_f32 v[18:19], v[18:19], v[20:21]
	v_lshlrev_b32_e32 v27, 2, v27
	ds_bpermute_b32 v20, v23, v18
	ds_bpermute_b32 v21, v23, v19
	s_wait_dscnt 0x0
	v_pk_add_f32 v[18:19], v[18:19], v[20:21]
	ds_bpermute_b32 v20, v25, v18
	ds_bpermute_b32 v21, v25, v19
	s_wait_dscnt 0x0
	v_pk_add_f32 v[18:19], v[18:19], v[20:21]
	ds_bpermute_b32 v20, v26, v18
	ds_bpermute_b32 v21, v26, v19
	s_wait_dscnt 0x0
	v_pk_add_f32 v[18:19], v[18:19], v[20:21]
	ds_bpermute_b32 v20, v27, v18
	ds_bpermute_b32 v21, v27, v19
	s_and_saveexec_b32 s5, s4
	s_cbranch_execz .LBB131_20
; %bb.19:                               ;   in Loop: Header=BB131_5 Depth=1
	s_wait_dscnt 0x0
	v_pk_add_f32 v[18:19], v[18:19], v[20:21]
	ds_store_b64 v24, v[18:19]
.LBB131_20:                             ;   in Loop: Header=BB131_5 Depth=1
	s_or_b32 exec_lo, exec_lo, s5
	v_mov_b64_e32 v[18:19], 0
	s_wait_dscnt 0x0
	s_barrier_signal -1
	s_barrier_wait -1
	s_and_saveexec_b32 s5, s3
	s_cbranch_execnz .LBB131_27
; %bb.21:                               ;   in Loop: Header=BB131_5 Depth=1
	s_or_b32 exec_lo, exec_lo, s5
	s_and_saveexec_b32 s5, s3
	s_cbranch_execnz .LBB131_28
.LBB131_22:                             ;   in Loop: Header=BB131_5 Depth=1
	s_or_b32 exec_lo, exec_lo, s5
	s_and_saveexec_b32 s31, s0
	s_cbranch_execz .LBB131_3
	s_branch .LBB131_29
.LBB131_23:                             ;   in Loop: Header=BB131_5 Depth=1
	v_mad_nc_u64_u32 v[20:21], s12, s24, v[8:9]
	v_mad_nc_u64_u32 v[22:23], s16, s24, v[12:13]
	v_dual_mov_b32 v18, 0 :: v_dual_mov_b32 v25, v0
	s_mov_b32 s31, 0
	s_delay_alu instid0(VALU_DEP_1) | instskip(NEXT) | instid1(VALU_DEP_4)
	v_mov_b32_e32 v19, v18
	v_mad_u32 v21, s13, s24, v21
	s_delay_alu instid0(VALU_DEP_4)
	v_mad_u32 v23, s17, s24, v23
.LBB131_24:                             ;   Parent Loop BB131_5 Depth=1
                                        ; =>  This Inner Loop Header: Depth=2
	global_load_b64 v[26:27], v[20:21], off
	global_load_b64 v[28:29], v[22:23], off
	v_add_nc_u32_e32 v25, 0x400, v25
	s_wait_xcnt 0x1
	v_add_nc_u64_e32 v[20:21], 0x2000, v[20:21]
	s_wait_xcnt 0x0
	v_add_nc_u64_e32 v[22:23], s[26:27], v[22:23]
	v_cmp_le_i32_e32 vcc_lo, s14, v25
	s_or_b32 s31, vcc_lo, s31
	s_wait_loadcnt 0x0
	v_pk_mul_f32 v[30:31], v[28:29], v[26:27] op_sel:[1,1] op_sel_hi:[0,1]
	s_delay_alu instid0(VALU_DEP_1) | instskip(SKIP_1) | instid1(VALU_DEP_2)
	v_pk_fma_f32 v[32:33], v[28:29], v[26:27], v[30:31] op_sel_hi:[1,0,1]
	v_pk_fma_f32 v[26:27], v[28:29], v[26:27], v[30:31] neg_lo:[0,0,1] neg_hi:[0,0,1]
	v_mov_b32_e32 v27, v33
	s_delay_alu instid0(VALU_DEP_1)
	v_pk_add_f32 v[18:19], v[18:19], v[26:27]
	s_and_not1_b32 exec_lo, exec_lo, s31
	s_cbranch_execnz .LBB131_24
; %bb.25:                               ;   in Loop: Header=BB131_5 Depth=1
	s_or_b32 exec_lo, exec_lo, s31
	s_delay_alu instid0(SALU_CYCLE_1)
	s_or_b32 exec_lo, exec_lo, s5
	s_and_saveexec_b32 s5, s2
	s_cbranch_execz .LBB131_16
.LBB131_26:                             ;   in Loop: Header=BB131_5 Depth=1
	s_mul_u64 s[34:35], s[18:19], s[24:25]
	s_mul_u64 s[36:37], s[38:39], s[24:25]
	v_lshl_add_u64 v[20:21], s[34:35], 3, v[6:7]
	s_lshl_b64 s[34:35], s[36:37], 3
	s_delay_alu instid0(SALU_CYCLE_1) | instskip(NEXT) | instid1(SALU_CYCLE_1)
	s_add_nc_u64 s[34:35], s[20:21], s[34:35]
	v_lshl_add_u64 v[22:23], v[4:5], 3, s[34:35]
	s_delay_alu instid0(VALU_DEP_2)
	v_lshl_add_u64 v[20:21], s[14:15], 3, v[20:21]
	global_load_b64 v[26:27], v[20:21], off
	global_load_b64 v[28:29], v[22:23], off
	s_wait_loadcnt 0x0
	s_wait_xcnt 0x1
	v_pk_mul_f32 v[20:21], v[28:29], v[26:27] op_sel:[1,1] op_sel_hi:[0,1]
	s_wait_xcnt 0x0
	s_delay_alu instid0(VALU_DEP_1) | instskip(SKIP_1) | instid1(VALU_DEP_2)
	v_pk_fma_f32 v[22:23], v[28:29], v[26:27], v[20:21] op_sel_hi:[1,0,1]
	v_pk_fma_f32 v[20:21], v[28:29], v[26:27], v[20:21] neg_lo:[0,0,1] neg_hi:[0,0,1]
	v_mov_b32_e32 v21, v23
	s_delay_alu instid0(VALU_DEP_1)
	v_pk_add_f32 v[18:19], v[18:19], v[20:21]
	s_or_b32 exec_lo, exec_lo, s5
	s_and_saveexec_b32 s5, s3
	s_cbranch_execnz .LBB131_17
	s_branch .LBB131_18
.LBB131_27:                             ;   in Loop: Header=BB131_5 Depth=1
	ds_load_b64 v[18:19], v1
	s_or_b32 exec_lo, exec_lo, s5
	s_and_saveexec_b32 s5, s3
	s_cbranch_execz .LBB131_22
.LBB131_28:                             ;   in Loop: Header=BB131_5 Depth=1
	s_wait_dscnt 0x0
	ds_bpermute_b32 v20, v22, v18
	ds_bpermute_b32 v21, v22, v19
	s_wait_dscnt 0x0
	v_pk_add_f32 v[18:19], v[18:19], v[20:21]
	ds_bpermute_b32 v20, v23, v18
	ds_bpermute_b32 v21, v23, v19
	s_wait_dscnt 0x0
	v_pk_add_f32 v[18:19], v[18:19], v[20:21]
	;; [unrolled: 4-line block ×5, first 2 shown]
	s_or_b32 exec_lo, exec_lo, s5
	s_and_saveexec_b32 s31, s0
	s_cbranch_execz .LBB131_3
.LBB131_29:                             ;   in Loop: Header=BB131_5 Depth=1
	s_wait_dscnt 0x0
	v_pk_mul_f32 v[22:23], v[18:19], v[16:17] op_sel:[1,1] op_sel_hi:[1,0]
	v_cmp_neq_f32_e32 vcc_lo, 0, v14
	v_cmp_neq_f32_e64 s5, 0, v15
	s_add_nc_u64 s[6:7], s[6:7], s[28:29]
	v_pk_fma_f32 v[20:21], v[18:19], v[16:17], v[22:23] op_sel_hi:[0,1,1] neg_lo:[0,0,1] neg_hi:[0,0,1]
	v_pk_fma_f32 v[16:17], v[18:19], v[16:17], v[22:23] op_sel_hi:[0,1,1]
	s_or_b32 s5, vcc_lo, s5
	s_delay_alu instid0(SALU_CYCLE_1)
	s_and_not1_b32 vcc_lo, exec_lo, s5
	s_cbranch_vccnz .LBB131_2
; %bb.30:                               ;   in Loop: Header=BB131_5 Depth=1
	global_load_b64 v[18:19], v3, s[6:7]
	s_wait_loadcnt 0x0
	v_pk_mul_f32 v[22:23], v[14:15], v[18:19] op_sel:[1,1] op_sel_hi:[0,1]
	s_delay_alu instid0(VALU_DEP_1) | instskip(SKIP_1) | instid1(VALU_DEP_2)
	v_pk_fma_f32 v[26:27], v[14:15], v[18:19], v[22:23] op_sel_hi:[1,0,1]
	v_pk_fma_f32 v[14:15], v[14:15], v[18:19], v[22:23] neg_lo:[0,0,1] neg_hi:[0,0,1]
	v_dual_mov_b32 v21, v17 :: v_dual_mov_b32 v15, v27
	s_delay_alu instid0(VALU_DEP_1) | instskip(NEXT) | instid1(VALU_DEP_1)
	v_pk_add_f32 v[20:21], v[20:21], v[14:15]
	v_mov_b32_e32 v17, v21
	s_branch .LBB131_2
.LBB131_31:
	s_endpgm
	.section	.rodata,"a",@progbits
	.p2align	6, 0x0
	.amdhsa_kernel _ZL32rocblas_gemvt_warp_reduce_kernelILb0ELi1024El19rocblas_complex_numIfEPKS1_S1_EviiT3_lPKT2_lT1_lS7_lS8_lS4_lPT4_lS8_li
		.amdhsa_group_segment_fixed_size 256
		.amdhsa_private_segment_fixed_size 0
		.amdhsa_kernarg_size 140
		.amdhsa_user_sgpr_count 2
		.amdhsa_user_sgpr_dispatch_ptr 0
		.amdhsa_user_sgpr_queue_ptr 0
		.amdhsa_user_sgpr_kernarg_segment_ptr 1
		.amdhsa_user_sgpr_dispatch_id 0
		.amdhsa_user_sgpr_kernarg_preload_length 0
		.amdhsa_user_sgpr_kernarg_preload_offset 0
		.amdhsa_user_sgpr_private_segment_size 0
		.amdhsa_wavefront_size32 1
		.amdhsa_uses_dynamic_stack 0
		.amdhsa_enable_private_segment 0
		.amdhsa_system_sgpr_workgroup_id_x 1
		.amdhsa_system_sgpr_workgroup_id_y 0
		.amdhsa_system_sgpr_workgroup_id_z 1
		.amdhsa_system_sgpr_workgroup_info 0
		.amdhsa_system_vgpr_workitem_id 0
		.amdhsa_next_free_vgpr 34
		.amdhsa_next_free_sgpr 52
		.amdhsa_named_barrier_count 0
		.amdhsa_reserve_vcc 1
		.amdhsa_float_round_mode_32 0
		.amdhsa_float_round_mode_16_64 0
		.amdhsa_float_denorm_mode_32 3
		.amdhsa_float_denorm_mode_16_64 3
		.amdhsa_fp16_overflow 0
		.amdhsa_memory_ordered 1
		.amdhsa_forward_progress 1
		.amdhsa_inst_pref_size 14
		.amdhsa_round_robin_scheduling 0
		.amdhsa_exception_fp_ieee_invalid_op 0
		.amdhsa_exception_fp_denorm_src 0
		.amdhsa_exception_fp_ieee_div_zero 0
		.amdhsa_exception_fp_ieee_overflow 0
		.amdhsa_exception_fp_ieee_underflow 0
		.amdhsa_exception_fp_ieee_inexact 0
		.amdhsa_exception_int_div_zero 0
	.end_amdhsa_kernel
	.section	.text._ZL32rocblas_gemvt_warp_reduce_kernelILb0ELi1024El19rocblas_complex_numIfEPKS1_S1_EviiT3_lPKT2_lT1_lS7_lS8_lS4_lPT4_lS8_li,"axG",@progbits,_ZL32rocblas_gemvt_warp_reduce_kernelILb0ELi1024El19rocblas_complex_numIfEPKS1_S1_EviiT3_lPKT2_lT1_lS7_lS8_lS4_lPT4_lS8_li,comdat
.Lfunc_end131:
	.size	_ZL32rocblas_gemvt_warp_reduce_kernelILb0ELi1024El19rocblas_complex_numIfEPKS1_S1_EviiT3_lPKT2_lT1_lS7_lS8_lS4_lPT4_lS8_li, .Lfunc_end131-_ZL32rocblas_gemvt_warp_reduce_kernelILb0ELi1024El19rocblas_complex_numIfEPKS1_S1_EviiT3_lPKT2_lT1_lS7_lS8_lS4_lPT4_lS8_li
                                        ; -- End function
	.set _ZL32rocblas_gemvt_warp_reduce_kernelILb0ELi1024El19rocblas_complex_numIfEPKS1_S1_EviiT3_lPKT2_lT1_lS7_lS8_lS4_lPT4_lS8_li.num_vgpr, 34
	.set _ZL32rocblas_gemvt_warp_reduce_kernelILb0ELi1024El19rocblas_complex_numIfEPKS1_S1_EviiT3_lPKT2_lT1_lS7_lS8_lS4_lPT4_lS8_li.num_agpr, 0
	.set _ZL32rocblas_gemvt_warp_reduce_kernelILb0ELi1024El19rocblas_complex_numIfEPKS1_S1_EviiT3_lPKT2_lT1_lS7_lS8_lS4_lPT4_lS8_li.numbered_sgpr, 52
	.set _ZL32rocblas_gemvt_warp_reduce_kernelILb0ELi1024El19rocblas_complex_numIfEPKS1_S1_EviiT3_lPKT2_lT1_lS7_lS8_lS4_lPT4_lS8_li.num_named_barrier, 0
	.set _ZL32rocblas_gemvt_warp_reduce_kernelILb0ELi1024El19rocblas_complex_numIfEPKS1_S1_EviiT3_lPKT2_lT1_lS7_lS8_lS4_lPT4_lS8_li.private_seg_size, 0
	.set _ZL32rocblas_gemvt_warp_reduce_kernelILb0ELi1024El19rocblas_complex_numIfEPKS1_S1_EviiT3_lPKT2_lT1_lS7_lS8_lS4_lPT4_lS8_li.uses_vcc, 1
	.set _ZL32rocblas_gemvt_warp_reduce_kernelILb0ELi1024El19rocblas_complex_numIfEPKS1_S1_EviiT3_lPKT2_lT1_lS7_lS8_lS4_lPT4_lS8_li.uses_flat_scratch, 0
	.set _ZL32rocblas_gemvt_warp_reduce_kernelILb0ELi1024El19rocblas_complex_numIfEPKS1_S1_EviiT3_lPKT2_lT1_lS7_lS8_lS4_lPT4_lS8_li.has_dyn_sized_stack, 0
	.set _ZL32rocblas_gemvt_warp_reduce_kernelILb0ELi1024El19rocblas_complex_numIfEPKS1_S1_EviiT3_lPKT2_lT1_lS7_lS8_lS4_lPT4_lS8_li.has_recursion, 0
	.set _ZL32rocblas_gemvt_warp_reduce_kernelILb0ELi1024El19rocblas_complex_numIfEPKS1_S1_EviiT3_lPKT2_lT1_lS7_lS8_lS4_lPT4_lS8_li.has_indirect_call, 0
	.section	.AMDGPU.csdata,"",@progbits
; Kernel info:
; codeLenInByte = 1752
; TotalNumSgprs: 54
; NumVgprs: 34
; ScratchSize: 0
; MemoryBound: 0
; FloatMode: 240
; IeeeMode: 1
; LDSByteSize: 256 bytes/workgroup (compile time only)
; SGPRBlocks: 0
; VGPRBlocks: 2
; NumSGPRsForWavesPerEU: 54
; NumVGPRsForWavesPerEU: 34
; NamedBarCnt: 0
; Occupancy: 16
; WaveLimiterHint : 0
; COMPUTE_PGM_RSRC2:SCRATCH_EN: 0
; COMPUTE_PGM_RSRC2:USER_SGPR: 2
; COMPUTE_PGM_RSRC2:TRAP_HANDLER: 0
; COMPUTE_PGM_RSRC2:TGID_X_EN: 1
; COMPUTE_PGM_RSRC2:TGID_Y_EN: 0
; COMPUTE_PGM_RSRC2:TGID_Z_EN: 1
; COMPUTE_PGM_RSRC2:TIDIG_COMP_CNT: 0
	.section	.text._ZL32rocblas_gemvt_warp_reduce_kernelILb0ELi1024Ei19rocblas_complex_numIfES1_S1_EviiT3_lPKT2_lT1_lS5_lS6_lS2_lPT4_lS6_li,"axG",@progbits,_ZL32rocblas_gemvt_warp_reduce_kernelILb0ELi1024Ei19rocblas_complex_numIfES1_S1_EviiT3_lPKT2_lT1_lS5_lS6_lS2_lPT4_lS6_li,comdat
	.globl	_ZL32rocblas_gemvt_warp_reduce_kernelILb0ELi1024Ei19rocblas_complex_numIfES1_S1_EviiT3_lPKT2_lT1_lS5_lS6_lS2_lPT4_lS6_li ; -- Begin function _ZL32rocblas_gemvt_warp_reduce_kernelILb0ELi1024Ei19rocblas_complex_numIfES1_S1_EviiT3_lPKT2_lT1_lS5_lS6_lS2_lPT4_lS6_li
	.p2align	8
	.type	_ZL32rocblas_gemvt_warp_reduce_kernelILb0ELi1024Ei19rocblas_complex_numIfES1_S1_EviiT3_lPKT2_lT1_lS5_lS6_lS2_lPT4_lS6_li,@function
_ZL32rocblas_gemvt_warp_reduce_kernelILb0ELi1024Ei19rocblas_complex_numIfES1_S1_EviiT3_lPKT2_lT1_lS5_lS6_lS2_lPT4_lS6_li: ; @_ZL32rocblas_gemvt_warp_reduce_kernelILb0ELi1024Ei19rocblas_complex_numIfES1_S1_EviiT3_lPKT2_lT1_lS5_lS6_lS2_lPT4_lS6_li
; %bb.0:
	s_load_b32 s33, s[0:1], 0x88
	s_bfe_u32 s2, ttmp6, 0x40014
	s_lshr_b32 s4, ttmp7, 16
	s_add_co_i32 s2, s2, 1
	s_bfe_u32 s5, ttmp6, 0x40008
	s_mul_i32 s2, s4, s2
	s_getreg_b32 s3, hwreg(HW_REG_IB_STS2, 6, 4)
	s_add_co_i32 s5, s5, s2
	s_cmp_eq_u32 s3, 0
	s_mov_b32 s25, 0
	s_cselect_b32 s24, s4, s5
	s_wait_kmcnt 0x0
	s_cmp_ge_u32 s24, s33
	s_cbranch_scc1 .LBB132_31
; %bb.1:
	s_clause 0x7
	s_load_b96 s[20:22], s[0:1], 0x40
	s_load_b128 s[16:19], s[0:1], 0x68
	s_load_b128 s[4:7], s[0:1], 0x18
	s_load_b64 s[26:27], s[0:1], 0x8
	s_load_b128 s[8:11], s[0:1], 0x50
	s_load_b128 s[12:15], s[0:1], 0x30
	s_load_b32 s23, s[0:1], 0x0
	s_load_b32 s36, s[0:1], 0x28
	v_dual_mov_b32 v3, 0 :: v_dual_bitop2_b32 v2, 31, v0 bitop3:0x40
	v_lshrrev_b32_e32 v6, 2, v0
	v_mov_b64_e32 v[4:5], 0
	s_delay_alu instid0(VALU_DEP_3) | instskip(NEXT) | instid1(VALU_DEP_3)
	v_lshlrev_b32_e32 v1, 3, v2
	v_and_b32_e32 v16, 0xf8, v6
	s_wait_kmcnt 0x0
	s_lshl_b64 s[34:35], s[20:21], 3
	s_lshl_b64 s[28:29], s[18:19], 3
	s_lshl_b64 s[30:31], s[6:7], 3
	s_cmp_neq_f32 s26, 0
	s_add_nc_u64 s[16:17], s[16:17], s[28:29]
	s_add_nc_u64 s[14:15], s[14:15], s[34:35]
	v_cmp_gt_i32_e32 vcc_lo, s23, v0
	s_cselect_b32 s2, -1, 0
	s_cmp_neq_f32 s27, 0
	s_clause 0x1
	s_load_b32 s37, s[0:1], 0x78
	s_load_b64 s[6:7], s[0:1], 0x80
	v_mul_lo_u32 v17, v0, s22
	s_wait_xcnt 0x0
	v_cmp_eq_u32_e64 s0, 0, v0
	s_cselect_b32 s18, -1, 0
	v_cmp_gt_u32_e64 s1, 32, v0
	s_or_b32 s40, s2, s18
	s_cmp_neq_f32 s10, 1.0
	v_cmp_eq_u32_e64 s2, 0, v2
	v_cndmask_b32_e32 v2, 0, v0, vcc_lo
	s_mov_b32 s18, s11
	s_cselect_b32 s41, -1, 0
	s_cmp_neq_f32 s11, 0
	s_mov_b32 s21, s26
	v_lshlrev_b32_e32 v2, 3, v2
	s_cselect_b32 s42, -1, 0
	s_or_b32 s19, s26, s27
	s_delay_alu instid0(SALU_CYCLE_1)
	s_and_b32 s20, s19, 0x7fffffff
	s_mov_b32 s19, s10
	s_cmp_eq_u32 s20, 0
	s_mov_b32 s20, s27
	s_cselect_b32 s38, -1, 0
	s_cmp_neq_f32 s10, 0
	s_cselect_b32 s34, -1, 0
	s_bfe_u32 s35, ttmp6, 0x4000c
	s_and_b32 s28, ttmp6, 15
	s_add_co_i32 s35, s35, 1
	s_or_b32 s39, s34, s42
	s_mul_i32 s29, ttmp9, s35
	s_delay_alu instid0(SALU_CYCLE_1)
	s_add_co_i32 s28, s28, s29
	s_cmp_eq_u32 s3, 0
	s_cselect_b32 s3, ttmp9, s28
	s_ashr_i32 s34, s23, 31
	s_add_nc_u64 s[28:29], s[4:5], s[30:31]
	s_lshr_b32 s34, s34, 22
	v_add_nc_u64_e32 v[8:9], s[28:29], v[2:3]
	s_add_co_i32 s28, s23, s34
	s_mul_i32 s34, s36, s3
	s_and_b32 s28, s28, 0xfffffc00
	s_ashr_i32 s35, s34, 31
	v_or_b32_e32 v7, s28, v0
	s_lshl_b64 s[34:35], s[34:35], 3
	s_wait_kmcnt 0x0
	s_mul_i32 s36, s37, s3
	s_add_nc_u64 s[30:31], s[30:31], s[34:35]
	v_add_nc_u64_e32 v[8:9], s[34:35], v[8:9]
	v_mul_lo_u32 v6, s22, v7
	s_add_nc_u64 s[4:5], s[4:5], s[30:31]
	v_cmp_gt_i32_e64 s3, s28, v0
	v_add_nc_u64_e32 v[10:11], s[4:5], v[2:3]
	v_cmp_gt_i32_e64 s4, s23, v7
	v_mbcnt_lo_u32_b32 v2, -1, 0
	s_or_b32 s29, s40, s41
	s_ashr_i32 s37, s36, 31
	s_or_b32 s40, s29, s42
	s_ashr_i32 s29, s28, 31
	s_lshl_b32 s5, s22, 10
	v_ashrrev_i32_e32 v7, 31, v6
	s_lshl_b64 s[22:23], s[12:13], 3
	s_lshl_b64 s[30:31], s[36:37], 3
	s_branch .LBB132_5
.LBB132_2:                              ;   in Loop: Header=BB132_5 Depth=1
	s_delay_alu instid0(VALU_DEP_1)
	v_mov_b32_e32 v15, v13
	global_store_b64 v3, v[14:15], s[34:35]
.LBB132_3:                              ;   in Loop: Header=BB132_5 Depth=1
	s_wait_xcnt 0x0
	s_or_b32 exec_lo, exec_lo, s36
.LBB132_4:                              ;   in Loop: Header=BB132_5 Depth=1
	s_add_co_i32 s24, s24, 0x10000
	s_delay_alu instid0(SALU_CYCLE_1)
	s_cmp_lt_u32 s24, s33
	s_cbranch_scc0 .LBB132_31
.LBB132_5:                              ; =>This Loop Header: Depth=1
                                        ;     Child Loop BB132_24 Depth 2
	s_and_not1_b32 vcc_lo, exec_lo, s40
	s_cbranch_vccnz .LBB132_4
; %bb.6:                                ;   in Loop: Header=BB132_5 Depth=1
	s_mul_u64 s[34:35], s[6:7], s[24:25]
	s_and_not1_b32 vcc_lo, exec_lo, s38
	s_lshl_b64 s[34:35], s[34:35], 3
	s_mov_b32 s36, -1
	s_add_nc_u64 s[34:35], s[16:17], s[34:35]
	s_cbranch_vccnz .LBB132_13
; %bb.7:                                ;   in Loop: Header=BB132_5 Depth=1
	s_and_saveexec_b32 s36, s0
	s_cbranch_execz .LBB132_12
; %bb.8:                                ;   in Loop: Header=BB132_5 Depth=1
	s_and_not1_b32 vcc_lo, exec_lo, s39
	s_cbranch_vccnz .LBB132_10
; %bb.9:                                ;   in Loop: Header=BB132_5 Depth=1
	s_add_nc_u64 s[42:43], s[34:35], s[30:31]
	v_mov_b64_e32 v[14:15], s[18:19]
	s_wait_dscnt 0x0
	global_load_b64 v[12:13], v3, s[42:43]
	v_mov_b64_e32 v[18:19], s[10:11]
	s_wait_loadcnt 0x0
	v_pk_mul_f32 v[14:15], v[14:15], v[12:13] op_sel:[0,1]
	s_delay_alu instid0(VALU_DEP_1) | instskip(SKIP_1) | instid1(VALU_DEP_2)
	v_pk_fma_f32 v[20:21], v[18:19], v[12:13], v[14:15] op_sel_hi:[1,0,1]
	v_pk_fma_f32 v[12:13], v[18:19], v[12:13], v[14:15] neg_lo:[0,0,1] neg_hi:[0,0,1]
	v_mov_b32_e32 v13, v21
	s_branch .LBB132_11
.LBB132_10:                             ;   in Loop: Header=BB132_5 Depth=1
	s_wait_dscnt 0x0
	v_dual_mov_b32 v13, 0 :: v_dual_mov_b32 v12, 0
.LBB132_11:                             ;   in Loop: Header=BB132_5 Depth=1
	s_wait_xcnt 0x0
	s_add_nc_u64 s[42:43], s[34:35], s[30:31]
	global_store_b64 v3, v[12:13], s[42:43]
.LBB132_12:                             ;   in Loop: Header=BB132_5 Depth=1
	s_wait_xcnt 0x0
	s_or_b32 exec_lo, exec_lo, s36
	s_mov_b32 s36, 0
.LBB132_13:                             ;   in Loop: Header=BB132_5 Depth=1
	s_delay_alu instid0(SALU_CYCLE_1)
	s_and_not1_b32 vcc_lo, exec_lo, s36
	s_cbranch_vccnz .LBB132_4
; %bb.14:                               ;   in Loop: Header=BB132_5 Depth=1
	s_wait_dscnt 0x0
	v_mov_b64_e32 v[12:13], 0
	s_mul_u64 s[36:37], s[8:9], s[24:25]
	s_delay_alu instid0(SALU_CYCLE_1) | instskip(NEXT) | instid1(SALU_CYCLE_1)
	s_lshl_b64 s[36:37], s[36:37], 3
	s_add_nc_u64 s[36:37], s[14:15], s[36:37]
	s_and_saveexec_b32 s41, s3
	s_cbranch_execnz .LBB132_23
; %bb.15:                               ;   in Loop: Header=BB132_5 Depth=1
	s_or_b32 exec_lo, exec_lo, s41
	s_and_saveexec_b32 s41, s4
	s_cbranch_execnz .LBB132_26
.LBB132_16:                             ;   in Loop: Header=BB132_5 Depth=1
	s_or_b32 exec_lo, exec_lo, s41
	s_and_saveexec_b32 s36, s1
.LBB132_17:                             ;   in Loop: Header=BB132_5 Depth=1
	ds_store_b64 v1, v[4:5]
.LBB132_18:                             ;   in Loop: Header=BB132_5 Depth=1
	s_or_b32 exec_lo, exec_lo, s36
	v_lshl_or_b32 v18, v2, 2, 64
	v_cmp_gt_u32_e32 vcc_lo, 24, v2
	s_wait_storecnt_dscnt 0x0
	s_barrier_signal -1
	s_barrier_wait -1
	ds_bpermute_b32 v14, v18, v12
	ds_bpermute_b32 v15, v18, v13
	v_cndmask_b32_e64 v19, 0, 8, vcc_lo
	v_cmp_gt_u32_e32 vcc_lo, 28, v2
	s_wait_dscnt 0x0
	s_delay_alu instid0(VALU_DEP_2) | instskip(SKIP_2) | instid1(VALU_DEP_2)
	v_add_lshl_u32 v19, v19, v2, 2
	v_cndmask_b32_e64 v20, 0, 4, vcc_lo
	v_cmp_gt_u32_e32 vcc_lo, 30, v2
	v_add_lshl_u32 v20, v20, v2, 2
	v_cndmask_b32_e64 v21, 0, 2, vcc_lo
	v_cmp_ne_u32_e32 vcc_lo, 31, v2
	s_delay_alu instid0(VALU_DEP_2) | instskip(SKIP_2) | instid1(VALU_DEP_2)
	v_add_lshl_u32 v21, v21, v2, 2
	v_add_co_ci_u32_e64 v22, null, 0, v2, vcc_lo
	v_pk_add_f32 v[12:13], v[12:13], v[14:15]
	v_lshlrev_b32_e32 v22, 2, v22
	ds_bpermute_b32 v14, v19, v12
	ds_bpermute_b32 v15, v19, v13
	s_wait_dscnt 0x0
	v_pk_add_f32 v[12:13], v[12:13], v[14:15]
	ds_bpermute_b32 v14, v20, v12
	ds_bpermute_b32 v15, v20, v13
	s_wait_dscnt 0x0
	v_pk_add_f32 v[12:13], v[12:13], v[14:15]
	;; [unrolled: 4-line block ×3, first 2 shown]
	ds_bpermute_b32 v14, v22, v12
	ds_bpermute_b32 v15, v22, v13
	s_and_saveexec_b32 s36, s2
	s_cbranch_execz .LBB132_20
; %bb.19:                               ;   in Loop: Header=BB132_5 Depth=1
	s_wait_dscnt 0x0
	v_pk_add_f32 v[12:13], v[12:13], v[14:15]
	ds_store_b64 v16, v[12:13]
.LBB132_20:                             ;   in Loop: Header=BB132_5 Depth=1
	s_or_b32 exec_lo, exec_lo, s36
	v_mov_b64_e32 v[12:13], 0
	s_wait_dscnt 0x0
	s_barrier_signal -1
	s_barrier_wait -1
	s_and_saveexec_b32 s36, s1
	s_cbranch_execnz .LBB132_27
; %bb.21:                               ;   in Loop: Header=BB132_5 Depth=1
	s_or_b32 exec_lo, exec_lo, s36
	s_and_saveexec_b32 s36, s1
	s_cbranch_execnz .LBB132_28
.LBB132_22:                             ;   in Loop: Header=BB132_5 Depth=1
	s_or_b32 exec_lo, exec_lo, s36
	s_and_saveexec_b32 s36, s0
	s_cbranch_execz .LBB132_3
	s_branch .LBB132_29
.LBB132_23:                             ;   in Loop: Header=BB132_5 Depth=1
	v_mad_nc_u64_u32 v[14:15], s22, s24, v[10:11]
	v_dual_mov_b32 v12, 0 :: v_dual_mov_b32 v18, v0
	v_mov_b32_e32 v19, v17
	s_mov_b32 s42, 0
	s_delay_alu instid0(VALU_DEP_2) | instskip(NEXT) | instid1(VALU_DEP_4)
	v_mov_b32_e32 v13, v12
	v_mad_u32 v15, s23, s24, v15
.LBB132_24:                             ;   Parent Loop BB132_5 Depth=1
                                        ; =>  This Inner Loop Header: Depth=2
	global_load_b64 v[20:21], v[14:15], off
	global_load_b64 v[22:23], v19, s[36:37] scale_offset
	s_wait_xcnt 0x1
	v_add_nc_u64_e32 v[14:15], 0x2000, v[14:15]
	s_wait_xcnt 0x0
	v_add_nc_u32_e32 v19, s5, v19
	s_wait_loadcnt 0x0
	v_pk_mul_f32 v[24:25], v[22:23], v[20:21] op_sel:[1,1] op_sel_hi:[0,1]
	s_delay_alu instid0(VALU_DEP_1) | instskip(SKIP_2) | instid1(VALU_DEP_3)
	v_pk_fma_f32 v[26:27], v[22:23], v[20:21], v[24:25] op_sel_hi:[1,0,1]
	v_add_nc_u32_e32 v18, 0x400, v18
	v_pk_fma_f32 v[20:21], v[22:23], v[20:21], v[24:25] neg_lo:[0,0,1] neg_hi:[0,0,1]
	v_mov_b32_e32 v21, v27
	s_delay_alu instid0(VALU_DEP_3) | instskip(NEXT) | instid1(VALU_DEP_2)
	v_cmp_le_i32_e32 vcc_lo, s28, v18
	v_pk_add_f32 v[12:13], v[12:13], v[20:21]
	s_or_b32 s42, vcc_lo, s42
	s_delay_alu instid0(SALU_CYCLE_1)
	s_and_not1_b32 exec_lo, exec_lo, s42
	s_cbranch_execnz .LBB132_24
; %bb.25:                               ;   in Loop: Header=BB132_5 Depth=1
	s_or_b32 exec_lo, exec_lo, s42
	s_delay_alu instid0(SALU_CYCLE_1)
	s_or_b32 exec_lo, exec_lo, s41
	s_and_saveexec_b32 s41, s4
	s_cbranch_execz .LBB132_16
.LBB132_26:                             ;   in Loop: Header=BB132_5 Depth=1
	s_mul_u64 s[42:43], s[12:13], s[24:25]
	v_lshl_add_u64 v[18:19], v[6:7], 3, s[36:37]
	v_lshl_add_u64 v[14:15], s[42:43], 3, v[8:9]
	s_delay_alu instid0(VALU_DEP_1)
	v_lshl_add_u64 v[14:15], s[28:29], 3, v[14:15]
	global_load_b64 v[20:21], v[14:15], off
	global_load_b64 v[22:23], v[18:19], off
	s_wait_loadcnt 0x0
	s_wait_xcnt 0x1
	v_pk_mul_f32 v[14:15], v[22:23], v[20:21] op_sel:[1,1] op_sel_hi:[0,1]
	s_wait_xcnt 0x0
	s_delay_alu instid0(VALU_DEP_1) | instskip(SKIP_1) | instid1(VALU_DEP_2)
	v_pk_fma_f32 v[18:19], v[22:23], v[20:21], v[14:15] op_sel_hi:[1,0,1]
	v_pk_fma_f32 v[14:15], v[22:23], v[20:21], v[14:15] neg_lo:[0,0,1] neg_hi:[0,0,1]
	v_mov_b32_e32 v15, v19
	s_delay_alu instid0(VALU_DEP_1)
	v_pk_add_f32 v[12:13], v[12:13], v[14:15]
	s_or_b32 exec_lo, exec_lo, s41
	s_and_saveexec_b32 s36, s1
	s_cbranch_execnz .LBB132_17
	s_branch .LBB132_18
.LBB132_27:                             ;   in Loop: Header=BB132_5 Depth=1
	ds_load_b64 v[12:13], v1
	s_or_b32 exec_lo, exec_lo, s36
	s_and_saveexec_b32 s36, s1
	s_cbranch_execz .LBB132_22
.LBB132_28:                             ;   in Loop: Header=BB132_5 Depth=1
	s_wait_dscnt 0x0
	ds_bpermute_b32 v14, v18, v12
	ds_bpermute_b32 v15, v18, v13
	s_wait_dscnt 0x0
	v_pk_add_f32 v[12:13], v[12:13], v[14:15]
	ds_bpermute_b32 v14, v19, v12
	ds_bpermute_b32 v15, v19, v13
	s_wait_dscnt 0x0
	v_pk_add_f32 v[12:13], v[12:13], v[14:15]
	;; [unrolled: 4-line block ×5, first 2 shown]
	s_or_b32 exec_lo, exec_lo, s36
	s_and_saveexec_b32 s36, s0
	s_cbranch_execz .LBB132_3
.LBB132_29:                             ;   in Loop: Header=BB132_5 Depth=1
	v_mov_b64_e32 v[14:15], s[20:21]
	v_mov_b64_e32 v[18:19], s[26:27]
	s_and_not1_b32 vcc_lo, exec_lo, s39
	s_add_nc_u64 s[34:35], s[34:35], s[30:31]
	s_wait_dscnt 0x0
	s_delay_alu instid0(VALU_DEP_2) | instskip(NEXT) | instid1(VALU_DEP_1)
	v_pk_mul_f32 v[20:21], v[12:13], v[14:15] op_sel:[1,0]
	v_pk_fma_f32 v[14:15], v[12:13], v[18:19], v[20:21] op_sel_hi:[0,1,1] neg_lo:[0,0,1] neg_hi:[0,0,1]
	v_pk_fma_f32 v[12:13], v[12:13], v[18:19], v[20:21] op_sel_hi:[0,1,1]
	s_cbranch_vccnz .LBB132_2
; %bb.30:                               ;   in Loop: Header=BB132_5 Depth=1
	global_load_b64 v[18:19], v3, s[34:35]
	v_mov_b64_e32 v[20:21], s[18:19]
	v_mov_b64_e32 v[22:23], s[10:11]
	s_wait_loadcnt 0x0
	s_delay_alu instid0(VALU_DEP_2) | instskip(NEXT) | instid1(VALU_DEP_1)
	v_pk_mul_f32 v[20:21], v[20:21], v[18:19] op_sel:[0,1]
	v_pk_fma_f32 v[24:25], v[22:23], v[18:19], v[20:21] op_sel_hi:[1,0,1]
	v_mov_b32_e32 v15, v13
	v_pk_fma_f32 v[12:13], v[22:23], v[18:19], v[20:21] neg_lo:[0,0,1] neg_hi:[0,0,1]
	s_delay_alu instid0(VALU_DEP_3) | instskip(NEXT) | instid1(VALU_DEP_1)
	v_mov_b32_e32 v13, v25
	v_pk_add_f32 v[14:15], v[14:15], v[12:13]
	s_delay_alu instid0(VALU_DEP_1)
	v_mov_b32_e32 v13, v15
	s_branch .LBB132_2
.LBB132_31:
	s_endpgm
	.section	.rodata,"a",@progbits
	.p2align	6, 0x0
	.amdhsa_kernel _ZL32rocblas_gemvt_warp_reduce_kernelILb0ELi1024Ei19rocblas_complex_numIfES1_S1_EviiT3_lPKT2_lT1_lS5_lS6_lS2_lPT4_lS6_li
		.amdhsa_group_segment_fixed_size 256
		.amdhsa_private_segment_fixed_size 0
		.amdhsa_kernarg_size 140
		.amdhsa_user_sgpr_count 2
		.amdhsa_user_sgpr_dispatch_ptr 0
		.amdhsa_user_sgpr_queue_ptr 0
		.amdhsa_user_sgpr_kernarg_segment_ptr 1
		.amdhsa_user_sgpr_dispatch_id 0
		.amdhsa_user_sgpr_kernarg_preload_length 0
		.amdhsa_user_sgpr_kernarg_preload_offset 0
		.amdhsa_user_sgpr_private_segment_size 0
		.amdhsa_wavefront_size32 1
		.amdhsa_uses_dynamic_stack 0
		.amdhsa_enable_private_segment 0
		.amdhsa_system_sgpr_workgroup_id_x 1
		.amdhsa_system_sgpr_workgroup_id_y 0
		.amdhsa_system_sgpr_workgroup_id_z 1
		.amdhsa_system_sgpr_workgroup_info 0
		.amdhsa_system_vgpr_workitem_id 0
		.amdhsa_next_free_vgpr 28
		.amdhsa_next_free_sgpr 44
		.amdhsa_named_barrier_count 0
		.amdhsa_reserve_vcc 1
		.amdhsa_float_round_mode_32 0
		.amdhsa_float_round_mode_16_64 0
		.amdhsa_float_denorm_mode_32 3
		.amdhsa_float_denorm_mode_16_64 3
		.amdhsa_fp16_overflow 0
		.amdhsa_memory_ordered 1
		.amdhsa_forward_progress 1
		.amdhsa_inst_pref_size 14
		.amdhsa_round_robin_scheduling 0
		.amdhsa_exception_fp_ieee_invalid_op 0
		.amdhsa_exception_fp_denorm_src 0
		.amdhsa_exception_fp_ieee_div_zero 0
		.amdhsa_exception_fp_ieee_overflow 0
		.amdhsa_exception_fp_ieee_underflow 0
		.amdhsa_exception_fp_ieee_inexact 0
		.amdhsa_exception_int_div_zero 0
	.end_amdhsa_kernel
	.section	.text._ZL32rocblas_gemvt_warp_reduce_kernelILb0ELi1024Ei19rocblas_complex_numIfES1_S1_EviiT3_lPKT2_lT1_lS5_lS6_lS2_lPT4_lS6_li,"axG",@progbits,_ZL32rocblas_gemvt_warp_reduce_kernelILb0ELi1024Ei19rocblas_complex_numIfES1_S1_EviiT3_lPKT2_lT1_lS5_lS6_lS2_lPT4_lS6_li,comdat
.Lfunc_end132:
	.size	_ZL32rocblas_gemvt_warp_reduce_kernelILb0ELi1024Ei19rocblas_complex_numIfES1_S1_EviiT3_lPKT2_lT1_lS5_lS6_lS2_lPT4_lS6_li, .Lfunc_end132-_ZL32rocblas_gemvt_warp_reduce_kernelILb0ELi1024Ei19rocblas_complex_numIfES1_S1_EviiT3_lPKT2_lT1_lS5_lS6_lS2_lPT4_lS6_li
                                        ; -- End function
	.set _ZL32rocblas_gemvt_warp_reduce_kernelILb0ELi1024Ei19rocblas_complex_numIfES1_S1_EviiT3_lPKT2_lT1_lS5_lS6_lS2_lPT4_lS6_li.num_vgpr, 28
	.set _ZL32rocblas_gemvt_warp_reduce_kernelILb0ELi1024Ei19rocblas_complex_numIfES1_S1_EviiT3_lPKT2_lT1_lS5_lS6_lS2_lPT4_lS6_li.num_agpr, 0
	.set _ZL32rocblas_gemvt_warp_reduce_kernelILb0ELi1024Ei19rocblas_complex_numIfES1_S1_EviiT3_lPKT2_lT1_lS5_lS6_lS2_lPT4_lS6_li.numbered_sgpr, 44
	.set _ZL32rocblas_gemvt_warp_reduce_kernelILb0ELi1024Ei19rocblas_complex_numIfES1_S1_EviiT3_lPKT2_lT1_lS5_lS6_lS2_lPT4_lS6_li.num_named_barrier, 0
	.set _ZL32rocblas_gemvt_warp_reduce_kernelILb0ELi1024Ei19rocblas_complex_numIfES1_S1_EviiT3_lPKT2_lT1_lS5_lS6_lS2_lPT4_lS6_li.private_seg_size, 0
	.set _ZL32rocblas_gemvt_warp_reduce_kernelILb0ELi1024Ei19rocblas_complex_numIfES1_S1_EviiT3_lPKT2_lT1_lS5_lS6_lS2_lPT4_lS6_li.uses_vcc, 1
	.set _ZL32rocblas_gemvt_warp_reduce_kernelILb0ELi1024Ei19rocblas_complex_numIfES1_S1_EviiT3_lPKT2_lT1_lS5_lS6_lS2_lPT4_lS6_li.uses_flat_scratch, 0
	.set _ZL32rocblas_gemvt_warp_reduce_kernelILb0ELi1024Ei19rocblas_complex_numIfES1_S1_EviiT3_lPKT2_lT1_lS5_lS6_lS2_lPT4_lS6_li.has_dyn_sized_stack, 0
	.set _ZL32rocblas_gemvt_warp_reduce_kernelILb0ELi1024Ei19rocblas_complex_numIfES1_S1_EviiT3_lPKT2_lT1_lS5_lS6_lS2_lPT4_lS6_li.has_recursion, 0
	.set _ZL32rocblas_gemvt_warp_reduce_kernelILb0ELi1024Ei19rocblas_complex_numIfES1_S1_EviiT3_lPKT2_lT1_lS5_lS6_lS2_lPT4_lS6_li.has_indirect_call, 0
	.section	.AMDGPU.csdata,"",@progbits
; Kernel info:
; codeLenInByte = 1752
; TotalNumSgprs: 46
; NumVgprs: 28
; ScratchSize: 0
; MemoryBound: 0
; FloatMode: 240
; IeeeMode: 1
; LDSByteSize: 256 bytes/workgroup (compile time only)
; SGPRBlocks: 0
; VGPRBlocks: 1
; NumSGPRsForWavesPerEU: 46
; NumVGPRsForWavesPerEU: 28
; NamedBarCnt: 0
; Occupancy: 16
; WaveLimiterHint : 1
; COMPUTE_PGM_RSRC2:SCRATCH_EN: 0
; COMPUTE_PGM_RSRC2:USER_SGPR: 2
; COMPUTE_PGM_RSRC2:TRAP_HANDLER: 0
; COMPUTE_PGM_RSRC2:TGID_X_EN: 1
; COMPUTE_PGM_RSRC2:TGID_Y_EN: 0
; COMPUTE_PGM_RSRC2:TGID_Z_EN: 1
; COMPUTE_PGM_RSRC2:TIDIG_COMP_CNT: 0
	.section	.text._ZL32rocblas_gemvt_warp_reduce_kernelILb0ELi1024El19rocblas_complex_numIfES1_S1_EviiT3_lPKT2_lT1_lS5_lS6_lS2_lPT4_lS6_li,"axG",@progbits,_ZL32rocblas_gemvt_warp_reduce_kernelILb0ELi1024El19rocblas_complex_numIfES1_S1_EviiT3_lPKT2_lT1_lS5_lS6_lS2_lPT4_lS6_li,comdat
	.globl	_ZL32rocblas_gemvt_warp_reduce_kernelILb0ELi1024El19rocblas_complex_numIfES1_S1_EviiT3_lPKT2_lT1_lS5_lS6_lS2_lPT4_lS6_li ; -- Begin function _ZL32rocblas_gemvt_warp_reduce_kernelILb0ELi1024El19rocblas_complex_numIfES1_S1_EviiT3_lPKT2_lT1_lS5_lS6_lS2_lPT4_lS6_li
	.p2align	8
	.type	_ZL32rocblas_gemvt_warp_reduce_kernelILb0ELi1024El19rocblas_complex_numIfES1_S1_EviiT3_lPKT2_lT1_lS5_lS6_lS2_lPT4_lS6_li,@function
_ZL32rocblas_gemvt_warp_reduce_kernelILb0ELi1024El19rocblas_complex_numIfES1_S1_EviiT3_lPKT2_lT1_lS5_lS6_lS2_lPT4_lS6_li: ; @_ZL32rocblas_gemvt_warp_reduce_kernelILb0ELi1024El19rocblas_complex_numIfES1_S1_EviiT3_lPKT2_lT1_lS5_lS6_lS2_lPT4_lS6_li
; %bb.0:
	s_load_b32 s5, s[0:1], 0x88
	s_bfe_u32 s2, ttmp6, 0x40014
	s_lshr_b32 s3, ttmp7, 16
	s_add_co_i32 s2, s2, 1
	s_bfe_u32 s6, ttmp6, 0x40008
	s_mul_i32 s4, s3, s2
	s_getreg_b32 s2, hwreg(HW_REG_IB_STS2, 6, 4)
	s_add_co_i32 s6, s6, s4
	s_cmp_eq_u32 s2, 0
	s_mov_b32 s7, 0
	s_cselect_b32 s6, s3, s6
	s_wait_kmcnt 0x0
	s_cmp_ge_u32 s6, s5
	s_cbranch_scc1 .LBB133_31
; %bb.1:
	s_clause 0x3
	s_load_b512 s[8:23], s[0:1], 0x18
	s_load_b256 s[24:31], s[0:1], 0x68
	s_load_b64 s[34:35], s[0:1], 0x8
	s_load_b64 s[36:37], s[0:1], 0x58
	v_mov_b64_e32 v[12:13], 0
	s_wait_kmcnt 0x0
	s_lshl_b64 s[18:19], s[18:19], 3
	s_lshl_b64 s[38:39], s[26:27], 3
	;; [unrolled: 1-line block ×3, first 2 shown]
	s_cmp_neq_f32 s34, 0
	s_add_nc_u64 s[16:17], s[16:17], s[18:19]
	s_add_nc_u64 s[18:19], s[24:25], s[38:39]
	s_cselect_b32 s3, -1, 0
	s_cmp_neq_f32 s35, 0
	s_cselect_b32 s4, -1, 0
	s_delay_alu instid0(SALU_CYCLE_1)
	s_or_b32 s41, s3, s4
	s_cmp_neq_f32 s36, 1.0
	s_load_b32 s4, s[0:1], 0x0
	s_cselect_b32 s42, -1, 0
	s_cmp_neq_f32 s37, 0
	s_cselect_b32 s43, -1, 0
	s_or_b32 s3, s34, s35
	s_delay_alu instid0(SALU_CYCLE_1) | instskip(NEXT) | instid1(SALU_CYCLE_1)
	s_bitset0_b32 s3, 31
	s_cmp_eq_u32 s3, 0
	s_cselect_b32 s33, -1, 0
	s_cmp_neq_f32 s36, 0
	s_wait_xcnt 0x0
	s_cselect_b32 s0, -1, 0
	s_bfe_u32 s1, ttmp6, 0x4000c
	s_and_b32 s3, ttmp6, 15
	s_add_co_i32 s1, s1, 1
	s_or_b32 s40, s0, s43
	s_mul_i32 s1, ttmp9, s1
	s_wait_kmcnt 0x0
	v_cmp_gt_i32_e32 vcc_lo, s4, v0
	s_add_co_i32 s3, s3, s1
	s_cmp_eq_u32 s2, 0
	v_mov_b32_e32 v3, 0
	s_cselect_b32 s2, ttmp9, s3
	s_ashr_i32 s0, s4, 31
	v_cndmask_b32_e32 v2, 0, v0, vcc_lo
	s_lshr_b32 s0, s0, 22
	v_mov_b32_e32 v1, v3
	s_add_co_i32 s0, s4, s0
	s_ashr_i32 s3, s2, 31
	s_and_b32 s10, s0, 0xfffffc00
	s_delay_alu instid0(SALU_CYCLE_1) | instskip(SKIP_3) | instid1(VALU_DEP_2)
	v_dual_lshlrev_b32 v2, 3, v2 :: v_dual_bitop2_b32 v8, s10, v0 bitop3:0x54
	v_mul_u64_e32 v[10:11], s[20:21], v[0:1]
	s_add_nc_u64 s[0:1], s[8:9], s[26:27]
	s_mul_u64 s[12:13], s[12:13], s[2:3]
	v_add_nc_u64_e32 v[6:7], s[0:1], v[2:3]
	v_ashrrev_i32_e32 v9, 31, v8
	s_lshl_b64 s[24:25], s[12:13], 3
	s_mul_u64 s[28:29], s[28:29], s[2:3]
	s_add_nc_u64 s[26:27], s[24:25], s[26:27]
	v_cmp_eq_u32_e64 s0, 0, v0
	v_mul_u64_e32 v[4:5], s[20:21], v[8:9]
	v_and_b32_e32 v9, 31, v0
	s_add_nc_u64 s[8:9], s[8:9], s[26:27]
	v_add_nc_u64_e32 v[6:7], s[24:25], v[6:7]
	v_cmp_gt_i32_e64 s1, s10, v0
	v_cmp_gt_u32_e64 s3, 32, v0
	v_lshlrev_b32_e32 v1, 3, v9
	v_cmp_gt_i32_e64 s2, s4, v8
	v_lshrrev_b32_e32 v8, 2, v0
	v_cmp_eq_u32_e64 s4, 0, v9
	s_or_b32 s38, s41, s42
	s_ashr_i32 s11, s10, 31
	s_mov_b32 s12, s37
	v_and_b32_e32 v20, 0xf8, v8
	v_add_nc_u64_e32 v[8:9], s[8:9], v[2:3]
	v_mbcnt_lo_u32_b32 v2, -1, 0
	s_mov_b32 s13, s36
	s_mov_b32 s24, s35
	;; [unrolled: 1-line block ×3, first 2 shown]
	s_lshl_b64 s[8:9], s[14:15], 3
	s_or_b32 s41, s38, s43
	s_lshl_b64 s[26:27], s[22:23], 3
	s_lshl_b64 s[20:21], s[20:21], 13
	v_lshl_add_u64 v[10:11], v[10:11], 3, s[16:17]
	s_lshl_b64 s[28:29], s[28:29], 3
	s_branch .LBB133_5
.LBB133_2:                              ;   in Loop: Header=BB133_5 Depth=1
	s_delay_alu instid0(VALU_DEP_1)
	v_mov_b32_e32 v17, v15
	global_store_b64 v3, v[16:17], s[38:39]
.LBB133_3:                              ;   in Loop: Header=BB133_5 Depth=1
	s_wait_xcnt 0x0
	s_or_b32 exec_lo, exec_lo, s42
.LBB133_4:                              ;   in Loop: Header=BB133_5 Depth=1
	s_add_co_i32 s6, s6, 0x10000
	s_delay_alu instid0(SALU_CYCLE_1)
	s_cmp_lt_u32 s6, s5
	s_cbranch_scc0 .LBB133_31
.LBB133_5:                              ; =>This Loop Header: Depth=1
                                        ;     Child Loop BB133_24 Depth 2
	s_and_not1_b32 vcc_lo, exec_lo, s41
	s_cbranch_vccnz .LBB133_4
; %bb.6:                                ;   in Loop: Header=BB133_5 Depth=1
	s_mul_u64 s[38:39], s[30:31], s[6:7]
	s_and_not1_b32 vcc_lo, exec_lo, s33
	s_lshl_b64 s[38:39], s[38:39], 3
	s_mov_b32 s42, -1
	s_add_nc_u64 s[38:39], s[18:19], s[38:39]
	s_cbranch_vccnz .LBB133_13
; %bb.7:                                ;   in Loop: Header=BB133_5 Depth=1
	s_and_saveexec_b32 s42, s0
	s_cbranch_execz .LBB133_12
; %bb.8:                                ;   in Loop: Header=BB133_5 Depth=1
	s_and_not1_b32 vcc_lo, exec_lo, s40
	s_cbranch_vccnz .LBB133_10
; %bb.9:                                ;   in Loop: Header=BB133_5 Depth=1
	s_add_nc_u64 s[44:45], s[38:39], s[28:29]
	v_mov_b64_e32 v[16:17], s[12:13]
	s_wait_dscnt 0x0
	global_load_b64 v[14:15], v3, s[44:45]
	v_mov_b64_e32 v[18:19], s[36:37]
	s_wait_loadcnt 0x0
	v_pk_mul_f32 v[16:17], v[16:17], v[14:15] op_sel:[0,1]
	s_delay_alu instid0(VALU_DEP_1) | instskip(SKIP_1) | instid1(VALU_DEP_2)
	v_pk_fma_f32 v[22:23], v[18:19], v[14:15], v[16:17] op_sel_hi:[1,0,1]
	v_pk_fma_f32 v[14:15], v[18:19], v[14:15], v[16:17] neg_lo:[0,0,1] neg_hi:[0,0,1]
	v_mov_b32_e32 v15, v23
	s_branch .LBB133_11
.LBB133_10:                             ;   in Loop: Header=BB133_5 Depth=1
	s_wait_dscnt 0x0
	v_dual_mov_b32 v15, 0 :: v_dual_mov_b32 v14, 0
.LBB133_11:                             ;   in Loop: Header=BB133_5 Depth=1
	s_wait_xcnt 0x0
	s_add_nc_u64 s[44:45], s[38:39], s[28:29]
	global_store_b64 v3, v[14:15], s[44:45]
.LBB133_12:                             ;   in Loop: Header=BB133_5 Depth=1
	s_wait_xcnt 0x0
	s_or_b32 exec_lo, exec_lo, s42
	s_mov_b32 s42, 0
.LBB133_13:                             ;   in Loop: Header=BB133_5 Depth=1
	s_delay_alu instid0(SALU_CYCLE_1)
	s_and_not1_b32 vcc_lo, exec_lo, s42
	s_cbranch_vccnz .LBB133_4
; %bb.14:                               ;   in Loop: Header=BB133_5 Depth=1
	s_wait_dscnt 0x0
	v_mov_b64_e32 v[14:15], 0
	s_and_saveexec_b32 s42, s1
	s_cbranch_execnz .LBB133_23
; %bb.15:                               ;   in Loop: Header=BB133_5 Depth=1
	s_or_b32 exec_lo, exec_lo, s42
	s_and_saveexec_b32 s42, s2
	s_cbranch_execnz .LBB133_26
.LBB133_16:                             ;   in Loop: Header=BB133_5 Depth=1
	s_or_b32 exec_lo, exec_lo, s42
	s_and_saveexec_b32 s42, s3
.LBB133_17:                             ;   in Loop: Header=BB133_5 Depth=1
	ds_store_b64 v1, v[12:13]
.LBB133_18:                             ;   in Loop: Header=BB133_5 Depth=1
	s_or_b32 exec_lo, exec_lo, s42
	v_lshl_or_b32 v18, v2, 2, 64
	v_cmp_gt_u32_e32 vcc_lo, 24, v2
	s_wait_storecnt_dscnt 0x0
	s_barrier_signal -1
	s_barrier_wait -1
	ds_bpermute_b32 v16, v18, v14
	ds_bpermute_b32 v17, v18, v15
	v_cndmask_b32_e64 v19, 0, 8, vcc_lo
	v_cmp_gt_u32_e32 vcc_lo, 28, v2
	s_wait_dscnt 0x0
	s_delay_alu instid0(VALU_DEP_2) | instskip(SKIP_2) | instid1(VALU_DEP_2)
	v_add_lshl_u32 v19, v19, v2, 2
	v_cndmask_b32_e64 v21, 0, 4, vcc_lo
	v_cmp_gt_u32_e32 vcc_lo, 30, v2
	v_add_lshl_u32 v21, v21, v2, 2
	v_cndmask_b32_e64 v22, 0, 2, vcc_lo
	v_cmp_ne_u32_e32 vcc_lo, 31, v2
	s_delay_alu instid0(VALU_DEP_2) | instskip(SKIP_2) | instid1(VALU_DEP_2)
	v_add_lshl_u32 v22, v22, v2, 2
	v_add_co_ci_u32_e64 v23, null, 0, v2, vcc_lo
	v_pk_add_f32 v[14:15], v[14:15], v[16:17]
	v_lshlrev_b32_e32 v23, 2, v23
	ds_bpermute_b32 v16, v19, v14
	ds_bpermute_b32 v17, v19, v15
	s_wait_dscnt 0x0
	v_pk_add_f32 v[14:15], v[14:15], v[16:17]
	ds_bpermute_b32 v16, v21, v14
	ds_bpermute_b32 v17, v21, v15
	s_wait_dscnt 0x0
	v_pk_add_f32 v[14:15], v[14:15], v[16:17]
	;; [unrolled: 4-line block ×3, first 2 shown]
	ds_bpermute_b32 v16, v23, v14
	ds_bpermute_b32 v17, v23, v15
	s_and_saveexec_b32 s42, s4
	s_cbranch_execz .LBB133_20
; %bb.19:                               ;   in Loop: Header=BB133_5 Depth=1
	s_wait_dscnt 0x0
	v_pk_add_f32 v[14:15], v[14:15], v[16:17]
	ds_store_b64 v20, v[14:15]
.LBB133_20:                             ;   in Loop: Header=BB133_5 Depth=1
	s_or_b32 exec_lo, exec_lo, s42
	v_mov_b64_e32 v[14:15], 0
	s_wait_dscnt 0x0
	s_barrier_signal -1
	s_barrier_wait -1
	s_and_saveexec_b32 s42, s3
	s_cbranch_execnz .LBB133_27
; %bb.21:                               ;   in Loop: Header=BB133_5 Depth=1
	s_or_b32 exec_lo, exec_lo, s42
	s_and_saveexec_b32 s42, s3
	s_cbranch_execnz .LBB133_28
.LBB133_22:                             ;   in Loop: Header=BB133_5 Depth=1
	s_or_b32 exec_lo, exec_lo, s42
	s_and_saveexec_b32 s42, s0
	s_cbranch_execz .LBB133_3
	s_branch .LBB133_29
.LBB133_23:                             ;   in Loop: Header=BB133_5 Depth=1
	v_mad_nc_u64_u32 v[16:17], s8, s6, v[8:9]
	v_mad_nc_u64_u32 v[18:19], s26, s6, v[10:11]
	v_dual_mov_b32 v14, 0 :: v_dual_mov_b32 v21, v0
	s_mov_b32 s43, 0
	s_delay_alu instid0(VALU_DEP_1) | instskip(NEXT) | instid1(VALU_DEP_4)
	v_mov_b32_e32 v15, v14
	v_mad_u32 v17, s9, s6, v17
	s_delay_alu instid0(VALU_DEP_4)
	v_mad_u32 v19, s27, s6, v19
.LBB133_24:                             ;   Parent Loop BB133_5 Depth=1
                                        ; =>  This Inner Loop Header: Depth=2
	global_load_b64 v[22:23], v[16:17], off
	global_load_b64 v[24:25], v[18:19], off
	v_add_nc_u32_e32 v21, 0x400, v21
	s_wait_xcnt 0x1
	v_add_nc_u64_e32 v[16:17], 0x2000, v[16:17]
	s_wait_xcnt 0x0
	v_add_nc_u64_e32 v[18:19], s[20:21], v[18:19]
	v_cmp_le_i32_e32 vcc_lo, s10, v21
	s_or_b32 s43, vcc_lo, s43
	s_wait_loadcnt 0x0
	v_pk_mul_f32 v[26:27], v[24:25], v[22:23] op_sel:[1,1] op_sel_hi:[0,1]
	s_delay_alu instid0(VALU_DEP_1) | instskip(SKIP_1) | instid1(VALU_DEP_2)
	v_pk_fma_f32 v[28:29], v[24:25], v[22:23], v[26:27] op_sel_hi:[1,0,1]
	v_pk_fma_f32 v[22:23], v[24:25], v[22:23], v[26:27] neg_lo:[0,0,1] neg_hi:[0,0,1]
	v_mov_b32_e32 v23, v29
	s_delay_alu instid0(VALU_DEP_1)
	v_pk_add_f32 v[14:15], v[14:15], v[22:23]
	s_and_not1_b32 exec_lo, exec_lo, s43
	s_cbranch_execnz .LBB133_24
; %bb.25:                               ;   in Loop: Header=BB133_5 Depth=1
	s_or_b32 exec_lo, exec_lo, s43
	s_delay_alu instid0(SALU_CYCLE_1)
	s_or_b32 exec_lo, exec_lo, s42
	s_and_saveexec_b32 s42, s2
	s_cbranch_execz .LBB133_16
.LBB133_26:                             ;   in Loop: Header=BB133_5 Depth=1
	s_mul_u64 s[44:45], s[14:15], s[6:7]
	s_mul_u64 s[46:47], s[22:23], s[6:7]
	v_lshl_add_u64 v[16:17], s[44:45], 3, v[6:7]
	s_lshl_b64 s[44:45], s[46:47], 3
	s_delay_alu instid0(SALU_CYCLE_1) | instskip(NEXT) | instid1(SALU_CYCLE_1)
	s_add_nc_u64 s[44:45], s[16:17], s[44:45]
	v_lshl_add_u64 v[18:19], v[4:5], 3, s[44:45]
	s_delay_alu instid0(VALU_DEP_2)
	v_lshl_add_u64 v[16:17], s[10:11], 3, v[16:17]
	global_load_b64 v[22:23], v[16:17], off
	global_load_b64 v[24:25], v[18:19], off
	s_wait_loadcnt 0x0
	s_wait_xcnt 0x1
	v_pk_mul_f32 v[16:17], v[24:25], v[22:23] op_sel:[1,1] op_sel_hi:[0,1]
	s_wait_xcnt 0x0
	s_delay_alu instid0(VALU_DEP_1) | instskip(SKIP_1) | instid1(VALU_DEP_2)
	v_pk_fma_f32 v[18:19], v[24:25], v[22:23], v[16:17] op_sel_hi:[1,0,1]
	v_pk_fma_f32 v[16:17], v[24:25], v[22:23], v[16:17] neg_lo:[0,0,1] neg_hi:[0,0,1]
	v_mov_b32_e32 v17, v19
	s_delay_alu instid0(VALU_DEP_1)
	v_pk_add_f32 v[14:15], v[14:15], v[16:17]
	s_or_b32 exec_lo, exec_lo, s42
	s_and_saveexec_b32 s42, s3
	s_cbranch_execnz .LBB133_17
	s_branch .LBB133_18
.LBB133_27:                             ;   in Loop: Header=BB133_5 Depth=1
	ds_load_b64 v[14:15], v1
	s_or_b32 exec_lo, exec_lo, s42
	s_and_saveexec_b32 s42, s3
	s_cbranch_execz .LBB133_22
.LBB133_28:                             ;   in Loop: Header=BB133_5 Depth=1
	s_wait_dscnt 0x0
	ds_bpermute_b32 v16, v18, v14
	ds_bpermute_b32 v17, v18, v15
	s_wait_dscnt 0x0
	v_pk_add_f32 v[14:15], v[14:15], v[16:17]
	ds_bpermute_b32 v16, v19, v14
	ds_bpermute_b32 v17, v19, v15
	s_wait_dscnt 0x0
	v_pk_add_f32 v[14:15], v[14:15], v[16:17]
	;; [unrolled: 4-line block ×5, first 2 shown]
	s_or_b32 exec_lo, exec_lo, s42
	s_and_saveexec_b32 s42, s0
	s_cbranch_execz .LBB133_3
.LBB133_29:                             ;   in Loop: Header=BB133_5 Depth=1
	v_mov_b64_e32 v[16:17], s[24:25]
	v_mov_b64_e32 v[18:19], s[34:35]
	s_and_not1_b32 vcc_lo, exec_lo, s40
	s_add_nc_u64 s[38:39], s[38:39], s[28:29]
	s_wait_dscnt 0x0
	s_delay_alu instid0(VALU_DEP_2) | instskip(NEXT) | instid1(VALU_DEP_1)
	v_pk_mul_f32 v[22:23], v[14:15], v[16:17] op_sel:[1,0]
	v_pk_fma_f32 v[16:17], v[14:15], v[18:19], v[22:23] op_sel_hi:[0,1,1] neg_lo:[0,0,1] neg_hi:[0,0,1]
	v_pk_fma_f32 v[14:15], v[14:15], v[18:19], v[22:23] op_sel_hi:[0,1,1]
	s_cbranch_vccnz .LBB133_2
; %bb.30:                               ;   in Loop: Header=BB133_5 Depth=1
	global_load_b64 v[18:19], v3, s[38:39]
	v_mov_b64_e32 v[22:23], s[12:13]
	v_mov_b64_e32 v[24:25], s[36:37]
	s_wait_loadcnt 0x0
	s_delay_alu instid0(VALU_DEP_2) | instskip(NEXT) | instid1(VALU_DEP_1)
	v_pk_mul_f32 v[22:23], v[22:23], v[18:19] op_sel:[0,1]
	v_pk_fma_f32 v[26:27], v[24:25], v[18:19], v[22:23] op_sel_hi:[1,0,1]
	v_mov_b32_e32 v17, v15
	v_pk_fma_f32 v[14:15], v[24:25], v[18:19], v[22:23] neg_lo:[0,0,1] neg_hi:[0,0,1]
	s_delay_alu instid0(VALU_DEP_3) | instskip(NEXT) | instid1(VALU_DEP_1)
	v_mov_b32_e32 v15, v27
	v_pk_add_f32 v[16:17], v[16:17], v[14:15]
	s_delay_alu instid0(VALU_DEP_1)
	v_mov_b32_e32 v15, v17
	s_branch .LBB133_2
.LBB133_31:
	s_endpgm
	.section	.rodata,"a",@progbits
	.p2align	6, 0x0
	.amdhsa_kernel _ZL32rocblas_gemvt_warp_reduce_kernelILb0ELi1024El19rocblas_complex_numIfES1_S1_EviiT3_lPKT2_lT1_lS5_lS6_lS2_lPT4_lS6_li
		.amdhsa_group_segment_fixed_size 256
		.amdhsa_private_segment_fixed_size 0
		.amdhsa_kernarg_size 140
		.amdhsa_user_sgpr_count 2
		.amdhsa_user_sgpr_dispatch_ptr 0
		.amdhsa_user_sgpr_queue_ptr 0
		.amdhsa_user_sgpr_kernarg_segment_ptr 1
		.amdhsa_user_sgpr_dispatch_id 0
		.amdhsa_user_sgpr_kernarg_preload_length 0
		.amdhsa_user_sgpr_kernarg_preload_offset 0
		.amdhsa_user_sgpr_private_segment_size 0
		.amdhsa_wavefront_size32 1
		.amdhsa_uses_dynamic_stack 0
		.amdhsa_enable_private_segment 0
		.amdhsa_system_sgpr_workgroup_id_x 1
		.amdhsa_system_sgpr_workgroup_id_y 0
		.amdhsa_system_sgpr_workgroup_id_z 1
		.amdhsa_system_sgpr_workgroup_info 0
		.amdhsa_system_vgpr_workitem_id 0
		.amdhsa_next_free_vgpr 30
		.amdhsa_next_free_sgpr 48
		.amdhsa_named_barrier_count 0
		.amdhsa_reserve_vcc 1
		.amdhsa_float_round_mode_32 0
		.amdhsa_float_round_mode_16_64 0
		.amdhsa_float_denorm_mode_32 3
		.amdhsa_float_denorm_mode_16_64 3
		.amdhsa_fp16_overflow 0
		.amdhsa_memory_ordered 1
		.amdhsa_forward_progress 1
		.amdhsa_inst_pref_size 14
		.amdhsa_round_robin_scheduling 0
		.amdhsa_exception_fp_ieee_invalid_op 0
		.amdhsa_exception_fp_denorm_src 0
		.amdhsa_exception_fp_ieee_div_zero 0
		.amdhsa_exception_fp_ieee_overflow 0
		.amdhsa_exception_fp_ieee_underflow 0
		.amdhsa_exception_fp_ieee_inexact 0
		.amdhsa_exception_int_div_zero 0
	.end_amdhsa_kernel
	.section	.text._ZL32rocblas_gemvt_warp_reduce_kernelILb0ELi1024El19rocblas_complex_numIfES1_S1_EviiT3_lPKT2_lT1_lS5_lS6_lS2_lPT4_lS6_li,"axG",@progbits,_ZL32rocblas_gemvt_warp_reduce_kernelILb0ELi1024El19rocblas_complex_numIfES1_S1_EviiT3_lPKT2_lT1_lS5_lS6_lS2_lPT4_lS6_li,comdat
.Lfunc_end133:
	.size	_ZL32rocblas_gemvt_warp_reduce_kernelILb0ELi1024El19rocblas_complex_numIfES1_S1_EviiT3_lPKT2_lT1_lS5_lS6_lS2_lPT4_lS6_li, .Lfunc_end133-_ZL32rocblas_gemvt_warp_reduce_kernelILb0ELi1024El19rocblas_complex_numIfES1_S1_EviiT3_lPKT2_lT1_lS5_lS6_lS2_lPT4_lS6_li
                                        ; -- End function
	.set _ZL32rocblas_gemvt_warp_reduce_kernelILb0ELi1024El19rocblas_complex_numIfES1_S1_EviiT3_lPKT2_lT1_lS5_lS6_lS2_lPT4_lS6_li.num_vgpr, 30
	.set _ZL32rocblas_gemvt_warp_reduce_kernelILb0ELi1024El19rocblas_complex_numIfES1_S1_EviiT3_lPKT2_lT1_lS5_lS6_lS2_lPT4_lS6_li.num_agpr, 0
	.set _ZL32rocblas_gemvt_warp_reduce_kernelILb0ELi1024El19rocblas_complex_numIfES1_S1_EviiT3_lPKT2_lT1_lS5_lS6_lS2_lPT4_lS6_li.numbered_sgpr, 48
	.set _ZL32rocblas_gemvt_warp_reduce_kernelILb0ELi1024El19rocblas_complex_numIfES1_S1_EviiT3_lPKT2_lT1_lS5_lS6_lS2_lPT4_lS6_li.num_named_barrier, 0
	.set _ZL32rocblas_gemvt_warp_reduce_kernelILb0ELi1024El19rocblas_complex_numIfES1_S1_EviiT3_lPKT2_lT1_lS5_lS6_lS2_lPT4_lS6_li.private_seg_size, 0
	.set _ZL32rocblas_gemvt_warp_reduce_kernelILb0ELi1024El19rocblas_complex_numIfES1_S1_EviiT3_lPKT2_lT1_lS5_lS6_lS2_lPT4_lS6_li.uses_vcc, 1
	.set _ZL32rocblas_gemvt_warp_reduce_kernelILb0ELi1024El19rocblas_complex_numIfES1_S1_EviiT3_lPKT2_lT1_lS5_lS6_lS2_lPT4_lS6_li.uses_flat_scratch, 0
	.set _ZL32rocblas_gemvt_warp_reduce_kernelILb0ELi1024El19rocblas_complex_numIfES1_S1_EviiT3_lPKT2_lT1_lS5_lS6_lS2_lPT4_lS6_li.has_dyn_sized_stack, 0
	.set _ZL32rocblas_gemvt_warp_reduce_kernelILb0ELi1024El19rocblas_complex_numIfES1_S1_EviiT3_lPKT2_lT1_lS5_lS6_lS2_lPT4_lS6_li.has_recursion, 0
	.set _ZL32rocblas_gemvt_warp_reduce_kernelILb0ELi1024El19rocblas_complex_numIfES1_S1_EviiT3_lPKT2_lT1_lS5_lS6_lS2_lPT4_lS6_li.has_indirect_call, 0
	.section	.AMDGPU.csdata,"",@progbits
; Kernel info:
; codeLenInByte = 1716
; TotalNumSgprs: 50
; NumVgprs: 30
; ScratchSize: 0
; MemoryBound: 0
; FloatMode: 240
; IeeeMode: 1
; LDSByteSize: 256 bytes/workgroup (compile time only)
; SGPRBlocks: 0
; VGPRBlocks: 1
; NumSGPRsForWavesPerEU: 50
; NumVGPRsForWavesPerEU: 30
; NamedBarCnt: 0
; Occupancy: 16
; WaveLimiterHint : 1
; COMPUTE_PGM_RSRC2:SCRATCH_EN: 0
; COMPUTE_PGM_RSRC2:USER_SGPR: 2
; COMPUTE_PGM_RSRC2:TRAP_HANDLER: 0
; COMPUTE_PGM_RSRC2:TGID_X_EN: 1
; COMPUTE_PGM_RSRC2:TGID_Y_EN: 0
; COMPUTE_PGM_RSRC2:TGID_Z_EN: 1
; COMPUTE_PGM_RSRC2:TIDIG_COMP_CNT: 0
	.section	.text._ZL22rocblas_gemvtsm_kernelILb1ELi256E19rocblas_complex_numIfEPKS1_S1_EviiT2_lPKT1_lilS7_lilS4_lPT3_lil,"axG",@progbits,_ZL22rocblas_gemvtsm_kernelILb1ELi256E19rocblas_complex_numIfEPKS1_S1_EviiT2_lPKT1_lilS7_lilS4_lPT3_lil,comdat
	.globl	_ZL22rocblas_gemvtsm_kernelILb1ELi256E19rocblas_complex_numIfEPKS1_S1_EviiT2_lPKT1_lilS7_lilS4_lPT3_lil ; -- Begin function _ZL22rocblas_gemvtsm_kernelILb1ELi256E19rocblas_complex_numIfEPKS1_S1_EviiT2_lPKT1_lilS7_lilS4_lPT3_lil
	.p2align	8
	.type	_ZL22rocblas_gemvtsm_kernelILb1ELi256E19rocblas_complex_numIfEPKS1_S1_EviiT2_lPKT1_lilS7_lilS4_lPT3_lil,@function
_ZL22rocblas_gemvtsm_kernelILb1ELi256E19rocblas_complex_numIfEPKS1_S1_EviiT2_lPKT1_lilS7_lilS4_lPT3_lil: ; @_ZL22rocblas_gemvtsm_kernelILb1ELi256E19rocblas_complex_numIfEPKS1_S1_EviiT2_lPKT1_lilS7_lilS4_lPT3_lil
; %bb.0:
	s_load_b256 s[4:11], s[0:1], 0x8
	s_bfe_u32 s2, ttmp6, 0x4000c
	s_load_b256 s[12:19], s[0:1], 0x50
	s_add_co_i32 s2, s2, 1
	s_and_b32 s3, ttmp6, 15
	s_mul_i32 s2, ttmp9, s2
	s_getreg_b32 s20, hwreg(HW_REG_IB_STS2, 6, 4)
	s_add_co_i32 s3, s3, s2
	s_cmp_eq_u32 s20, 0
	s_mov_b32 s25, 0
	s_cselect_b32 s24, ttmp9, s3
	s_wait_kmcnt 0x0
	s_mul_u64 s[2:3], s[6:7], s[24:25]
	s_delay_alu instid0(SALU_CYCLE_1) | instskip(NEXT) | instid1(SALU_CYCLE_1)
	s_lshl_b64 s[2:3], s[2:3], 3
	s_add_nc_u64 s[2:3], s[4:5], s[2:3]
	s_load_b64 s[26:27], s[2:3], 0x0
	s_wait_xcnt 0x0
	s_mul_u64 s[2:3], s[16:17], s[24:25]
	s_delay_alu instid0(SALU_CYCLE_1) | instskip(NEXT) | instid1(SALU_CYCLE_1)
	s_lshl_b64 s[2:3], s[2:3], 3
	s_add_nc_u64 s[4:5], s[14:15], s[2:3]
	s_load_b64 s[2:3], s[4:5], 0x0
	s_wait_kmcnt 0x0
	s_cmp_eq_f32 s27, 0
	s_cselect_b32 s4, -1, 0
	s_cmp_eq_f32 s26, 0
	s_cselect_b32 s5, -1, 0
	s_delay_alu instid0(SALU_CYCLE_1) | instskip(SKIP_4) | instid1(SALU_CYCLE_1)
	s_and_b32 s4, s5, s4
	s_cmp_eq_f32 s2, 1.0
	s_cselect_b32 s5, -1, 0
	s_cmp_eq_f32 s3, 0
	s_cselect_b32 s6, -1, 0
	s_and_b32 s5, s5, s6
	s_delay_alu instid0(SALU_CYCLE_1) | instskip(NEXT) | instid1(SALU_CYCLE_1)
	s_and_b32 s4, s4, s5
	s_and_b32 vcc_lo, exec_lo, s4
	s_cbranch_vccnz .LBB134_34
; %bb.1:
	s_clause 0x2
	s_load_b64 s[4:5], s[0:1], 0x80
	s_load_b96 s[20:22], s[0:1], 0x70
	s_load_b64 s[14:15], s[0:1], 0x0
	s_or_b32 s6, s26, s27
	s_delay_alu instid0(SALU_CYCLE_1) | instskip(NEXT) | instid1(SALU_CYCLE_1)
	s_bitset0_b32 s6, 31
	s_cmp_lg_u32 s6, 0
	s_wait_kmcnt 0x0
	s_mul_u64 s[16:17], s[4:5], s[24:25]
	s_mov_b32 s4, -1
	s_cbranch_scc1 .LBB134_16
; %bb.2:
	s_cmp_neq_f32 s2, 0
	s_cselect_b32 s4, -1, 0
	s_cmp_neq_f32 s3, 0
	s_cselect_b32 s5, -1, 0
	s_delay_alu instid0(SALU_CYCLE_1)
	s_or_b32 s4, s4, s5
	s_cmp_gt_i32 s15, 0
	s_cselect_b32 s6, -1, 0
	s_and_b32 vcc_lo, exec_lo, s4
	s_mov_b32 s4, -1
	s_cbranch_vccnz .LBB134_9
; %bb.3:
	s_and_not1_b32 vcc_lo, exec_lo, s6
	s_cbranch_vccnz .LBB134_8
; %bb.4:
	v_mov_b32_e32 v1, 0
	s_ashr_i32 s5, s22, 31
	s_mov_b32 s4, s22
	s_lshl_b64 s[28:29], s[20:21], 3
	s_lshl_b64 s[30:31], s[16:17], 3
	v_mul_u64_e32 v[4:5], s[4:5], v[0:1]
	s_add_nc_u64 s[28:29], s[18:19], s[28:29]
	v_mov_b64_e32 v[2:3], 0
	s_add_nc_u64 s[28:29], s[28:29], s[30:31]
	s_lshl_b64 s[4:5], s[4:5], 11
	s_mov_b32 s7, 0
	s_delay_alu instid0(VALU_DEP_2)
	v_lshl_add_u64 v[4:5], v[4:5], 3, s[28:29]
	s_branch .LBB134_6
.LBB134_5:                              ;   in Loop: Header=BB134_6 Depth=1
	s_wait_xcnt 0x0
	s_or_b32 exec_lo, exec_lo, s23
	v_add_nc_u64_e32 v[4:5], s[4:5], v[4:5]
	s_addk_co_i32 s7, 0x100
	s_delay_alu instid0(SALU_CYCLE_1)
	s_cmp_ge_i32 s7, s15
	s_cbranch_scc1 .LBB134_8
.LBB134_6:                              ; =>This Inner Loop Header: Depth=1
	v_add_nc_u32_e32 v1, s7, v0
	s_mov_b32 s23, exec_lo
	s_delay_alu instid0(VALU_DEP_1)
	v_cmpx_gt_i32_e64 s15, v1
	s_cbranch_execz .LBB134_5
; %bb.7:                                ;   in Loop: Header=BB134_6 Depth=1
	global_store_b64 v[4:5], v[2:3], off
	s_branch .LBB134_5
.LBB134_8:
	s_mov_b32 s4, 0
.LBB134_9:
	s_delay_alu instid0(SALU_CYCLE_1)
	s_and_not1_b32 vcc_lo, exec_lo, s4
	s_cbranch_vccnz .LBB134_15
; %bb.10:
	s_and_not1_b32 vcc_lo, exec_lo, s6
	s_cbranch_vccnz .LBB134_15
; %bb.11:
	v_mov_b32_e32 v1, 0
	s_ashr_i32 s7, s22, 31
	s_mov_b32 s6, s22
	s_lshl_b64 s[4:5], s[20:21], 3
	s_lshl_b64 s[28:29], s[16:17], 3
	v_mul_u64_e32 v[2:3], s[6:7], v[0:1]
	s_add_nc_u64 s[4:5], s[18:19], s[4:5]
	s_lshl_b64 s[6:7], s[6:7], 11
	s_add_nc_u64 s[28:29], s[4:5], s[28:29]
	s_mov_b32 s4, s3
	s_mov_b32 s5, s2
	;; [unrolled: 1-line block ×3, first 2 shown]
	s_delay_alu instid0(VALU_DEP_1)
	v_lshl_add_u64 v[2:3], v[2:3], 3, s[28:29]
	s_branch .LBB134_13
.LBB134_12:                             ;   in Loop: Header=BB134_13 Depth=1
	s_wait_xcnt 0x0
	s_or_b32 exec_lo, exec_lo, s28
	v_add_nc_u64_e32 v[2:3], s[6:7], v[2:3]
	s_addk_co_i32 s23, 0x100
	s_delay_alu instid0(SALU_CYCLE_1)
	s_cmp_ge_i32 s23, s15
	s_cbranch_scc1 .LBB134_15
.LBB134_13:                             ; =>This Inner Loop Header: Depth=1
	v_add_nc_u32_e32 v1, s23, v0
	s_mov_b32 s28, exec_lo
	s_delay_alu instid0(VALU_DEP_1)
	v_cmpx_gt_i32_e64 s15, v1
	s_cbranch_execz .LBB134_12
; %bb.14:                               ;   in Loop: Header=BB134_13 Depth=1
	global_load_b64 v[4:5], v[2:3], off
	v_mov_b64_e32 v[6:7], s[4:5]
	v_mov_b64_e32 v[8:9], s[2:3]
	s_wait_loadcnt 0x0
	s_delay_alu instid0(VALU_DEP_2) | instskip(NEXT) | instid1(VALU_DEP_1)
	v_pk_mul_f32 v[6:7], v[6:7], v[4:5] op_sel:[0,1]
	v_pk_fma_f32 v[10:11], v[8:9], v[4:5], v[6:7] op_sel_hi:[1,0,1]
	v_pk_fma_f32 v[4:5], v[8:9], v[4:5], v[6:7] neg_lo:[0,0,1] neg_hi:[0,0,1]
	s_delay_alu instid0(VALU_DEP_2)
	v_mov_b32_e32 v5, v11
	global_store_b64 v[2:3], v[4:5], off
	s_branch .LBB134_12
.LBB134_15:
	s_mov_b32 s4, 0
.LBB134_16:
	s_delay_alu instid0(SALU_CYCLE_1)
	s_and_not1_b32 vcc_lo, exec_lo, s4
	s_cbranch_vccnz .LBB134_34
; %bb.17:
	s_clause 0x1
	s_load_b128 s[4:7], s[0:1], 0x30
	s_load_b64 s[28:29], s[0:1], 0x40
	s_mov_b32 s23, exec_lo
	v_cmpx_gt_i32_e64 s14, v0
	s_cbranch_execz .LBB134_19
; %bb.18:
	s_load_b32 s30, s[0:1], 0x48
	v_mov_b32_e32 v1, 0
	s_mul_u64 s[12:13], s[12:13], s[24:25]
	v_mov_b64_e32 v[4:5], s[26:27]
	s_lshl_b64 s[12:13], s[12:13], 3
	s_wait_kmcnt 0x0
	s_add_nc_u64 s[6:7], s[6:7], s[12:13]
	s_lshl_b64 s[12:13], s[28:29], 3
	s_delay_alu instid0(SALU_CYCLE_1) | instskip(SKIP_1) | instid1(SALU_CYCLE_1)
	s_add_nc_u64 s[6:7], s[6:7], s[12:13]
	s_ashr_i32 s31, s30, 31
	v_mul_u64_e32 v[2:3], s[30:31], v[0:1]
	v_lshlrev_b32_e32 v1, 3, v0
	s_delay_alu instid0(VALU_DEP_2) | instskip(SKIP_3) | instid1(VALU_DEP_1)
	v_lshl_add_u64 v[2:3], v[2:3], 3, s[6:7]
	global_load_b64 v[2:3], v[2:3], off
	s_wait_loadcnt 0x0
	v_pk_mul_f32 v[6:7], v[2:3], v[4:5] op_sel:[1,1] op_sel_hi:[0,1]
	v_pk_fma_f32 v[8:9], v[2:3], s[26:27], v[6:7] op_sel_hi:[1,0,1]
	s_wait_xcnt 0x0
	v_pk_fma_f32 v[2:3], v[2:3], v[4:5], v[6:7] neg_lo:[0,0,1] neg_hi:[0,0,1]
	s_delay_alu instid0(VALU_DEP_2)
	v_mov_b32_e32 v3, v9
	ds_store_b64 v1, v[2:3]
.LBB134_19:
	s_or_b32 exec_lo, exec_lo, s23
	s_cmp_lt_i32 s15, 1
	s_wait_storecnt_dscnt 0x0
	s_barrier_signal -1
	s_barrier_wait -1
	s_cbranch_scc1 .LBB134_34
; %bb.20:
	s_load_b32 s26, s[0:1], 0x28
	v_mov_b32_e32 v3, 0
	s_wait_kmcnt 0x0
	s_lshl_b64 s[6:7], s[16:17], 3
	s_lshl_b64 s[28:29], s[20:21], 3
	s_ashr_i32 s1, s22, 31
	s_mul_u64 s[4:5], s[4:5], s[24:25]
	v_mov_b32_e32 v1, v3
	s_ashr_i32 s27, s26, 31
	s_cmp_neq_f32 s2, 0
	s_delay_alu instid0(VALU_DEP_1) | instskip(SKIP_3) | instid1(SALU_CYCLE_1)
	v_mul_u64_e32 v[4:5], s[26:27], v[0:1]
	s_cselect_b32 s0, -1, 0
	s_cmp_neq_f32 s3, 0
	s_cselect_b32 s12, -1, 0
	s_or_b32 s12, s0, s12
	s_cmp_gt_i32 s14, 0
	s_mov_b32 s0, s22
	s_cselect_b32 s13, -1, 0
	s_and_b32 s16, s14, 7
	s_cmp_gt_u32 s14, 7
	s_cselect_b32 s17, -1, 0
	s_and_b32 s14, s14, 0x7ffffff8
	s_cmp_lg_u32 s16, 0
	s_cselect_b32 s20, -1, 0
	s_lshl_b64 s[10:11], s[10:11], 3
	s_lshl_b64 s[4:5], s[4:5], 3
	s_add_nc_u64 s[8:9], s[8:9], s[10:11]
	s_lshl_b64 s[10:11], s[26:27], 11
	s_add_nc_u64 s[4:5], s[8:9], s[4:5]
	s_add_nc_u64 s[8:9], s[18:19], s[6:7]
	s_mov_b32 s6, s3
	s_add_nc_u64 s[8:9], s[8:9], s[28:29]
	s_mov_b32 s7, s2
	s_mov_b32 s18, 0
	s_delay_alu instid0(VALU_DEP_1) | instskip(SKIP_1) | instid1(VALU_DEP_1)
	v_lshl_add_u64 v[4:5], v[4:5], 3, s[4:5]
	s_mov_b32 s5, 0
	v_add_nc_u64_e32 v[6:7], 56, v[4:5]
	s_branch .LBB134_23
.LBB134_21:                             ;   in Loop: Header=BB134_23 Depth=1
	global_store_b64 v[8:9], v[10:11], off
.LBB134_22:                             ;   in Loop: Header=BB134_23 Depth=1
	s_wait_xcnt 0x0
	s_or_b32 exec_lo, exec_lo, s19
	v_add_nc_u64_e32 v[6:7], s[10:11], v[6:7]
	v_add_nc_u64_e32 v[4:5], s[10:11], v[4:5]
	s_addk_co_i32 s18, 0x100
	s_delay_alu instid0(SALU_CYCLE_1)
	s_cmp_ge_i32 s18, s15
	s_cbranch_scc1 .LBB134_34
.LBB134_23:                             ; =>This Loop Header: Depth=1
                                        ;     Child Loop BB134_29 Depth 2
                                        ;     Child Loop BB134_33 Depth 2
	v_add_nc_u32_e32 v2, s18, v0
	s_mov_b32 s19, exec_lo
	s_delay_alu instid0(VALU_DEP_1)
	v_cmpx_gt_i32_e64 s15, v2
	s_cbranch_execz .LBB134_22
; %bb.24:                               ;   in Loop: Header=BB134_23 Depth=1
	v_mul_u64_e32 v[8:9], s[0:1], v[2:3]
	s_and_not1_b32 vcc_lo, exec_lo, s12
	s_delay_alu instid0(VALU_DEP_1)
	v_lshl_add_u64 v[8:9], v[8:9], 3, s[8:9]
	s_cbranch_vccnz .LBB134_26
; %bb.25:                               ;   in Loop: Header=BB134_23 Depth=1
	global_load_b64 v[10:11], v[8:9], off
	v_mov_b64_e32 v[12:13], s[6:7]
	v_mov_b64_e32 v[14:15], s[2:3]
	s_wait_loadcnt 0x0
	s_delay_alu instid0(VALU_DEP_2) | instskip(NEXT) | instid1(VALU_DEP_1)
	v_pk_mul_f32 v[12:13], v[12:13], v[10:11] op_sel:[0,1]
	v_pk_fma_f32 v[16:17], v[14:15], v[10:11], v[12:13] op_sel_hi:[1,0,1]
	v_pk_fma_f32 v[10:11], v[14:15], v[10:11], v[12:13] neg_lo:[0,0,1] neg_hi:[0,0,1]
	s_delay_alu instid0(VALU_DEP_2)
	v_mov_b32_e32 v11, v17
	s_and_not1_b32 vcc_lo, exec_lo, s13
	s_cbranch_vccz .LBB134_27
	s_branch .LBB134_21
.LBB134_26:                             ;   in Loop: Header=BB134_23 Depth=1
	v_mov_b64_e32 v[10:11], 0
	s_and_not1_b32 vcc_lo, exec_lo, s13
	s_cbranch_vccnz .LBB134_21
.LBB134_27:                             ;   in Loop: Header=BB134_23 Depth=1
	s_and_not1_b32 vcc_lo, exec_lo, s17
	s_mov_b32 s4, 0
	s_cbranch_vccnz .LBB134_31
; %bb.28:                               ;   in Loop: Header=BB134_23 Depth=1
	v_mov_b64_e32 v[12:13], v[6:7]
	s_mov_b32 s21, 0
.LBB134_29:                             ;   Parent Loop BB134_23 Depth=1
                                        ; =>  This Inner Loop Header: Depth=2
	s_clause 0x3
	global_load_b128 v[14:17], v[12:13], off offset:-56
	global_load_b128 v[18:21], v[12:13], off offset:-40
	;; [unrolled: 1-line block ×4, first 2 shown]
	v_mov_b32_e32 v1, s4
	s_wait_xcnt 0x0
	v_add_nc_u64_e32 v[12:13], 64, v[12:13]
	s_add_co_i32 s21, s21, 8
	s_add_co_i32 s4, s4, 64
	ds_load_b128 v[30:33], v1
	ds_load_b128 v[34:37], v1 offset:16
	ds_load_b128 v[38:41], v1 offset:32
	;; [unrolled: 1-line block ×3, first 2 shown]
	s_cmp_eq_u32 s14, s21
	s_wait_dscnt 0x3
	v_dual_mov_b32 v2, v31 :: v_dual_mov_b32 v46, v33
	s_wait_dscnt 0x2
	v_dual_mov_b32 v48, v33 :: v_dual_mov_b32 v50, v35
	v_dual_mov_b32 v52, v37 :: v_dual_mov_b32 v54, v37
	s_wait_dscnt 0x1
	v_dual_mov_b32 v56, v39 :: v_dual_mov_b32 v58, v41
	s_wait_dscnt 0x0
	v_dual_mov_b32 v60, v41 :: v_dual_mov_b32 v62, v43
	s_wait_loadcnt 0x3
	v_pk_mul_f32 v[64:65], v[14:15], v[30:31] op_sel_hi:[1,0]
	v_pk_mul_f32 v[32:33], v[16:17], v[32:33] op_sel_hi:[1,0]
	s_wait_loadcnt 0x2
	v_dual_mov_b32 v66, v21 :: v_dual_mov_b32 v67, v20
	v_pk_mul_f32 v[20:21], v[20:21], v[36:37] op_sel_hi:[1,0]
	v_pk_fma_f32 v[30:31], v[14:15], v[30:31], v[64:65] op_sel:[1,1,0] op_sel_hi:[0,1,1] neg_lo:[0,0,1] neg_hi:[0,0,1]
	v_pk_fma_f32 v[14:15], v[14:15], v[2:3], v[64:65] op_sel:[1,0,0] op_sel_hi:[0,1,1]
	v_dual_mov_b32 v64, v17 :: v_dual_mov_b32 v65, v16
	v_pk_mul_f32 v[16:17], v[18:19], v[34:35] op_sel_hi:[1,0]
	s_delay_alu instid0(VALU_DEP_4)
	v_mov_b32_e32 v15, v31
	s_wait_loadcnt 0x1
	v_pk_mul_f32 v[36:37], v[22:23], v[38:39] op_sel_hi:[1,0]
	v_mov_b32_e32 v30, v45
	v_pk_fma_f32 v[46:47], v[64:65], v[46:47], v[32:33]
	v_pk_fma_f32 v[32:33], v[64:65], v[48:49], v[32:33] op_sel_hi:[1,0,1] neg_lo:[0,0,1] neg_hi:[0,0,1]
	v_dual_mov_b32 v48, v25 :: v_dual_mov_b32 v49, v24
	v_pk_fma_f32 v[34:35], v[18:19], v[34:35], v[16:17] op_sel:[1,1,0] op_sel_hi:[0,1,1] neg_lo:[0,0,1] neg_hi:[0,0,1]
	v_pk_add_f32 v[10:11], v[10:11], v[14:15]
	s_delay_alu instid0(VALU_DEP_4)
	v_mov_b32_e32 v47, v33
	v_pk_fma_f32 v[16:17], v[18:19], v[50:51], v[16:17] op_sel:[1,0,0] op_sel_hi:[0,1,1]
	v_pk_fma_f32 v[18:19], v[66:67], v[54:55], v[20:21] op_sel_hi:[1,0,1] neg_lo:[0,0,1] neg_hi:[0,0,1]
	s_wait_loadcnt 0x0
	v_dual_mov_b32 v17, v35 :: v_dual_mov_b32 v18, v29
	v_pk_add_f32 v[10:11], v[10:11], v[46:47]
	v_pk_fma_f32 v[20:21], v[66:67], v[52:53], v[20:21]
	v_pk_mul_f32 v[24:25], v[24:25], v[40:41] op_sel_hi:[1,0]
	v_pk_fma_f32 v[32:33], v[22:23], v[38:39], v[36:37] op_sel:[1,1,0] op_sel_hi:[0,1,1] neg_lo:[0,0,1] neg_hi:[0,0,1]
	v_dual_mov_b32 v21, v19 :: v_dual_mov_b32 v19, v28
	v_pk_add_f32 v[10:11], v[10:11], v[16:17]
	v_pk_fma_f32 v[16:17], v[22:23], v[56:57], v[36:37] op_sel:[1,0,0] op_sel_hi:[0,1,1]
	v_pk_mul_f32 v[14:15], v[26:27], v[42:43] op_sel_hi:[1,0]
	v_pk_fma_f32 v[22:23], v[48:49], v[60:61], v[24:25] op_sel_hi:[1,0,1] neg_lo:[0,0,1] neg_hi:[0,0,1]
	v_mov_b32_e32 v17, v33
	v_pk_add_f32 v[10:11], v[10:11], v[20:21]
	v_pk_fma_f32 v[24:25], v[48:49], v[58:59], v[24:25]
	v_pk_mul_f32 v[20:21], v[28:29], v[44:45] op_sel_hi:[1,0]
	v_pk_fma_f32 v[28:29], v[26:27], v[42:43], v[14:15] op_sel:[1,1,0] op_sel_hi:[0,1,1] neg_lo:[0,0,1] neg_hi:[0,0,1]
	v_mov_b32_e32 v25, v23
	v_pk_add_f32 v[10:11], v[10:11], v[16:17]
	v_mov_b32_e32 v2, v45
	v_pk_fma_f32 v[14:15], v[26:27], v[62:63], v[14:15] op_sel:[1,0,0] op_sel_hi:[0,1,1]
	v_pk_fma_f32 v[16:17], v[18:19], v[30:31], v[20:21] op_sel_hi:[1,0,1] neg_lo:[0,0,1] neg_hi:[0,0,1]
	v_mov_b32_e32 v15, v29
	v_pk_add_f32 v[10:11], v[10:11], v[24:25]
	v_pk_fma_f32 v[18:19], v[18:19], v[2:3], v[20:21]
	s_delay_alu instid0(VALU_DEP_4) | instskip(NEXT) | instid1(VALU_DEP_3)
	v_mov_b32_e32 v19, v17
	v_pk_add_f32 v[10:11], v[10:11], v[14:15]
	s_delay_alu instid0(VALU_DEP_1)
	v_pk_add_f32 v[10:11], v[10:11], v[18:19]
	s_cbranch_scc0 .LBB134_29
; %bb.30:                               ;   in Loop: Header=BB134_23 Depth=1
	s_mov_b32 s4, s14
.LBB134_31:                             ;   in Loop: Header=BB134_23 Depth=1
	s_and_not1_b32 vcc_lo, exec_lo, s20
	s_cbranch_vccnz .LBB134_21
; %bb.32:                               ;   in Loop: Header=BB134_23 Depth=1
	v_lshl_add_u64 v[12:13], s[4:5], 3, v[4:5]
	s_lshl_b32 s4, s4, 3
	s_mov_b32 s21, s16
.LBB134_33:                             ;   Parent Loop BB134_23 Depth=1
                                        ; =>  This Inner Loop Header: Depth=2
	global_load_b64 v[14:15], v[12:13], off
	v_mov_b32_e32 v1, s4
	s_wait_xcnt 0x0
	v_add_nc_u64_e32 v[12:13], 8, v[12:13]
	s_add_co_i32 s21, s21, -1
	s_add_co_i32 s4, s4, 8
	s_cmp_lg_u32 s21, 0
	ds_load_b64 v[16:17], v1
	s_wait_dscnt 0x0
	v_mov_b32_e32 v2, v17
	s_wait_loadcnt 0x0
	v_pk_mul_f32 v[18:19], v[14:15], v[16:17] op_sel_hi:[1,0]
	s_delay_alu instid0(VALU_DEP_1) | instskip(NEXT) | instid1(VALU_DEP_3)
	v_pk_fma_f32 v[16:17], v[14:15], v[16:17], v[18:19] op_sel:[1,1,0] op_sel_hi:[0,1,1] neg_lo:[0,0,1] neg_hi:[0,0,1]
	v_pk_fma_f32 v[14:15], v[14:15], v[2:3], v[18:19] op_sel:[1,0,0] op_sel_hi:[0,1,1]
	s_delay_alu instid0(VALU_DEP_2) | instskip(NEXT) | instid1(VALU_DEP_1)
	v_mov_b32_e32 v15, v17
	v_pk_add_f32 v[10:11], v[10:11], v[14:15]
	s_cbranch_scc1 .LBB134_33
	s_branch .LBB134_21
.LBB134_34:
	s_sendmsg sendmsg(MSG_DEALLOC_VGPRS)
	s_endpgm
	.section	.rodata,"a",@progbits
	.p2align	6, 0x0
	.amdhsa_kernel _ZL22rocblas_gemvtsm_kernelILb1ELi256E19rocblas_complex_numIfEPKS1_S1_EviiT2_lPKT1_lilS7_lilS4_lPT3_lil
		.amdhsa_group_segment_fixed_size 512
		.amdhsa_private_segment_fixed_size 0
		.amdhsa_kernarg_size 136
		.amdhsa_user_sgpr_count 2
		.amdhsa_user_sgpr_dispatch_ptr 0
		.amdhsa_user_sgpr_queue_ptr 0
		.amdhsa_user_sgpr_kernarg_segment_ptr 1
		.amdhsa_user_sgpr_dispatch_id 0
		.amdhsa_user_sgpr_kernarg_preload_length 0
		.amdhsa_user_sgpr_kernarg_preload_offset 0
		.amdhsa_user_sgpr_private_segment_size 0
		.amdhsa_wavefront_size32 1
		.amdhsa_uses_dynamic_stack 0
		.amdhsa_enable_private_segment 0
		.amdhsa_system_sgpr_workgroup_id_x 1
		.amdhsa_system_sgpr_workgroup_id_y 0
		.amdhsa_system_sgpr_workgroup_id_z 0
		.amdhsa_system_sgpr_workgroup_info 0
		.amdhsa_system_vgpr_workitem_id 0
		.amdhsa_next_free_vgpr 68
		.amdhsa_next_free_sgpr 32
		.amdhsa_named_barrier_count 0
		.amdhsa_reserve_vcc 1
		.amdhsa_float_round_mode_32 0
		.amdhsa_float_round_mode_16_64 0
		.amdhsa_float_denorm_mode_32 3
		.amdhsa_float_denorm_mode_16_64 3
		.amdhsa_fp16_overflow 0
		.amdhsa_memory_ordered 1
		.amdhsa_forward_progress 1
		.amdhsa_inst_pref_size 15
		.amdhsa_round_robin_scheduling 0
		.amdhsa_exception_fp_ieee_invalid_op 0
		.amdhsa_exception_fp_denorm_src 0
		.amdhsa_exception_fp_ieee_div_zero 0
		.amdhsa_exception_fp_ieee_overflow 0
		.amdhsa_exception_fp_ieee_underflow 0
		.amdhsa_exception_fp_ieee_inexact 0
		.amdhsa_exception_int_div_zero 0
	.end_amdhsa_kernel
	.section	.text._ZL22rocblas_gemvtsm_kernelILb1ELi256E19rocblas_complex_numIfEPKS1_S1_EviiT2_lPKT1_lilS7_lilS4_lPT3_lil,"axG",@progbits,_ZL22rocblas_gemvtsm_kernelILb1ELi256E19rocblas_complex_numIfEPKS1_S1_EviiT2_lPKT1_lilS7_lilS4_lPT3_lil,comdat
.Lfunc_end134:
	.size	_ZL22rocblas_gemvtsm_kernelILb1ELi256E19rocblas_complex_numIfEPKS1_S1_EviiT2_lPKT1_lilS7_lilS4_lPT3_lil, .Lfunc_end134-_ZL22rocblas_gemvtsm_kernelILb1ELi256E19rocblas_complex_numIfEPKS1_S1_EviiT2_lPKT1_lilS7_lilS4_lPT3_lil
                                        ; -- End function
	.set _ZL22rocblas_gemvtsm_kernelILb1ELi256E19rocblas_complex_numIfEPKS1_S1_EviiT2_lPKT1_lilS7_lilS4_lPT3_lil.num_vgpr, 68
	.set _ZL22rocblas_gemvtsm_kernelILb1ELi256E19rocblas_complex_numIfEPKS1_S1_EviiT2_lPKT1_lilS7_lilS4_lPT3_lil.num_agpr, 0
	.set _ZL22rocblas_gemvtsm_kernelILb1ELi256E19rocblas_complex_numIfEPKS1_S1_EviiT2_lPKT1_lilS7_lilS4_lPT3_lil.numbered_sgpr, 32
	.set _ZL22rocblas_gemvtsm_kernelILb1ELi256E19rocblas_complex_numIfEPKS1_S1_EviiT2_lPKT1_lilS7_lilS4_lPT3_lil.num_named_barrier, 0
	.set _ZL22rocblas_gemvtsm_kernelILb1ELi256E19rocblas_complex_numIfEPKS1_S1_EviiT2_lPKT1_lilS7_lilS4_lPT3_lil.private_seg_size, 0
	.set _ZL22rocblas_gemvtsm_kernelILb1ELi256E19rocblas_complex_numIfEPKS1_S1_EviiT2_lPKT1_lilS7_lilS4_lPT3_lil.uses_vcc, 1
	.set _ZL22rocblas_gemvtsm_kernelILb1ELi256E19rocblas_complex_numIfEPKS1_S1_EviiT2_lPKT1_lilS7_lilS4_lPT3_lil.uses_flat_scratch, 0
	.set _ZL22rocblas_gemvtsm_kernelILb1ELi256E19rocblas_complex_numIfEPKS1_S1_EviiT2_lPKT1_lilS7_lilS4_lPT3_lil.has_dyn_sized_stack, 0
	.set _ZL22rocblas_gemvtsm_kernelILb1ELi256E19rocblas_complex_numIfEPKS1_S1_EviiT2_lPKT1_lilS7_lilS4_lPT3_lil.has_recursion, 0
	.set _ZL22rocblas_gemvtsm_kernelILb1ELi256E19rocblas_complex_numIfEPKS1_S1_EviiT2_lPKT1_lilS7_lilS4_lPT3_lil.has_indirect_call, 0
	.section	.AMDGPU.csdata,"",@progbits
; Kernel info:
; codeLenInByte = 1900
; TotalNumSgprs: 34
; NumVgprs: 68
; ScratchSize: 0
; MemoryBound: 0
; FloatMode: 240
; IeeeMode: 1
; LDSByteSize: 512 bytes/workgroup (compile time only)
; SGPRBlocks: 0
; VGPRBlocks: 4
; NumSGPRsForWavesPerEU: 34
; NumVGPRsForWavesPerEU: 68
; NamedBarCnt: 0
; Occupancy: 12
; WaveLimiterHint : 1
; COMPUTE_PGM_RSRC2:SCRATCH_EN: 0
; COMPUTE_PGM_RSRC2:USER_SGPR: 2
; COMPUTE_PGM_RSRC2:TRAP_HANDLER: 0
; COMPUTE_PGM_RSRC2:TGID_X_EN: 1
; COMPUTE_PGM_RSRC2:TGID_Y_EN: 0
; COMPUTE_PGM_RSRC2:TGID_Z_EN: 0
; COMPUTE_PGM_RSRC2:TIDIG_COMP_CNT: 0
	.section	.text._ZL22rocblas_gemvtsm_kernelILb1ELi256E19rocblas_complex_numIfES1_S1_EviiT2_lPKT1_lilS5_lilS2_lPT3_lil,"axG",@progbits,_ZL22rocblas_gemvtsm_kernelILb1ELi256E19rocblas_complex_numIfES1_S1_EviiT2_lPKT1_lilS5_lilS2_lPT3_lil,comdat
	.globl	_ZL22rocblas_gemvtsm_kernelILb1ELi256E19rocblas_complex_numIfES1_S1_EviiT2_lPKT1_lilS5_lilS2_lPT3_lil ; -- Begin function _ZL22rocblas_gemvtsm_kernelILb1ELi256E19rocblas_complex_numIfES1_S1_EviiT2_lPKT1_lilS5_lilS2_lPT3_lil
	.p2align	8
	.type	_ZL22rocblas_gemvtsm_kernelILb1ELi256E19rocblas_complex_numIfES1_S1_EviiT2_lPKT1_lilS5_lilS2_lPT3_lil,@function
_ZL22rocblas_gemvtsm_kernelILb1ELi256E19rocblas_complex_numIfES1_S1_EviiT2_lPKT1_lilS5_lilS2_lPT3_lil: ; @_ZL22rocblas_gemvtsm_kernelILb1ELi256E19rocblas_complex_numIfES1_S1_EviiT2_lPKT1_lilS5_lilS2_lPT3_lil
; %bb.0:
	s_clause 0x1
	s_load_b128 s[4:7], s[0:1], 0x0
	s_load_b64 s[2:3], s[0:1], 0x58
	s_mov_b32 s19, 0
	s_wait_kmcnt 0x0
	s_cmp_eq_f32 s7, 0
	s_cselect_b32 s8, -1, 0
	s_cmp_eq_f32 s6, 0
	s_cselect_b32 s9, -1, 0
	s_delay_alu instid0(SALU_CYCLE_1) | instskip(SKIP_4) | instid1(SALU_CYCLE_1)
	s_and_b32 s8, s9, s8
	s_cmp_eq_f32 s2, 1.0
	s_cselect_b32 s9, -1, 0
	s_cmp_eq_f32 s3, 0
	s_cselect_b32 s10, -1, 0
	s_and_b32 s9, s9, s10
	s_delay_alu instid0(SALU_CYCLE_1) | instskip(NEXT) | instid1(SALU_CYCLE_1)
	s_and_b32 s8, s8, s9
	s_and_b32 vcc_lo, exec_lo, s8
	s_cbranch_vccnz .LBB135_34
; %bb.1:
	s_clause 0x2
	s_load_b64 s[12:13], s[0:1], 0x80
	s_load_b128 s[8:11], s[0:1], 0x68
	s_load_b32 s16, s[0:1], 0x78
	s_bfe_u32 s14, ttmp6, 0x4000c
	s_and_b32 s15, ttmp6, 15
	s_add_co_i32 s14, s14, 1
	s_getreg_b32 s17, hwreg(HW_REG_IB_STS2, 6, 4)
	s_mul_i32 s14, ttmp9, s14
	s_delay_alu instid0(SALU_CYCLE_1) | instskip(SKIP_3) | instid1(SALU_CYCLE_1)
	s_add_co_i32 s15, s15, s14
	s_cmp_eq_u32 s17, 0
	s_cselect_b32 s18, ttmp9, s15
	s_or_b32 s14, s6, s7
	s_bitset0_b32 s14, 31
	s_delay_alu instid0(SALU_CYCLE_1)
	s_cmp_lg_u32 s14, 0
	s_wait_kmcnt 0x0
	s_mul_u64 s[20:21], s[12:13], s[18:19]
	s_mov_b32 s12, -1
	s_cbranch_scc1 .LBB135_16
; %bb.2:
	s_cmp_neq_f32 s2, 0
	s_cselect_b32 s12, -1, 0
	s_cmp_neq_f32 s3, 0
	s_cselect_b32 s13, -1, 0
	s_delay_alu instid0(SALU_CYCLE_1)
	s_or_b32 s12, s12, s13
	s_cmp_gt_i32 s5, 0
	s_cselect_b32 s14, -1, 0
	s_and_b32 vcc_lo, exec_lo, s12
	s_mov_b32 s12, -1
	s_cbranch_vccnz .LBB135_9
; %bb.3:
	s_and_not1_b32 vcc_lo, exec_lo, s14
	s_cbranch_vccnz .LBB135_8
; %bb.4:
	v_mov_b32_e32 v1, 0
	s_ashr_i32 s17, s16, 31
	s_lshl_b64 s[12:13], s[10:11], 3
	s_lshl_b64 s[22:23], s[20:21], 3
	s_add_nc_u64 s[12:13], s[8:9], s[12:13]
	v_mul_u64_e32 v[4:5], s[16:17], v[0:1]
	s_add_nc_u64 s[12:13], s[12:13], s[22:23]
	v_mov_b64_e32 v[2:3], 0
	s_mov_b32 s15, 0
	s_delay_alu instid0(VALU_DEP_2)
	v_lshl_add_u64 v[4:5], v[4:5], 3, s[12:13]
	s_lshl_b64 s[12:13], s[16:17], 11
	s_branch .LBB135_6
.LBB135_5:                              ;   in Loop: Header=BB135_6 Depth=1
	s_wait_xcnt 0x0
	s_or_b32 exec_lo, exec_lo, s17
	v_add_nc_u64_e32 v[4:5], s[12:13], v[4:5]
	s_addk_co_i32 s15, 0x100
	s_delay_alu instid0(SALU_CYCLE_1)
	s_cmp_ge_i32 s15, s5
	s_cbranch_scc1 .LBB135_8
.LBB135_6:                              ; =>This Inner Loop Header: Depth=1
	v_add_nc_u32_e32 v1, s15, v0
	s_mov_b32 s17, exec_lo
	s_delay_alu instid0(VALU_DEP_1)
	v_cmpx_gt_i32_e64 s5, v1
	s_cbranch_execz .LBB135_5
; %bb.7:                                ;   in Loop: Header=BB135_6 Depth=1
	global_store_b64 v[4:5], v[2:3], off
	s_branch .LBB135_5
.LBB135_8:
	s_mov_b32 s12, 0
.LBB135_9:
	s_delay_alu instid0(SALU_CYCLE_1)
	s_and_not1_b32 vcc_lo, exec_lo, s12
	s_cbranch_vccnz .LBB135_15
; %bb.10:
	s_and_not1_b32 vcc_lo, exec_lo, s14
	s_cbranch_vccnz .LBB135_15
; %bb.11:
	v_mov_b32_e32 v1, 0
	s_ashr_i32 s17, s16, 31
	s_lshl_b64 s[12:13], s[10:11], 3
	s_lshl_b64 s[14:15], s[20:21], 3
	s_add_nc_u64 s[12:13], s[8:9], s[12:13]
	v_mul_u64_e32 v[2:3], s[16:17], v[0:1]
	s_add_nc_u64 s[14:15], s[12:13], s[14:15]
	s_mov_b32 s12, s3
	s_mov_b32 s13, s2
	s_delay_alu instid0(VALU_DEP_1)
	v_lshl_add_u64 v[2:3], v[2:3], 3, s[14:15]
	s_lshl_b64 s[14:15], s[16:17], 11
	s_mov_b32 s17, 0
	s_branch .LBB135_13
.LBB135_12:                             ;   in Loop: Header=BB135_13 Depth=1
	s_wait_xcnt 0x0
	s_or_b32 exec_lo, exec_lo, s22
	v_add_nc_u64_e32 v[2:3], s[14:15], v[2:3]
	s_addk_co_i32 s17, 0x100
	s_delay_alu instid0(SALU_CYCLE_1)
	s_cmp_ge_i32 s17, s5
	s_cbranch_scc1 .LBB135_15
.LBB135_13:                             ; =>This Inner Loop Header: Depth=1
	v_add_nc_u32_e32 v1, s17, v0
	s_mov_b32 s22, exec_lo
	s_delay_alu instid0(VALU_DEP_1)
	v_cmpx_gt_i32_e64 s5, v1
	s_cbranch_execz .LBB135_12
; %bb.14:                               ;   in Loop: Header=BB135_13 Depth=1
	global_load_b64 v[4:5], v[2:3], off
	v_mov_b64_e32 v[6:7], s[12:13]
	v_mov_b64_e32 v[8:9], s[2:3]
	s_wait_loadcnt 0x0
	s_delay_alu instid0(VALU_DEP_2) | instskip(NEXT) | instid1(VALU_DEP_1)
	v_pk_mul_f32 v[6:7], v[6:7], v[4:5] op_sel:[0,1]
	v_pk_fma_f32 v[10:11], v[8:9], v[4:5], v[6:7] op_sel_hi:[1,0,1]
	v_pk_fma_f32 v[4:5], v[8:9], v[4:5], v[6:7] neg_lo:[0,0,1] neg_hi:[0,0,1]
	s_delay_alu instid0(VALU_DEP_2)
	v_mov_b32_e32 v5, v11
	global_store_b64 v[2:3], v[4:5], off
	s_branch .LBB135_12
.LBB135_15:
	s_mov_b32 s12, 0
.LBB135_16:
	s_delay_alu instid0(SALU_CYCLE_1)
	s_and_not1_b32 vcc_lo, exec_lo, s12
	s_cbranch_vccnz .LBB135_34
; %bb.17:
	s_clause 0x1
	s_load_b128 s[12:15], s[0:1], 0x30
	s_load_b64 s[22:23], s[0:1], 0x40
	s_mov_b32 s17, exec_lo
	v_cmpx_gt_i32_e64 s4, v0
	s_cbranch_execz .LBB135_19
; %bb.18:
	s_clause 0x1
	s_load_b32 s24, s[0:1], 0x48
	s_load_b64 s[26:27], s[0:1], 0x50
	v_mov_b32_e32 v1, 0
	s_wait_kmcnt 0x0
	s_lshl_b64 s[22:23], s[22:23], 3
	v_mov_b64_e32 v[4:5], s[6:7]
	s_ashr_i32 s25, s24, 31
	s_delay_alu instid0(SALU_CYCLE_1) | instskip(SKIP_3) | instid1(SALU_CYCLE_1)
	v_mul_u64_e32 v[2:3], s[24:25], v[0:1]
	s_mul_u64 s[24:25], s[26:27], s[18:19]
	v_lshlrev_b32_e32 v1, 3, v0
	s_lshl_b64 s[24:25], s[24:25], 3
	s_add_nc_u64 s[14:15], s[14:15], s[24:25]
	s_delay_alu instid0(SALU_CYCLE_1)
	s_add_nc_u64 s[14:15], s[14:15], s[22:23]
	s_delay_alu instid0(VALU_DEP_2) | instid1(SALU_CYCLE_1)
	v_lshl_add_u64 v[2:3], v[2:3], 3, s[14:15]
	global_load_b64 v[2:3], v[2:3], off
	s_wait_loadcnt 0x0
	v_pk_mul_f32 v[6:7], v[2:3], v[4:5] op_sel:[1,1] op_sel_hi:[0,1]
	s_delay_alu instid0(VALU_DEP_1) | instskip(SKIP_2) | instid1(VALU_DEP_2)
	v_pk_fma_f32 v[8:9], v[2:3], s[6:7], v[6:7] op_sel_hi:[1,0,1]
	s_wait_xcnt 0x0
	v_pk_fma_f32 v[2:3], v[2:3], v[4:5], v[6:7] neg_lo:[0,0,1] neg_hi:[0,0,1]
	v_mov_b32_e32 v3, v9
	ds_store_b64 v1, v[2:3]
.LBB135_19:
	s_or_b32 exec_lo, exec_lo, s17
	s_cmp_lt_i32 s5, 1
	s_wait_storecnt_dscnt 0x0
	s_barrier_signal -1
	s_barrier_wait -1
	s_cbranch_scc1 .LBB135_34
; %bb.20:
	s_wait_kmcnt 0x0
	s_clause 0x1
	s_load_b32 s22, s[0:1], 0x28
	s_load_b128 s[24:27], s[0:1], 0x18
	v_mov_b32_e32 v3, 0
	s_lshl_b64 s[6:7], s[20:21], 3
	s_lshl_b64 s[10:11], s[10:11], 3
	s_ashr_i32 s17, s16, 31
	s_add_nc_u64 s[8:9], s[8:9], s[6:7]
	v_mov_b32_e32 v1, v3
	s_mov_b32 s6, s3
	s_add_nc_u64 s[8:9], s[8:9], s[10:11]
	s_mov_b32 s7, s2
	s_wait_kmcnt 0x0
	s_ashr_i32 s23, s22, 31
	s_cmp_neq_f32 s2, 0
	v_mul_u64_e32 v[4:5], s[22:23], v[0:1]
	s_cselect_b32 s0, -1, 0
	s_cmp_neq_f32 s3, 0
	s_cselect_b32 s1, -1, 0
	s_delay_alu instid0(SALU_CYCLE_1)
	s_or_b32 s14, s0, s1
	s_cmp_gt_i32 s4, 0
	s_mul_u64 s[0:1], s[12:13], s[18:19]
	s_cselect_b32 s15, -1, 0
	s_and_b32 s20, s4, 7
	s_cmp_gt_u32 s4, 7
	s_mov_b32 s13, 0
	s_cselect_b32 s21, -1, 0
	s_and_b32 s4, s4, 0x7ffffff8
	s_cmp_lg_u32 s20, 0
	s_cselect_b32 s12, -1, 0
	s_lshl_b64 s[18:19], s[26:27], 3
	s_lshl_b64 s[0:1], s[0:1], 3
	s_add_nc_u64 s[18:19], s[24:25], s[18:19]
	s_lshl_b64 s[10:11], s[22:23], 11
	s_add_nc_u64 s[0:1], s[18:19], s[0:1]
	s_delay_alu instid0(VALU_DEP_1) | instid1(SALU_CYCLE_1)
	v_lshl_add_u64 v[4:5], v[4:5], 3, s[0:1]
	s_mov_b32 s1, 0
	s_delay_alu instid0(VALU_DEP_1)
	v_add_nc_u64_e32 v[6:7], 56, v[4:5]
	s_branch .LBB135_23
.LBB135_21:                             ;   in Loop: Header=BB135_23 Depth=1
	global_store_b64 v[8:9], v[10:11], off
.LBB135_22:                             ;   in Loop: Header=BB135_23 Depth=1
	s_wait_xcnt 0x0
	s_or_b32 exec_lo, exec_lo, s18
	v_add_nc_u64_e32 v[6:7], s[10:11], v[6:7]
	v_add_nc_u64_e32 v[4:5], s[10:11], v[4:5]
	s_addk_co_i32 s13, 0x100
	s_delay_alu instid0(SALU_CYCLE_1)
	s_cmp_ge_i32 s13, s5
	s_cbranch_scc1 .LBB135_34
.LBB135_23:                             ; =>This Loop Header: Depth=1
                                        ;     Child Loop BB135_29 Depth 2
                                        ;     Child Loop BB135_33 Depth 2
	v_add_nc_u32_e32 v2, s13, v0
	s_mov_b32 s18, exec_lo
	s_delay_alu instid0(VALU_DEP_1)
	v_cmpx_gt_i32_e64 s5, v2
	s_cbranch_execz .LBB135_22
; %bb.24:                               ;   in Loop: Header=BB135_23 Depth=1
	v_mul_u64_e32 v[8:9], s[16:17], v[2:3]
	s_and_not1_b32 vcc_lo, exec_lo, s14
	s_delay_alu instid0(VALU_DEP_1)
	v_lshl_add_u64 v[8:9], v[8:9], 3, s[8:9]
	s_cbranch_vccnz .LBB135_26
; %bb.25:                               ;   in Loop: Header=BB135_23 Depth=1
	global_load_b64 v[10:11], v[8:9], off
	v_mov_b64_e32 v[12:13], s[6:7]
	v_mov_b64_e32 v[14:15], s[2:3]
	s_wait_loadcnt 0x0
	s_delay_alu instid0(VALU_DEP_2) | instskip(NEXT) | instid1(VALU_DEP_1)
	v_pk_mul_f32 v[12:13], v[12:13], v[10:11] op_sel:[0,1]
	v_pk_fma_f32 v[16:17], v[14:15], v[10:11], v[12:13] op_sel_hi:[1,0,1]
	v_pk_fma_f32 v[10:11], v[14:15], v[10:11], v[12:13] neg_lo:[0,0,1] neg_hi:[0,0,1]
	s_delay_alu instid0(VALU_DEP_2)
	v_mov_b32_e32 v11, v17
	s_and_not1_b32 vcc_lo, exec_lo, s15
	s_cbranch_vccz .LBB135_27
	s_branch .LBB135_21
.LBB135_26:                             ;   in Loop: Header=BB135_23 Depth=1
	v_mov_b64_e32 v[10:11], 0
	s_and_not1_b32 vcc_lo, exec_lo, s15
	s_cbranch_vccnz .LBB135_21
.LBB135_27:                             ;   in Loop: Header=BB135_23 Depth=1
	s_and_not1_b32 vcc_lo, exec_lo, s21
	s_mov_b32 s0, 0
	s_cbranch_vccnz .LBB135_31
; %bb.28:                               ;   in Loop: Header=BB135_23 Depth=1
	v_mov_b64_e32 v[12:13], v[6:7]
	s_mov_b32 s19, 0
.LBB135_29:                             ;   Parent Loop BB135_23 Depth=1
                                        ; =>  This Inner Loop Header: Depth=2
	s_clause 0x3
	global_load_b128 v[14:17], v[12:13], off offset:-56
	global_load_b128 v[18:21], v[12:13], off offset:-40
	;; [unrolled: 1-line block ×4, first 2 shown]
	v_mov_b32_e32 v1, s0
	s_wait_xcnt 0x0
	v_add_nc_u64_e32 v[12:13], 64, v[12:13]
	s_add_co_i32 s19, s19, 8
	s_add_co_i32 s0, s0, 64
	ds_load_b128 v[30:33], v1
	ds_load_b128 v[34:37], v1 offset:16
	ds_load_b128 v[38:41], v1 offset:32
	;; [unrolled: 1-line block ×3, first 2 shown]
	s_cmp_eq_u32 s4, s19
	s_wait_dscnt 0x3
	v_dual_mov_b32 v2, v31 :: v_dual_mov_b32 v46, v33
	s_wait_dscnt 0x2
	v_dual_mov_b32 v48, v33 :: v_dual_mov_b32 v50, v35
	v_dual_mov_b32 v52, v37 :: v_dual_mov_b32 v54, v37
	s_wait_dscnt 0x1
	v_dual_mov_b32 v56, v39 :: v_dual_mov_b32 v58, v41
	s_wait_dscnt 0x0
	v_dual_mov_b32 v60, v41 :: v_dual_mov_b32 v62, v43
	s_wait_loadcnt 0x3
	v_pk_mul_f32 v[64:65], v[14:15], v[30:31] op_sel_hi:[1,0]
	v_pk_mul_f32 v[32:33], v[16:17], v[32:33] op_sel_hi:[1,0]
	s_wait_loadcnt 0x2
	v_dual_mov_b32 v66, v21 :: v_dual_mov_b32 v67, v20
	v_pk_mul_f32 v[20:21], v[20:21], v[36:37] op_sel_hi:[1,0]
	v_pk_fma_f32 v[30:31], v[14:15], v[30:31], v[64:65] op_sel:[1,1,0] op_sel_hi:[0,1,1] neg_lo:[0,0,1] neg_hi:[0,0,1]
	v_pk_fma_f32 v[14:15], v[14:15], v[2:3], v[64:65] op_sel:[1,0,0] op_sel_hi:[0,1,1]
	v_dual_mov_b32 v64, v17 :: v_dual_mov_b32 v65, v16
	v_pk_mul_f32 v[16:17], v[18:19], v[34:35] op_sel_hi:[1,0]
	s_delay_alu instid0(VALU_DEP_4)
	v_mov_b32_e32 v15, v31
	s_wait_loadcnt 0x1
	v_pk_mul_f32 v[36:37], v[22:23], v[38:39] op_sel_hi:[1,0]
	v_mov_b32_e32 v30, v45
	v_pk_fma_f32 v[46:47], v[64:65], v[46:47], v[32:33]
	v_pk_fma_f32 v[32:33], v[64:65], v[48:49], v[32:33] op_sel_hi:[1,0,1] neg_lo:[0,0,1] neg_hi:[0,0,1]
	v_dual_mov_b32 v48, v25 :: v_dual_mov_b32 v49, v24
	v_pk_fma_f32 v[34:35], v[18:19], v[34:35], v[16:17] op_sel:[1,1,0] op_sel_hi:[0,1,1] neg_lo:[0,0,1] neg_hi:[0,0,1]
	v_pk_add_f32 v[10:11], v[10:11], v[14:15]
	s_delay_alu instid0(VALU_DEP_4)
	v_mov_b32_e32 v47, v33
	v_pk_fma_f32 v[16:17], v[18:19], v[50:51], v[16:17] op_sel:[1,0,0] op_sel_hi:[0,1,1]
	v_pk_fma_f32 v[18:19], v[66:67], v[54:55], v[20:21] op_sel_hi:[1,0,1] neg_lo:[0,0,1] neg_hi:[0,0,1]
	s_wait_loadcnt 0x0
	v_dual_mov_b32 v17, v35 :: v_dual_mov_b32 v18, v29
	v_pk_add_f32 v[10:11], v[10:11], v[46:47]
	v_pk_fma_f32 v[20:21], v[66:67], v[52:53], v[20:21]
	v_pk_mul_f32 v[24:25], v[24:25], v[40:41] op_sel_hi:[1,0]
	v_pk_fma_f32 v[32:33], v[22:23], v[38:39], v[36:37] op_sel:[1,1,0] op_sel_hi:[0,1,1] neg_lo:[0,0,1] neg_hi:[0,0,1]
	v_dual_mov_b32 v21, v19 :: v_dual_mov_b32 v19, v28
	v_pk_add_f32 v[10:11], v[10:11], v[16:17]
	v_pk_fma_f32 v[16:17], v[22:23], v[56:57], v[36:37] op_sel:[1,0,0] op_sel_hi:[0,1,1]
	v_pk_mul_f32 v[14:15], v[26:27], v[42:43] op_sel_hi:[1,0]
	v_pk_fma_f32 v[22:23], v[48:49], v[60:61], v[24:25] op_sel_hi:[1,0,1] neg_lo:[0,0,1] neg_hi:[0,0,1]
	v_mov_b32_e32 v17, v33
	v_pk_add_f32 v[10:11], v[10:11], v[20:21]
	v_pk_fma_f32 v[24:25], v[48:49], v[58:59], v[24:25]
	v_pk_mul_f32 v[20:21], v[28:29], v[44:45] op_sel_hi:[1,0]
	v_pk_fma_f32 v[28:29], v[26:27], v[42:43], v[14:15] op_sel:[1,1,0] op_sel_hi:[0,1,1] neg_lo:[0,0,1] neg_hi:[0,0,1]
	v_mov_b32_e32 v25, v23
	v_pk_add_f32 v[10:11], v[10:11], v[16:17]
	v_mov_b32_e32 v2, v45
	v_pk_fma_f32 v[14:15], v[26:27], v[62:63], v[14:15] op_sel:[1,0,0] op_sel_hi:[0,1,1]
	v_pk_fma_f32 v[16:17], v[18:19], v[30:31], v[20:21] op_sel_hi:[1,0,1] neg_lo:[0,0,1] neg_hi:[0,0,1]
	v_mov_b32_e32 v15, v29
	v_pk_add_f32 v[10:11], v[10:11], v[24:25]
	v_pk_fma_f32 v[18:19], v[18:19], v[2:3], v[20:21]
	s_delay_alu instid0(VALU_DEP_4) | instskip(NEXT) | instid1(VALU_DEP_3)
	v_mov_b32_e32 v19, v17
	v_pk_add_f32 v[10:11], v[10:11], v[14:15]
	s_delay_alu instid0(VALU_DEP_1)
	v_pk_add_f32 v[10:11], v[10:11], v[18:19]
	s_cbranch_scc0 .LBB135_29
; %bb.30:                               ;   in Loop: Header=BB135_23 Depth=1
	s_mov_b32 s0, s4
.LBB135_31:                             ;   in Loop: Header=BB135_23 Depth=1
	s_and_not1_b32 vcc_lo, exec_lo, s12
	s_cbranch_vccnz .LBB135_21
; %bb.32:                               ;   in Loop: Header=BB135_23 Depth=1
	v_lshl_add_u64 v[12:13], s[0:1], 3, v[4:5]
	s_lshl_b32 s0, s0, 3
	s_mov_b32 s19, s20
.LBB135_33:                             ;   Parent Loop BB135_23 Depth=1
                                        ; =>  This Inner Loop Header: Depth=2
	global_load_b64 v[14:15], v[12:13], off
	v_mov_b32_e32 v1, s0
	s_wait_xcnt 0x0
	v_add_nc_u64_e32 v[12:13], 8, v[12:13]
	s_add_co_i32 s19, s19, -1
	s_add_co_i32 s0, s0, 8
	s_cmp_lg_u32 s19, 0
	ds_load_b64 v[16:17], v1
	s_wait_dscnt 0x0
	v_mov_b32_e32 v2, v17
	s_wait_loadcnt 0x0
	v_pk_mul_f32 v[18:19], v[14:15], v[16:17] op_sel_hi:[1,0]
	s_delay_alu instid0(VALU_DEP_1) | instskip(NEXT) | instid1(VALU_DEP_3)
	v_pk_fma_f32 v[16:17], v[14:15], v[16:17], v[18:19] op_sel:[1,1,0] op_sel_hi:[0,1,1] neg_lo:[0,0,1] neg_hi:[0,0,1]
	v_pk_fma_f32 v[14:15], v[14:15], v[2:3], v[18:19] op_sel:[1,0,0] op_sel_hi:[0,1,1]
	s_delay_alu instid0(VALU_DEP_2) | instskip(NEXT) | instid1(VALU_DEP_1)
	v_mov_b32_e32 v15, v17
	v_pk_add_f32 v[10:11], v[10:11], v[14:15]
	s_cbranch_scc1 .LBB135_33
	s_branch .LBB135_21
.LBB135_34:
	s_sendmsg sendmsg(MSG_DEALLOC_VGPRS)
	s_endpgm
	.section	.rodata,"a",@progbits
	.p2align	6, 0x0
	.amdhsa_kernel _ZL22rocblas_gemvtsm_kernelILb1ELi256E19rocblas_complex_numIfES1_S1_EviiT2_lPKT1_lilS5_lilS2_lPT3_lil
		.amdhsa_group_segment_fixed_size 512
		.amdhsa_private_segment_fixed_size 0
		.amdhsa_kernarg_size 136
		.amdhsa_user_sgpr_count 2
		.amdhsa_user_sgpr_dispatch_ptr 0
		.amdhsa_user_sgpr_queue_ptr 0
		.amdhsa_user_sgpr_kernarg_segment_ptr 1
		.amdhsa_user_sgpr_dispatch_id 0
		.amdhsa_user_sgpr_kernarg_preload_length 0
		.amdhsa_user_sgpr_kernarg_preload_offset 0
		.amdhsa_user_sgpr_private_segment_size 0
		.amdhsa_wavefront_size32 1
		.amdhsa_uses_dynamic_stack 0
		.amdhsa_enable_private_segment 0
		.amdhsa_system_sgpr_workgroup_id_x 1
		.amdhsa_system_sgpr_workgroup_id_y 0
		.amdhsa_system_sgpr_workgroup_id_z 0
		.amdhsa_system_sgpr_workgroup_info 0
		.amdhsa_system_vgpr_workitem_id 0
		.amdhsa_next_free_vgpr 68
		.amdhsa_next_free_sgpr 28
		.amdhsa_named_barrier_count 0
		.amdhsa_reserve_vcc 1
		.amdhsa_float_round_mode_32 0
		.amdhsa_float_round_mode_16_64 0
		.amdhsa_float_denorm_mode_32 3
		.amdhsa_float_denorm_mode_16_64 3
		.amdhsa_fp16_overflow 0
		.amdhsa_memory_ordered 1
		.amdhsa_forward_progress 1
		.amdhsa_inst_pref_size 15
		.amdhsa_round_robin_scheduling 0
		.amdhsa_exception_fp_ieee_invalid_op 0
		.amdhsa_exception_fp_denorm_src 0
		.amdhsa_exception_fp_ieee_div_zero 0
		.amdhsa_exception_fp_ieee_overflow 0
		.amdhsa_exception_fp_ieee_underflow 0
		.amdhsa_exception_fp_ieee_inexact 0
		.amdhsa_exception_int_div_zero 0
	.end_amdhsa_kernel
	.section	.text._ZL22rocblas_gemvtsm_kernelILb1ELi256E19rocblas_complex_numIfES1_S1_EviiT2_lPKT1_lilS5_lilS2_lPT3_lil,"axG",@progbits,_ZL22rocblas_gemvtsm_kernelILb1ELi256E19rocblas_complex_numIfES1_S1_EviiT2_lPKT1_lilS5_lilS2_lPT3_lil,comdat
.Lfunc_end135:
	.size	_ZL22rocblas_gemvtsm_kernelILb1ELi256E19rocblas_complex_numIfES1_S1_EviiT2_lPKT1_lilS5_lilS2_lPT3_lil, .Lfunc_end135-_ZL22rocblas_gemvtsm_kernelILb1ELi256E19rocblas_complex_numIfES1_S1_EviiT2_lPKT1_lilS5_lilS2_lPT3_lil
                                        ; -- End function
	.set _ZL22rocblas_gemvtsm_kernelILb1ELi256E19rocblas_complex_numIfES1_S1_EviiT2_lPKT1_lilS5_lilS2_lPT3_lil.num_vgpr, 68
	.set _ZL22rocblas_gemvtsm_kernelILb1ELi256E19rocblas_complex_numIfES1_S1_EviiT2_lPKT1_lilS5_lilS2_lPT3_lil.num_agpr, 0
	.set _ZL22rocblas_gemvtsm_kernelILb1ELi256E19rocblas_complex_numIfES1_S1_EviiT2_lPKT1_lilS5_lilS2_lPT3_lil.numbered_sgpr, 28
	.set _ZL22rocblas_gemvtsm_kernelILb1ELi256E19rocblas_complex_numIfES1_S1_EviiT2_lPKT1_lilS5_lilS2_lPT3_lil.num_named_barrier, 0
	.set _ZL22rocblas_gemvtsm_kernelILb1ELi256E19rocblas_complex_numIfES1_S1_EviiT2_lPKT1_lilS5_lilS2_lPT3_lil.private_seg_size, 0
	.set _ZL22rocblas_gemvtsm_kernelILb1ELi256E19rocblas_complex_numIfES1_S1_EviiT2_lPKT1_lilS5_lilS2_lPT3_lil.uses_vcc, 1
	.set _ZL22rocblas_gemvtsm_kernelILb1ELi256E19rocblas_complex_numIfES1_S1_EviiT2_lPKT1_lilS5_lilS2_lPT3_lil.uses_flat_scratch, 0
	.set _ZL22rocblas_gemvtsm_kernelILb1ELi256E19rocblas_complex_numIfES1_S1_EviiT2_lPKT1_lilS5_lilS2_lPT3_lil.has_dyn_sized_stack, 0
	.set _ZL22rocblas_gemvtsm_kernelILb1ELi256E19rocblas_complex_numIfES1_S1_EviiT2_lPKT1_lilS5_lilS2_lPT3_lil.has_recursion, 0
	.set _ZL22rocblas_gemvtsm_kernelILb1ELi256E19rocblas_complex_numIfES1_S1_EviiT2_lPKT1_lilS5_lilS2_lPT3_lil.has_indirect_call, 0
	.section	.AMDGPU.csdata,"",@progbits
; Kernel info:
; codeLenInByte = 1876
; TotalNumSgprs: 30
; NumVgprs: 68
; ScratchSize: 0
; MemoryBound: 0
; FloatMode: 240
; IeeeMode: 1
; LDSByteSize: 512 bytes/workgroup (compile time only)
; SGPRBlocks: 0
; VGPRBlocks: 4
; NumSGPRsForWavesPerEU: 30
; NumVGPRsForWavesPerEU: 68
; NamedBarCnt: 0
; Occupancy: 12
; WaveLimiterHint : 1
; COMPUTE_PGM_RSRC2:SCRATCH_EN: 0
; COMPUTE_PGM_RSRC2:USER_SGPR: 2
; COMPUTE_PGM_RSRC2:TRAP_HANDLER: 0
; COMPUTE_PGM_RSRC2:TGID_X_EN: 1
; COMPUTE_PGM_RSRC2:TGID_Y_EN: 0
; COMPUTE_PGM_RSRC2:TGID_Z_EN: 0
; COMPUTE_PGM_RSRC2:TIDIG_COMP_CNT: 0
	.section	.text._ZL23rocblas_gemvt_sn_kernelILb1ELi256ELi4Ei19rocblas_complex_numIfEPKS1_S1_EviiT4_lPKT3_lilS7_lilPT5_i,"axG",@progbits,_ZL23rocblas_gemvt_sn_kernelILb1ELi256ELi4Ei19rocblas_complex_numIfEPKS1_S1_EviiT4_lPKT3_lilS7_lilPT5_i,comdat
	.globl	_ZL23rocblas_gemvt_sn_kernelILb1ELi256ELi4Ei19rocblas_complex_numIfEPKS1_S1_EviiT4_lPKT3_lilS7_lilPT5_i ; -- Begin function _ZL23rocblas_gemvt_sn_kernelILb1ELi256ELi4Ei19rocblas_complex_numIfEPKS1_S1_EviiT4_lPKT3_lilS7_lilPT5_i
	.p2align	8
	.type	_ZL23rocblas_gemvt_sn_kernelILb1ELi256ELi4Ei19rocblas_complex_numIfEPKS1_S1_EviiT4_lPKT3_lilS7_lilPT5_i,@function
_ZL23rocblas_gemvt_sn_kernelILb1ELi256ELi4Ei19rocblas_complex_numIfEPKS1_S1_EviiT4_lPKT3_lilS7_lilPT5_i: ; @_ZL23rocblas_gemvt_sn_kernelILb1ELi256ELi4Ei19rocblas_complex_numIfEPKS1_S1_EviiT4_lPKT3_lilS7_lilPT5_i
; %bb.0:
	s_load_b32 s11, s[2:3], 0x60
	s_bfe_u32 s4, ttmp6, 0x40014
	s_lshr_b32 s5, ttmp7, 16
	s_add_co_i32 s4, s4, 1
	s_bfe_u32 s7, ttmp6, 0x40008
	s_mul_i32 s6, s5, s4
	s_getreg_b32 s4, hwreg(HW_REG_IB_STS2, 6, 4)
	s_add_co_i32 s7, s7, s6
	s_cmp_eq_u32 s4, 0
	s_mov_b32 s31, 0
	s_cselect_b32 s28, s5, s7
	s_wait_kmcnt 0x0
	s_cmp_ge_u32 s28, s11
	s_cbranch_scc1 .LBB136_84
; %bb.1:
	s_load_b64 s[6:7], s[0:1], 0x4
	s_clause 0x5
	s_load_b96 s[8:10], s[2:3], 0x40
	s_load_b256 s[12:19], s[2:3], 0x8
	s_load_b64 s[34:35], s[2:3], 0x0
	s_load_b32 s33, s[2:3], 0x28
	s_load_b128 s[20:23], s[2:3], 0x30
	s_load_b128 s[24:27], s[2:3], 0x50
	v_and_b32_e32 v1, 0x3ff, v0
	s_load_b32 s36, s[2:3], 0x68
	v_bfe_u32 v2, v0, 10, 10
	v_bfe_u32 v3, v0, 20, 10
	v_mbcnt_lo_u32_b32 v43, -1, 0
	s_wait_xcnt 0x0
	v_cmp_eq_u32_e64 s0, 0, v1
	v_mov_b64_e32 v[12:13], 0
	s_mov_b32 s39, s31
	v_mov_b32_e32 v44, 0
	v_lshl_or_b32 v45, v43, 2, 64
	s_mov_b32 s37, s31
	s_wait_kmcnt 0x0
	s_lshr_b32 s1, s6, 16
	s_lshl_b64 s[2:3], s[8:9], 3
	s_lshl_b64 s[8:9], s[18:19], 3
	s_ashr_i32 s43, s35, 31
	s_cmp_gt_i32 s35, 0
	s_mul_i32 s1, s1, s7
	s_cselect_b32 s5, -1, 0
	s_bfe_u32 s6, ttmp6, 0x4000c
	v_mul_u32_u24_e32 v2, s7, v2
	s_add_co_i32 s6, s6, 1
	s_and_b32 s7, ttmp6, 15
	v_mul_lo_u32 v4, s1, v1
	s_mul_i32 s1, ttmp9, s6
	s_and_b32 s56, s0, s5
	s_add_co_i32 s7, s7, s1
	s_cmp_eq_u32 s4, 0
	s_add_nc_u64 s[18:19], s[22:23], s[2:3]
	s_cselect_b32 s38, ttmp9, s7
	s_add_nc_u64 s[2:3], s[16:17], s[8:9]
	s_lshl_b32 s1, s38, 10
	s_lshr_b32 s4, s43, 30
	v_lshl_or_b32 v6, v1, 2, s1
	s_ashr_i32 s1, s34, 31
	v_add3_u32 v2, v4, v2, v3
	s_lshr_b32 s1, s1, 30
	s_add_co_i32 s4, s35, s4
	s_add_co_i32 s1, s34, s1
	v_mul_lo_u32 v4, s10, v6
	v_dual_ashrrev_i32 v7, 31, v6 :: v_dual_add_nc_u32 v5, 4, v6
	s_and_b32 s1, s1, -4
	v_lshl_add_u32 v40, v2, 5, 0x100
	s_sub_co_i32 s58, s34, s1
	s_delay_alu instid0(VALU_DEP_2)
	v_lshl_add_u64 v[2:3], v[6:7], 3, s[2:3]
	v_add_nc_u32_e32 v6, s58, v6
	v_cmp_ge_i32_e64 s1, s34, v5
	v_and_b32_e32 v5, 31, v0
	s_and_b32 s57, s4, -4
	v_cmp_gt_u32_e64 s3, 32, v1
	s_cmp_gt_i32 s57, 0
	v_cmp_ge_i32_e64 s2, s34, v6
	v_dual_lshrrev_b32 v6, 2, v0 :: v_dual_lshlrev_b32 v41, 3, v5
	v_add_nc_u32_e32 v0, s10, v4
	s_cselect_b32 s59, -1, 0
	s_cmp_gt_i32 s58, 0
	s_delay_alu instid0(VALU_DEP_2)
	v_and_b32_e32 v42, 56, v6
	s_cselect_b32 s34, -1, 0
	v_add_nc_u32_e32 v6, s10, v0
	s_and_b32 s60, s34, s2
	s_cmp_gt_u32 s35, 1
	v_cmp_eq_u32_e64 s4, 0, v5
	s_cselect_b32 s6, -1, 0
	s_cmp_eq_u32 s36, 1
	v_cmp_gt_u32_e64 s5, 8, v1
	v_ashrrev_i32_e32 v1, 31, v0
	v_dual_ashrrev_i32 v5, 31, v4 :: v_dual_add_nc_u32 v8, s10, v6
	s_cselect_b32 s7, -1, 0
	s_and_b32 s61, s35, 0x7ffffffe
	s_and_b32 s62, s6, s7
	v_add_nc_u64_e32 v[10:11], 4, v[2:3]
	s_cmp_lg_u32 s35, s61
	v_dual_ashrrev_i32 v7, 31, v6 :: v_dual_ashrrev_i32 v9, 31, v8
	s_mov_b32 s42, s35
	s_cselect_b32 s63, -1, 0
	s_lshl_b64 s[22:23], s[38:39], 3
	s_mul_u64 s[16:17], s[42:43], s[36:37]
	s_add_nc_u64 s[40:41], s[26:27], s[22:23]
	s_lshl_b64 s[42:43], s[42:43], 3
	s_lshl_b64 s[44:45], s[36:37], 3
	s_lshl_b32 s39, s33, 2
	s_lshl_b32 s64, s33, 1
	s_mul_i32 s65, s33, 3
	s_lshl_b64 s[46:47], s[20:21], 3
	s_branch .LBB136_3
.LBB136_2:                              ;   in Loop: Header=BB136_3 Depth=1
	s_add_co_i32 s28, s28, 0x10000
	s_delay_alu instid0(SALU_CYCLE_1)
	s_cmp_lt_u32 s28, s11
	s_cbranch_scc0 .LBB136_84
.LBB136_3:                              ; =>This Loop Header: Depth=1
                                        ;     Child Loop BB136_7 Depth 2
                                        ;     Child Loop BB136_11 Depth 2
	;; [unrolled: 1-line block ×3, first 2 shown]
                                        ;       Child Loop BB136_47 Depth 3
                                        ;       Child Loop BB136_49 Depth 3
                                        ;     Child Loop BB136_65 Depth 2
                                        ;       Child Loop BB136_77 Depth 3
                                        ;       Child Loop BB136_79 Depth 3
	s_mov_b32 s29, s31
	s_delay_alu instid0(SALU_CYCLE_1) | instskip(NEXT) | instid1(SALU_CYCLE_1)
	s_mul_u64 s[6:7], s[14:15], s[28:29]
	s_lshl_b64 s[6:7], s[6:7], 3
	s_delay_alu instid0(SALU_CYCLE_1) | instskip(SKIP_3) | instid1(SALU_CYCLE_1)
	s_add_nc_u64 s[6:7], s[12:13], s[6:7]
	global_load_b64 v[14:15], v44, s[6:7]
	s_wait_xcnt 0x0
	s_mul_u64 s[6:7], s[16:17], s[28:29]
	s_lshl_b64 s[6:7], s[6:7], 3
	s_delay_alu instid0(SALU_CYCLE_1) | instskip(SKIP_3) | instid1(VALU_DEP_1)
	s_add_nc_u64 s[50:51], s[26:27], s[6:7]
	s_mov_b32 s6, -1
	s_wait_loadcnt 0x0
	v_or_b32_e32 v16, v14, v15
	v_and_b32_e32 v16, 0x7fffffff, v16
	s_delay_alu instid0(VALU_DEP_1)
	v_cmp_ne_u32_e32 vcc_lo, 0, v16
	s_cbranch_vccnz .LBB136_13
; %bb.4:                                ;   in Loop: Header=BB136_3 Depth=1
	s_and_saveexec_b32 s52, s56
	s_cbranch_execz .LBB136_12
; %bb.5:                                ;   in Loop: Header=BB136_3 Depth=1
	s_and_not1_b32 vcc_lo, exec_lo, s62
	s_cbranch_vccnz .LBB136_9
; %bb.6:                                ;   in Loop: Header=BB136_3 Depth=1
	s_add_nc_u64 s[6:7], s[50:51], s[22:23]
	s_mov_b32 s8, 1
	s_mov_b32 s30, 0
	;; [unrolled: 1-line block ×3, first 2 shown]
.LBB136_7:                              ;   Parent Loop BB136_3 Depth=1
                                        ; =>  This Inner Loop Header: Depth=2
	s_mov_b32 s9, s31
	s_wait_xcnt 0x1
	s_lshl_b64 s[54:55], s[30:31], 3
	s_add_co_i32 s49, s49, -2
	s_add_co_i32 s30, s30, 2
	s_wait_xcnt 0x0
	s_lshl_b64 s[66:67], s[8:9], 3
	s_add_co_i32 s8, s8, 2
	s_mov_b32 s48, s61
	s_mov_b32 s53, s63
	s_add_nc_u64 s[54:55], s[6:7], s[54:55]
	s_cmp_lg_u32 s49, 0
	s_add_nc_u64 s[66:67], s[6:7], s[66:67]
	s_clause 0x1
	global_store_b64 v44, v[12:13], s[54:55]
	global_store_b64 v44, v[12:13], s[66:67]
	s_cbranch_scc1 .LBB136_7
; %bb.8:                                ;   in Loop: Header=BB136_3 Depth=1
	s_and_b32 vcc_lo, exec_lo, s53
	s_cbranch_vccnz .LBB136_10
	s_branch .LBB136_12
.LBB136_9:                              ;   in Loop: Header=BB136_3 Depth=1
	s_mov_b32 s48, 0
	s_cbranch_execz .LBB136_12
.LBB136_10:                             ;   in Loop: Header=BB136_3 Depth=1
	s_mov_b32 s49, s31
	s_mul_u64 s[6:7], s[42:43], s[28:29]
	s_lshl_b64 s[8:9], s[48:49], 3
	s_delay_alu instid0(SALU_CYCLE_1) | instskip(SKIP_2) | instid1(SALU_CYCLE_1)
	s_add_nc_u64 s[6:7], s[6:7], s[8:9]
	s_sub_co_i32 s8, s35, s48
	s_mul_u64 s[6:7], s[36:37], s[6:7]
	s_add_nc_u64 s[6:7], s[40:41], s[6:7]
.LBB136_11:                             ;   Parent Loop BB136_3 Depth=1
                                        ; =>  This Inner Loop Header: Depth=2
	s_add_co_i32 s8, s8, -1
	global_store_b64 v44, v[12:13], s[6:7]
	s_cmp_eq_u32 s8, 0
	s_wait_xcnt 0x0
	s_add_nc_u64 s[6:7], s[6:7], s[44:45]
	s_cbranch_scc0 .LBB136_11
.LBB136_12:                             ;   in Loop: Header=BB136_3 Depth=1
	s_wait_xcnt 0x0
	s_or_b32 exec_lo, exec_lo, s52
	s_mov_b32 s6, 0
.LBB136_13:                             ;   in Loop: Header=BB136_3 Depth=1
	s_delay_alu instid0(SALU_CYCLE_1)
	s_and_not1_b32 vcc_lo, exec_lo, s6
	s_cbranch_vccnz .LBB136_2
; %bb.14:                               ;   in Loop: Header=BB136_3 Depth=1
	s_mul_u64 s[6:7], s[24:25], s[28:29]
	s_mul_u64 s[8:9], s[46:47], s[28:29]
	s_lshl_b64 s[6:7], s[6:7], 3
	s_mul_u64 s[52:53], s[20:21], s[28:29]
	s_add_nc_u64 s[48:49], s[18:19], s[6:7]
	v_add_nc_u64_e32 v[26:27], s[8:9], v[10:11]
	v_lshl_add_u64 v[16:17], s[52:53], 3, v[2:3]
	v_lshl_add_u64 v[18:19], v[4:5], 3, s[48:49]
	;; [unrolled: 1-line block ×5, first 2 shown]
	v_cmp_gt_u32_e64 s9, 24, v43
	v_cmp_gt_u32_e64 s8, 28, v43
	;; [unrolled: 1-line block ×3, first 2 shown]
	v_cmp_ne_u32_e64 s6, 31, v43
	s_and_not1_b32 vcc_lo, exec_lo, s59
	s_cbranch_vccnz .LBB136_61
; %bb.15:                               ;   in Loop: Header=BB136_3 Depth=1
	v_cndmask_b32_e64 v28, 0, 8, s9
	v_cndmask_b32_e64 v29, 0, 4, s8
	s_wait_dscnt 0x0
	v_cndmask_b32_e64 v30, 0, 2, s7
	v_add_co_ci_u32_e64 v31, null, 0, v43, s6
	v_add_lshl_u32 v46, v28, v43, 2
	v_add_lshl_u32 v47, v29, v43, 2
	s_delay_alu instid0(VALU_DEP_4) | instskip(NEXT) | instid1(VALU_DEP_4)
	v_add_lshl_u32 v48, v30, v43, 2
	v_dual_mov_b32 v28, v15 :: v_dual_lshlrev_b32 v49, 2, v31
	v_mov_b32_e32 v29, v14
	s_mov_b32 s6, 0
	s_mov_b32 s29, s65
	;; [unrolled: 1-line block ×5, first 2 shown]
	s_branch .LBB136_17
.LBB136_16:                             ;   in Loop: Header=BB136_17 Depth=2
	s_wait_xcnt 0x0
	s_or_b32 exec_lo, exec_lo, s7
	s_add_co_i32 s30, s30, 4
	s_add_co_i32 s67, s67, s39
	;; [unrolled: 1-line block ×5, first 2 shown]
	s_cmp_ge_i32 s30, s57
	s_cbranch_scc1 .LBB136_62
.LBB136_17:                             ;   Parent Loop BB136_3 Depth=1
                                        ; =>  This Loop Header: Depth=2
                                        ;       Child Loop BB136_47 Depth 3
                                        ;       Child Loop BB136_49 Depth 3
                                        ; implicit-def: $vgpr37
                                        ; implicit-def: $vgpr35
                                        ; implicit-def: $vgpr33
                                        ; implicit-def: $vgpr31
	s_and_saveexec_b32 s7, s1
	s_delay_alu instid0(SALU_CYCLE_1)
	s_xor_b32 s7, exec_lo, s7
	s_cbranch_execnz .LBB136_44
; %bb.18:                               ;   in Loop: Header=BB136_17 Depth=2
	s_and_not1_saveexec_b32 s68, s7
	s_cbranch_execnz .LBB136_45
.LBB136_19:                             ;   in Loop: Header=BB136_17 Depth=2
	s_or_b32 exec_lo, exec_lo, s68
	s_and_saveexec_b32 s7, s3
.LBB136_20:                             ;   in Loop: Header=BB136_17 Depth=2
	ds_store_b64 v41, v[12:13]
.LBB136_21:                             ;   in Loop: Header=BB136_17 Depth=2
	s_or_b32 exec_lo, exec_lo, s7
	ds_bpermute_b32 v38, v45, v36
	ds_bpermute_b32 v39, v45, v37
	s_wait_storecnt_dscnt 0x0
	s_barrier_signal -1
	s_barrier_wait -1
	v_pk_add_f32 v[36:37], v[36:37], v[38:39]
	ds_bpermute_b32 v38, v46, v36
	ds_bpermute_b32 v39, v46, v37
	s_wait_dscnt 0x0
	v_pk_add_f32 v[36:37], v[36:37], v[38:39]
	ds_bpermute_b32 v38, v47, v36
	ds_bpermute_b32 v39, v47, v37
	s_wait_dscnt 0x0
	;; [unrolled: 4-line block ×3, first 2 shown]
	v_pk_add_f32 v[36:37], v[36:37], v[38:39]
	ds_bpermute_b32 v38, v49, v36
	ds_bpermute_b32 v39, v49, v37
	s_and_saveexec_b32 s7, s4
	s_cbranch_execz .LBB136_23
; %bb.22:                               ;   in Loop: Header=BB136_17 Depth=2
	s_wait_dscnt 0x0
	v_pk_add_f32 v[36:37], v[36:37], v[38:39]
	ds_store_b64 v42, v[36:37]
.LBB136_23:                             ;   in Loop: Header=BB136_17 Depth=2
	s_or_b32 exec_lo, exec_lo, s7
	v_mov_b64_e32 v[36:37], 0
	s_wait_dscnt 0x0
	s_barrier_signal -1
	s_barrier_wait -1
	s_and_saveexec_b32 s7, s5
	s_cbranch_execnz .LBB136_50
; %bb.24:                               ;   in Loop: Header=BB136_17 Depth=2
	s_or_b32 exec_lo, exec_lo, s7
	s_and_saveexec_b32 s7, s3
	s_cbranch_execnz .LBB136_51
.LBB136_25:                             ;   in Loop: Header=BB136_17 Depth=2
	s_or_b32 exec_lo, exec_lo, s7
	s_and_saveexec_b32 s7, s3
.LBB136_26:                             ;   in Loop: Header=BB136_17 Depth=2
	ds_store_b64 v41, v[12:13]
.LBB136_27:                             ;   in Loop: Header=BB136_17 Depth=2
	s_or_b32 exec_lo, exec_lo, s7
	ds_bpermute_b32 v38, v45, v34
	ds_bpermute_b32 v39, v45, v35
	s_wait_dscnt 0x0
	s_barrier_signal -1
	s_barrier_wait -1
	v_pk_add_f32 v[34:35], v[34:35], v[38:39]
	ds_bpermute_b32 v38, v46, v34
	ds_bpermute_b32 v39, v46, v35
	s_wait_dscnt 0x0
	v_pk_add_f32 v[34:35], v[34:35], v[38:39]
	ds_bpermute_b32 v38, v47, v34
	ds_bpermute_b32 v39, v47, v35
	s_wait_dscnt 0x0
	;; [unrolled: 4-line block ×3, first 2 shown]
	v_pk_add_f32 v[34:35], v[34:35], v[38:39]
	ds_bpermute_b32 v38, v49, v34
	ds_bpermute_b32 v39, v49, v35
	s_and_saveexec_b32 s7, s4
	s_cbranch_execz .LBB136_29
; %bb.28:                               ;   in Loop: Header=BB136_17 Depth=2
	s_wait_dscnt 0x0
	v_pk_add_f32 v[34:35], v[34:35], v[38:39]
	ds_store_b64 v42, v[34:35]
.LBB136_29:                             ;   in Loop: Header=BB136_17 Depth=2
	s_or_b32 exec_lo, exec_lo, s7
	v_mov_b64_e32 v[34:35], 0
	s_wait_dscnt 0x0
	s_barrier_signal -1
	s_barrier_wait -1
	s_and_saveexec_b32 s7, s5
	s_cbranch_execnz .LBB136_52
; %bb.30:                               ;   in Loop: Header=BB136_17 Depth=2
	s_or_b32 exec_lo, exec_lo, s7
	s_and_saveexec_b32 s7, s3
	s_cbranch_execnz .LBB136_53
.LBB136_31:                             ;   in Loop: Header=BB136_17 Depth=2
	s_or_b32 exec_lo, exec_lo, s7
	s_and_saveexec_b32 s7, s3
.LBB136_32:                             ;   in Loop: Header=BB136_17 Depth=2
	ds_store_b64 v41, v[12:13]
.LBB136_33:                             ;   in Loop: Header=BB136_17 Depth=2
	s_or_b32 exec_lo, exec_lo, s7
	ds_bpermute_b32 v38, v45, v32
	ds_bpermute_b32 v39, v45, v33
	s_wait_dscnt 0x0
	s_barrier_signal -1
	s_barrier_wait -1
	v_pk_add_f32 v[32:33], v[32:33], v[38:39]
	ds_bpermute_b32 v38, v46, v32
	ds_bpermute_b32 v39, v46, v33
	s_wait_dscnt 0x0
	v_pk_add_f32 v[32:33], v[32:33], v[38:39]
	ds_bpermute_b32 v38, v47, v32
	ds_bpermute_b32 v39, v47, v33
	s_wait_dscnt 0x0
	;; [unrolled: 4-line block ×3, first 2 shown]
	v_pk_add_f32 v[32:33], v[32:33], v[38:39]
	ds_bpermute_b32 v38, v49, v32
	ds_bpermute_b32 v39, v49, v33
	s_and_saveexec_b32 s7, s4
	s_cbranch_execz .LBB136_35
; %bb.34:                               ;   in Loop: Header=BB136_17 Depth=2
	s_wait_dscnt 0x0
	v_pk_add_f32 v[32:33], v[32:33], v[38:39]
	ds_store_b64 v42, v[32:33]
.LBB136_35:                             ;   in Loop: Header=BB136_17 Depth=2
	s_or_b32 exec_lo, exec_lo, s7
	v_mov_b64_e32 v[32:33], 0
	s_wait_dscnt 0x0
	s_barrier_signal -1
	s_barrier_wait -1
	s_and_saveexec_b32 s7, s5
	s_cbranch_execnz .LBB136_54
; %bb.36:                               ;   in Loop: Header=BB136_17 Depth=2
	s_or_b32 exec_lo, exec_lo, s7
	s_and_saveexec_b32 s7, s3
	s_cbranch_execnz .LBB136_55
.LBB136_37:                             ;   in Loop: Header=BB136_17 Depth=2
	s_or_b32 exec_lo, exec_lo, s7
	s_and_saveexec_b32 s7, s3
.LBB136_38:                             ;   in Loop: Header=BB136_17 Depth=2
	ds_store_b64 v41, v[12:13]
.LBB136_39:                             ;   in Loop: Header=BB136_17 Depth=2
	s_or_b32 exec_lo, exec_lo, s7
	ds_bpermute_b32 v38, v45, v30
	ds_bpermute_b32 v39, v45, v31
	s_wait_dscnt 0x0
	s_barrier_signal -1
	s_barrier_wait -1
	v_pk_add_f32 v[30:31], v[30:31], v[38:39]
	ds_bpermute_b32 v38, v46, v30
	ds_bpermute_b32 v39, v46, v31
	s_wait_dscnt 0x0
	v_pk_add_f32 v[30:31], v[30:31], v[38:39]
	ds_bpermute_b32 v38, v47, v30
	ds_bpermute_b32 v39, v47, v31
	s_wait_dscnt 0x0
	;; [unrolled: 4-line block ×3, first 2 shown]
	v_pk_add_f32 v[30:31], v[30:31], v[38:39]
	ds_bpermute_b32 v38, v49, v30
	ds_bpermute_b32 v39, v49, v31
	s_and_saveexec_b32 s7, s4
	s_cbranch_execz .LBB136_41
; %bb.40:                               ;   in Loop: Header=BB136_17 Depth=2
	s_wait_dscnt 0x0
	v_pk_add_f32 v[30:31], v[30:31], v[38:39]
	ds_store_b64 v42, v[30:31]
.LBB136_41:                             ;   in Loop: Header=BB136_17 Depth=2
	s_or_b32 exec_lo, exec_lo, s7
	v_mov_b64_e32 v[30:31], 0
	s_wait_dscnt 0x0
	s_barrier_signal -1
	s_barrier_wait -1
	s_and_saveexec_b32 s7, s5
	s_cbranch_execnz .LBB136_56
; %bb.42:                               ;   in Loop: Header=BB136_17 Depth=2
	s_or_b32 exec_lo, exec_lo, s7
	s_and_saveexec_b32 s7, s3
	s_cbranch_execnz .LBB136_57
.LBB136_43:                             ;   in Loop: Header=BB136_17 Depth=2
	s_or_b32 exec_lo, exec_lo, s7
	s_and_saveexec_b32 s7, s0
	s_cbranch_execz .LBB136_16
	s_branch .LBB136_58
.LBB136_44:                             ;   in Loop: Header=BB136_17 Depth=2
	s_mul_i32 s8, s30, s33
	s_clause 0x1
	global_load_b64 v[50:51], v[18:19], off
	global_load_b64 v[52:53], v[20:21], off
	s_ashr_i32 s9, s8, 31
	s_add_co_i32 s52, s8, s33
	v_lshl_add_u64 v[34:35], s[8:9], 3, v[16:17]
	s_ashr_i32 s53, s52, 31
	s_add_co_i32 s8, s52, s33
	v_lshl_add_u64 v[38:39], s[52:53], 3, v[16:17]
	s_ashr_i32 s9, s8, 31
	s_wait_dscnt 0x0
	global_load_b128 v[30:33], v[34:35], off
	global_load_b64 v[54:55], v[22:23], off
	v_lshl_add_u64 v[74:75], s[8:9], 3, v[16:17]
	s_add_co_i32 s8, s8, s33
	global_load_b128 v[34:37], v[34:35], off offset:16
	s_ashr_i32 s9, s8, 31
	s_clause 0x2
	global_load_b128 v[58:61], v[38:39], off
	global_load_b128 v[62:65], v[38:39], off offset:16
	global_load_b128 v[66:69], v[74:75], off
	s_wait_xcnt 0x1
	v_lshl_add_u64 v[38:39], s[8:9], 3, v[16:17]
	global_load_b64 v[56:57], v[24:25], off
	s_clause 0x1
	global_load_b128 v[70:73], v[38:39], off
	global_load_b128 v[74:77], v[74:75], off offset:16
	s_wait_loadcnt 0x8
	v_dual_mul_f32 v78, v31, v51 :: v_dual_mul_f32 v31, v31, v50
	v_pk_mul_f32 v[80:81], v[32:33], v[52:53] op_sel:[0,1]
	s_wait_loadcnt 0x5
	v_dual_mov_b32 v82, v37 :: v_dual_mul_f32 v86, v59, v51
	v_pk_mul_f32 v[84:85], v[54:55], v[34:35] op_sel:[1,1] op_sel_hi:[0,1]
	s_wait_loadcnt 0x4
	v_dual_mul_f32 v37, v59, v50 :: v_dual_mov_b32 v90, v65
	s_wait_loadcnt 0x3
	v_dual_mul_f32 v92, v67, v51 :: v_dual_mul_f32 v65, v67, v50
	v_dual_fmac_f32 v78, v30, v50 :: v_dual_fma_f32 v79, v30, v51, -v31
	v_pk_fma_f32 v[94:95], v[32:33], v[52:53], v[80:81] op_sel:[0,0,1] op_sel_hi:[1,1,0]
	v_pk_fma_f32 v[30:31], v[32:33], v[52:53], v[80:81] op_sel:[0,0,1] op_sel_hi:[1,0,0] neg_lo:[1,0,0] neg_hi:[1,0,0]
	v_pk_mul_f32 v[32:33], v[68:69], v[52:53] op_sel:[0,1]
	v_pk_mul_f32 v[88:89], v[60:61], v[52:53] op_sel:[0,1]
	s_wait_loadcnt 0x2
	v_pk_mul_f32 v[80:81], v[56:57], v[82:83] op_sel:[1,0] op_sel_hi:[0,0]
	v_pk_fma_f32 v[82:83], v[54:55], v[34:35], v[84:85]
	v_pk_fma_f32 v[34:35], v[54:55], v[34:35], v[84:85] op_sel_hi:[1,0,1] neg_lo:[0,0,1] neg_hi:[0,0,1]
	s_wait_loadcnt 0x1
	v_dual_mul_f32 v84, v71, v51 :: v_dual_fmac_f32 v92, v66, v50
	v_dual_fma_f32 v93, v66, v51, -v65 :: v_dual_mul_f32 v30, v71, v50
	v_pk_fma_f32 v[66:67], v[68:69], v[52:53], v[32:33] op_sel:[0,0,1] op_sel_hi:[1,1,0]
	v_pk_fma_f32 v[68:69], v[68:69], v[52:53], v[32:33] op_sel:[0,0,1] op_sel_hi:[1,0,0] neg_lo:[1,0,0] neg_hi:[1,0,0]
	v_pk_mul_f32 v[32:33], v[72:73], v[52:53] op_sel:[0,1]
	v_dual_fmac_f32 v86, v58, v50 :: v_dual_fma_f32 v87, v58, v51, -v37
	v_pk_fma_f32 v[58:59], v[60:61], v[52:53], v[88:89] op_sel:[0,0,1] op_sel_hi:[1,1,0]
	v_pk_fma_f32 v[60:61], v[60:61], v[52:53], v[88:89] op_sel:[0,0,1] op_sel_hi:[1,0,0] neg_lo:[1,0,0] neg_hi:[1,0,0]
	v_pk_fma_f32 v[88:89], v[56:57], v[36:37], v[80:81]
	v_pk_fma_f32 v[36:37], v[56:57], v[36:37], v[80:81] op_sel_hi:[1,0,1] neg_lo:[0,0,1] neg_hi:[0,0,1]
	v_pk_mul_f32 v[80:81], v[54:55], v[62:63] op_sel:[1,1] op_sel_hi:[0,1]
	v_pk_mul_f32 v[90:91], v[56:57], v[90:91] op_sel:[1,0] op_sel_hi:[0,0]
	v_dual_fmac_f32 v84, v70, v50 :: v_dual_fma_f32 v85, v70, v51, -v30
	v_pk_fma_f32 v[70:71], v[72:73], v[52:53], v[32:33] op_sel:[0,0,1] op_sel_hi:[1,1,0]
	v_pk_fma_f32 v[72:73], v[72:73], v[52:53], v[32:33] op_sel:[0,0,1] op_sel_hi:[1,0,0] neg_lo:[1,0,0] neg_hi:[1,0,0]
	s_wait_loadcnt 0x0
	v_dual_mov_b32 v30, v77 :: v_dual_mov_b32 v95, v31
	v_pk_mul_f32 v[32:33], v[54:55], v[74:75] op_sel:[1,1] op_sel_hi:[0,1]
	v_pk_fma_f32 v[96:97], v[54:55], v[62:63], v[80:81]
	v_pk_fma_f32 v[62:63], v[54:55], v[62:63], v[80:81] op_sel_hi:[1,0,1] neg_lo:[0,0,1] neg_hi:[0,0,1]
	v_pk_fma_f32 v[80:81], v[56:57], v[64:65], v[90:91]
	v_pk_fma_f32 v[64:65], v[56:57], v[64:65], v[90:91] op_sel_hi:[1,0,1] neg_lo:[0,0,1] neg_hi:[0,0,1]
	v_pk_mul_f32 v[90:91], v[56:57], v[30:31] op_sel:[1,0] op_sel_hi:[0,0]
	v_pk_fma_f32 v[98:99], v[54:55], v[74:75], v[32:33]
	s_wait_xcnt 0x0
	v_pk_fma_f32 v[74:75], v[54:55], v[74:75], v[32:33] op_sel_hi:[1,0,1] neg_lo:[0,0,1] neg_hi:[0,0,1]
	global_load_b128 v[30:33], v[38:39], off offset:16
	v_dual_mov_b32 v83, v35 :: v_dual_mov_b32 v59, v61
	s_wait_xcnt 0x0
	v_pk_add_f32 v[38:39], v[78:79], 0 op_sel_hi:[1,0]
	v_dual_mov_b32 v67, v69 :: v_dual_mov_b32 v99, v75
	v_pk_add_f32 v[68:69], v[92:93], 0 op_sel_hi:[1,0]
	v_dual_mov_b32 v89, v37 :: v_dual_mov_b32 v71, v73
	v_pk_fma_f32 v[100:101], v[56:57], v[76:77], v[90:91]
	v_pk_fma_f32 v[76:77], v[56:57], v[76:77], v[90:91] op_sel_hi:[1,0,1] neg_lo:[0,0,1] neg_hi:[0,0,1]
	v_pk_add_f32 v[38:39], v[38:39], v[94:95]
	ds_store_b128 v40, v[50:53]
	ds_store_b128 v40, v[54:57] offset:16
	v_mov_b32_e32 v97, v63
	v_pk_add_f32 v[62:63], v[86:87], 0 op_sel_hi:[1,0]
	v_mov_b32_e32 v81, v65
	v_pk_add_f32 v[38:39], v[38:39], v[82:83]
	s_wait_loadcnt 0x0
	v_pk_mul_f32 v[34:35], v[54:55], v[30:31] op_sel:[1,1] op_sel_hi:[0,1]
	v_mov_b32_e32 v36, v33
	s_delay_alu instid0(VALU_DEP_2) | instskip(SKIP_1) | instid1(VALU_DEP_3)
	v_pk_fma_f32 v[60:61], v[54:55], v[30:31], v[34:35]
	v_pk_fma_f32 v[30:31], v[54:55], v[30:31], v[34:35] op_sel_hi:[1,0,1] neg_lo:[0,0,1] neg_hi:[0,0,1]
	v_pk_mul_f32 v[34:35], v[56:57], v[36:37] op_sel:[1,0] op_sel_hi:[0,0]
	v_pk_add_f32 v[36:37], v[84:85], 0 op_sel_hi:[1,0]
	s_delay_alu instid0(VALU_DEP_3) | instskip(NEXT) | instid1(VALU_DEP_3)
	v_mov_b32_e32 v61, v31
	v_pk_fma_f32 v[30:31], v[56:57], v[32:33], v[34:35]
	v_pk_fma_f32 v[32:33], v[56:57], v[32:33], v[34:35] op_sel_hi:[1,0,1] neg_lo:[0,0,1] neg_hi:[0,0,1]
	v_pk_add_f32 v[34:35], v[62:63], v[58:59]
	v_pk_add_f32 v[58:59], v[68:69], v[66:67]
	;; [unrolled: 1-line block ×3, first 2 shown]
	s_delay_alu instid0(VALU_DEP_4) | instskip(NEXT) | instid1(VALU_DEP_4)
	v_dual_mov_b32 v101, v77 :: v_dual_mov_b32 v31, v33
	v_pk_add_f32 v[34:35], v[34:35], v[96:97]
	s_delay_alu instid0(VALU_DEP_4) | instskip(NEXT) | instid1(VALU_DEP_4)
	v_pk_add_f32 v[58:59], v[58:59], v[98:99]
	v_pk_add_f32 v[60:61], v[36:37], v[60:61]
	;; [unrolled: 1-line block ×3, first 2 shown]
	s_delay_alu instid0(VALU_DEP_4) | instskip(NEXT) | instid1(VALU_DEP_4)
	v_pk_add_f32 v[34:35], v[34:35], v[80:81]
	v_pk_add_f32 v[32:33], v[58:59], v[100:101]
	s_delay_alu instid0(VALU_DEP_4)
	v_pk_add_f32 v[30:31], v[60:61], v[30:31]
	s_and_not1_saveexec_b32 s68, s7
	s_cbranch_execz .LBB136_19
.LBB136_45:                             ;   in Loop: Header=BB136_17 Depth=2
	v_dual_mov_b32 v37, 0 :: v_dual_mov_b32 v36, 0
	v_dual_mov_b32 v35, 0 :: v_dual_mov_b32 v34, 0
	;; [unrolled: 1-line block ×3, first 2 shown]
	s_wait_dscnt 0x0
	v_dual_mov_b32 v31, 0 :: v_dual_mov_b32 v30, 0
	s_and_saveexec_b32 s69, s2
	s_cbranch_execz .LBB136_60
; %bb.46:                               ;   in Loop: Header=BB136_17 Depth=2
	v_dual_mov_b32 v30, v4 :: v_dual_mov_b32 v31, v40
	s_and_not1_b32 vcc_lo, exec_lo, s34
	s_mov_b32 s7, s58
	s_cbranch_vccnz .LBB136_59
.LBB136_47:                             ;   Parent Loop BB136_3 Depth=1
                                        ;     Parent Loop BB136_17 Depth=2
                                        ; =>    This Inner Loop Header: Depth=3
	global_load_b64 v[32:33], v30, s[48:49] scale_offset
	s_wait_xcnt 0x0
	v_add_nc_u32_e32 v30, s10, v30
	s_add_co_i32 s7, s7, -1
	s_delay_alu instid0(SALU_CYCLE_1)
	s_cmp_eq_u32 s7, 0
	s_wait_loadcnt 0x0
	ds_store_b64 v31, v[32:33]
	v_add_nc_u32_e32 v31, 8, v31
	s_cbranch_scc0 .LBB136_47
; %bb.48:                               ;   in Loop: Header=BB136_17 Depth=2
	v_dual_mov_b32 v30, 0 :: v_dual_mov_b32 v50, v40
	s_ashr_i32 s7, s6, 31
	s_mov_b32 s8, s29
	v_lshl_add_u64 v[38:39], s[6:7], 3, v[26:27]
	s_delay_alu instid0(VALU_DEP_2)
	v_dual_mov_b32 v31, v30 :: v_dual_mov_b32 v32, v30
	v_dual_mov_b32 v33, v30 :: v_dual_mov_b32 v34, v30
	;; [unrolled: 1-line block ×3, first 2 shown]
	v_mov_b32_e32 v37, v30
	s_mov_b32 s52, s66
	s_mov_b32 s54, s67
	;; [unrolled: 1-line block ×3, first 2 shown]
.LBB136_49:                             ;   Parent Loop BB136_3 Depth=1
                                        ;     Parent Loop BB136_17 Depth=2
                                        ; =>    This Inner Loop Header: Depth=3
	s_ashr_i32 s55, s54, 31
	s_ashr_i32 s53, s52, 31
	;; [unrolled: 1-line block ×3, first 2 shown]
	v_lshl_add_u64 v[52:53], s[54:55], 3, v[16:17]
	v_lshl_add_u64 v[54:55], s[52:53], 3, v[16:17]
	;; [unrolled: 1-line block ×3, first 2 shown]
	global_load_b64 v[58:59], v[38:39], off offset:-4
	s_clause 0x2
	global_load_b64 v[52:53], v[52:53], off
	global_load_b64 v[54:55], v[54:55], off
	global_load_b64 v[56:57], v[56:57], off
	ds_load_b64 v[60:61], v50
	s_wait_xcnt 0x3
	v_add_nc_u64_e32 v[38:39], 8, v[38:39]
	s_add_co_i32 s7, s7, -1
	s_add_co_i32 s54, s54, 1
	s_add_co_i32 s52, s52, 1
	;; [unrolled: 1-line block ×3, first 2 shown]
	s_cmp_lg_u32 s7, 0
	s_wait_loadcnt_dscnt 0x300
	v_pk_mul_f32 v[62:63], v[60:61], v[58:59] op_sel:[1,1] op_sel_hi:[0,1]
	s_wait_loadcnt 0x1
	v_pk_mul_f32 v[66:67], v[60:61], v[54:55] op_sel:[1,1] op_sel_hi:[0,1]
	s_wait_loadcnt 0x0
	v_pk_mul_f32 v[68:69], v[60:61], v[56:57] op_sel:[1,1] op_sel_hi:[0,1]
	v_pk_fma_f32 v[64:65], v[60:61], v[58:59], v[62:63]
	v_pk_fma_f32 v[58:59], v[60:61], v[58:59], v[62:63] op_sel_hi:[1,0,1] neg_lo:[0,0,1] neg_hi:[0,0,1]
	v_pk_mul_f32 v[62:63], v[60:61], v[52:53] op_sel:[1,1] op_sel_hi:[0,1]
	v_add_nc_u32_e32 v50, 8, v50
	v_pk_fma_f32 v[70:71], v[60:61], v[56:57], v[68:69] op_sel_hi:[1,0,1] neg_lo:[0,0,1] neg_hi:[0,0,1]
	s_wait_xcnt 0x0
	v_pk_fma_f32 v[56:57], v[60:61], v[56:57], v[68:69]
	v_mov_b32_e32 v65, v59
	v_pk_fma_f32 v[58:59], v[60:61], v[52:53], v[62:63]
	v_pk_fma_f32 v[52:53], v[60:61], v[52:53], v[62:63] op_sel_hi:[1,0,1] neg_lo:[0,0,1] neg_hi:[0,0,1]
	v_pk_fma_f32 v[62:63], v[60:61], v[54:55], v[66:67] op_sel_hi:[1,0,1] neg_lo:[0,0,1] neg_hi:[0,0,1]
	v_pk_fma_f32 v[54:55], v[60:61], v[54:55], v[66:67]
	v_mov_b32_e32 v57, v71
	v_pk_add_f32 v[36:37], v[36:37], v[64:65]
	s_delay_alu instid0(VALU_DEP_4) | instskip(NEXT) | instid1(VALU_DEP_3)
	v_dual_mov_b32 v59, v53 :: v_dual_mov_b32 v55, v63
	v_pk_add_f32 v[30:31], v[30:31], v[56:57]
	s_delay_alu instid0(VALU_DEP_2) | instskip(NEXT) | instid1(VALU_DEP_3)
	v_pk_add_f32 v[34:35], v[34:35], v[58:59]
	v_pk_add_f32 v[32:33], v[32:33], v[54:55]
	s_cbranch_scc1 .LBB136_49
	s_branch .LBB136_60
.LBB136_50:                             ;   in Loop: Header=BB136_17 Depth=2
	ds_load_b64 v[36:37], v41
	s_or_b32 exec_lo, exec_lo, s7
	s_and_saveexec_b32 s7, s3
	s_cbranch_execz .LBB136_25
.LBB136_51:                             ;   in Loop: Header=BB136_17 Depth=2
	s_wait_dscnt 0x0
	ds_bpermute_b32 v38, v47, v36
	ds_bpermute_b32 v39, v47, v37
	s_wait_dscnt 0x0
	v_pk_add_f32 v[36:37], v[36:37], v[38:39]
	ds_bpermute_b32 v38, v48, v36
	ds_bpermute_b32 v39, v48, v37
	s_wait_dscnt 0x0
	v_pk_add_f32 v[36:37], v[36:37], v[38:39]
	;; [unrolled: 4-line block ×3, first 2 shown]
	s_or_b32 exec_lo, exec_lo, s7
	s_and_saveexec_b32 s7, s3
	s_cbranch_execnz .LBB136_26
	s_branch .LBB136_27
.LBB136_52:                             ;   in Loop: Header=BB136_17 Depth=2
	ds_load_b64 v[34:35], v41
	s_or_b32 exec_lo, exec_lo, s7
	s_and_saveexec_b32 s7, s3
	s_cbranch_execz .LBB136_31
.LBB136_53:                             ;   in Loop: Header=BB136_17 Depth=2
	s_wait_dscnt 0x0
	ds_bpermute_b32 v38, v47, v34
	ds_bpermute_b32 v39, v47, v35
	s_wait_dscnt 0x0
	v_pk_add_f32 v[34:35], v[34:35], v[38:39]
	ds_bpermute_b32 v38, v48, v34
	ds_bpermute_b32 v39, v48, v35
	s_wait_dscnt 0x0
	v_pk_add_f32 v[34:35], v[34:35], v[38:39]
	;; [unrolled: 4-line block ×3, first 2 shown]
	s_or_b32 exec_lo, exec_lo, s7
	s_and_saveexec_b32 s7, s3
	s_cbranch_execnz .LBB136_32
	s_branch .LBB136_33
.LBB136_54:                             ;   in Loop: Header=BB136_17 Depth=2
	ds_load_b64 v[32:33], v41
	s_or_b32 exec_lo, exec_lo, s7
	s_and_saveexec_b32 s7, s3
	s_cbranch_execz .LBB136_37
.LBB136_55:                             ;   in Loop: Header=BB136_17 Depth=2
	s_wait_dscnt 0x0
	ds_bpermute_b32 v38, v47, v32
	ds_bpermute_b32 v39, v47, v33
	s_wait_dscnt 0x0
	v_pk_add_f32 v[32:33], v[32:33], v[38:39]
	ds_bpermute_b32 v38, v48, v32
	ds_bpermute_b32 v39, v48, v33
	s_wait_dscnt 0x0
	v_pk_add_f32 v[32:33], v[32:33], v[38:39]
	ds_bpermute_b32 v38, v49, v32
	ds_bpermute_b32 v39, v49, v33
	s_wait_dscnt 0x0
	v_pk_add_f32 v[32:33], v[32:33], v[38:39]
	s_or_b32 exec_lo, exec_lo, s7
	s_and_saveexec_b32 s7, s3
	s_cbranch_execnz .LBB136_38
	s_branch .LBB136_39
.LBB136_56:                             ;   in Loop: Header=BB136_17 Depth=2
	ds_load_b64 v[30:31], v41
	s_or_b32 exec_lo, exec_lo, s7
	s_and_saveexec_b32 s7, s3
	s_cbranch_execz .LBB136_43
.LBB136_57:                             ;   in Loop: Header=BB136_17 Depth=2
	s_wait_dscnt 0x0
	ds_bpermute_b32 v38, v47, v30
	ds_bpermute_b32 v39, v47, v31
	s_wait_dscnt 0x0
	v_pk_add_f32 v[30:31], v[30:31], v[38:39]
	ds_bpermute_b32 v38, v48, v30
	ds_bpermute_b32 v39, v48, v31
	s_wait_dscnt 0x0
	v_pk_add_f32 v[30:31], v[30:31], v[38:39]
	;; [unrolled: 4-line block ×3, first 2 shown]
	s_or_b32 exec_lo, exec_lo, s7
	s_and_saveexec_b32 s7, s0
	s_cbranch_execz .LBB136_16
.LBB136_58:                             ;   in Loop: Header=BB136_17 Depth=2
	v_pk_mul_f32 v[38:39], v[36:37], v[28:29] op_sel:[1,0]
	v_pk_mul_f32 v[50:51], v[34:35], v[28:29] op_sel:[1,0]
	;; [unrolled: 1-line block ×3, first 2 shown]
	s_mul_i32 s8, s30, s36
	s_delay_alu instid0(SALU_CYCLE_1)
	s_add_co_i32 s8, s8, s38
	v_pk_fma_f32 v[54:55], v[36:37], v[14:15], v[38:39] op_sel_hi:[0,1,1]
	v_pk_fma_f32 v[36:37], v[36:37], v[14:15], v[38:39] neg_lo:[0,0,1] neg_hi:[0,0,1]
	s_wait_dscnt 0x0
	v_pk_mul_f32 v[38:39], v[30:31], v[28:29] op_sel:[1,0]
	v_pk_fma_f32 v[56:57], v[34:35], v[14:15], v[50:51] op_sel_hi:[0,1,1]
	v_pk_fma_f32 v[34:35], v[34:35], v[14:15], v[50:51] neg_lo:[0,0,1] neg_hi:[0,0,1]
	v_pk_fma_f32 v[50:51], v[32:33], v[14:15], v[52:53] op_sel_hi:[0,1,1]
	v_dual_mov_b32 v54, s8 :: v_dual_mov_b32 v37, v55
	s_add_co_i32 s8, s8, s36
	v_pk_fma_f32 v[32:33], v[32:33], v[14:15], v[52:53] neg_lo:[0,0,1] neg_hi:[0,0,1]
	v_pk_fma_f32 v[52:53], v[30:31], v[14:15], v[38:39] op_sel_hi:[0,1,1]
	v_dual_mov_b32 v35, v57 :: v_dual_mov_b32 v50, s8
	s_add_co_i32 s8, s8, s36
	s_delay_alu instid0(SALU_CYCLE_1)
	v_dual_mov_b32 v33, v51 :: v_dual_mov_b32 v51, s8
	s_add_co_i32 s8, s8, s36
	v_pk_fma_f32 v[30:31], v[30:31], v[14:15], v[38:39] neg_lo:[0,0,1] neg_hi:[0,0,1]
	v_dual_mov_b32 v31, v53 :: v_dual_mov_b32 v38, s8
	s_clause 0x3
	global_store_b64 v54, v[36:37], s[50:51] scale_offset
	global_store_b64 v50, v[34:35], s[50:51] scale_offset
	;; [unrolled: 1-line block ×4, first 2 shown]
	s_branch .LBB136_16
.LBB136_59:                             ;   in Loop: Header=BB136_17 Depth=2
	v_mov_b32_e32 v37, 0
	s_delay_alu instid0(VALU_DEP_1)
	v_dual_mov_b32 v36, v37 :: v_dual_mov_b32 v35, v37
	v_dual_mov_b32 v34, v37 :: v_dual_mov_b32 v33, v37
	v_dual_mov_b32 v32, v37 :: v_dual_mov_b32 v31, v37
	v_mov_b32_e32 v30, v37
.LBB136_60:                             ;   in Loop: Header=BB136_17 Depth=2
	s_or_b32 exec_lo, exec_lo, s69
	s_delay_alu instid0(SALU_CYCLE_1)
	s_or_b32 exec_lo, exec_lo, s68
	s_and_saveexec_b32 s7, s3
	s_cbranch_execnz .LBB136_20
	s_branch .LBB136_21
.LBB136_61:                             ;   in Loop: Header=BB136_3 Depth=1
	s_mov_b32 s30, 0
.LBB136_62:                             ;   in Loop: Header=BB136_3 Depth=1
	s_delay_alu instid0(SALU_CYCLE_1)
	s_cmp_ge_i32 s30, s35
	s_cbranch_scc1 .LBB136_2
; %bb.63:                               ;   in Loop: Header=BB136_3 Depth=1
	v_cmp_gt_u32_e32 vcc_lo, 24, v43
	s_add_nc_u64 s[6:7], s[50:51], s[22:23]
	s_mul_i32 s8, s33, s30
	v_cndmask_b32_e64 v28, 0, 8, vcc_lo
	v_cmp_gt_u32_e32 vcc_lo, 28, v43
	s_delay_alu instid0(VALU_DEP_2) | instskip(SKIP_3) | instid1(VALU_DEP_3)
	v_add_lshl_u32 v34, v28, v43, 2
	v_cndmask_b32_e64 v29, 0, 4, vcc_lo
	v_cmp_gt_u32_e32 vcc_lo, 30, v43
	v_mov_b32_e32 v28, v15
	v_add_lshl_u32 v35, v29, v43, 2
	s_wait_dscnt 0x0
	v_cndmask_b32_e64 v30, 0, 2, vcc_lo
	v_cmp_ne_u32_e32 vcc_lo, 31, v43
	v_mov_b32_e32 v29, v14
	s_delay_alu instid0(VALU_DEP_3) | instskip(SKIP_1) | instid1(VALU_DEP_1)
	v_add_lshl_u32 v36, v30, v43, 2
	v_add_co_ci_u32_e64 v31, null, 0, v43, vcc_lo
	v_lshlrev_b32_e32 v37, 2, v31
	s_branch .LBB136_65
.LBB136_64:                             ;   in Loop: Header=BB136_65 Depth=2
	s_wait_xcnt 0x0
	s_or_b32 exec_lo, exec_lo, s9
	s_add_co_i32 s30, s30, 1
	s_add_co_i32 s8, s8, s33
	s_cmp_ge_i32 s30, s35
	s_cbranch_scc1 .LBB136_2
.LBB136_65:                             ;   Parent Loop BB136_3 Depth=1
                                        ; =>  This Loop Header: Depth=2
                                        ;       Child Loop BB136_77 Depth 3
                                        ;       Child Loop BB136_79 Depth 3
                                        ; implicit-def: $vgpr31
	s_and_saveexec_b32 s9, s1
	s_delay_alu instid0(SALU_CYCLE_1)
	s_xor_b32 s9, exec_lo, s9
	s_cbranch_execnz .LBB136_74
; %bb.66:                               ;   in Loop: Header=BB136_65 Depth=2
	s_and_not1_saveexec_b32 s29, s9
	s_cbranch_execnz .LBB136_75
.LBB136_67:                             ;   in Loop: Header=BB136_65 Depth=2
	s_or_b32 exec_lo, exec_lo, s29
	s_and_saveexec_b32 s9, s3
.LBB136_68:                             ;   in Loop: Header=BB136_65 Depth=2
	ds_store_b64 v41, v[12:13]
.LBB136_69:                             ;   in Loop: Header=BB136_65 Depth=2
	s_or_b32 exec_lo, exec_lo, s9
	s_wait_dscnt 0x0
	ds_bpermute_b32 v32, v45, v30
	ds_bpermute_b32 v33, v45, v31
	s_wait_storecnt_dscnt 0x0
	s_barrier_signal -1
	s_barrier_wait -1
	v_pk_add_f32 v[30:31], v[30:31], v[32:33]
	ds_bpermute_b32 v32, v34, v30
	ds_bpermute_b32 v33, v34, v31
	s_wait_dscnt 0x0
	v_pk_add_f32 v[30:31], v[30:31], v[32:33]
	ds_bpermute_b32 v32, v35, v30
	ds_bpermute_b32 v33, v35, v31
	s_wait_dscnt 0x0
	;; [unrolled: 4-line block ×3, first 2 shown]
	v_pk_add_f32 v[30:31], v[30:31], v[32:33]
	ds_bpermute_b32 v32, v37, v30
	ds_bpermute_b32 v33, v37, v31
	s_and_saveexec_b32 s9, s4
	s_cbranch_execz .LBB136_71
; %bb.70:                               ;   in Loop: Header=BB136_65 Depth=2
	s_wait_dscnt 0x0
	v_pk_add_f32 v[30:31], v[30:31], v[32:33]
	ds_store_b64 v42, v[30:31]
.LBB136_71:                             ;   in Loop: Header=BB136_65 Depth=2
	s_or_b32 exec_lo, exec_lo, s9
	v_mov_b64_e32 v[30:31], 0
	s_wait_dscnt 0x0
	s_barrier_signal -1
	s_barrier_wait -1
	s_and_saveexec_b32 s9, s5
	s_cbranch_execnz .LBB136_81
; %bb.72:                               ;   in Loop: Header=BB136_65 Depth=2
	s_or_b32 exec_lo, exec_lo, s9
	s_and_saveexec_b32 s9, s3
	s_cbranch_execnz .LBB136_82
.LBB136_73:                             ;   in Loop: Header=BB136_65 Depth=2
	s_or_b32 exec_lo, exec_lo, s9
	s_and_saveexec_b32 s9, s0
	s_cbranch_execz .LBB136_64
	s_branch .LBB136_83
.LBB136_74:                             ;   in Loop: Header=BB136_65 Depth=2
	s_mul_i32 s50, s30, s33
	s_delay_alu instid0(SALU_CYCLE_1) | instskip(NEXT) | instid1(SALU_CYCLE_1)
	s_ashr_i32 s51, s50, 31
	v_lshl_add_u64 v[38:39], s[50:51], 3, v[16:17]
	s_clause 0x2
	global_load_b64 v[46:47], v[18:19], off
	global_load_b64 v[48:49], v[20:21], off
	global_load_b64 v[50:51], v[22:23], off
	s_wait_dscnt 0x0
	s_clause 0x1
	global_load_b128 v[30:33], v[38:39], off
	global_load_b128 v[54:57], v[38:39], off offset:16
	global_load_b64 v[52:53], v[24:25], off
	s_wait_loadcnt 0x4
	ds_store_b128 v40, v[46:49]
	s_wait_loadcnt 0x0
	ds_store_b128 v40, v[50:53] offset:16
	v_dual_mul_f32 v60, v31, v47 :: v_dual_mul_f32 v31, v31, v46
	v_dual_mov_b32 v62, v33 :: v_dual_mov_b32 v63, v32
	v_pk_mul_f32 v[32:33], v[32:33], v[48:49] op_sel_hi:[1,0]
	s_wait_xcnt 0x1
	v_dual_mov_b32 v38, v49 :: v_dual_mov_b32 v58, v51
	v_pk_mul_f32 v[64:65], v[54:55], v[50:51] op_sel_hi:[1,0]
	v_dual_mov_b32 v66, v57 :: v_dual_fmac_f32 v60, v30, v46
	v_dual_fma_f32 v61, v30, v47, -v31 :: v_dual_mov_b32 v67, v56
	v_pk_fma_f32 v[30:31], v[62:63], v[48:49], v[32:33] op_sel:[0,1,0] neg_lo:[0,0,1] neg_hi:[0,0,1]
	v_pk_fma_f32 v[32:33], v[62:63], v[38:39], v[32:33]
	v_pk_fma_f32 v[38:39], v[54:55], v[50:51], v[64:65] op_sel:[1,1,0] op_sel_hi:[0,1,1] neg_lo:[0,0,1] neg_hi:[0,0,1]
	s_delay_alu instid0(VALU_DEP_4) | instskip(NEXT) | instid1(VALU_DEP_4)
	v_pk_add_f32 v[60:61], v[60:61], 0 op_sel_hi:[1,0]
	v_dual_mov_b32 v38, v53 :: v_dual_mov_b32 v33, v31
	v_pk_mul_f32 v[30:31], v[56:57], v[52:53] op_sel_hi:[1,0]
	v_pk_fma_f32 v[54:55], v[54:55], v[58:59], v[64:65] op_sel:[1,0,0] op_sel_hi:[0,1,1]
	s_delay_alu instid0(VALU_DEP_3) | instskip(NEXT) | instid1(VALU_DEP_3)
	v_pk_add_f32 v[32:33], v[60:61], v[32:33]
	v_pk_fma_f32 v[56:57], v[66:67], v[52:53], v[30:31] op_sel:[0,1,0] neg_lo:[0,0,1] neg_hi:[0,0,1]
	v_mov_b32_e32 v55, v39
	v_pk_fma_f32 v[30:31], v[66:67], v[38:39], v[30:31]
	s_delay_alu instid0(VALU_DEP_3) | instskip(NEXT) | instid1(VALU_DEP_3)
	v_mov_b32_e32 v31, v57
	v_pk_add_f32 v[32:33], v[32:33], v[54:55]
	s_delay_alu instid0(VALU_DEP_1)
	v_pk_add_f32 v[30:31], v[32:33], v[30:31]
	s_wait_xcnt 0x0
	s_and_not1_saveexec_b32 s29, s9
	s_cbranch_execz .LBB136_67
.LBB136_75:                             ;   in Loop: Header=BB136_65 Depth=2
	s_wait_dscnt 0x0
	v_mov_b32_e32 v31, 0
	s_delay_alu instid0(VALU_DEP_1)
	v_mov_b32_e32 v30, v31
	s_and_saveexec_b32 s50, s60
	s_cbranch_execz .LBB136_80
; %bb.76:                               ;   in Loop: Header=BB136_65 Depth=2
	v_dual_mov_b32 v30, v4 :: v_dual_mov_b32 v31, v40
	s_mov_b32 s9, s58
.LBB136_77:                             ;   Parent Loop BB136_3 Depth=1
                                        ;     Parent Loop BB136_65 Depth=2
                                        ; =>    This Inner Loop Header: Depth=3
	global_load_b64 v[32:33], v30, s[48:49] scale_offset
	s_wait_xcnt 0x0
	v_add_nc_u32_e32 v30, s10, v30
	s_add_co_i32 s9, s9, -1
	s_delay_alu instid0(SALU_CYCLE_1)
	s_cmp_eq_u32 s9, 0
	s_wait_loadcnt 0x0
	ds_store_b64 v31, v[32:33]
	v_add_nc_u32_e32 v31, 8, v31
	s_cbranch_scc0 .LBB136_77
; %bb.78:                               ;   in Loop: Header=BB136_65 Depth=2
	v_dual_mov_b32 v30, 0 :: v_dual_mov_b32 v38, v40
	s_ashr_i32 s9, s8, 31
	s_delay_alu instid0(SALU_CYCLE_1) | instskip(NEXT) | instid1(VALU_DEP_2)
	v_lshl_add_u64 v[32:33], s[8:9], 3, v[26:27]
	v_mov_b32_e32 v31, v30
	s_mov_b32 s9, s58
.LBB136_79:                             ;   Parent Loop BB136_3 Depth=1
                                        ;     Parent Loop BB136_65 Depth=2
                                        ; =>    This Inner Loop Header: Depth=3
	global_load_b64 v[46:47], v[32:33], off offset:-4
	ds_load_b64 v[48:49], v38
	s_wait_xcnt 0x0
	v_add_nc_u64_e32 v[32:33], 8, v[32:33]
	s_add_co_i32 s9, s9, -1
	v_add_nc_u32_e32 v38, 8, v38
	s_cmp_lg_u32 s9, 0
	s_wait_loadcnt_dscnt 0x0
	v_pk_mul_f32 v[50:51], v[46:47], v[48:49] op_sel:[1,1] op_sel_hi:[1,0]
	s_delay_alu instid0(VALU_DEP_1) | instskip(SKIP_1) | instid1(VALU_DEP_2)
	v_pk_fma_f32 v[52:53], v[46:47], v[48:49], v[50:51] op_sel_hi:[0,1,1] neg_lo:[0,0,1] neg_hi:[0,0,1]
	v_pk_fma_f32 v[46:47], v[46:47], v[48:49], v[50:51]
	v_mov_b32_e32 v47, v53
	s_delay_alu instid0(VALU_DEP_1)
	v_pk_add_f32 v[30:31], v[30:31], v[46:47]
	s_cbranch_scc1 .LBB136_79
.LBB136_80:                             ;   in Loop: Header=BB136_65 Depth=2
	s_or_b32 exec_lo, exec_lo, s50
	s_delay_alu instid0(SALU_CYCLE_1)
	s_or_b32 exec_lo, exec_lo, s29
	s_and_saveexec_b32 s9, s3
	s_cbranch_execnz .LBB136_68
	s_branch .LBB136_69
.LBB136_81:                             ;   in Loop: Header=BB136_65 Depth=2
	ds_load_b64 v[30:31], v41
	s_or_b32 exec_lo, exec_lo, s9
	s_and_saveexec_b32 s9, s3
	s_cbranch_execz .LBB136_73
.LBB136_82:                             ;   in Loop: Header=BB136_65 Depth=2
	s_wait_dscnt 0x0
	ds_bpermute_b32 v32, v35, v30
	ds_bpermute_b32 v33, v35, v31
	s_wait_dscnt 0x0
	v_pk_add_f32 v[30:31], v[30:31], v[32:33]
	ds_bpermute_b32 v32, v36, v30
	ds_bpermute_b32 v33, v36, v31
	s_wait_dscnt 0x0
	v_pk_add_f32 v[30:31], v[30:31], v[32:33]
	;; [unrolled: 4-line block ×3, first 2 shown]
	s_or_b32 exec_lo, exec_lo, s9
	s_and_saveexec_b32 s9, s0
	s_cbranch_execz .LBB136_64
.LBB136_83:                             ;   in Loop: Header=BB136_65 Depth=2
	s_wait_dscnt 0x0
	v_pk_mul_f32 v[32:33], v[30:31], v[28:29] op_sel:[1,0]
	s_mul_u64 s[50:51], s[30:31], s[36:37]
	s_delay_alu instid0(SALU_CYCLE_1) | instskip(NEXT) | instid1(SALU_CYCLE_1)
	s_lshl_b64 s[50:51], s[50:51], 3
	s_add_nc_u64 s[50:51], s[6:7], s[50:51]
	s_delay_alu instid0(VALU_DEP_1) | instskip(SKIP_1) | instid1(VALU_DEP_2)
	v_pk_fma_f32 v[38:39], v[30:31], v[14:15], v[32:33] op_sel_hi:[0,1,1]
	v_pk_fma_f32 v[30:31], v[30:31], v[14:15], v[32:33] neg_lo:[0,0,1] neg_hi:[0,0,1]
	v_mov_b32_e32 v31, v39
	global_store_b64 v44, v[30:31], s[50:51]
	s_branch .LBB136_64
.LBB136_84:
	s_sendmsg sendmsg(MSG_DEALLOC_VGPRS)
	s_endpgm
	.section	.rodata,"a",@progbits
	.p2align	6, 0x0
	.amdhsa_kernel _ZL23rocblas_gemvt_sn_kernelILb1ELi256ELi4Ei19rocblas_complex_numIfEPKS1_S1_EviiT4_lPKT3_lilS7_lilPT5_i
		.amdhsa_group_segment_fixed_size 8448
		.amdhsa_private_segment_fixed_size 0
		.amdhsa_kernarg_size 360
		.amdhsa_user_sgpr_count 4
		.amdhsa_user_sgpr_dispatch_ptr 1
		.amdhsa_user_sgpr_queue_ptr 0
		.amdhsa_user_sgpr_kernarg_segment_ptr 1
		.amdhsa_user_sgpr_dispatch_id 0
		.amdhsa_user_sgpr_kernarg_preload_length 0
		.amdhsa_user_sgpr_kernarg_preload_offset 0
		.amdhsa_user_sgpr_private_segment_size 0
		.amdhsa_wavefront_size32 1
		.amdhsa_uses_dynamic_stack 0
		.amdhsa_enable_private_segment 0
		.amdhsa_system_sgpr_workgroup_id_x 1
		.amdhsa_system_sgpr_workgroup_id_y 0
		.amdhsa_system_sgpr_workgroup_id_z 1
		.amdhsa_system_sgpr_workgroup_info 0
		.amdhsa_system_vgpr_workitem_id 2
		.amdhsa_next_free_vgpr 102
		.amdhsa_next_free_sgpr 70
		.amdhsa_named_barrier_count 0
		.amdhsa_reserve_vcc 1
		.amdhsa_float_round_mode_32 0
		.amdhsa_float_round_mode_16_64 0
		.amdhsa_float_denorm_mode_32 3
		.amdhsa_float_denorm_mode_16_64 3
		.amdhsa_fp16_overflow 0
		.amdhsa_memory_ordered 1
		.amdhsa_forward_progress 1
		.amdhsa_inst_pref_size 43
		.amdhsa_round_robin_scheduling 0
		.amdhsa_exception_fp_ieee_invalid_op 0
		.amdhsa_exception_fp_denorm_src 0
		.amdhsa_exception_fp_ieee_div_zero 0
		.amdhsa_exception_fp_ieee_overflow 0
		.amdhsa_exception_fp_ieee_underflow 0
		.amdhsa_exception_fp_ieee_inexact 0
		.amdhsa_exception_int_div_zero 0
	.end_amdhsa_kernel
	.section	.text._ZL23rocblas_gemvt_sn_kernelILb1ELi256ELi4Ei19rocblas_complex_numIfEPKS1_S1_EviiT4_lPKT3_lilS7_lilPT5_i,"axG",@progbits,_ZL23rocblas_gemvt_sn_kernelILb1ELi256ELi4Ei19rocblas_complex_numIfEPKS1_S1_EviiT4_lPKT3_lilS7_lilPT5_i,comdat
.Lfunc_end136:
	.size	_ZL23rocblas_gemvt_sn_kernelILb1ELi256ELi4Ei19rocblas_complex_numIfEPKS1_S1_EviiT4_lPKT3_lilS7_lilPT5_i, .Lfunc_end136-_ZL23rocblas_gemvt_sn_kernelILb1ELi256ELi4Ei19rocblas_complex_numIfEPKS1_S1_EviiT4_lPKT3_lilS7_lilPT5_i
                                        ; -- End function
	.set _ZL23rocblas_gemvt_sn_kernelILb1ELi256ELi4Ei19rocblas_complex_numIfEPKS1_S1_EviiT4_lPKT3_lilS7_lilPT5_i.num_vgpr, 102
	.set _ZL23rocblas_gemvt_sn_kernelILb1ELi256ELi4Ei19rocblas_complex_numIfEPKS1_S1_EviiT4_lPKT3_lilS7_lilPT5_i.num_agpr, 0
	.set _ZL23rocblas_gemvt_sn_kernelILb1ELi256ELi4Ei19rocblas_complex_numIfEPKS1_S1_EviiT4_lPKT3_lilS7_lilPT5_i.numbered_sgpr, 70
	.set _ZL23rocblas_gemvt_sn_kernelILb1ELi256ELi4Ei19rocblas_complex_numIfEPKS1_S1_EviiT4_lPKT3_lilS7_lilPT5_i.num_named_barrier, 0
	.set _ZL23rocblas_gemvt_sn_kernelILb1ELi256ELi4Ei19rocblas_complex_numIfEPKS1_S1_EviiT4_lPKT3_lilS7_lilPT5_i.private_seg_size, 0
	.set _ZL23rocblas_gemvt_sn_kernelILb1ELi256ELi4Ei19rocblas_complex_numIfEPKS1_S1_EviiT4_lPKT3_lilS7_lilPT5_i.uses_vcc, 1
	.set _ZL23rocblas_gemvt_sn_kernelILb1ELi256ELi4Ei19rocblas_complex_numIfEPKS1_S1_EviiT4_lPKT3_lilS7_lilPT5_i.uses_flat_scratch, 0
	.set _ZL23rocblas_gemvt_sn_kernelILb1ELi256ELi4Ei19rocblas_complex_numIfEPKS1_S1_EviiT4_lPKT3_lilS7_lilPT5_i.has_dyn_sized_stack, 0
	.set _ZL23rocblas_gemvt_sn_kernelILb1ELi256ELi4Ei19rocblas_complex_numIfEPKS1_S1_EviiT4_lPKT3_lilS7_lilPT5_i.has_recursion, 0
	.set _ZL23rocblas_gemvt_sn_kernelILb1ELi256ELi4Ei19rocblas_complex_numIfEPKS1_S1_EviiT4_lPKT3_lilS7_lilPT5_i.has_indirect_call, 0
	.section	.AMDGPU.csdata,"",@progbits
; Kernel info:
; codeLenInByte = 5456
; TotalNumSgprs: 72
; NumVgprs: 102
; ScratchSize: 0
; MemoryBound: 0
; FloatMode: 240
; IeeeMode: 1
; LDSByteSize: 8448 bytes/workgroup (compile time only)
; SGPRBlocks: 0
; VGPRBlocks: 6
; NumSGPRsForWavesPerEU: 72
; NumVGPRsForWavesPerEU: 102
; NamedBarCnt: 0
; Occupancy: 9
; WaveLimiterHint : 0
; COMPUTE_PGM_RSRC2:SCRATCH_EN: 0
; COMPUTE_PGM_RSRC2:USER_SGPR: 4
; COMPUTE_PGM_RSRC2:TRAP_HANDLER: 0
; COMPUTE_PGM_RSRC2:TGID_X_EN: 1
; COMPUTE_PGM_RSRC2:TGID_Y_EN: 0
; COMPUTE_PGM_RSRC2:TGID_Z_EN: 1
; COMPUTE_PGM_RSRC2:TIDIG_COMP_CNT: 2
	.section	.text._ZL23rocblas_gemvt_sn_kernelILb1ELi256ELi4El19rocblas_complex_numIfEPKS1_S1_EviiT4_lPKT3_lilS7_lilPT5_i,"axG",@progbits,_ZL23rocblas_gemvt_sn_kernelILb1ELi256ELi4El19rocblas_complex_numIfEPKS1_S1_EviiT4_lPKT3_lilS7_lilPT5_i,comdat
	.globl	_ZL23rocblas_gemvt_sn_kernelILb1ELi256ELi4El19rocblas_complex_numIfEPKS1_S1_EviiT4_lPKT3_lilS7_lilPT5_i ; -- Begin function _ZL23rocblas_gemvt_sn_kernelILb1ELi256ELi4El19rocblas_complex_numIfEPKS1_S1_EviiT4_lPKT3_lilS7_lilPT5_i
	.p2align	8
	.type	_ZL23rocblas_gemvt_sn_kernelILb1ELi256ELi4El19rocblas_complex_numIfEPKS1_S1_EviiT4_lPKT3_lilS7_lilPT5_i,@function
_ZL23rocblas_gemvt_sn_kernelILb1ELi256ELi4El19rocblas_complex_numIfEPKS1_S1_EviiT4_lPKT3_lilS7_lilPT5_i: ; @_ZL23rocblas_gemvt_sn_kernelILb1ELi256ELi4El19rocblas_complex_numIfEPKS1_S1_EviiT4_lPKT3_lilS7_lilPT5_i
; %bb.0:
	s_load_b32 s33, s[2:3], 0x60
	s_bfe_u32 s4, ttmp6, 0x40014
	s_lshr_b32 s5, ttmp7, 16
	s_add_co_i32 s4, s4, 1
	s_bfe_u32 s6, ttmp6, 0x40008
	s_mul_i32 s4, s5, s4
	s_getreg_b32 s8, hwreg(HW_REG_IB_STS2, 6, 4)
	s_add_co_i32 s6, s6, s4
	s_cmp_eq_u32 s8, 0
	s_mov_b32 s29, 0
	s_cselect_b32 s10, s5, s6
	s_wait_kmcnt 0x0
	s_cmp_ge_u32 s10, s33
	s_cbranch_scc1 .LBB137_84
; %bb.1:
	s_clause 0x1
	s_load_b32 s30, s[2:3], 0x28
	s_load_b96 s[4:6], s[2:3], 0x40
	s_load_b64 s[38:39], s[0:1], 0x4
	s_clause 0x3
	s_load_b256 s[12:19], s[2:3], 0x8
	s_load_b64 s[34:35], s[2:3], 0x0
	s_load_b128 s[20:23], s[2:3], 0x30
	s_load_b128 s[24:27], s[2:3], 0x50
	v_and_b32_e32 v1, 0x3ff, v0
	s_load_b32 s36, s[2:3], 0x68
	v_bfe_u32 v2, v0, 10, 10
	v_bfe_u32 v3, v0, 20, 10
	v_mbcnt_lo_u32_b32 v47, -1, 0
	s_wait_xcnt 0x0
	v_cmp_eq_u32_e64 s0, 0, v1
	s_mov_b32 s37, s29
	v_mov_b32_e32 v48, 0
	v_lshl_or_b32 v49, v47, 2, 64
	s_wait_kmcnt 0x0
	s_ashr_i32 s31, s30, 31
	s_ashr_i32 s7, s6, 31
	s_lshr_b32 s1, s38, 16
	s_lshl_b64 s[2:3], s[4:5], 3
	s_lshl_b64 s[4:5], s[18:19], 3
	s_ashr_i32 s9, s35, 31
	s_cmp_gt_i32 s35, 0
	s_mul_i32 s1, s1, s39
	s_cselect_b32 s11, -1, 0
	s_bfe_u32 s18, ttmp6, 0x4000c
	v_mul_lo_u32 v4, s1, v1
	s_add_co_i32 s18, s18, 1
	s_and_b32 s1, ttmp6, 15
	s_mul_i32 s18, ttmp9, s18
	s_and_b32 s58, s0, s11
	s_add_co_i32 s1, s1, s18
	s_cmp_eq_u32 s8, 0
	v_mul_u32_u24_e32 v2, s39, v2
	s_cselect_b32 s28, ttmp9, s1
	s_add_nc_u64 s[18:19], s[22:23], s[2:3]
	s_lshl_b32 s1, s28, 10
	s_add_nc_u64 s[2:3], s[16:17], s[4:5]
	v_lshl_or_b32 v6, v1, 2, s1
	s_ashr_i32 s1, s34, 31
	v_add3_u32 v2, v4, v2, v3
	s_lshr_b32 s1, s1, 30
	s_lshr_b32 s4, s9, 30
	s_add_co_i32 s1, s34, s1
	v_dual_ashrrev_i32 v7, 31, v6 :: v_dual_add_nc_u32 v4, 4, v6
	s_and_b32 s1, s1, -4
	v_or_b32_e32 v8, 1, v6
	s_sub_co_i32 s60, s34, s1
	s_delay_alu instid0(SALU_CYCLE_1)
	v_dual_add_nc_u32 v5, s60, v6 :: v_dual_bitop2_b32 v10, 2, v6 bitop3:0x54
	v_or_b32_e32 v12, 3, v6
	v_lshl_add_u32 v44, v2, 5, 0x100
	v_lshl_add_u64 v[2:3], v[6:7], 3, s[2:3]
	v_cmp_ge_i32_e64 s1, s34, v4
	v_cmp_ge_i32_e64 s2, s34, v5
	v_mul_u64_e32 v[4:5], s[6:7], v[6:7]
	v_ashrrev_i32_e32 v9, 31, v8
	v_dual_ashrrev_i32 v11, 31, v10 :: v_dual_bitop2_b32 v14, 31, v0 bitop3:0x40
	v_lshrrev_b32_e32 v0, 2, v0
	v_ashrrev_i32_e32 v13, 31, v12
	s_delay_alu instid0(VALU_DEP_4) | instskip(NEXT) | instid1(VALU_DEP_4)
	v_mul_u64_e32 v[6:7], s[6:7], v[8:9]
	v_lshlrev_b32_e32 v45, 3, v14
	v_mul_u64_e32 v[8:9], s[6:7], v[10:11]
	s_add_co_i32 s4, s35, s4
	v_mul_u64_e32 v[10:11], s[6:7], v[12:13]
	s_and_b32 s59, s4, -4
	v_cmp_eq_u32_e64 s4, 0, v14
	s_cmp_gt_i32 s59, 0
	v_add_nc_u64_e32 v[12:13], 4, v[2:3]
	s_cselect_b32 s61, -1, 0
	s_cmp_gt_i32 s60, 0
	v_mov_b64_e32 v[14:15], 0
	s_cselect_b32 s34, -1, 0
	v_cmp_gt_u32_e64 s3, 32, v1
	s_and_b32 s62, s34, s2
	s_cmp_gt_u32 s35, 1
	v_cmp_gt_u32_e64 s5, 8, v1
	s_cselect_b32 s11, -1, 0
	s_cmp_eq_u32 s36, 1
	v_and_b32_e32 v46, 56, v0
	s_cselect_b32 s22, -1, 0
	s_and_b32 s63, s35, 0x7ffffffe
	s_and_b32 s64, s11, s22
	s_cmp_lg_u32 s35, s63
	s_mov_b32 s8, s35
	s_cselect_b32 s65, -1, 0
	v_lshl_add_u64 v[0:1], v[4:5], 3, s[18:19]
	s_lshl_b64 s[22:23], s[28:29], 3
	s_mul_u64 s[16:17], s[8:9], s[36:37]
	s_add_nc_u64 s[38:39], s[26:27], s[22:23]
	s_lshl_b64 s[40:41], s[8:9], 3
	s_lshl_b64 s[42:43], s[36:37], 3
	;; [unrolled: 1-line block ×7, first 2 shown]
	s_branch .LBB137_3
.LBB137_2:                              ;   in Loop: Header=BB137_3 Depth=1
	s_add_co_i32 s10, s10, 0x10000
	s_delay_alu instid0(SALU_CYCLE_1)
	s_cmp_lt_u32 s10, s33
	s_cbranch_scc0 .LBB137_84
.LBB137_3:                              ; =>This Loop Header: Depth=1
                                        ;     Child Loop BB137_7 Depth 2
                                        ;     Child Loop BB137_11 Depth 2
	;; [unrolled: 1-line block ×3, first 2 shown]
                                        ;       Child Loop BB137_47 Depth 3
                                        ;       Child Loop BB137_49 Depth 3
                                        ;     Child Loop BB137_65 Depth 2
                                        ;       Child Loop BB137_77 Depth 3
                                        ;       Child Loop BB137_79 Depth 3
	s_mov_b32 s11, s29
	s_delay_alu instid0(SALU_CYCLE_1) | instskip(NEXT) | instid1(SALU_CYCLE_1)
	s_mul_u64 s[6:7], s[14:15], s[10:11]
	s_lshl_b64 s[6:7], s[6:7], 3
	s_delay_alu instid0(SALU_CYCLE_1) | instskip(SKIP_3) | instid1(SALU_CYCLE_1)
	s_add_nc_u64 s[6:7], s[12:13], s[6:7]
	global_load_b64 v[16:17], v48, s[6:7]
	s_wait_xcnt 0x0
	s_mul_u64 s[6:7], s[16:17], s[10:11]
	s_lshl_b64 s[6:7], s[6:7], 3
	s_delay_alu instid0(SALU_CYCLE_1) | instskip(SKIP_3) | instid1(VALU_DEP_1)
	s_add_nc_u64 s[54:55], s[26:27], s[6:7]
	s_mov_b32 s6, -1
	s_wait_loadcnt 0x0
	v_or_b32_e32 v18, v16, v17
	v_and_b32_e32 v18, 0x7fffffff, v18
	s_delay_alu instid0(VALU_DEP_1)
	v_cmp_ne_u32_e32 vcc_lo, 0, v18
	s_cbranch_vccnz .LBB137_13
; %bb.4:                                ;   in Loop: Header=BB137_3 Depth=1
	s_and_saveexec_b32 s66, s58
	s_cbranch_execz .LBB137_12
; %bb.5:                                ;   in Loop: Header=BB137_3 Depth=1
	s_and_not1_b32 vcc_lo, exec_lo, s64
	s_cbranch_vccnz .LBB137_9
; %bb.6:                                ;   in Loop: Header=BB137_3 Depth=1
	s_add_nc_u64 s[6:7], s[54:55], s[22:23]
	s_mov_b32 s8, 1
	s_mov_b32 s28, 0
	;; [unrolled: 1-line block ×3, first 2 shown]
.LBB137_7:                              ;   Parent Loop BB137_3 Depth=1
                                        ; =>  This Inner Loop Header: Depth=2
	s_mov_b32 s9, s29
	s_wait_xcnt 0x1
	s_lshl_b64 s[68:69], s[28:29], 3
	s_add_co_i32 s57, s57, -2
	s_add_co_i32 s28, s28, 2
	s_wait_xcnt 0x0
	s_lshl_b64 s[70:71], s[8:9], 3
	s_add_co_i32 s8, s8, 2
	s_mov_b32 s56, s63
	s_mov_b32 s67, s65
	s_add_nc_u64 s[68:69], s[6:7], s[68:69]
	s_cmp_lg_u32 s57, 0
	s_add_nc_u64 s[70:71], s[6:7], s[70:71]
	s_clause 0x1
	global_store_b64 v48, v[14:15], s[68:69]
	global_store_b64 v48, v[14:15], s[70:71]
	s_cbranch_scc1 .LBB137_7
; %bb.8:                                ;   in Loop: Header=BB137_3 Depth=1
	s_and_b32 vcc_lo, exec_lo, s67
	s_cbranch_vccnz .LBB137_10
	s_branch .LBB137_12
.LBB137_9:                              ;   in Loop: Header=BB137_3 Depth=1
	s_mov_b32 s56, 0
	s_cbranch_execz .LBB137_12
.LBB137_10:                             ;   in Loop: Header=BB137_3 Depth=1
	s_mov_b32 s57, s29
	s_mul_u64 s[6:7], s[40:41], s[10:11]
	s_lshl_b64 s[8:9], s[56:57], 3
	s_delay_alu instid0(SALU_CYCLE_1) | instskip(SKIP_2) | instid1(SALU_CYCLE_1)
	s_add_nc_u64 s[6:7], s[6:7], s[8:9]
	s_sub_co_i32 s8, s35, s56
	s_mul_u64 s[6:7], s[36:37], s[6:7]
	s_add_nc_u64 s[6:7], s[38:39], s[6:7]
.LBB137_11:                             ;   Parent Loop BB137_3 Depth=1
                                        ; =>  This Inner Loop Header: Depth=2
	s_add_co_i32 s8, s8, -1
	global_store_b64 v48, v[14:15], s[6:7]
	s_cmp_eq_u32 s8, 0
	s_wait_xcnt 0x0
	s_add_nc_u64 s[6:7], s[6:7], s[42:43]
	s_cbranch_scc0 .LBB137_11
.LBB137_12:                             ;   in Loop: Header=BB137_3 Depth=1
	s_wait_xcnt 0x0
	s_or_b32 exec_lo, exec_lo, s66
	s_mov_b32 s6, 0
.LBB137_13:                             ;   in Loop: Header=BB137_3 Depth=1
	s_delay_alu instid0(SALU_CYCLE_1)
	s_and_not1_b32 vcc_lo, exec_lo, s6
	s_cbranch_vccnz .LBB137_2
; %bb.14:                               ;   in Loop: Header=BB137_3 Depth=1
	v_mad_nc_u64_u32 v[18:19], s44, s10, v[0:1]
	s_mul_u64 s[6:7], s[24:25], s[10:11]
	s_mul_u64 s[8:9], s[20:21], s[10:11]
	s_lshl_b64 s[6:7], s[6:7], 3
	v_lshl_add_u64 v[20:21], s[8:9], 3, v[2:3]
	s_add_nc_u64 s[6:7], s[18:19], s[6:7]
	v_cmp_gt_u32_e64 s9, 24, v47
	v_lshl_add_u64 v[22:23], v[4:5], 3, s[6:7]
	v_lshl_add_u64 v[24:25], v[6:7], 3, s[6:7]
	;; [unrolled: 1-line block ×4, first 2 shown]
	v_mad_u32 v19, s45, s10, v19
	v_cmp_gt_u32_e64 s8, 28, v47
	v_cmp_gt_u32_e64 s7, 30, v47
	v_cmp_ne_u32_e64 s6, 31, v47
	s_mul_u64 s[56:57], s[48:49], s[10:11]
	s_and_not1_b32 vcc_lo, exec_lo, s61
	s_add_nc_u64 s[54:55], s[54:55], s[22:23]
	s_cbranch_vccnz .LBB137_61
; %bb.15:                               ;   in Loop: Header=BB137_3 Depth=1
	v_cndmask_b32_e64 v32, 0, 8, s9
	v_cndmask_b32_e64 v33, 0, 4, s8
	s_wait_dscnt 0x0
	v_cndmask_b32_e64 v34, 0, 2, s7
	v_add_co_ci_u32_e64 v35, null, 0, v47, s6
	v_add_nc_u64_e32 v[30:31], s[56:57], v[2:3]
	v_add_lshl_u32 v50, v32, v47, 2
	v_add_lshl_u32 v51, v33, v47, 2
	;; [unrolled: 1-line block ×3, first 2 shown]
	v_dual_mov_b32 v32, v17 :: v_dual_lshlrev_b32 v53, 2, v35
	v_mov_b32_e32 v33, v16
	s_mov_b32 s28, 0
	s_branch .LBB137_17
.LBB137_16:                             ;   in Loop: Header=BB137_17 Depth=2
	s_wait_xcnt 0x0
	s_or_b32 exec_lo, exec_lo, s6
	v_add_nc_u64_e32 v[30:31], s[50:51], v[30:31]
	s_add_co_i32 s28, s28, 4
	s_delay_alu instid0(SALU_CYCLE_1)
	s_cmp_ge_i32 s28, s59
	s_cbranch_scc1 .LBB137_62
.LBB137_17:                             ;   Parent Loop BB137_3 Depth=1
                                        ; =>  This Loop Header: Depth=2
                                        ;       Child Loop BB137_47 Depth 3
                                        ;       Child Loop BB137_49 Depth 3
                                        ; implicit-def: $vgpr39
                                        ; implicit-def: $vgpr41
                                        ; implicit-def: $vgpr37
                                        ; implicit-def: $vgpr35
	s_and_saveexec_b32 s6, s1
	s_delay_alu instid0(SALU_CYCLE_1)
	s_xor_b32 s6, exec_lo, s6
	s_cbranch_execnz .LBB137_44
; %bb.18:                               ;   in Loop: Header=BB137_17 Depth=2
	s_and_not1_saveexec_b32 s6, s6
	s_cbranch_execnz .LBB137_45
.LBB137_19:                             ;   in Loop: Header=BB137_17 Depth=2
	s_or_b32 exec_lo, exec_lo, s6
	s_and_saveexec_b32 s6, s3
.LBB137_20:                             ;   in Loop: Header=BB137_17 Depth=2
	ds_store_b64 v45, v[14:15]
.LBB137_21:                             ;   in Loop: Header=BB137_17 Depth=2
	s_or_b32 exec_lo, exec_lo, s6
	ds_bpermute_b32 v42, v49, v38
	ds_bpermute_b32 v43, v49, v39
	s_wait_storecnt_dscnt 0x0
	s_barrier_signal -1
	s_barrier_wait -1
	v_pk_add_f32 v[38:39], v[38:39], v[42:43]
	ds_bpermute_b32 v42, v50, v38
	ds_bpermute_b32 v43, v50, v39
	s_wait_dscnt 0x0
	v_pk_add_f32 v[38:39], v[38:39], v[42:43]
	ds_bpermute_b32 v42, v51, v38
	ds_bpermute_b32 v43, v51, v39
	s_wait_dscnt 0x0
	;; [unrolled: 4-line block ×3, first 2 shown]
	v_pk_add_f32 v[38:39], v[38:39], v[42:43]
	ds_bpermute_b32 v42, v53, v38
	ds_bpermute_b32 v43, v53, v39
	s_and_saveexec_b32 s6, s4
	s_cbranch_execz .LBB137_23
; %bb.22:                               ;   in Loop: Header=BB137_17 Depth=2
	s_wait_dscnt 0x0
	v_pk_add_f32 v[38:39], v[38:39], v[42:43]
	ds_store_b64 v46, v[38:39]
.LBB137_23:                             ;   in Loop: Header=BB137_17 Depth=2
	s_or_b32 exec_lo, exec_lo, s6
	v_mov_b64_e32 v[38:39], 0
	s_wait_dscnt 0x0
	s_barrier_signal -1
	s_barrier_wait -1
	s_and_saveexec_b32 s6, s5
	s_cbranch_execnz .LBB137_50
; %bb.24:                               ;   in Loop: Header=BB137_17 Depth=2
	s_or_b32 exec_lo, exec_lo, s6
	s_and_saveexec_b32 s6, s3
	s_cbranch_execnz .LBB137_51
.LBB137_25:                             ;   in Loop: Header=BB137_17 Depth=2
	s_or_b32 exec_lo, exec_lo, s6
	s_and_saveexec_b32 s6, s3
.LBB137_26:                             ;   in Loop: Header=BB137_17 Depth=2
	ds_store_b64 v45, v[14:15]
.LBB137_27:                             ;   in Loop: Header=BB137_17 Depth=2
	s_or_b32 exec_lo, exec_lo, s6
	ds_bpermute_b32 v42, v49, v40
	ds_bpermute_b32 v43, v49, v41
	s_wait_dscnt 0x0
	s_barrier_signal -1
	s_barrier_wait -1
	v_pk_add_f32 v[40:41], v[40:41], v[42:43]
	ds_bpermute_b32 v42, v50, v40
	ds_bpermute_b32 v43, v50, v41
	s_wait_dscnt 0x0
	v_pk_add_f32 v[40:41], v[40:41], v[42:43]
	ds_bpermute_b32 v42, v51, v40
	ds_bpermute_b32 v43, v51, v41
	s_wait_dscnt 0x0
	;; [unrolled: 4-line block ×3, first 2 shown]
	v_pk_add_f32 v[40:41], v[40:41], v[42:43]
	ds_bpermute_b32 v42, v53, v40
	ds_bpermute_b32 v43, v53, v41
	s_and_saveexec_b32 s6, s4
	s_cbranch_execz .LBB137_29
; %bb.28:                               ;   in Loop: Header=BB137_17 Depth=2
	s_wait_dscnt 0x0
	v_pk_add_f32 v[40:41], v[40:41], v[42:43]
	ds_store_b64 v46, v[40:41]
.LBB137_29:                             ;   in Loop: Header=BB137_17 Depth=2
	s_or_b32 exec_lo, exec_lo, s6
	v_mov_b64_e32 v[40:41], 0
	s_wait_dscnt 0x0
	s_barrier_signal -1
	s_barrier_wait -1
	s_and_saveexec_b32 s6, s5
	s_cbranch_execnz .LBB137_52
; %bb.30:                               ;   in Loop: Header=BB137_17 Depth=2
	s_or_b32 exec_lo, exec_lo, s6
	s_and_saveexec_b32 s6, s3
	s_cbranch_execnz .LBB137_53
.LBB137_31:                             ;   in Loop: Header=BB137_17 Depth=2
	s_or_b32 exec_lo, exec_lo, s6
	s_and_saveexec_b32 s6, s3
.LBB137_32:                             ;   in Loop: Header=BB137_17 Depth=2
	ds_store_b64 v45, v[14:15]
.LBB137_33:                             ;   in Loop: Header=BB137_17 Depth=2
	s_or_b32 exec_lo, exec_lo, s6
	ds_bpermute_b32 v42, v49, v36
	ds_bpermute_b32 v43, v49, v37
	s_wait_dscnt 0x0
	s_barrier_signal -1
	s_barrier_wait -1
	v_pk_add_f32 v[36:37], v[36:37], v[42:43]
	ds_bpermute_b32 v42, v50, v36
	ds_bpermute_b32 v43, v50, v37
	s_wait_dscnt 0x0
	v_pk_add_f32 v[36:37], v[36:37], v[42:43]
	ds_bpermute_b32 v42, v51, v36
	ds_bpermute_b32 v43, v51, v37
	s_wait_dscnt 0x0
	;; [unrolled: 4-line block ×3, first 2 shown]
	v_pk_add_f32 v[36:37], v[36:37], v[42:43]
	ds_bpermute_b32 v42, v53, v36
	ds_bpermute_b32 v43, v53, v37
	s_and_saveexec_b32 s6, s4
	s_cbranch_execz .LBB137_35
; %bb.34:                               ;   in Loop: Header=BB137_17 Depth=2
	s_wait_dscnt 0x0
	v_pk_add_f32 v[36:37], v[36:37], v[42:43]
	ds_store_b64 v46, v[36:37]
.LBB137_35:                             ;   in Loop: Header=BB137_17 Depth=2
	s_or_b32 exec_lo, exec_lo, s6
	v_mov_b64_e32 v[36:37], 0
	s_wait_dscnt 0x0
	s_barrier_signal -1
	s_barrier_wait -1
	s_and_saveexec_b32 s6, s5
	s_cbranch_execnz .LBB137_54
; %bb.36:                               ;   in Loop: Header=BB137_17 Depth=2
	s_or_b32 exec_lo, exec_lo, s6
	s_and_saveexec_b32 s6, s3
	s_cbranch_execnz .LBB137_55
.LBB137_37:                             ;   in Loop: Header=BB137_17 Depth=2
	s_or_b32 exec_lo, exec_lo, s6
	s_and_saveexec_b32 s6, s3
.LBB137_38:                             ;   in Loop: Header=BB137_17 Depth=2
	ds_store_b64 v45, v[14:15]
.LBB137_39:                             ;   in Loop: Header=BB137_17 Depth=2
	s_or_b32 exec_lo, exec_lo, s6
	ds_bpermute_b32 v42, v49, v34
	ds_bpermute_b32 v43, v49, v35
	s_wait_dscnt 0x0
	s_barrier_signal -1
	s_barrier_wait -1
	v_pk_add_f32 v[34:35], v[34:35], v[42:43]
	ds_bpermute_b32 v42, v50, v34
	ds_bpermute_b32 v43, v50, v35
	s_wait_dscnt 0x0
	v_pk_add_f32 v[34:35], v[34:35], v[42:43]
	ds_bpermute_b32 v42, v51, v34
	ds_bpermute_b32 v43, v51, v35
	s_wait_dscnt 0x0
	;; [unrolled: 4-line block ×3, first 2 shown]
	v_pk_add_f32 v[34:35], v[34:35], v[42:43]
	ds_bpermute_b32 v42, v53, v34
	ds_bpermute_b32 v43, v53, v35
	s_and_saveexec_b32 s6, s4
	s_cbranch_execz .LBB137_41
; %bb.40:                               ;   in Loop: Header=BB137_17 Depth=2
	s_wait_dscnt 0x0
	v_pk_add_f32 v[34:35], v[34:35], v[42:43]
	ds_store_b64 v46, v[34:35]
.LBB137_41:                             ;   in Loop: Header=BB137_17 Depth=2
	s_or_b32 exec_lo, exec_lo, s6
	v_mov_b64_e32 v[34:35], 0
	s_wait_dscnt 0x0
	s_barrier_signal -1
	s_barrier_wait -1
	s_and_saveexec_b32 s6, s5
	s_cbranch_execnz .LBB137_56
; %bb.42:                               ;   in Loop: Header=BB137_17 Depth=2
	s_or_b32 exec_lo, exec_lo, s6
	s_and_saveexec_b32 s6, s3
	s_cbranch_execnz .LBB137_57
.LBB137_43:                             ;   in Loop: Header=BB137_17 Depth=2
	s_or_b32 exec_lo, exec_lo, s6
	s_and_saveexec_b32 s6, s0
	s_cbranch_execz .LBB137_16
	s_branch .LBB137_58
.LBB137_44:                             ;   in Loop: Header=BB137_17 Depth=2
	s_mul_u64 s[8:9], s[28:29], s[30:31]
	s_or_b32 s66, s28, 1
	s_mov_b32 s67, s29
	v_lshl_add_u64 v[42:43], s[8:9], 3, v[20:21]
	s_mul_u64 s[8:9], s[66:67], s[30:31]
	s_or_b32 s66, s28, 3
	v_lshl_add_u64 v[64:65], s[8:9], 3, v[20:21]
	s_mul_u64 s[8:9], s[66:67], s[30:31]
	s_clause 0x1
	global_load_b64 v[54:55], v[22:23], off
	global_load_b64 v[56:57], v[24:25], off
	s_wait_dscnt 0x0
	global_load_b128 v[34:37], v[42:43], off
	v_lshl_add_u64 v[82:83], s[8:9], 3, v[20:21]
	s_or_b32 s8, s28, 2
	s_mov_b32 s9, s29
	global_load_b128 v[38:41], v[64:65], off
	s_mul_u64 s[8:9], s[8:9], s[30:31]
	global_load_b128 v[58:61], v[42:43], off offset:16
	global_load_b64 v[62:63], v[26:27], off
	s_wait_xcnt 0x1
	v_lshl_add_u64 v[42:43], s[8:9], 3, v[20:21]
	s_clause 0x2
	global_load_b128 v[66:69], v[82:83], off
	global_load_b128 v[70:73], v[42:43], off
	global_load_b128 v[74:77], v[64:65], off offset:16
	global_load_b64 v[64:65], v[28:29], off
	global_load_b128 v[78:81], v[42:43], off offset:16
	s_wait_loadcnt 0x8
	s_wait_xcnt 0x0
	v_dual_mul_f32 v42, v35, v55 :: v_dual_mul_f32 v35, v35, v54
	v_pk_mul_f32 v[84:85], v[36:37], v[56:57] op_sel:[0,1]
	s_wait_loadcnt 0x6
	v_dual_mul_f32 v90, v39, v55 :: v_dual_mov_b32 v86, v61
	s_delay_alu instid0(VALU_DEP_3)
	v_dual_mul_f32 v39, v39, v54 :: v_dual_fmac_f32 v42, v34, v54
	s_wait_loadcnt 0x4
	v_dual_mul_f32 v92, v67, v55 :: v_dual_mul_f32 v61, v67, v54
	s_wait_loadcnt 0x3
	v_dual_mul_f32 v96, v71, v55 :: v_dual_fma_f32 v43, v34, v55, -v35
	v_pk_mul_f32 v[34:35], v[40:41], v[56:57] op_sel:[0,1]
	v_pk_mul_f32 v[94:95], v[68:69], v[56:57] op_sel:[0,1]
	v_fma_f32 v93, v66, v55, -v61
	v_dual_fmac_f32 v90, v38, v54 :: v_dual_fma_f32 v91, v38, v55, -v39
	s_delay_alu instid0(VALU_DEP_4)
	v_pk_fma_f32 v[38:39], v[40:41], v[56:57], v[34:35] op_sel:[0,0,1] op_sel_hi:[1,1,0]
	v_pk_fma_f32 v[40:41], v[40:41], v[56:57], v[34:35] op_sel:[0,0,1] op_sel_hi:[1,0,0] neg_lo:[1,0,0] neg_hi:[1,0,0]
	s_wait_loadcnt 0x2
	v_mov_b32_e32 v34, v77
	v_pk_mul_f32 v[88:89], v[62:63], v[58:59] op_sel:[1,1] op_sel_hi:[0,1]
	v_dual_mul_f32 v71, v71, v54 :: v_dual_fmac_f32 v92, v66, v54
	v_pk_fma_f32 v[66:67], v[68:69], v[56:57], v[94:95] op_sel:[0,0,1] op_sel_hi:[1,1,0]
	v_pk_fma_f32 v[68:69], v[68:69], v[56:57], v[94:95] op_sel:[0,0,1] op_sel_hi:[1,0,0] neg_lo:[1,0,0] neg_hi:[1,0,0]
	v_pk_mul_f32 v[94:95], v[62:63], v[74:75] op_sel:[1,1] op_sel_hi:[0,1]
	s_wait_loadcnt 0x1
	v_pk_mul_f32 v[86:87], v[64:65], v[86:87] op_sel:[1,0] op_sel_hi:[0,0]
	v_pk_mul_f32 v[34:35], v[64:65], v[34:35] op_sel:[1,0] op_sel_hi:[0,0]
	v_pk_fma_f32 v[98:99], v[36:37], v[56:57], v[84:85] op_sel:[0,0,1] op_sel_hi:[1,1,0]
	v_pk_fma_f32 v[84:85], v[36:37], v[56:57], v[84:85] op_sel:[0,0,1] op_sel_hi:[1,0,0] neg_lo:[1,0,0] neg_hi:[1,0,0]
	v_pk_mul_f32 v[36:37], v[72:73], v[56:57] op_sel:[0,1]
	v_pk_fma_f32 v[100:101], v[62:63], v[58:59], v[88:89]
	v_pk_fma_f32 v[58:59], v[62:63], v[58:59], v[88:89] op_sel_hi:[1,0,1] neg_lo:[0,0,1] neg_hi:[0,0,1]
	v_pk_fma_f32 v[88:89], v[64:65], v[60:61], v[86:87]
	v_pk_fma_f32 v[60:61], v[64:65], v[60:61], v[86:87] op_sel_hi:[1,0,1] neg_lo:[0,0,1] neg_hi:[0,0,1]
	v_pk_fma_f32 v[86:87], v[62:63], v[74:75], v[94:95]
	v_pk_fma_f32 v[74:75], v[62:63], v[74:75], v[94:95] op_sel_hi:[1,0,1] neg_lo:[0,0,1] neg_hi:[0,0,1]
	v_pk_fma_f32 v[94:95], v[64:65], v[76:77], v[34:35]
	v_pk_fma_f32 v[76:77], v[64:65], v[76:77], v[34:35] op_sel_hi:[1,0,1] neg_lo:[0,0,1] neg_hi:[0,0,1]
	s_wait_loadcnt 0x0
	v_dual_mov_b32 v34, v81 :: v_dual_fmac_f32 v96, v70, v54
	v_fma_f32 v97, v70, v55, -v71
	v_pk_fma_f32 v[70:71], v[72:73], v[56:57], v[36:37] op_sel:[0,0,1] op_sel_hi:[1,1,0]
	v_pk_fma_f32 v[72:73], v[72:73], v[56:57], v[36:37] op_sel:[0,0,1] op_sel_hi:[1,0,0] neg_lo:[1,0,0] neg_hi:[1,0,0]
	v_pk_mul_f32 v[36:37], v[62:63], v[78:79] op_sel:[1,1] op_sel_hi:[0,1]
	v_pk_mul_f32 v[34:35], v[64:65], v[34:35] op_sel:[1,0] op_sel_hi:[0,0]
	v_dual_mov_b32 v99, v85 :: v_dual_mov_b32 v101, v59
	v_pk_add_f32 v[42:43], v[42:43], 0 op_sel_hi:[1,0]
	s_delay_alu instid0(VALU_DEP_4)
	v_pk_fma_f32 v[102:103], v[62:63], v[78:79], v[36:37]
	v_pk_fma_f32 v[78:79], v[62:63], v[78:79], v[36:37] op_sel_hi:[1,0,1] neg_lo:[0,0,1] neg_hi:[0,0,1]
	v_pk_fma_f32 v[104:105], v[64:65], v[80:81], v[34:35]
	v_pk_fma_f32 v[80:81], v[64:65], v[80:81], v[34:35] op_sel_hi:[1,0,1] neg_lo:[0,0,1] neg_hi:[0,0,1]
	global_load_b128 v[34:37], v[82:83], off offset:16
	v_dual_mov_b32 v39, v41 :: v_dual_mov_b32 v87, v75
	v_dual_mov_b32 v71, v73 :: v_dual_mov_b32 v103, v79
	v_pk_add_f32 v[58:59], v[96:97], 0 op_sel_hi:[1,0]
	v_pk_add_f32 v[42:43], v[42:43], v[98:99]
	v_dual_mov_b32 v89, v61 :: v_dual_mov_b32 v95, v77
	ds_store_b128 v44, v[54:57]
	ds_store_b128 v44, v[62:65] offset:16
	s_wait_loadcnt 0x0
	v_pk_mul_f32 v[106:107], v[62:63], v[34:35] op_sel:[1,1] op_sel_hi:[0,1]
	v_mov_b32_e32 v40, v37
	s_delay_alu instid0(VALU_DEP_2) | instskip(SKIP_2) | instid1(VALU_DEP_3)
	v_pk_fma_f32 v[108:109], v[62:63], v[34:35], v[106:107]
	v_pk_fma_f32 v[34:35], v[62:63], v[34:35], v[106:107] op_sel_hi:[1,0,1] neg_lo:[0,0,1] neg_hi:[0,0,1]
	s_wait_xcnt 0x0
	v_pk_mul_f32 v[82:83], v[64:65], v[40:41] op_sel:[1,0] op_sel_hi:[0,0]
	v_mov_b32_e32 v67, v69
	v_pk_add_f32 v[40:41], v[90:91], 0 op_sel_hi:[1,0]
	v_mov_b32_e32 v109, v35
	v_pk_add_f32 v[34:35], v[92:93], 0 op_sel_hi:[1,0]
	v_pk_fma_f32 v[106:107], v[64:65], v[36:37], v[82:83]
	v_pk_fma_f32 v[36:37], v[64:65], v[36:37], v[82:83] op_sel_hi:[1,0,1] neg_lo:[0,0,1] neg_hi:[0,0,1]
	v_pk_add_f32 v[38:39], v[40:41], v[38:39]
	v_pk_add_f32 v[40:41], v[58:59], v[70:71]
	;; [unrolled: 1-line block ×3, first 2 shown]
	s_delay_alu instid0(VALU_DEP_4) | instskip(SKIP_4) | instid1(VALU_DEP_4)
	v_dual_mov_b32 v105, v81 :: v_dual_mov_b32 v107, v37
	v_pk_add_f32 v[36:37], v[42:43], v[100:101]
	v_pk_add_f32 v[42:43], v[38:39], v[86:87]
	;; [unrolled: 1-line block ×5, first 2 shown]
	s_delay_alu instid0(VALU_DEP_4) | instskip(NEXT) | instid1(VALU_DEP_4)
	v_pk_add_f32 v[40:41], v[42:43], v[94:95]
	v_pk_add_f32 v[36:37], v[58:59], v[104:105]
	s_delay_alu instid0(VALU_DEP_4)
	v_pk_add_f32 v[34:35], v[34:35], v[106:107]
	s_and_not1_saveexec_b32 s6, s6
	s_cbranch_execz .LBB137_19
.LBB137_45:                             ;   in Loop: Header=BB137_17 Depth=2
	v_dual_mov_b32 v39, 0 :: v_dual_mov_b32 v38, 0
	v_dual_mov_b32 v41, 0 :: v_dual_mov_b32 v40, 0
	;; [unrolled: 1-line block ×3, first 2 shown]
	s_wait_dscnt 0x0
	v_dual_mov_b32 v35, 0 :: v_dual_mov_b32 v34, 0
	s_and_saveexec_b32 s7, s2
	s_cbranch_execz .LBB137_60
; %bb.46:                               ;   in Loop: Header=BB137_17 Depth=2
	v_mov_b64_e32 v[34:35], v[18:19]
	v_mov_b32_e32 v36, v44
	s_and_not1_b32 vcc_lo, exec_lo, s34
	s_mov_b32 s8, s60
	s_cbranch_vccnz .LBB137_59
.LBB137_47:                             ;   Parent Loop BB137_3 Depth=1
                                        ;     Parent Loop BB137_17 Depth=2
                                        ; =>    This Inner Loop Header: Depth=3
	global_load_b64 v[38:39], v[34:35], off
	s_wait_xcnt 0x0
	v_add_nc_u64_e32 v[34:35], s[46:47], v[34:35]
	s_add_co_i32 s8, s8, -1
	s_delay_alu instid0(SALU_CYCLE_1)
	s_cmp_eq_u32 s8, 0
	s_wait_loadcnt 0x0
	ds_store_b64 v36, v[38:39]
	v_add_nc_u32_e32 v36, 8, v36
	s_cbranch_scc0 .LBB137_47
; %bb.48:                               ;   in Loop: Header=BB137_17 Depth=2
	v_dual_mov_b32 v34, 0 :: v_dual_mov_b32 v54, v44
	v_mov_b64_e32 v[42:43], v[30:31]
	s_mov_b32 s8, s60
	s_delay_alu instid0(VALU_DEP_2)
	v_dual_mov_b32 v35, v34 :: v_dual_mov_b32 v36, v34
	v_dual_mov_b32 v37, v34 :: v_dual_mov_b32 v40, v34
	;; [unrolled: 1-line block ×3, first 2 shown]
	v_mov_b32_e32 v39, v34
.LBB137_49:                             ;   Parent Loop BB137_3 Depth=1
                                        ;     Parent Loop BB137_17 Depth=2
                                        ; =>    This Inner Loop Header: Depth=3
	v_add_nc_u64_e32 v[56:57], s[52:53], v[42:43]
	s_add_co_i32 s8, s8, -1
	s_delay_alu instid0(SALU_CYCLE_1) | instskip(NEXT) | instid1(VALU_DEP_1)
	s_cmp_lg_u32 s8, 0
	v_add_nc_u64_e32 v[58:59], s[52:53], v[56:57]
	s_delay_alu instid0(VALU_DEP_1)
	v_add_nc_u64_e32 v[60:61], s[52:53], v[58:59]
	s_clause 0x3
	global_load_b64 v[62:63], v[42:43], off
	global_load_b64 v[56:57], v[56:57], off
	;; [unrolled: 1-line block ×4, first 2 shown]
	ds_load_b64 v[64:65], v54
	s_wait_xcnt 0x3
	v_add_nc_u64_e32 v[42:43], 8, v[42:43]
	s_wait_loadcnt_dscnt 0x300
	v_pk_mul_f32 v[66:67], v[64:65], v[62:63] op_sel:[1,1] op_sel_hi:[0,1]
	s_wait_loadcnt 0x0
	v_pk_mul_f32 v[70:71], v[64:65], v[60:61] op_sel:[1,1] op_sel_hi:[0,1]
	s_delay_alu instid0(VALU_DEP_2)
	v_pk_fma_f32 v[68:69], v[64:65], v[62:63], v[66:67] op_sel_hi:[1,0,1] neg_lo:[0,0,1] neg_hi:[0,0,1]
	v_pk_fma_f32 v[62:63], v[64:65], v[62:63], v[66:67]
	v_add_nc_u32_e32 v54, 8, v54
	v_pk_mul_f32 v[66:67], v[64:65], v[56:57] op_sel:[1,1] op_sel_hi:[0,1]
	v_pk_fma_f32 v[74:75], v[64:65], v[60:61], v[70:71] op_sel_hi:[1,0,1] neg_lo:[0,0,1] neg_hi:[0,0,1]
	v_mov_b32_e32 v63, v69
	v_pk_mul_f32 v[68:69], v[64:65], v[58:59] op_sel:[1,1] op_sel_hi:[0,1]
	s_wait_xcnt 0x0
	v_pk_fma_f32 v[60:61], v[64:65], v[60:61], v[70:71]
	v_pk_fma_f32 v[72:73], v[64:65], v[56:57], v[66:67] op_sel_hi:[1,0,1] neg_lo:[0,0,1] neg_hi:[0,0,1]
	v_pk_fma_f32 v[56:57], v[64:65], v[56:57], v[66:67]
	v_mov_b32_e32 v61, v75
	v_pk_fma_f32 v[66:67], v[64:65], v[58:59], v[68:69] op_sel_hi:[1,0,1] neg_lo:[0,0,1] neg_hi:[0,0,1]
	v_pk_fma_f32 v[58:59], v[64:65], v[58:59], v[68:69]
	v_mov_b32_e32 v57, v73
	v_pk_add_f32 v[38:39], v[38:39], v[62:63]
	v_pk_add_f32 v[34:35], v[34:35], v[60:61]
	v_mov_b32_e32 v59, v67
	s_delay_alu instid0(VALU_DEP_4) | instskip(NEXT) | instid1(VALU_DEP_2)
	v_pk_add_f32 v[40:41], v[40:41], v[56:57]
	v_pk_add_f32 v[36:37], v[36:37], v[58:59]
	s_cbranch_scc1 .LBB137_49
	s_branch .LBB137_60
.LBB137_50:                             ;   in Loop: Header=BB137_17 Depth=2
	ds_load_b64 v[38:39], v45
	s_or_b32 exec_lo, exec_lo, s6
	s_and_saveexec_b32 s6, s3
	s_cbranch_execz .LBB137_25
.LBB137_51:                             ;   in Loop: Header=BB137_17 Depth=2
	s_wait_dscnt 0x0
	ds_bpermute_b32 v42, v51, v38
	ds_bpermute_b32 v43, v51, v39
	s_wait_dscnt 0x0
	v_pk_add_f32 v[38:39], v[38:39], v[42:43]
	ds_bpermute_b32 v42, v52, v38
	ds_bpermute_b32 v43, v52, v39
	s_wait_dscnt 0x0
	v_pk_add_f32 v[38:39], v[38:39], v[42:43]
	;; [unrolled: 4-line block ×3, first 2 shown]
	s_or_b32 exec_lo, exec_lo, s6
	s_and_saveexec_b32 s6, s3
	s_cbranch_execnz .LBB137_26
	s_branch .LBB137_27
.LBB137_52:                             ;   in Loop: Header=BB137_17 Depth=2
	ds_load_b64 v[40:41], v45
	s_or_b32 exec_lo, exec_lo, s6
	s_and_saveexec_b32 s6, s3
	s_cbranch_execz .LBB137_31
.LBB137_53:                             ;   in Loop: Header=BB137_17 Depth=2
	s_wait_dscnt 0x0
	ds_bpermute_b32 v42, v51, v40
	ds_bpermute_b32 v43, v51, v41
	s_wait_dscnt 0x0
	v_pk_add_f32 v[40:41], v[40:41], v[42:43]
	ds_bpermute_b32 v42, v52, v40
	ds_bpermute_b32 v43, v52, v41
	s_wait_dscnt 0x0
	v_pk_add_f32 v[40:41], v[40:41], v[42:43]
	;; [unrolled: 4-line block ×3, first 2 shown]
	s_or_b32 exec_lo, exec_lo, s6
	s_and_saveexec_b32 s6, s3
	s_cbranch_execnz .LBB137_32
	s_branch .LBB137_33
.LBB137_54:                             ;   in Loop: Header=BB137_17 Depth=2
	ds_load_b64 v[36:37], v45
	s_or_b32 exec_lo, exec_lo, s6
	s_and_saveexec_b32 s6, s3
	s_cbranch_execz .LBB137_37
.LBB137_55:                             ;   in Loop: Header=BB137_17 Depth=2
	s_wait_dscnt 0x0
	ds_bpermute_b32 v42, v51, v36
	ds_bpermute_b32 v43, v51, v37
	s_wait_dscnt 0x0
	v_pk_add_f32 v[36:37], v[36:37], v[42:43]
	ds_bpermute_b32 v42, v52, v36
	ds_bpermute_b32 v43, v52, v37
	s_wait_dscnt 0x0
	v_pk_add_f32 v[36:37], v[36:37], v[42:43]
	;; [unrolled: 4-line block ×3, first 2 shown]
	s_or_b32 exec_lo, exec_lo, s6
	s_and_saveexec_b32 s6, s3
	s_cbranch_execnz .LBB137_38
	s_branch .LBB137_39
.LBB137_56:                             ;   in Loop: Header=BB137_17 Depth=2
	ds_load_b64 v[34:35], v45
	s_or_b32 exec_lo, exec_lo, s6
	s_and_saveexec_b32 s6, s3
	s_cbranch_execz .LBB137_43
.LBB137_57:                             ;   in Loop: Header=BB137_17 Depth=2
	s_wait_dscnt 0x0
	ds_bpermute_b32 v42, v51, v34
	ds_bpermute_b32 v43, v51, v35
	s_wait_dscnt 0x0
	v_pk_add_f32 v[34:35], v[34:35], v[42:43]
	ds_bpermute_b32 v42, v52, v34
	ds_bpermute_b32 v43, v52, v35
	s_wait_dscnt 0x0
	v_pk_add_f32 v[34:35], v[34:35], v[42:43]
	;; [unrolled: 4-line block ×3, first 2 shown]
	s_or_b32 exec_lo, exec_lo, s6
	s_and_saveexec_b32 s6, s0
	s_cbranch_execz .LBB137_16
.LBB137_58:                             ;   in Loop: Header=BB137_17 Depth=2
	v_pk_mul_f32 v[42:43], v[38:39], v[32:33] op_sel:[1,0]
	v_pk_mul_f32 v[54:55], v[40:41], v[32:33] op_sel:[1,0]
	s_mul_u64 s[8:9], s[28:29], s[36:37]
	s_or_b32 s66, s28, 1
	s_mov_b32 s67, s29
	v_pk_fma_f32 v[56:57], v[38:39], v[16:17], v[42:43] op_sel_hi:[0,1,1]
	v_pk_fma_f32 v[38:39], v[38:39], v[16:17], v[42:43] neg_lo:[0,0,1] neg_hi:[0,0,1]
	v_pk_fma_f32 v[42:43], v[40:41], v[16:17], v[54:55] op_sel_hi:[0,1,1]
	s_lshl_b64 s[8:9], s[8:9], 3
	s_mul_u64 s[66:67], s[66:67], s[36:37]
	v_mov_b32_e32 v39, v57
	v_pk_fma_f32 v[40:41], v[40:41], v[16:17], v[54:55] neg_lo:[0,0,1] neg_hi:[0,0,1]
	v_mov_b32_e32 v41, v43
	s_add_nc_u64 s[8:9], s[54:55], s[8:9]
	s_lshl_b64 s[66:67], s[66:67], 3
	global_store_b64 v48, v[38:39], s[8:9]
	s_wait_xcnt 0x0
	s_add_nc_u64 s[8:9], s[54:55], s[66:67]
	v_pk_mul_f32 v[38:39], v[36:37], v[32:33] op_sel:[1,0]
	global_store_b64 v48, v[40:41], s[8:9]
	s_wait_dscnt 0x0
	s_wait_xcnt 0x0
	v_pk_mul_f32 v[40:41], v[34:35], v[32:33] op_sel:[1,0]
	s_or_b32 s66, s28, 2
	s_mov_b32 s67, s29
	v_pk_fma_f32 v[42:43], v[36:37], v[16:17], v[38:39] op_sel_hi:[0,1,1]
	v_pk_fma_f32 v[36:37], v[36:37], v[16:17], v[38:39] neg_lo:[0,0,1] neg_hi:[0,0,1]
	v_pk_fma_f32 v[38:39], v[34:35], v[16:17], v[40:41] op_sel_hi:[0,1,1]
	s_mul_u64 s[8:9], s[66:67], s[36:37]
	s_or_b32 s66, s28, 3
	v_mov_b32_e32 v37, v43
	s_mul_u64 s[66:67], s[66:67], s[36:37]
	v_pk_fma_f32 v[34:35], v[34:35], v[16:17], v[40:41] neg_lo:[0,0,1] neg_hi:[0,0,1]
	s_lshl_b64 s[8:9], s[8:9], 3
	v_mov_b32_e32 v35, v39
	s_lshl_b64 s[66:67], s[66:67], 3
	s_add_nc_u64 s[8:9], s[54:55], s[8:9]
	s_add_nc_u64 s[66:67], s[54:55], s[66:67]
	s_clause 0x1
	global_store_b64 v48, v[36:37], s[8:9]
	global_store_b64 v48, v[34:35], s[66:67]
	s_branch .LBB137_16
.LBB137_59:                             ;   in Loop: Header=BB137_17 Depth=2
	v_mov_b32_e32 v39, 0
	s_delay_alu instid0(VALU_DEP_1)
	v_dual_mov_b32 v38, v39 :: v_dual_mov_b32 v41, v39
	v_dual_mov_b32 v40, v39 :: v_dual_mov_b32 v37, v39
	;; [unrolled: 1-line block ×3, first 2 shown]
	v_mov_b32_e32 v34, v39
.LBB137_60:                             ;   in Loop: Header=BB137_17 Depth=2
	s_or_b32 exec_lo, exec_lo, s7
	s_delay_alu instid0(SALU_CYCLE_1)
	s_or_b32 exec_lo, exec_lo, s6
	s_and_saveexec_b32 s6, s3
	s_cbranch_execnz .LBB137_20
	s_branch .LBB137_21
.LBB137_61:                             ;   in Loop: Header=BB137_3 Depth=1
	s_mov_b32 s28, 0
.LBB137_62:                             ;   in Loop: Header=BB137_3 Depth=1
	s_delay_alu instid0(SALU_CYCLE_1)
	s_cmp_ge_i32 s28, s35
	s_cbranch_scc1 .LBB137_2
; %bb.63:                               ;   in Loop: Header=BB137_3 Depth=1
	v_cmp_gt_u32_e32 vcc_lo, 24, v47
	s_mul_u64 s[6:7], s[52:53], s[28:29]
	v_mov_b32_e32 v33, v16
	s_add_nc_u64 s[6:7], s[6:7], s[56:57]
	v_cndmask_b32_e64 v30, 0, 8, vcc_lo
	v_cmp_gt_u32_e32 vcc_lo, 28, v47
	s_delay_alu instid0(VALU_DEP_2) | instskip(SKIP_2) | instid1(VALU_DEP_2)
	v_add_lshl_u32 v38, v30, v47, 2
	v_cndmask_b32_e64 v31, 0, 4, vcc_lo
	v_cmp_gt_u32_e32 vcc_lo, 30, v47
	v_add_lshl_u32 v39, v31, v47, 2
	v_cndmask_b32_e64 v30, 0, 2, vcc_lo
	v_cmp_ne_u32_e32 vcc_lo, 31, v47
	s_delay_alu instid0(VALU_DEP_2) | instskip(SKIP_2) | instid1(VALU_DEP_2)
	v_add_lshl_u32 v40, v30, v47, 2
	v_add_co_ci_u32_e64 v32, null, 0, v47, vcc_lo
	v_add_nc_u64_e32 v[30:31], s[6:7], v[12:13]
	v_dual_mov_b32 v32, v17 :: v_dual_lshlrev_b32 v41, 2, v32
	s_branch .LBB137_65
.LBB137_64:                             ;   in Loop: Header=BB137_65 Depth=2
	s_wait_xcnt 0x0
	s_or_b32 exec_lo, exec_lo, s6
	v_add_nc_u64_e32 v[30:31], s[52:53], v[30:31]
	s_add_co_i32 s28, s28, 1
	s_delay_alu instid0(SALU_CYCLE_1)
	s_cmp_ge_i32 s28, s35
	s_cbranch_scc1 .LBB137_2
.LBB137_65:                             ;   Parent Loop BB137_3 Depth=1
                                        ; =>  This Loop Header: Depth=2
                                        ;       Child Loop BB137_77 Depth 3
                                        ;       Child Loop BB137_79 Depth 3
                                        ; implicit-def: $vgpr35
	s_and_saveexec_b32 s6, s1
	s_delay_alu instid0(SALU_CYCLE_1)
	s_xor_b32 s6, exec_lo, s6
	s_cbranch_execnz .LBB137_74
; %bb.66:                               ;   in Loop: Header=BB137_65 Depth=2
	s_and_not1_saveexec_b32 s6, s6
	s_cbranch_execnz .LBB137_75
.LBB137_67:                             ;   in Loop: Header=BB137_65 Depth=2
	s_or_b32 exec_lo, exec_lo, s6
	s_and_saveexec_b32 s6, s3
.LBB137_68:                             ;   in Loop: Header=BB137_65 Depth=2
	ds_store_b64 v45, v[14:15]
.LBB137_69:                             ;   in Loop: Header=BB137_65 Depth=2
	s_or_b32 exec_lo, exec_lo, s6
	s_wait_dscnt 0x0
	ds_bpermute_b32 v36, v49, v34
	ds_bpermute_b32 v37, v49, v35
	s_wait_storecnt_dscnt 0x0
	s_barrier_signal -1
	s_barrier_wait -1
	v_pk_add_f32 v[34:35], v[34:35], v[36:37]
	ds_bpermute_b32 v36, v38, v34
	ds_bpermute_b32 v37, v38, v35
	s_wait_dscnt 0x0
	v_pk_add_f32 v[34:35], v[34:35], v[36:37]
	ds_bpermute_b32 v36, v39, v34
	ds_bpermute_b32 v37, v39, v35
	s_wait_dscnt 0x0
	v_pk_add_f32 v[34:35], v[34:35], v[36:37]
	ds_bpermute_b32 v36, v40, v34
	ds_bpermute_b32 v37, v40, v35
	s_wait_dscnt 0x0
	v_pk_add_f32 v[34:35], v[34:35], v[36:37]
	ds_bpermute_b32 v36, v41, v34
	ds_bpermute_b32 v37, v41, v35
	s_and_saveexec_b32 s6, s4
	s_cbranch_execz .LBB137_71
; %bb.70:                               ;   in Loop: Header=BB137_65 Depth=2
	s_wait_dscnt 0x0
	v_pk_add_f32 v[34:35], v[34:35], v[36:37]
	ds_store_b64 v46, v[34:35]
.LBB137_71:                             ;   in Loop: Header=BB137_65 Depth=2
	s_or_b32 exec_lo, exec_lo, s6
	v_mov_b64_e32 v[34:35], 0
	s_wait_dscnt 0x0
	s_barrier_signal -1
	s_barrier_wait -1
	s_and_saveexec_b32 s6, s5
	s_cbranch_execnz .LBB137_81
; %bb.72:                               ;   in Loop: Header=BB137_65 Depth=2
	s_or_b32 exec_lo, exec_lo, s6
	s_and_saveexec_b32 s6, s3
	s_cbranch_execnz .LBB137_82
.LBB137_73:                             ;   in Loop: Header=BB137_65 Depth=2
	s_or_b32 exec_lo, exec_lo, s6
	s_and_saveexec_b32 s6, s0
	s_cbranch_execz .LBB137_64
	s_branch .LBB137_83
.LBB137_74:                             ;   in Loop: Header=BB137_65 Depth=2
	s_mul_u64 s[8:9], s[28:29], s[30:31]
	s_delay_alu instid0(SALU_CYCLE_1)
	v_lshl_add_u64 v[42:43], s[8:9], 3, v[20:21]
	s_clause 0x2
	global_load_b64 v[50:51], v[22:23], off
	global_load_b64 v[52:53], v[24:25], off
	;; [unrolled: 1-line block ×3, first 2 shown]
	s_wait_dscnt 0x0
	s_clause 0x1
	global_load_b128 v[34:37], v[42:43], off
	global_load_b128 v[58:61], v[42:43], off offset:16
	global_load_b64 v[56:57], v[28:29], off
	s_wait_loadcnt 0x4
	ds_store_b128 v44, v[50:53]
	s_wait_loadcnt 0x0
	ds_store_b128 v44, v[54:57] offset:16
	v_dual_mul_f32 v64, v35, v51 :: v_dual_mul_f32 v35, v35, v50
	v_dual_mov_b32 v66, v37 :: v_dual_mov_b32 v67, v36
	v_pk_mul_f32 v[36:37], v[36:37], v[52:53] op_sel_hi:[1,0]
	s_wait_xcnt 0x1
	v_dual_mov_b32 v42, v53 :: v_dual_mov_b32 v62, v55
	v_pk_mul_f32 v[68:69], v[58:59], v[54:55] op_sel_hi:[1,0]
	v_dual_mov_b32 v70, v61 :: v_dual_fmac_f32 v64, v34, v50
	v_dual_fma_f32 v65, v34, v51, -v35 :: v_dual_mov_b32 v71, v60
	v_pk_fma_f32 v[34:35], v[66:67], v[52:53], v[36:37] op_sel:[0,1,0] neg_lo:[0,0,1] neg_hi:[0,0,1]
	v_pk_fma_f32 v[36:37], v[66:67], v[42:43], v[36:37]
	v_pk_fma_f32 v[42:43], v[58:59], v[54:55], v[68:69] op_sel:[1,1,0] op_sel_hi:[0,1,1] neg_lo:[0,0,1] neg_hi:[0,0,1]
	s_delay_alu instid0(VALU_DEP_4) | instskip(NEXT) | instid1(VALU_DEP_4)
	v_pk_add_f32 v[64:65], v[64:65], 0 op_sel_hi:[1,0]
	v_dual_mov_b32 v42, v57 :: v_dual_mov_b32 v37, v35
	v_pk_mul_f32 v[34:35], v[60:61], v[56:57] op_sel_hi:[1,0]
	v_pk_fma_f32 v[58:59], v[58:59], v[62:63], v[68:69] op_sel:[1,0,0] op_sel_hi:[0,1,1]
	s_delay_alu instid0(VALU_DEP_3) | instskip(NEXT) | instid1(VALU_DEP_3)
	v_pk_add_f32 v[36:37], v[64:65], v[36:37]
	v_pk_fma_f32 v[60:61], v[70:71], v[56:57], v[34:35] op_sel:[0,1,0] neg_lo:[0,0,1] neg_hi:[0,0,1]
	v_mov_b32_e32 v59, v43
	v_pk_fma_f32 v[34:35], v[70:71], v[42:43], v[34:35]
	s_delay_alu instid0(VALU_DEP_3) | instskip(NEXT) | instid1(VALU_DEP_3)
	v_mov_b32_e32 v35, v61
	v_pk_add_f32 v[36:37], v[36:37], v[58:59]
	s_delay_alu instid0(VALU_DEP_1)
	v_pk_add_f32 v[34:35], v[36:37], v[34:35]
	s_wait_xcnt 0x0
	s_and_not1_saveexec_b32 s6, s6
	s_cbranch_execz .LBB137_67
.LBB137_75:                             ;   in Loop: Header=BB137_65 Depth=2
	s_wait_dscnt 0x0
	v_mov_b32_e32 v35, 0
	s_delay_alu instid0(VALU_DEP_1)
	v_mov_b32_e32 v34, v35
	s_and_saveexec_b32 s7, s62
	s_cbranch_execz .LBB137_80
; %bb.76:                               ;   in Loop: Header=BB137_65 Depth=2
	v_mov_b64_e32 v[34:35], v[18:19]
	v_mov_b32_e32 v36, v44
	s_mov_b32 s8, s60
.LBB137_77:                             ;   Parent Loop BB137_3 Depth=1
                                        ;     Parent Loop BB137_65 Depth=2
                                        ; =>    This Inner Loop Header: Depth=3
	global_load_b64 v[42:43], v[34:35], off
	s_wait_xcnt 0x0
	v_add_nc_u64_e32 v[34:35], s[46:47], v[34:35]
	s_add_co_i32 s8, s8, -1
	s_delay_alu instid0(SALU_CYCLE_1)
	s_cmp_eq_u32 s8, 0
	s_wait_loadcnt 0x0
	ds_store_b64 v36, v[42:43]
	v_add_nc_u32_e32 v36, 8, v36
	s_cbranch_scc0 .LBB137_77
; %bb.78:                               ;   in Loop: Header=BB137_65 Depth=2
	v_dual_mov_b32 v34, 0 :: v_dual_mov_b32 v42, v44
	v_mov_b64_e32 v[36:37], v[30:31]
	s_mov_b32 s8, s60
	s_delay_alu instid0(VALU_DEP_2)
	v_mov_b32_e32 v35, v34
.LBB137_79:                             ;   Parent Loop BB137_3 Depth=1
                                        ;     Parent Loop BB137_65 Depth=2
                                        ; =>    This Inner Loop Header: Depth=3
	global_load_b64 v[50:51], v[36:37], off offset:-4
	ds_load_b64 v[52:53], v42
	s_wait_xcnt 0x0
	v_add_nc_u64_e32 v[36:37], 8, v[36:37]
	s_add_co_i32 s8, s8, -1
	v_add_nc_u32_e32 v42, 8, v42
	s_cmp_lg_u32 s8, 0
	s_wait_loadcnt_dscnt 0x0
	v_pk_mul_f32 v[54:55], v[50:51], v[52:53] op_sel:[1,1] op_sel_hi:[1,0]
	s_delay_alu instid0(VALU_DEP_1) | instskip(SKIP_1) | instid1(VALU_DEP_2)
	v_pk_fma_f32 v[56:57], v[50:51], v[52:53], v[54:55] op_sel_hi:[0,1,1] neg_lo:[0,0,1] neg_hi:[0,0,1]
	v_pk_fma_f32 v[50:51], v[50:51], v[52:53], v[54:55]
	v_mov_b32_e32 v51, v57
	s_delay_alu instid0(VALU_DEP_1)
	v_pk_add_f32 v[34:35], v[34:35], v[50:51]
	s_cbranch_scc1 .LBB137_79
.LBB137_80:                             ;   in Loop: Header=BB137_65 Depth=2
	s_or_b32 exec_lo, exec_lo, s7
	s_delay_alu instid0(SALU_CYCLE_1)
	s_or_b32 exec_lo, exec_lo, s6
	s_and_saveexec_b32 s6, s3
	s_cbranch_execnz .LBB137_68
	s_branch .LBB137_69
.LBB137_81:                             ;   in Loop: Header=BB137_65 Depth=2
	ds_load_b64 v[34:35], v45
	s_or_b32 exec_lo, exec_lo, s6
	s_and_saveexec_b32 s6, s3
	s_cbranch_execz .LBB137_73
.LBB137_82:                             ;   in Loop: Header=BB137_65 Depth=2
	s_wait_dscnt 0x0
	ds_bpermute_b32 v36, v39, v34
	ds_bpermute_b32 v37, v39, v35
	s_wait_dscnt 0x0
	v_pk_add_f32 v[34:35], v[34:35], v[36:37]
	ds_bpermute_b32 v36, v40, v34
	ds_bpermute_b32 v37, v40, v35
	s_wait_dscnt 0x0
	v_pk_add_f32 v[34:35], v[34:35], v[36:37]
	;; [unrolled: 4-line block ×3, first 2 shown]
	s_or_b32 exec_lo, exec_lo, s6
	s_and_saveexec_b32 s6, s0
	s_cbranch_execz .LBB137_64
.LBB137_83:                             ;   in Loop: Header=BB137_65 Depth=2
	s_wait_dscnt 0x0
	v_pk_mul_f32 v[36:37], v[34:35], v[32:33] op_sel:[1,0]
	s_mul_u64 s[8:9], s[28:29], s[36:37]
	s_delay_alu instid0(SALU_CYCLE_1) | instskip(NEXT) | instid1(SALU_CYCLE_1)
	s_lshl_b64 s[8:9], s[8:9], 3
	s_add_nc_u64 s[8:9], s[54:55], s[8:9]
	s_delay_alu instid0(VALU_DEP_1) | instskip(SKIP_1) | instid1(VALU_DEP_2)
	v_pk_fma_f32 v[42:43], v[34:35], v[16:17], v[36:37] op_sel_hi:[0,1,1]
	v_pk_fma_f32 v[34:35], v[34:35], v[16:17], v[36:37] neg_lo:[0,0,1] neg_hi:[0,0,1]
	v_mov_b32_e32 v35, v43
	global_store_b64 v48, v[34:35], s[8:9]
	s_branch .LBB137_64
.LBB137_84:
	s_sendmsg sendmsg(MSG_DEALLOC_VGPRS)
	s_endpgm
	.section	.rodata,"a",@progbits
	.p2align	6, 0x0
	.amdhsa_kernel _ZL23rocblas_gemvt_sn_kernelILb1ELi256ELi4El19rocblas_complex_numIfEPKS1_S1_EviiT4_lPKT3_lilS7_lilPT5_i
		.amdhsa_group_segment_fixed_size 8448
		.amdhsa_private_segment_fixed_size 0
		.amdhsa_kernarg_size 360
		.amdhsa_user_sgpr_count 4
		.amdhsa_user_sgpr_dispatch_ptr 1
		.amdhsa_user_sgpr_queue_ptr 0
		.amdhsa_user_sgpr_kernarg_segment_ptr 1
		.amdhsa_user_sgpr_dispatch_id 0
		.amdhsa_user_sgpr_kernarg_preload_length 0
		.amdhsa_user_sgpr_kernarg_preload_offset 0
		.amdhsa_user_sgpr_private_segment_size 0
		.amdhsa_wavefront_size32 1
		.amdhsa_uses_dynamic_stack 0
		.amdhsa_enable_private_segment 0
		.amdhsa_system_sgpr_workgroup_id_x 1
		.amdhsa_system_sgpr_workgroup_id_y 0
		.amdhsa_system_sgpr_workgroup_id_z 1
		.amdhsa_system_sgpr_workgroup_info 0
		.amdhsa_system_vgpr_workitem_id 2
		.amdhsa_next_free_vgpr 110
		.amdhsa_next_free_sgpr 72
		.amdhsa_named_barrier_count 0
		.amdhsa_reserve_vcc 1
		.amdhsa_float_round_mode_32 0
		.amdhsa_float_round_mode_16_64 0
		.amdhsa_float_denorm_mode_32 3
		.amdhsa_float_denorm_mode_16_64 3
		.amdhsa_fp16_overflow 0
		.amdhsa_memory_ordered 1
		.amdhsa_forward_progress 1
		.amdhsa_inst_pref_size 43
		.amdhsa_round_robin_scheduling 0
		.amdhsa_exception_fp_ieee_invalid_op 0
		.amdhsa_exception_fp_denorm_src 0
		.amdhsa_exception_fp_ieee_div_zero 0
		.amdhsa_exception_fp_ieee_overflow 0
		.amdhsa_exception_fp_ieee_underflow 0
		.amdhsa_exception_fp_ieee_inexact 0
		.amdhsa_exception_int_div_zero 0
	.end_amdhsa_kernel
	.section	.text._ZL23rocblas_gemvt_sn_kernelILb1ELi256ELi4El19rocblas_complex_numIfEPKS1_S1_EviiT4_lPKT3_lilS7_lilPT5_i,"axG",@progbits,_ZL23rocblas_gemvt_sn_kernelILb1ELi256ELi4El19rocblas_complex_numIfEPKS1_S1_EviiT4_lPKT3_lilS7_lilPT5_i,comdat
.Lfunc_end137:
	.size	_ZL23rocblas_gemvt_sn_kernelILb1ELi256ELi4El19rocblas_complex_numIfEPKS1_S1_EviiT4_lPKT3_lilS7_lilPT5_i, .Lfunc_end137-_ZL23rocblas_gemvt_sn_kernelILb1ELi256ELi4El19rocblas_complex_numIfEPKS1_S1_EviiT4_lPKT3_lilS7_lilPT5_i
                                        ; -- End function
	.set _ZL23rocblas_gemvt_sn_kernelILb1ELi256ELi4El19rocblas_complex_numIfEPKS1_S1_EviiT4_lPKT3_lilS7_lilPT5_i.num_vgpr, 110
	.set _ZL23rocblas_gemvt_sn_kernelILb1ELi256ELi4El19rocblas_complex_numIfEPKS1_S1_EviiT4_lPKT3_lilS7_lilPT5_i.num_agpr, 0
	.set _ZL23rocblas_gemvt_sn_kernelILb1ELi256ELi4El19rocblas_complex_numIfEPKS1_S1_EviiT4_lPKT3_lilS7_lilPT5_i.numbered_sgpr, 72
	.set _ZL23rocblas_gemvt_sn_kernelILb1ELi256ELi4El19rocblas_complex_numIfEPKS1_S1_EviiT4_lPKT3_lilS7_lilPT5_i.num_named_barrier, 0
	.set _ZL23rocblas_gemvt_sn_kernelILb1ELi256ELi4El19rocblas_complex_numIfEPKS1_S1_EviiT4_lPKT3_lilS7_lilPT5_i.private_seg_size, 0
	.set _ZL23rocblas_gemvt_sn_kernelILb1ELi256ELi4El19rocblas_complex_numIfEPKS1_S1_EviiT4_lPKT3_lilS7_lilPT5_i.uses_vcc, 1
	.set _ZL23rocblas_gemvt_sn_kernelILb1ELi256ELi4El19rocblas_complex_numIfEPKS1_S1_EviiT4_lPKT3_lilS7_lilPT5_i.uses_flat_scratch, 0
	.set _ZL23rocblas_gemvt_sn_kernelILb1ELi256ELi4El19rocblas_complex_numIfEPKS1_S1_EviiT4_lPKT3_lilS7_lilPT5_i.has_dyn_sized_stack, 0
	.set _ZL23rocblas_gemvt_sn_kernelILb1ELi256ELi4El19rocblas_complex_numIfEPKS1_S1_EviiT4_lPKT3_lilS7_lilPT5_i.has_recursion, 0
	.set _ZL23rocblas_gemvt_sn_kernelILb1ELi256ELi4El19rocblas_complex_numIfEPKS1_S1_EviiT4_lPKT3_lilS7_lilPT5_i.has_indirect_call, 0
	.section	.AMDGPU.csdata,"",@progbits
; Kernel info:
; codeLenInByte = 5440
; TotalNumSgprs: 74
; NumVgprs: 110
; ScratchSize: 0
; MemoryBound: 0
; FloatMode: 240
; IeeeMode: 1
; LDSByteSize: 8448 bytes/workgroup (compile time only)
; SGPRBlocks: 0
; VGPRBlocks: 6
; NumSGPRsForWavesPerEU: 74
; NumVGPRsForWavesPerEU: 110
; NamedBarCnt: 0
; Occupancy: 9
; WaveLimiterHint : 0
; COMPUTE_PGM_RSRC2:SCRATCH_EN: 0
; COMPUTE_PGM_RSRC2:USER_SGPR: 4
; COMPUTE_PGM_RSRC2:TRAP_HANDLER: 0
; COMPUTE_PGM_RSRC2:TGID_X_EN: 1
; COMPUTE_PGM_RSRC2:TGID_Y_EN: 0
; COMPUTE_PGM_RSRC2:TGID_Z_EN: 1
; COMPUTE_PGM_RSRC2:TIDIG_COMP_CNT: 2
	.section	.text._ZL23rocblas_gemvt_sn_kernelILb1ELi256ELi4Ei19rocblas_complex_numIfES1_S1_EviiT4_lPKT3_lilS5_lilPT5_i,"axG",@progbits,_ZL23rocblas_gemvt_sn_kernelILb1ELi256ELi4Ei19rocblas_complex_numIfES1_S1_EviiT4_lPKT3_lilS5_lilPT5_i,comdat
	.globl	_ZL23rocblas_gemvt_sn_kernelILb1ELi256ELi4Ei19rocblas_complex_numIfES1_S1_EviiT4_lPKT3_lilS5_lilPT5_i ; -- Begin function _ZL23rocblas_gemvt_sn_kernelILb1ELi256ELi4Ei19rocblas_complex_numIfES1_S1_EviiT4_lPKT3_lilS5_lilPT5_i
	.p2align	8
	.type	_ZL23rocblas_gemvt_sn_kernelILb1ELi256ELi4Ei19rocblas_complex_numIfES1_S1_EviiT4_lPKT3_lilS5_lilPT5_i,@function
_ZL23rocblas_gemvt_sn_kernelILb1ELi256ELi4Ei19rocblas_complex_numIfES1_S1_EviiT4_lPKT3_lilS5_lilPT5_i: ; @_ZL23rocblas_gemvt_sn_kernelILb1ELi256ELi4Ei19rocblas_complex_numIfES1_S1_EviiT4_lPKT3_lilS5_lilPT5_i
; %bb.0:
	s_load_b32 s11, s[2:3], 0x60
	s_bfe_u32 s4, ttmp6, 0x40014
	s_lshr_b32 s5, ttmp7, 16
	s_add_co_i32 s4, s4, 1
	s_bfe_u32 s6, ttmp6, 0x40008
	s_mul_i32 s4, s5, s4
	s_getreg_b32 s25, hwreg(HW_REG_IB_STS2, 6, 4)
	s_add_co_i32 s6, s6, s4
	s_cmp_eq_u32 s25, 0
	s_mov_b32 s27, 0
	s_cselect_b32 s24, s5, s6
	s_wait_kmcnt 0x0
	s_cmp_ge_u32 s24, s11
	s_cbranch_scc1 .LBB138_84
; %bb.1:
	s_load_b64 s[34:35], s[0:1], 0x4
	s_clause 0x6
	s_load_b96 s[8:10], s[2:3], 0x40
	s_load_b128 s[4:7], s[2:3], 0x18
	s_load_b128 s[12:15], s[2:3], 0x0
	s_load_b32 s33, s[2:3], 0x28
	s_load_b128 s[16:19], s[2:3], 0x30
	s_load_b128 s[20:23], s[2:3], 0x50
	s_load_b32 s28, s[2:3], 0x68
	v_and_b32_e32 v1, 0x3ff, v0
	v_bfe_u32 v2, v0, 10, 10
	v_bfe_u32 v3, v0, 20, 10
	v_mbcnt_lo_u32_b32 v39, -1, 0
	v_mov_b64_e32 v[12:13], 0
	s_wait_xcnt 0x0
	v_cmp_eq_u32_e64 s0, 0, v1
	s_mov_b32 s31, s27
	s_mov_b32 s29, s27
	v_lshl_or_b32 v41, v39, 2, 64
	v_mov_b32_e32 v40, 0
	s_wait_kmcnt 0x0
	s_lshr_b32 s1, s34, 16
	s_lshl_b64 s[2:3], s[8:9], 3
	s_lshl_b64 s[8:9], s[6:7], 3
	s_or_b32 s6, s14, s15
	s_ashr_i32 s7, s13, 31
	s_and_b32 s26, s6, 0x7fffffff
	s_mul_i32 s1, s1, s35
	s_cmp_eq_u32 s26, 0
	s_add_nc_u64 s[18:19], s[18:19], s[2:3]
	s_cselect_b32 s56, -1, 0
	s_cmp_gt_i32 s13, 0
	v_mul_lo_u32 v4, s1, v1
	s_cselect_b32 s2, -1, 0
	s_bfe_u32 s3, ttmp6, 0x4000c
	s_and_b32 s1, ttmp6, 15
	s_add_co_i32 s3, s3, 1
	s_and_b32 s57, s0, s2
	s_mul_i32 s3, ttmp9, s3
	v_mul_u32_u24_e32 v2, s35, v2
	s_add_co_i32 s1, s1, s3
	s_cmp_eq_u32 s25, 0
	s_add_nc_u64 s[2:3], s[4:5], s[8:9]
	s_cselect_b32 s30, ttmp9, s1
	v_add3_u32 v2, v4, v2, v3
	s_lshl_b32 s1, s30, 10
	s_lshr_b32 s4, s7, 30
	v_lshl_or_b32 v4, v1, 2, s1
	s_ashr_i32 s1, s12, 31
	v_lshl_add_u32 v36, v2, 5, 0x100
	s_lshr_b32 s1, s1, 30
	s_add_co_i32 s4, s13, s4
	s_add_co_i32 s1, s12, s1
	v_mul_lo_u32 v2, s10, v4
	s_and_b32 s1, s1, -4
	v_dual_ashrrev_i32 v5, 31, v4 :: v_dual_add_nc_u32 v3, 4, v4
	s_sub_co_i32 s59, s12, s1
	s_and_b32 s58, s4, -4
	v_add_nc_u32_e32 v6, s59, v4
	s_cmp_gt_i32 s58, 0
	v_lshl_add_u64 v[4:5], v[4:5], 3, s[2:3]
	v_cmp_ge_i32_e64 s1, s12, v3
	v_and_b32_e32 v3, 31, v0
	v_cmp_ge_i32_e64 s2, s12, v6
	v_dual_lshrrev_b32 v6, 2, v0 :: v_dual_add_nc_u32 v0, s10, v2
	s_cselect_b32 s60, -1, 0
	s_cmp_gt_i32 s59, 0
	s_delay_alu instid0(VALU_DEP_1)
	v_dual_lshlrev_b32 v37, 3, v3 :: v_dual_bitop2_b32 v38, 56, v6 bitop3:0x40
	s_cselect_b32 s12, -1, 0
	v_add_nc_u32_e32 v6, s10, v0
	s_and_b32 s61, s12, s2
	s_cmp_gt_u32 s13, 1
	v_cmp_eq_u32_e64 s4, 0, v3
	s_cselect_b32 s8, -1, 0
	s_cmp_eq_u32 s28, 1
	v_ashrrev_i32_e32 v3, 31, v2
	v_add_nc_u32_e32 v8, s10, v6
	s_cselect_b32 s9, -1, 0
	s_and_b32 s62, s13, 0x7ffffffe
	s_and_b32 s63, s8, s9
	v_add_nc_u64_e32 v[10:11], 4, v[4:5]
	s_cmp_lg_u32 s13, s62
	v_cmp_gt_u32_e64 s3, 32, v1
	v_cmp_gt_u32_e64 s5, 8, v1
	v_dual_ashrrev_i32 v1, 31, v0 :: v_dual_ashrrev_i32 v7, 31, v6
	v_ashrrev_i32_e32 v9, 31, v8
	s_mov_b32 s6, s13
	s_cselect_b32 s64, -1, 0
	s_lshl_b64 s[38:39], s[30:31], 3
	s_mul_u64 s[34:35], s[6:7], s[28:29]
	s_mov_b32 s36, s15
	s_mov_b32 s37, s14
	s_add_nc_u64 s[40:41], s[22:23], s[38:39]
	s_lshl_b64 s[42:43], s[6:7], 3
	s_lshl_b64 s[44:45], s[28:29], 3
	s_lshl_b32 s31, s33, 2
	s_lshl_b32 s65, s33, 1
	s_mul_i32 s66, s33, 3
	s_lshl_b64 s[46:47], s[16:17], 3
	s_branch .LBB138_3
.LBB138_2:                              ;   in Loop: Header=BB138_3 Depth=1
	s_add_co_i32 s24, s24, 0x10000
	s_delay_alu instid0(SALU_CYCLE_1)
	s_cmp_lt_u32 s24, s11
	s_cbranch_scc0 .LBB138_84
.LBB138_3:                              ; =>This Loop Header: Depth=1
                                        ;     Child Loop BB138_7 Depth 2
                                        ;     Child Loop BB138_11 Depth 2
	;; [unrolled: 1-line block ×3, first 2 shown]
                                        ;       Child Loop BB138_47 Depth 3
                                        ;       Child Loop BB138_49 Depth 3
                                        ;     Child Loop BB138_65 Depth 2
                                        ;       Child Loop BB138_77 Depth 3
                                        ;       Child Loop BB138_79 Depth 3
	s_mov_b32 s25, s27
	s_and_not1_b32 vcc_lo, exec_lo, s56
	s_mul_u64 s[6:7], s[34:35], s[24:25]
	s_delay_alu instid0(SALU_CYCLE_1) | instskip(NEXT) | instid1(SALU_CYCLE_1)
	s_lshl_b64 s[6:7], s[6:7], 3
	s_add_nc_u64 s[50:51], s[22:23], s[6:7]
	s_mov_b32 s6, -1
	s_cbranch_vccnz .LBB138_13
; %bb.4:                                ;   in Loop: Header=BB138_3 Depth=1
	s_and_saveexec_b32 s52, s57
	s_cbranch_execz .LBB138_12
; %bb.5:                                ;   in Loop: Header=BB138_3 Depth=1
	s_and_not1_b32 vcc_lo, exec_lo, s63
	s_cbranch_vccnz .LBB138_9
; %bb.6:                                ;   in Loop: Header=BB138_3 Depth=1
	s_add_nc_u64 s[6:7], s[50:51], s[38:39]
	s_mov_b32 s8, 1
	s_mov_b32 s26, 0
	;; [unrolled: 1-line block ×3, first 2 shown]
.LBB138_7:                              ;   Parent Loop BB138_3 Depth=1
                                        ; =>  This Inner Loop Header: Depth=2
	s_mov_b32 s9, s27
	s_wait_xcnt 0x1
	s_lshl_b64 s[54:55], s[26:27], 3
	s_add_co_i32 s49, s49, -2
	s_add_co_i32 s26, s26, 2
	s_wait_xcnt 0x0
	s_lshl_b64 s[68:69], s[8:9], 3
	s_add_co_i32 s8, s8, 2
	s_mov_b32 s48, s62
	s_mov_b32 s53, s64
	s_add_nc_u64 s[54:55], s[6:7], s[54:55]
	s_cmp_lg_u32 s49, 0
	s_add_nc_u64 s[68:69], s[6:7], s[68:69]
	s_clause 0x1
	global_store_b64 v40, v[12:13], s[54:55]
	global_store_b64 v40, v[12:13], s[68:69]
	s_cbranch_scc1 .LBB138_7
; %bb.8:                                ;   in Loop: Header=BB138_3 Depth=1
	s_and_b32 vcc_lo, exec_lo, s53
	s_cbranch_vccnz .LBB138_10
	s_branch .LBB138_12
.LBB138_9:                              ;   in Loop: Header=BB138_3 Depth=1
	s_mov_b32 s48, 0
	s_cbranch_execz .LBB138_12
.LBB138_10:                             ;   in Loop: Header=BB138_3 Depth=1
	s_mov_b32 s49, s27
	s_mul_u64 s[6:7], s[42:43], s[24:25]
	s_lshl_b64 s[8:9], s[48:49], 3
	s_delay_alu instid0(SALU_CYCLE_1) | instskip(SKIP_2) | instid1(SALU_CYCLE_1)
	s_add_nc_u64 s[6:7], s[6:7], s[8:9]
	s_sub_co_i32 s8, s13, s48
	s_mul_u64 s[6:7], s[28:29], s[6:7]
	s_add_nc_u64 s[6:7], s[40:41], s[6:7]
.LBB138_11:                             ;   Parent Loop BB138_3 Depth=1
                                        ; =>  This Inner Loop Header: Depth=2
	s_add_co_i32 s8, s8, -1
	global_store_b64 v40, v[12:13], s[6:7]
	s_cmp_eq_u32 s8, 0
	s_wait_xcnt 0x0
	s_add_nc_u64 s[6:7], s[6:7], s[44:45]
	s_cbranch_scc0 .LBB138_11
.LBB138_12:                             ;   in Loop: Header=BB138_3 Depth=1
	s_wait_xcnt 0x0
	s_or_b32 exec_lo, exec_lo, s52
	s_mov_b32 s6, 0
.LBB138_13:                             ;   in Loop: Header=BB138_3 Depth=1
	s_delay_alu instid0(SALU_CYCLE_1)
	s_and_not1_b32 vcc_lo, exec_lo, s6
	s_cbranch_vccnz .LBB138_2
; %bb.14:                               ;   in Loop: Header=BB138_3 Depth=1
	s_mul_u64 s[6:7], s[20:21], s[24:25]
	s_mul_u64 s[8:9], s[46:47], s[24:25]
	s_lshl_b64 s[6:7], s[6:7], 3
	s_mul_u64 s[52:53], s[16:17], s[24:25]
	s_add_nc_u64 s[48:49], s[18:19], s[6:7]
	v_add_nc_u64_e32 v[24:25], s[8:9], v[10:11]
	v_lshl_add_u64 v[14:15], s[52:53], 3, v[4:5]
	v_lshl_add_u64 v[16:17], v[2:3], 3, s[48:49]
	;; [unrolled: 1-line block ×5, first 2 shown]
	v_cmp_gt_u32_e64 s9, 24, v39
	v_cmp_gt_u32_e64 s8, 28, v39
	;; [unrolled: 1-line block ×3, first 2 shown]
	v_cmp_ne_u32_e64 s6, 31, v39
	s_and_not1_b32 vcc_lo, exec_lo, s60
	s_cbranch_vccnz .LBB138_61
; %bb.15:                               ;   in Loop: Header=BB138_3 Depth=1
	s_wait_dscnt 0x0
	v_cndmask_b32_e64 v26, 0, 8, s9
	v_cndmask_b32_e64 v27, 0, 4, s8
	;; [unrolled: 1-line block ×3, first 2 shown]
	v_add_co_ci_u32_e64 v29, null, 0, v39, s6
	s_delay_alu instid0(VALU_DEP_4) | instskip(NEXT) | instid1(VALU_DEP_4)
	v_add_lshl_u32 v42, v26, v39, 2
	v_add_lshl_u32 v43, v27, v39, 2
	s_delay_alu instid0(VALU_DEP_4) | instskip(NEXT) | instid1(VALU_DEP_4)
	v_add_lshl_u32 v44, v28, v39, 2
	v_lshlrev_b32_e32 v45, 2, v29
	s_mov_b32 s6, 0
	s_mov_b32 s25, s66
	s_mov_b32 s67, s65
	s_mov_b32 s68, s33
	s_mov_b32 s26, s6
	s_branch .LBB138_17
.LBB138_16:                             ;   in Loop: Header=BB138_17 Depth=2
	s_wait_xcnt 0x0
	s_or_b32 exec_lo, exec_lo, s7
	s_add_co_i32 s26, s26, 4
	s_add_co_i32 s68, s68, s31
	;; [unrolled: 1-line block ×5, first 2 shown]
	s_cmp_ge_i32 s26, s58
	s_cbranch_scc1 .LBB138_62
.LBB138_17:                             ;   Parent Loop BB138_3 Depth=1
                                        ; =>  This Loop Header: Depth=2
                                        ;       Child Loop BB138_47 Depth 3
                                        ;       Child Loop BB138_49 Depth 3
                                        ; implicit-def: $vgpr33
                                        ; implicit-def: $vgpr31
                                        ; implicit-def: $vgpr29
                                        ; implicit-def: $vgpr27
	s_and_saveexec_b32 s7, s1
	s_delay_alu instid0(SALU_CYCLE_1)
	s_xor_b32 s7, exec_lo, s7
	s_cbranch_execnz .LBB138_44
; %bb.18:                               ;   in Loop: Header=BB138_17 Depth=2
	s_and_not1_saveexec_b32 s69, s7
	s_cbranch_execnz .LBB138_45
.LBB138_19:                             ;   in Loop: Header=BB138_17 Depth=2
	s_or_b32 exec_lo, exec_lo, s69
	s_and_saveexec_b32 s7, s3
.LBB138_20:                             ;   in Loop: Header=BB138_17 Depth=2
	ds_store_b64 v37, v[12:13]
.LBB138_21:                             ;   in Loop: Header=BB138_17 Depth=2
	s_or_b32 exec_lo, exec_lo, s7
	ds_bpermute_b32 v34, v41, v32
	ds_bpermute_b32 v35, v41, v33
	s_wait_storecnt_dscnt 0x0
	s_barrier_signal -1
	s_barrier_wait -1
	v_pk_add_f32 v[32:33], v[32:33], v[34:35]
	ds_bpermute_b32 v34, v42, v32
	ds_bpermute_b32 v35, v42, v33
	s_wait_dscnt 0x0
	v_pk_add_f32 v[32:33], v[32:33], v[34:35]
	ds_bpermute_b32 v34, v43, v32
	ds_bpermute_b32 v35, v43, v33
	s_wait_dscnt 0x0
	;; [unrolled: 4-line block ×3, first 2 shown]
	v_pk_add_f32 v[32:33], v[32:33], v[34:35]
	ds_bpermute_b32 v34, v45, v32
	ds_bpermute_b32 v35, v45, v33
	s_and_saveexec_b32 s7, s4
	s_cbranch_execz .LBB138_23
; %bb.22:                               ;   in Loop: Header=BB138_17 Depth=2
	s_wait_dscnt 0x0
	v_pk_add_f32 v[32:33], v[32:33], v[34:35]
	ds_store_b64 v38, v[32:33]
.LBB138_23:                             ;   in Loop: Header=BB138_17 Depth=2
	s_or_b32 exec_lo, exec_lo, s7
	v_mov_b64_e32 v[32:33], 0
	s_wait_dscnt 0x0
	s_barrier_signal -1
	s_barrier_wait -1
	s_and_saveexec_b32 s7, s5
	s_cbranch_execnz .LBB138_50
; %bb.24:                               ;   in Loop: Header=BB138_17 Depth=2
	s_or_b32 exec_lo, exec_lo, s7
	s_and_saveexec_b32 s7, s3
	s_cbranch_execnz .LBB138_51
.LBB138_25:                             ;   in Loop: Header=BB138_17 Depth=2
	s_or_b32 exec_lo, exec_lo, s7
	s_and_saveexec_b32 s7, s3
.LBB138_26:                             ;   in Loop: Header=BB138_17 Depth=2
	ds_store_b64 v37, v[12:13]
.LBB138_27:                             ;   in Loop: Header=BB138_17 Depth=2
	s_or_b32 exec_lo, exec_lo, s7
	ds_bpermute_b32 v34, v41, v30
	ds_bpermute_b32 v35, v41, v31
	s_wait_dscnt 0x0
	s_barrier_signal -1
	s_barrier_wait -1
	v_pk_add_f32 v[30:31], v[30:31], v[34:35]
	ds_bpermute_b32 v34, v42, v30
	ds_bpermute_b32 v35, v42, v31
	s_wait_dscnt 0x0
	v_pk_add_f32 v[30:31], v[30:31], v[34:35]
	ds_bpermute_b32 v34, v43, v30
	ds_bpermute_b32 v35, v43, v31
	s_wait_dscnt 0x0
	;; [unrolled: 4-line block ×3, first 2 shown]
	v_pk_add_f32 v[30:31], v[30:31], v[34:35]
	ds_bpermute_b32 v34, v45, v30
	ds_bpermute_b32 v35, v45, v31
	s_and_saveexec_b32 s7, s4
	s_cbranch_execz .LBB138_29
; %bb.28:                               ;   in Loop: Header=BB138_17 Depth=2
	s_wait_dscnt 0x0
	v_pk_add_f32 v[30:31], v[30:31], v[34:35]
	ds_store_b64 v38, v[30:31]
.LBB138_29:                             ;   in Loop: Header=BB138_17 Depth=2
	s_or_b32 exec_lo, exec_lo, s7
	v_mov_b64_e32 v[30:31], 0
	s_wait_dscnt 0x0
	s_barrier_signal -1
	s_barrier_wait -1
	s_and_saveexec_b32 s7, s5
	s_cbranch_execnz .LBB138_52
; %bb.30:                               ;   in Loop: Header=BB138_17 Depth=2
	s_or_b32 exec_lo, exec_lo, s7
	s_and_saveexec_b32 s7, s3
	s_cbranch_execnz .LBB138_53
.LBB138_31:                             ;   in Loop: Header=BB138_17 Depth=2
	s_or_b32 exec_lo, exec_lo, s7
	s_and_saveexec_b32 s7, s3
.LBB138_32:                             ;   in Loop: Header=BB138_17 Depth=2
	ds_store_b64 v37, v[12:13]
.LBB138_33:                             ;   in Loop: Header=BB138_17 Depth=2
	s_or_b32 exec_lo, exec_lo, s7
	ds_bpermute_b32 v34, v41, v28
	ds_bpermute_b32 v35, v41, v29
	s_wait_dscnt 0x0
	s_barrier_signal -1
	s_barrier_wait -1
	v_pk_add_f32 v[28:29], v[28:29], v[34:35]
	ds_bpermute_b32 v34, v42, v28
	ds_bpermute_b32 v35, v42, v29
	s_wait_dscnt 0x0
	v_pk_add_f32 v[28:29], v[28:29], v[34:35]
	ds_bpermute_b32 v34, v43, v28
	ds_bpermute_b32 v35, v43, v29
	s_wait_dscnt 0x0
	;; [unrolled: 4-line block ×3, first 2 shown]
	v_pk_add_f32 v[28:29], v[28:29], v[34:35]
	ds_bpermute_b32 v34, v45, v28
	ds_bpermute_b32 v35, v45, v29
	s_and_saveexec_b32 s7, s4
	s_cbranch_execz .LBB138_35
; %bb.34:                               ;   in Loop: Header=BB138_17 Depth=2
	s_wait_dscnt 0x0
	v_pk_add_f32 v[28:29], v[28:29], v[34:35]
	ds_store_b64 v38, v[28:29]
.LBB138_35:                             ;   in Loop: Header=BB138_17 Depth=2
	s_or_b32 exec_lo, exec_lo, s7
	v_mov_b64_e32 v[28:29], 0
	s_wait_dscnt 0x0
	s_barrier_signal -1
	s_barrier_wait -1
	s_and_saveexec_b32 s7, s5
	s_cbranch_execnz .LBB138_54
; %bb.36:                               ;   in Loop: Header=BB138_17 Depth=2
	s_or_b32 exec_lo, exec_lo, s7
	s_and_saveexec_b32 s7, s3
	s_cbranch_execnz .LBB138_55
.LBB138_37:                             ;   in Loop: Header=BB138_17 Depth=2
	s_or_b32 exec_lo, exec_lo, s7
	s_and_saveexec_b32 s7, s3
.LBB138_38:                             ;   in Loop: Header=BB138_17 Depth=2
	ds_store_b64 v37, v[12:13]
.LBB138_39:                             ;   in Loop: Header=BB138_17 Depth=2
	s_or_b32 exec_lo, exec_lo, s7
	ds_bpermute_b32 v34, v41, v26
	ds_bpermute_b32 v35, v41, v27
	s_wait_dscnt 0x0
	s_barrier_signal -1
	s_barrier_wait -1
	v_pk_add_f32 v[26:27], v[26:27], v[34:35]
	ds_bpermute_b32 v34, v42, v26
	ds_bpermute_b32 v35, v42, v27
	s_wait_dscnt 0x0
	v_pk_add_f32 v[26:27], v[26:27], v[34:35]
	ds_bpermute_b32 v34, v43, v26
	ds_bpermute_b32 v35, v43, v27
	s_wait_dscnt 0x0
	;; [unrolled: 4-line block ×3, first 2 shown]
	v_pk_add_f32 v[26:27], v[26:27], v[34:35]
	ds_bpermute_b32 v34, v45, v26
	ds_bpermute_b32 v35, v45, v27
	s_and_saveexec_b32 s7, s4
	s_cbranch_execz .LBB138_41
; %bb.40:                               ;   in Loop: Header=BB138_17 Depth=2
	s_wait_dscnt 0x0
	v_pk_add_f32 v[26:27], v[26:27], v[34:35]
	ds_store_b64 v38, v[26:27]
.LBB138_41:                             ;   in Loop: Header=BB138_17 Depth=2
	s_or_b32 exec_lo, exec_lo, s7
	v_mov_b64_e32 v[26:27], 0
	s_wait_dscnt 0x0
	s_barrier_signal -1
	s_barrier_wait -1
	s_and_saveexec_b32 s7, s5
	s_cbranch_execnz .LBB138_56
; %bb.42:                               ;   in Loop: Header=BB138_17 Depth=2
	s_or_b32 exec_lo, exec_lo, s7
	s_and_saveexec_b32 s7, s3
	s_cbranch_execnz .LBB138_57
.LBB138_43:                             ;   in Loop: Header=BB138_17 Depth=2
	s_or_b32 exec_lo, exec_lo, s7
	s_and_saveexec_b32 s7, s0
	s_cbranch_execz .LBB138_16
	s_branch .LBB138_58
.LBB138_44:                             ;   in Loop: Header=BB138_17 Depth=2
	s_mul_i32 s8, s26, s33
	s_clause 0x1
	global_load_b64 v[46:47], v[16:17], off
	global_load_b64 v[48:49], v[18:19], off
	s_ashr_i32 s9, s8, 31
	s_add_co_i32 s52, s8, s33
	v_lshl_add_u64 v[30:31], s[8:9], 3, v[14:15]
	s_ashr_i32 s53, s52, 31
	s_add_co_i32 s8, s52, s33
	v_lshl_add_u64 v[34:35], s[52:53], 3, v[14:15]
	s_ashr_i32 s9, s8, 31
	s_wait_dscnt 0x0
	global_load_b128 v[26:29], v[30:31], off
	global_load_b64 v[50:51], v[20:21], off
	v_lshl_add_u64 v[70:71], s[8:9], 3, v[14:15]
	s_add_co_i32 s8, s8, s33
	global_load_b128 v[30:33], v[30:31], off offset:16
	s_ashr_i32 s9, s8, 31
	s_clause 0x2
	global_load_b128 v[54:57], v[34:35], off
	global_load_b128 v[58:61], v[34:35], off offset:16
	global_load_b128 v[62:65], v[70:71], off
	s_wait_xcnt 0x1
	v_lshl_add_u64 v[34:35], s[8:9], 3, v[14:15]
	global_load_b64 v[52:53], v[22:23], off
	s_clause 0x1
	global_load_b128 v[66:69], v[34:35], off
	global_load_b128 v[70:73], v[70:71], off offset:16
	s_wait_loadcnt 0x8
	v_dual_mul_f32 v74, v27, v47 :: v_dual_mul_f32 v27, v27, v46
	v_pk_mul_f32 v[76:77], v[28:29], v[48:49] op_sel:[0,1]
	s_wait_loadcnt 0x5
	v_dual_mov_b32 v78, v33 :: v_dual_mul_f32 v82, v55, v47
	v_pk_mul_f32 v[80:81], v[50:51], v[30:31] op_sel:[1,1] op_sel_hi:[0,1]
	s_wait_loadcnt 0x4
	v_dual_mul_f32 v33, v55, v46 :: v_dual_mov_b32 v86, v61
	s_wait_loadcnt 0x3
	v_dual_mul_f32 v88, v63, v47 :: v_dual_mul_f32 v61, v63, v46
	v_dual_fmac_f32 v74, v26, v46 :: v_dual_fma_f32 v75, v26, v47, -v27
	v_pk_fma_f32 v[90:91], v[28:29], v[48:49], v[76:77] op_sel:[0,0,1] op_sel_hi:[1,1,0]
	v_pk_fma_f32 v[26:27], v[28:29], v[48:49], v[76:77] op_sel:[0,0,1] op_sel_hi:[1,0,0] neg_lo:[1,0,0] neg_hi:[1,0,0]
	v_pk_mul_f32 v[28:29], v[64:65], v[48:49] op_sel:[0,1]
	v_pk_mul_f32 v[84:85], v[56:57], v[48:49] op_sel:[0,1]
	s_wait_loadcnt 0x2
	v_pk_mul_f32 v[76:77], v[52:53], v[78:79] op_sel:[1,0] op_sel_hi:[0,0]
	v_pk_fma_f32 v[78:79], v[50:51], v[30:31], v[80:81]
	v_pk_fma_f32 v[30:31], v[50:51], v[30:31], v[80:81] op_sel_hi:[1,0,1] neg_lo:[0,0,1] neg_hi:[0,0,1]
	s_wait_loadcnt 0x1
	v_dual_mul_f32 v80, v67, v47 :: v_dual_fmac_f32 v88, v62, v46
	v_dual_fma_f32 v89, v62, v47, -v61 :: v_dual_mul_f32 v26, v67, v46
	v_pk_fma_f32 v[62:63], v[64:65], v[48:49], v[28:29] op_sel:[0,0,1] op_sel_hi:[1,1,0]
	v_pk_fma_f32 v[64:65], v[64:65], v[48:49], v[28:29] op_sel:[0,0,1] op_sel_hi:[1,0,0] neg_lo:[1,0,0] neg_hi:[1,0,0]
	v_pk_mul_f32 v[28:29], v[68:69], v[48:49] op_sel:[0,1]
	v_dual_fmac_f32 v82, v54, v46 :: v_dual_fma_f32 v83, v54, v47, -v33
	v_pk_fma_f32 v[54:55], v[56:57], v[48:49], v[84:85] op_sel:[0,0,1] op_sel_hi:[1,1,0]
	v_pk_fma_f32 v[56:57], v[56:57], v[48:49], v[84:85] op_sel:[0,0,1] op_sel_hi:[1,0,0] neg_lo:[1,0,0] neg_hi:[1,0,0]
	v_pk_fma_f32 v[84:85], v[52:53], v[32:33], v[76:77]
	v_pk_fma_f32 v[32:33], v[52:53], v[32:33], v[76:77] op_sel_hi:[1,0,1] neg_lo:[0,0,1] neg_hi:[0,0,1]
	v_pk_mul_f32 v[76:77], v[50:51], v[58:59] op_sel:[1,1] op_sel_hi:[0,1]
	v_pk_mul_f32 v[86:87], v[52:53], v[86:87] op_sel:[1,0] op_sel_hi:[0,0]
	v_dual_fmac_f32 v80, v66, v46 :: v_dual_fma_f32 v81, v66, v47, -v26
	v_pk_fma_f32 v[66:67], v[68:69], v[48:49], v[28:29] op_sel:[0,0,1] op_sel_hi:[1,1,0]
	v_pk_fma_f32 v[68:69], v[68:69], v[48:49], v[28:29] op_sel:[0,0,1] op_sel_hi:[1,0,0] neg_lo:[1,0,0] neg_hi:[1,0,0]
	s_wait_loadcnt 0x0
	v_dual_mov_b32 v26, v73 :: v_dual_mov_b32 v91, v27
	v_pk_mul_f32 v[28:29], v[50:51], v[70:71] op_sel:[1,1] op_sel_hi:[0,1]
	v_pk_fma_f32 v[92:93], v[50:51], v[58:59], v[76:77]
	v_pk_fma_f32 v[58:59], v[50:51], v[58:59], v[76:77] op_sel_hi:[1,0,1] neg_lo:[0,0,1] neg_hi:[0,0,1]
	v_pk_fma_f32 v[76:77], v[52:53], v[60:61], v[86:87]
	v_pk_fma_f32 v[60:61], v[52:53], v[60:61], v[86:87] op_sel_hi:[1,0,1] neg_lo:[0,0,1] neg_hi:[0,0,1]
	v_pk_mul_f32 v[86:87], v[52:53], v[26:27] op_sel:[1,0] op_sel_hi:[0,0]
	v_pk_fma_f32 v[94:95], v[50:51], v[70:71], v[28:29]
	s_wait_xcnt 0x0
	v_pk_fma_f32 v[70:71], v[50:51], v[70:71], v[28:29] op_sel_hi:[1,0,1] neg_lo:[0,0,1] neg_hi:[0,0,1]
	global_load_b128 v[26:29], v[34:35], off offset:16
	v_dual_mov_b32 v79, v31 :: v_dual_mov_b32 v55, v57
	s_wait_xcnt 0x0
	v_pk_add_f32 v[34:35], v[74:75], 0 op_sel_hi:[1,0]
	v_dual_mov_b32 v63, v65 :: v_dual_mov_b32 v95, v71
	v_pk_add_f32 v[64:65], v[88:89], 0 op_sel_hi:[1,0]
	v_dual_mov_b32 v85, v33 :: v_dual_mov_b32 v67, v69
	v_pk_fma_f32 v[96:97], v[52:53], v[72:73], v[86:87]
	v_pk_fma_f32 v[72:73], v[52:53], v[72:73], v[86:87] op_sel_hi:[1,0,1] neg_lo:[0,0,1] neg_hi:[0,0,1]
	v_pk_add_f32 v[34:35], v[34:35], v[90:91]
	ds_store_b128 v36, v[46:49]
	ds_store_b128 v36, v[50:53] offset:16
	v_mov_b32_e32 v93, v59
	v_pk_add_f32 v[58:59], v[82:83], 0 op_sel_hi:[1,0]
	v_mov_b32_e32 v77, v61
	v_pk_add_f32 v[34:35], v[34:35], v[78:79]
	s_wait_loadcnt 0x0
	v_pk_mul_f32 v[30:31], v[50:51], v[26:27] op_sel:[1,1] op_sel_hi:[0,1]
	v_mov_b32_e32 v32, v29
	s_delay_alu instid0(VALU_DEP_2) | instskip(SKIP_1) | instid1(VALU_DEP_3)
	v_pk_fma_f32 v[56:57], v[50:51], v[26:27], v[30:31]
	v_pk_fma_f32 v[26:27], v[50:51], v[26:27], v[30:31] op_sel_hi:[1,0,1] neg_lo:[0,0,1] neg_hi:[0,0,1]
	v_pk_mul_f32 v[30:31], v[52:53], v[32:33] op_sel:[1,0] op_sel_hi:[0,0]
	v_pk_add_f32 v[32:33], v[80:81], 0 op_sel_hi:[1,0]
	s_delay_alu instid0(VALU_DEP_3) | instskip(NEXT) | instid1(VALU_DEP_3)
	v_mov_b32_e32 v57, v27
	v_pk_fma_f32 v[26:27], v[52:53], v[28:29], v[30:31]
	v_pk_fma_f32 v[28:29], v[52:53], v[28:29], v[30:31] op_sel_hi:[1,0,1] neg_lo:[0,0,1] neg_hi:[0,0,1]
	v_pk_add_f32 v[30:31], v[58:59], v[54:55]
	v_pk_add_f32 v[54:55], v[64:65], v[62:63]
	v_pk_add_f32 v[32:33], v[32:33], v[66:67]
	s_delay_alu instid0(VALU_DEP_4) | instskip(NEXT) | instid1(VALU_DEP_4)
	v_dual_mov_b32 v97, v73 :: v_dual_mov_b32 v27, v29
	v_pk_add_f32 v[30:31], v[30:31], v[92:93]
	s_delay_alu instid0(VALU_DEP_4) | instskip(NEXT) | instid1(VALU_DEP_4)
	v_pk_add_f32 v[54:55], v[54:55], v[94:95]
	v_pk_add_f32 v[56:57], v[32:33], v[56:57]
	;; [unrolled: 1-line block ×3, first 2 shown]
	s_delay_alu instid0(VALU_DEP_4) | instskip(NEXT) | instid1(VALU_DEP_4)
	v_pk_add_f32 v[30:31], v[30:31], v[76:77]
	v_pk_add_f32 v[28:29], v[54:55], v[96:97]
	s_delay_alu instid0(VALU_DEP_4)
	v_pk_add_f32 v[26:27], v[56:57], v[26:27]
	s_and_not1_saveexec_b32 s69, s7
	s_cbranch_execz .LBB138_19
.LBB138_45:                             ;   in Loop: Header=BB138_17 Depth=2
	v_dual_mov_b32 v33, 0 :: v_dual_mov_b32 v32, 0
	v_dual_mov_b32 v31, 0 :: v_dual_mov_b32 v30, 0
	;; [unrolled: 1-line block ×3, first 2 shown]
	s_wait_dscnt 0x0
	v_dual_mov_b32 v27, 0 :: v_dual_mov_b32 v26, 0
	s_and_saveexec_b32 s70, s2
	s_cbranch_execz .LBB138_60
; %bb.46:                               ;   in Loop: Header=BB138_17 Depth=2
	v_dual_mov_b32 v26, v2 :: v_dual_mov_b32 v27, v36
	s_and_not1_b32 vcc_lo, exec_lo, s12
	s_mov_b32 s7, s59
	s_cbranch_vccnz .LBB138_59
.LBB138_47:                             ;   Parent Loop BB138_3 Depth=1
                                        ;     Parent Loop BB138_17 Depth=2
                                        ; =>    This Inner Loop Header: Depth=3
	global_load_b64 v[28:29], v26, s[48:49] scale_offset
	s_wait_xcnt 0x0
	v_add_nc_u32_e32 v26, s10, v26
	s_add_co_i32 s7, s7, -1
	s_delay_alu instid0(SALU_CYCLE_1)
	s_cmp_eq_u32 s7, 0
	s_wait_loadcnt 0x0
	ds_store_b64 v27, v[28:29]
	v_add_nc_u32_e32 v27, 8, v27
	s_cbranch_scc0 .LBB138_47
; %bb.48:                               ;   in Loop: Header=BB138_17 Depth=2
	v_dual_mov_b32 v26, 0 :: v_dual_mov_b32 v46, v36
	s_ashr_i32 s7, s6, 31
	s_mov_b32 s8, s25
	v_lshl_add_u64 v[34:35], s[6:7], 3, v[24:25]
	s_delay_alu instid0(VALU_DEP_2)
	v_dual_mov_b32 v27, v26 :: v_dual_mov_b32 v28, v26
	v_dual_mov_b32 v29, v26 :: v_dual_mov_b32 v30, v26
	;; [unrolled: 1-line block ×3, first 2 shown]
	v_mov_b32_e32 v33, v26
	s_mov_b32 s52, s67
	s_mov_b32 s54, s68
	s_mov_b32 s7, s59
.LBB138_49:                             ;   Parent Loop BB138_3 Depth=1
                                        ;     Parent Loop BB138_17 Depth=2
                                        ; =>    This Inner Loop Header: Depth=3
	s_ashr_i32 s55, s54, 31
	s_ashr_i32 s53, s52, 31
	;; [unrolled: 1-line block ×3, first 2 shown]
	v_lshl_add_u64 v[48:49], s[54:55], 3, v[14:15]
	v_lshl_add_u64 v[50:51], s[52:53], 3, v[14:15]
	;; [unrolled: 1-line block ×3, first 2 shown]
	global_load_b64 v[54:55], v[34:35], off offset:-4
	s_clause 0x2
	global_load_b64 v[48:49], v[48:49], off
	global_load_b64 v[50:51], v[50:51], off
	;; [unrolled: 1-line block ×3, first 2 shown]
	ds_load_b64 v[56:57], v46
	s_wait_xcnt 0x3
	v_add_nc_u64_e32 v[34:35], 8, v[34:35]
	s_add_co_i32 s7, s7, -1
	s_add_co_i32 s54, s54, 1
	s_add_co_i32 s52, s52, 1
	;; [unrolled: 1-line block ×3, first 2 shown]
	s_cmp_lg_u32 s7, 0
	s_wait_loadcnt_dscnt 0x300
	v_pk_mul_f32 v[58:59], v[56:57], v[54:55] op_sel:[1,1] op_sel_hi:[0,1]
	s_wait_loadcnt 0x1
	v_pk_mul_f32 v[62:63], v[56:57], v[50:51] op_sel:[1,1] op_sel_hi:[0,1]
	s_wait_loadcnt 0x0
	v_pk_mul_f32 v[64:65], v[56:57], v[52:53] op_sel:[1,1] op_sel_hi:[0,1]
	v_pk_fma_f32 v[60:61], v[56:57], v[54:55], v[58:59]
	v_pk_fma_f32 v[54:55], v[56:57], v[54:55], v[58:59] op_sel_hi:[1,0,1] neg_lo:[0,0,1] neg_hi:[0,0,1]
	v_pk_mul_f32 v[58:59], v[56:57], v[48:49] op_sel:[1,1] op_sel_hi:[0,1]
	v_add_nc_u32_e32 v46, 8, v46
	v_pk_fma_f32 v[66:67], v[56:57], v[52:53], v[64:65] op_sel_hi:[1,0,1] neg_lo:[0,0,1] neg_hi:[0,0,1]
	s_wait_xcnt 0x0
	v_pk_fma_f32 v[52:53], v[56:57], v[52:53], v[64:65]
	v_mov_b32_e32 v61, v55
	v_pk_fma_f32 v[54:55], v[56:57], v[48:49], v[58:59]
	v_pk_fma_f32 v[48:49], v[56:57], v[48:49], v[58:59] op_sel_hi:[1,0,1] neg_lo:[0,0,1] neg_hi:[0,0,1]
	v_pk_fma_f32 v[58:59], v[56:57], v[50:51], v[62:63] op_sel_hi:[1,0,1] neg_lo:[0,0,1] neg_hi:[0,0,1]
	v_pk_fma_f32 v[50:51], v[56:57], v[50:51], v[62:63]
	v_mov_b32_e32 v53, v67
	v_pk_add_f32 v[32:33], v[32:33], v[60:61]
	s_delay_alu instid0(VALU_DEP_4) | instskip(NEXT) | instid1(VALU_DEP_3)
	v_dual_mov_b32 v55, v49 :: v_dual_mov_b32 v51, v59
	v_pk_add_f32 v[26:27], v[26:27], v[52:53]
	s_delay_alu instid0(VALU_DEP_2) | instskip(NEXT) | instid1(VALU_DEP_3)
	v_pk_add_f32 v[30:31], v[30:31], v[54:55]
	v_pk_add_f32 v[28:29], v[28:29], v[50:51]
	s_cbranch_scc1 .LBB138_49
	s_branch .LBB138_60
.LBB138_50:                             ;   in Loop: Header=BB138_17 Depth=2
	ds_load_b64 v[32:33], v37
	s_or_b32 exec_lo, exec_lo, s7
	s_and_saveexec_b32 s7, s3
	s_cbranch_execz .LBB138_25
.LBB138_51:                             ;   in Loop: Header=BB138_17 Depth=2
	s_wait_dscnt 0x0
	ds_bpermute_b32 v34, v43, v32
	ds_bpermute_b32 v35, v43, v33
	s_wait_dscnt 0x0
	v_pk_add_f32 v[32:33], v[32:33], v[34:35]
	ds_bpermute_b32 v34, v44, v32
	ds_bpermute_b32 v35, v44, v33
	s_wait_dscnt 0x0
	v_pk_add_f32 v[32:33], v[32:33], v[34:35]
	;; [unrolled: 4-line block ×3, first 2 shown]
	s_or_b32 exec_lo, exec_lo, s7
	s_and_saveexec_b32 s7, s3
	s_cbranch_execnz .LBB138_26
	s_branch .LBB138_27
.LBB138_52:                             ;   in Loop: Header=BB138_17 Depth=2
	ds_load_b64 v[30:31], v37
	s_or_b32 exec_lo, exec_lo, s7
	s_and_saveexec_b32 s7, s3
	s_cbranch_execz .LBB138_31
.LBB138_53:                             ;   in Loop: Header=BB138_17 Depth=2
	s_wait_dscnt 0x0
	ds_bpermute_b32 v34, v43, v30
	ds_bpermute_b32 v35, v43, v31
	s_wait_dscnt 0x0
	v_pk_add_f32 v[30:31], v[30:31], v[34:35]
	ds_bpermute_b32 v34, v44, v30
	ds_bpermute_b32 v35, v44, v31
	s_wait_dscnt 0x0
	v_pk_add_f32 v[30:31], v[30:31], v[34:35]
	;; [unrolled: 4-line block ×3, first 2 shown]
	s_or_b32 exec_lo, exec_lo, s7
	s_and_saveexec_b32 s7, s3
	s_cbranch_execnz .LBB138_32
	s_branch .LBB138_33
.LBB138_54:                             ;   in Loop: Header=BB138_17 Depth=2
	ds_load_b64 v[28:29], v37
	s_or_b32 exec_lo, exec_lo, s7
	s_and_saveexec_b32 s7, s3
	s_cbranch_execz .LBB138_37
.LBB138_55:                             ;   in Loop: Header=BB138_17 Depth=2
	s_wait_dscnt 0x0
	ds_bpermute_b32 v34, v43, v28
	ds_bpermute_b32 v35, v43, v29
	s_wait_dscnt 0x0
	v_pk_add_f32 v[28:29], v[28:29], v[34:35]
	ds_bpermute_b32 v34, v44, v28
	ds_bpermute_b32 v35, v44, v29
	s_wait_dscnt 0x0
	v_pk_add_f32 v[28:29], v[28:29], v[34:35]
	;; [unrolled: 4-line block ×3, first 2 shown]
	s_or_b32 exec_lo, exec_lo, s7
	s_and_saveexec_b32 s7, s3
	s_cbranch_execnz .LBB138_38
	s_branch .LBB138_39
.LBB138_56:                             ;   in Loop: Header=BB138_17 Depth=2
	ds_load_b64 v[26:27], v37
	s_or_b32 exec_lo, exec_lo, s7
	s_and_saveexec_b32 s7, s3
	s_cbranch_execz .LBB138_43
.LBB138_57:                             ;   in Loop: Header=BB138_17 Depth=2
	s_wait_dscnt 0x0
	ds_bpermute_b32 v34, v43, v26
	ds_bpermute_b32 v35, v43, v27
	s_wait_dscnt 0x0
	v_pk_add_f32 v[26:27], v[26:27], v[34:35]
	ds_bpermute_b32 v34, v44, v26
	ds_bpermute_b32 v35, v44, v27
	s_wait_dscnt 0x0
	v_pk_add_f32 v[26:27], v[26:27], v[34:35]
	;; [unrolled: 4-line block ×3, first 2 shown]
	s_or_b32 exec_lo, exec_lo, s7
	s_and_saveexec_b32 s7, s0
	s_cbranch_execz .LBB138_16
.LBB138_58:                             ;   in Loop: Header=BB138_17 Depth=2
	v_mov_b64_e32 v[34:35], s[36:37]
	v_mov_b64_e32 v[46:47], s[14:15]
	s_mul_i32 s8, s26, s28
	s_delay_alu instid0(SALU_CYCLE_1) | instskip(NEXT) | instid1(VALU_DEP_2)
	s_add_co_i32 s8, s8, s30
	v_pk_mul_f32 v[50:51], v[30:31], v[34:35] op_sel:[1,0]
	v_pk_mul_f32 v[48:49], v[32:33], v[34:35] op_sel:[1,0]
	v_pk_mul_f32 v[52:53], v[28:29], v[34:35] op_sel:[1,0]
	s_wait_dscnt 0x0
	v_pk_mul_f32 v[34:35], v[26:27], v[34:35] op_sel:[1,0]
	v_pk_fma_f32 v[56:57], v[30:31], v[46:47], v[50:51] op_sel_hi:[0,1,1]
	v_pk_fma_f32 v[54:55], v[32:33], v[46:47], v[48:49] op_sel_hi:[0,1,1]
	v_pk_fma_f32 v[32:33], v[32:33], v[46:47], v[48:49] neg_lo:[0,0,1] neg_hi:[0,0,1]
	v_pk_fma_f32 v[48:49], v[28:29], v[46:47], v[52:53] op_sel_hi:[0,1,1]
	v_mov_b32_e32 v58, s8
	s_add_co_i32 s8, s8, s28
	v_pk_fma_f32 v[30:31], v[30:31], v[46:47], v[50:51] neg_lo:[0,0,1] neg_hi:[0,0,1]
	v_pk_fma_f32 v[50:51], v[26:27], v[46:47], v[34:35] op_sel_hi:[0,1,1]
	v_dual_mov_b32 v31, v57 :: v_dual_mov_b32 v48, s8
	s_add_co_i32 s8, s8, s28
	v_mov_b32_e32 v33, v55
	v_pk_fma_f32 v[28:29], v[28:29], v[46:47], v[52:53] neg_lo:[0,0,1] neg_hi:[0,0,1]
	v_dual_mov_b32 v29, v49 :: v_dual_mov_b32 v49, s8
	s_add_co_i32 s8, s8, s28
	v_pk_fma_f32 v[26:27], v[26:27], v[46:47], v[34:35] neg_lo:[0,0,1] neg_hi:[0,0,1]
	v_dual_mov_b32 v27, v51 :: v_dual_mov_b32 v34, s8
	s_clause 0x3
	global_store_b64 v58, v[32:33], s[50:51] scale_offset
	global_store_b64 v48, v[30:31], s[50:51] scale_offset
	;; [unrolled: 1-line block ×4, first 2 shown]
	s_branch .LBB138_16
.LBB138_59:                             ;   in Loop: Header=BB138_17 Depth=2
	v_mov_b32_e32 v33, 0
	s_delay_alu instid0(VALU_DEP_1)
	v_dual_mov_b32 v32, v33 :: v_dual_mov_b32 v31, v33
	v_dual_mov_b32 v30, v33 :: v_dual_mov_b32 v29, v33
	;; [unrolled: 1-line block ×3, first 2 shown]
	v_mov_b32_e32 v26, v33
.LBB138_60:                             ;   in Loop: Header=BB138_17 Depth=2
	s_or_b32 exec_lo, exec_lo, s70
	s_delay_alu instid0(SALU_CYCLE_1)
	s_or_b32 exec_lo, exec_lo, s69
	s_and_saveexec_b32 s7, s3
	s_cbranch_execnz .LBB138_20
	s_branch .LBB138_21
.LBB138_61:                             ;   in Loop: Header=BB138_3 Depth=1
	s_mov_b32 s26, 0
.LBB138_62:                             ;   in Loop: Header=BB138_3 Depth=1
	s_delay_alu instid0(SALU_CYCLE_1)
	s_cmp_ge_i32 s26, s13
	s_cbranch_scc1 .LBB138_2
; %bb.63:                               ;   in Loop: Header=BB138_3 Depth=1
	v_cmp_gt_u32_e32 vcc_lo, 24, v39
	s_add_nc_u64 s[6:7], s[50:51], s[38:39]
	s_mul_i32 s8, s33, s26
	s_wait_dscnt 0x0
	v_cndmask_b32_e64 v26, 0, 8, vcc_lo
	v_cmp_gt_u32_e32 vcc_lo, 28, v39
	s_delay_alu instid0(VALU_DEP_2) | instskip(SKIP_2) | instid1(VALU_DEP_2)
	v_add_lshl_u32 v30, v26, v39, 2
	v_cndmask_b32_e64 v27, 0, 4, vcc_lo
	v_cmp_gt_u32_e32 vcc_lo, 30, v39
	v_add_lshl_u32 v31, v27, v39, 2
	v_cndmask_b32_e64 v28, 0, 2, vcc_lo
	v_cmp_ne_u32_e32 vcc_lo, 31, v39
	s_delay_alu instid0(VALU_DEP_2) | instskip(SKIP_1) | instid1(VALU_DEP_1)
	v_add_lshl_u32 v32, v28, v39, 2
	v_add_co_ci_u32_e64 v29, null, 0, v39, vcc_lo
	v_lshlrev_b32_e32 v33, 2, v29
	s_branch .LBB138_65
.LBB138_64:                             ;   in Loop: Header=BB138_65 Depth=2
	s_wait_xcnt 0x0
	s_or_b32 exec_lo, exec_lo, s9
	s_add_co_i32 s26, s26, 1
	s_add_co_i32 s8, s8, s33
	s_cmp_ge_i32 s26, s13
	s_cbranch_scc1 .LBB138_2
.LBB138_65:                             ;   Parent Loop BB138_3 Depth=1
                                        ; =>  This Loop Header: Depth=2
                                        ;       Child Loop BB138_77 Depth 3
                                        ;       Child Loop BB138_79 Depth 3
                                        ; implicit-def: $vgpr27
	s_and_saveexec_b32 s9, s1
	s_delay_alu instid0(SALU_CYCLE_1)
	s_xor_b32 s9, exec_lo, s9
	s_cbranch_execnz .LBB138_74
; %bb.66:                               ;   in Loop: Header=BB138_65 Depth=2
	s_and_not1_saveexec_b32 s25, s9
	s_cbranch_execnz .LBB138_75
.LBB138_67:                             ;   in Loop: Header=BB138_65 Depth=2
	s_or_b32 exec_lo, exec_lo, s25
	s_and_saveexec_b32 s9, s3
.LBB138_68:                             ;   in Loop: Header=BB138_65 Depth=2
	ds_store_b64 v37, v[12:13]
.LBB138_69:                             ;   in Loop: Header=BB138_65 Depth=2
	s_or_b32 exec_lo, exec_lo, s9
	s_wait_dscnt 0x0
	ds_bpermute_b32 v28, v41, v26
	ds_bpermute_b32 v29, v41, v27
	s_wait_storecnt_dscnt 0x0
	s_barrier_signal -1
	s_barrier_wait -1
	v_pk_add_f32 v[26:27], v[26:27], v[28:29]
	ds_bpermute_b32 v28, v30, v26
	ds_bpermute_b32 v29, v30, v27
	s_wait_dscnt 0x0
	v_pk_add_f32 v[26:27], v[26:27], v[28:29]
	ds_bpermute_b32 v28, v31, v26
	ds_bpermute_b32 v29, v31, v27
	s_wait_dscnt 0x0
	;; [unrolled: 4-line block ×3, first 2 shown]
	v_pk_add_f32 v[26:27], v[26:27], v[28:29]
	ds_bpermute_b32 v28, v33, v26
	ds_bpermute_b32 v29, v33, v27
	s_and_saveexec_b32 s9, s4
	s_cbranch_execz .LBB138_71
; %bb.70:                               ;   in Loop: Header=BB138_65 Depth=2
	s_wait_dscnt 0x0
	v_pk_add_f32 v[26:27], v[26:27], v[28:29]
	ds_store_b64 v38, v[26:27]
.LBB138_71:                             ;   in Loop: Header=BB138_65 Depth=2
	s_or_b32 exec_lo, exec_lo, s9
	v_mov_b64_e32 v[26:27], 0
	s_wait_dscnt 0x0
	s_barrier_signal -1
	s_barrier_wait -1
	s_and_saveexec_b32 s9, s5
	s_cbranch_execnz .LBB138_81
; %bb.72:                               ;   in Loop: Header=BB138_65 Depth=2
	s_or_b32 exec_lo, exec_lo, s9
	s_and_saveexec_b32 s9, s3
	s_cbranch_execnz .LBB138_82
.LBB138_73:                             ;   in Loop: Header=BB138_65 Depth=2
	s_or_b32 exec_lo, exec_lo, s9
	s_and_saveexec_b32 s9, s0
	s_cbranch_execz .LBB138_64
	s_branch .LBB138_83
.LBB138_74:                             ;   in Loop: Header=BB138_65 Depth=2
	s_mul_i32 s50, s26, s33
	s_delay_alu instid0(SALU_CYCLE_1) | instskip(NEXT) | instid1(SALU_CYCLE_1)
	s_ashr_i32 s51, s50, 31
	v_lshl_add_u64 v[34:35], s[50:51], 3, v[14:15]
	s_clause 0x2
	global_load_b64 v[42:43], v[16:17], off
	global_load_b64 v[44:45], v[18:19], off
	;; [unrolled: 1-line block ×3, first 2 shown]
	s_wait_dscnt 0x0
	s_clause 0x1
	global_load_b128 v[26:29], v[34:35], off
	global_load_b128 v[50:53], v[34:35], off offset:16
	global_load_b64 v[48:49], v[22:23], off
	s_wait_loadcnt 0x4
	ds_store_b128 v36, v[42:45]
	s_wait_loadcnt 0x0
	ds_store_b128 v36, v[46:49] offset:16
	v_dual_mul_f32 v56, v27, v43 :: v_dual_mul_f32 v27, v27, v42
	v_dual_mov_b32 v58, v29 :: v_dual_mov_b32 v59, v28
	v_pk_mul_f32 v[28:29], v[28:29], v[44:45] op_sel_hi:[1,0]
	s_wait_xcnt 0x1
	v_dual_mov_b32 v34, v45 :: v_dual_mov_b32 v54, v47
	v_pk_mul_f32 v[60:61], v[50:51], v[46:47] op_sel_hi:[1,0]
	v_dual_mov_b32 v62, v53 :: v_dual_fmac_f32 v56, v26, v42
	v_dual_fma_f32 v57, v26, v43, -v27 :: v_dual_mov_b32 v63, v52
	v_pk_fma_f32 v[26:27], v[58:59], v[44:45], v[28:29] op_sel:[0,1,0] neg_lo:[0,0,1] neg_hi:[0,0,1]
	v_pk_fma_f32 v[28:29], v[58:59], v[34:35], v[28:29]
	v_pk_fma_f32 v[34:35], v[50:51], v[46:47], v[60:61] op_sel:[1,1,0] op_sel_hi:[0,1,1] neg_lo:[0,0,1] neg_hi:[0,0,1]
	s_delay_alu instid0(VALU_DEP_4) | instskip(NEXT) | instid1(VALU_DEP_4)
	v_pk_add_f32 v[56:57], v[56:57], 0 op_sel_hi:[1,0]
	v_dual_mov_b32 v34, v49 :: v_dual_mov_b32 v29, v27
	v_pk_mul_f32 v[26:27], v[52:53], v[48:49] op_sel_hi:[1,0]
	v_pk_fma_f32 v[50:51], v[50:51], v[54:55], v[60:61] op_sel:[1,0,0] op_sel_hi:[0,1,1]
	s_delay_alu instid0(VALU_DEP_3) | instskip(NEXT) | instid1(VALU_DEP_3)
	v_pk_add_f32 v[28:29], v[56:57], v[28:29]
	v_pk_fma_f32 v[52:53], v[62:63], v[48:49], v[26:27] op_sel:[0,1,0] neg_lo:[0,0,1] neg_hi:[0,0,1]
	v_mov_b32_e32 v51, v35
	v_pk_fma_f32 v[26:27], v[62:63], v[34:35], v[26:27]
	s_delay_alu instid0(VALU_DEP_3) | instskip(NEXT) | instid1(VALU_DEP_3)
	v_mov_b32_e32 v27, v53
	v_pk_add_f32 v[28:29], v[28:29], v[50:51]
	s_delay_alu instid0(VALU_DEP_1)
	v_pk_add_f32 v[26:27], v[28:29], v[26:27]
	s_wait_xcnt 0x0
	s_and_not1_saveexec_b32 s25, s9
	s_cbranch_execz .LBB138_67
.LBB138_75:                             ;   in Loop: Header=BB138_65 Depth=2
	s_wait_dscnt 0x0
	v_mov_b32_e32 v27, 0
	s_delay_alu instid0(VALU_DEP_1)
	v_mov_b32_e32 v26, v27
	s_and_saveexec_b32 s50, s61
	s_cbranch_execz .LBB138_80
; %bb.76:                               ;   in Loop: Header=BB138_65 Depth=2
	v_dual_mov_b32 v26, v2 :: v_dual_mov_b32 v27, v36
	s_mov_b32 s9, s59
.LBB138_77:                             ;   Parent Loop BB138_3 Depth=1
                                        ;     Parent Loop BB138_65 Depth=2
                                        ; =>    This Inner Loop Header: Depth=3
	global_load_b64 v[28:29], v26, s[48:49] scale_offset
	s_wait_xcnt 0x0
	v_add_nc_u32_e32 v26, s10, v26
	s_add_co_i32 s9, s9, -1
	s_delay_alu instid0(SALU_CYCLE_1)
	s_cmp_eq_u32 s9, 0
	s_wait_loadcnt 0x0
	ds_store_b64 v27, v[28:29]
	v_add_nc_u32_e32 v27, 8, v27
	s_cbranch_scc0 .LBB138_77
; %bb.78:                               ;   in Loop: Header=BB138_65 Depth=2
	v_dual_mov_b32 v26, 0 :: v_dual_mov_b32 v34, v36
	s_ashr_i32 s9, s8, 31
	s_delay_alu instid0(SALU_CYCLE_1) | instskip(NEXT) | instid1(VALU_DEP_2)
	v_lshl_add_u64 v[28:29], s[8:9], 3, v[24:25]
	v_mov_b32_e32 v27, v26
	s_mov_b32 s9, s59
.LBB138_79:                             ;   Parent Loop BB138_3 Depth=1
                                        ;     Parent Loop BB138_65 Depth=2
                                        ; =>    This Inner Loop Header: Depth=3
	global_load_b64 v[42:43], v[28:29], off offset:-4
	ds_load_b64 v[44:45], v34
	s_wait_xcnt 0x0
	v_add_nc_u64_e32 v[28:29], 8, v[28:29]
	s_add_co_i32 s9, s9, -1
	v_add_nc_u32_e32 v34, 8, v34
	s_cmp_lg_u32 s9, 0
	s_wait_loadcnt_dscnt 0x0
	v_pk_mul_f32 v[46:47], v[42:43], v[44:45] op_sel:[1,1] op_sel_hi:[1,0]
	s_delay_alu instid0(VALU_DEP_1) | instskip(SKIP_1) | instid1(VALU_DEP_2)
	v_pk_fma_f32 v[48:49], v[42:43], v[44:45], v[46:47] op_sel_hi:[0,1,1] neg_lo:[0,0,1] neg_hi:[0,0,1]
	v_pk_fma_f32 v[42:43], v[42:43], v[44:45], v[46:47]
	v_mov_b32_e32 v43, v49
	s_delay_alu instid0(VALU_DEP_1)
	v_pk_add_f32 v[26:27], v[26:27], v[42:43]
	s_cbranch_scc1 .LBB138_79
.LBB138_80:                             ;   in Loop: Header=BB138_65 Depth=2
	s_or_b32 exec_lo, exec_lo, s50
	s_delay_alu instid0(SALU_CYCLE_1)
	s_or_b32 exec_lo, exec_lo, s25
	s_and_saveexec_b32 s9, s3
	s_cbranch_execnz .LBB138_68
	s_branch .LBB138_69
.LBB138_81:                             ;   in Loop: Header=BB138_65 Depth=2
	ds_load_b64 v[26:27], v37
	s_or_b32 exec_lo, exec_lo, s9
	s_and_saveexec_b32 s9, s3
	s_cbranch_execz .LBB138_73
.LBB138_82:                             ;   in Loop: Header=BB138_65 Depth=2
	s_wait_dscnt 0x0
	ds_bpermute_b32 v28, v31, v26
	ds_bpermute_b32 v29, v31, v27
	s_wait_dscnt 0x0
	v_pk_add_f32 v[26:27], v[26:27], v[28:29]
	ds_bpermute_b32 v28, v32, v26
	ds_bpermute_b32 v29, v32, v27
	s_wait_dscnt 0x0
	v_pk_add_f32 v[26:27], v[26:27], v[28:29]
	;; [unrolled: 4-line block ×3, first 2 shown]
	s_or_b32 exec_lo, exec_lo, s9
	s_and_saveexec_b32 s9, s0
	s_cbranch_execz .LBB138_64
.LBB138_83:                             ;   in Loop: Header=BB138_65 Depth=2
	v_mov_b64_e32 v[28:29], s[36:37]
	v_mov_b64_e32 v[34:35], s[14:15]
	s_mul_u64 s[50:51], s[26:27], s[28:29]
	s_delay_alu instid0(SALU_CYCLE_1) | instskip(NEXT) | instid1(SALU_CYCLE_1)
	s_lshl_b64 s[50:51], s[50:51], 3
	s_add_nc_u64 s[50:51], s[6:7], s[50:51]
	s_wait_dscnt 0x0
	s_delay_alu instid0(VALU_DEP_2) | instskip(NEXT) | instid1(VALU_DEP_1)
	v_pk_mul_f32 v[28:29], v[26:27], v[28:29] op_sel:[1,0]
	v_pk_fma_f32 v[42:43], v[26:27], v[34:35], v[28:29] op_sel_hi:[0,1,1]
	v_pk_fma_f32 v[26:27], v[26:27], v[34:35], v[28:29] neg_lo:[0,0,1] neg_hi:[0,0,1]
	s_delay_alu instid0(VALU_DEP_2)
	v_mov_b32_e32 v27, v43
	global_store_b64 v40, v[26:27], s[50:51]
	s_branch .LBB138_64
.LBB138_84:
	s_sendmsg sendmsg(MSG_DEALLOC_VGPRS)
	s_endpgm
	.section	.rodata,"a",@progbits
	.p2align	6, 0x0
	.amdhsa_kernel _ZL23rocblas_gemvt_sn_kernelILb1ELi256ELi4Ei19rocblas_complex_numIfES1_S1_EviiT4_lPKT3_lilS5_lilPT5_i
		.amdhsa_group_segment_fixed_size 8448
		.amdhsa_private_segment_fixed_size 0
		.amdhsa_kernarg_size 360
		.amdhsa_user_sgpr_count 4
		.amdhsa_user_sgpr_dispatch_ptr 1
		.amdhsa_user_sgpr_queue_ptr 0
		.amdhsa_user_sgpr_kernarg_segment_ptr 1
		.amdhsa_user_sgpr_dispatch_id 0
		.amdhsa_user_sgpr_kernarg_preload_length 0
		.amdhsa_user_sgpr_kernarg_preload_offset 0
		.amdhsa_user_sgpr_private_segment_size 0
		.amdhsa_wavefront_size32 1
		.amdhsa_uses_dynamic_stack 0
		.amdhsa_enable_private_segment 0
		.amdhsa_system_sgpr_workgroup_id_x 1
		.amdhsa_system_sgpr_workgroup_id_y 0
		.amdhsa_system_sgpr_workgroup_id_z 1
		.amdhsa_system_sgpr_workgroup_info 0
		.amdhsa_system_vgpr_workitem_id 2
		.amdhsa_next_free_vgpr 98
		.amdhsa_next_free_sgpr 71
		.amdhsa_named_barrier_count 0
		.amdhsa_reserve_vcc 1
		.amdhsa_float_round_mode_32 0
		.amdhsa_float_round_mode_16_64 0
		.amdhsa_float_denorm_mode_32 3
		.amdhsa_float_denorm_mode_16_64 3
		.amdhsa_fp16_overflow 0
		.amdhsa_memory_ordered 1
		.amdhsa_forward_progress 1
		.amdhsa_inst_pref_size 43
		.amdhsa_round_robin_scheduling 0
		.amdhsa_exception_fp_ieee_invalid_op 0
		.amdhsa_exception_fp_denorm_src 0
		.amdhsa_exception_fp_ieee_div_zero 0
		.amdhsa_exception_fp_ieee_overflow 0
		.amdhsa_exception_fp_ieee_underflow 0
		.amdhsa_exception_fp_ieee_inexact 0
		.amdhsa_exception_int_div_zero 0
	.end_amdhsa_kernel
	.section	.text._ZL23rocblas_gemvt_sn_kernelILb1ELi256ELi4Ei19rocblas_complex_numIfES1_S1_EviiT4_lPKT3_lilS5_lilPT5_i,"axG",@progbits,_ZL23rocblas_gemvt_sn_kernelILb1ELi256ELi4Ei19rocblas_complex_numIfES1_S1_EviiT4_lPKT3_lilS5_lilPT5_i,comdat
.Lfunc_end138:
	.size	_ZL23rocblas_gemvt_sn_kernelILb1ELi256ELi4Ei19rocblas_complex_numIfES1_S1_EviiT4_lPKT3_lilS5_lilPT5_i, .Lfunc_end138-_ZL23rocblas_gemvt_sn_kernelILb1ELi256ELi4Ei19rocblas_complex_numIfES1_S1_EviiT4_lPKT3_lilS5_lilPT5_i
                                        ; -- End function
	.set _ZL23rocblas_gemvt_sn_kernelILb1ELi256ELi4Ei19rocblas_complex_numIfES1_S1_EviiT4_lPKT3_lilS5_lilPT5_i.num_vgpr, 98
	.set _ZL23rocblas_gemvt_sn_kernelILb1ELi256ELi4Ei19rocblas_complex_numIfES1_S1_EviiT4_lPKT3_lilS5_lilPT5_i.num_agpr, 0
	.set _ZL23rocblas_gemvt_sn_kernelILb1ELi256ELi4Ei19rocblas_complex_numIfES1_S1_EviiT4_lPKT3_lilS5_lilPT5_i.numbered_sgpr, 71
	.set _ZL23rocblas_gemvt_sn_kernelILb1ELi256ELi4Ei19rocblas_complex_numIfES1_S1_EviiT4_lPKT3_lilS5_lilPT5_i.num_named_barrier, 0
	.set _ZL23rocblas_gemvt_sn_kernelILb1ELi256ELi4Ei19rocblas_complex_numIfES1_S1_EviiT4_lPKT3_lilS5_lilPT5_i.private_seg_size, 0
	.set _ZL23rocblas_gemvt_sn_kernelILb1ELi256ELi4Ei19rocblas_complex_numIfES1_S1_EviiT4_lPKT3_lilS5_lilPT5_i.uses_vcc, 1
	.set _ZL23rocblas_gemvt_sn_kernelILb1ELi256ELi4Ei19rocblas_complex_numIfES1_S1_EviiT4_lPKT3_lilS5_lilPT5_i.uses_flat_scratch, 0
	.set _ZL23rocblas_gemvt_sn_kernelILb1ELi256ELi4Ei19rocblas_complex_numIfES1_S1_EviiT4_lPKT3_lilS5_lilPT5_i.has_dyn_sized_stack, 0
	.set _ZL23rocblas_gemvt_sn_kernelILb1ELi256ELi4Ei19rocblas_complex_numIfES1_S1_EviiT4_lPKT3_lilS5_lilPT5_i.has_recursion, 0
	.set _ZL23rocblas_gemvt_sn_kernelILb1ELi256ELi4Ei19rocblas_complex_numIfES1_S1_EviiT4_lPKT3_lilS5_lilPT5_i.has_indirect_call, 0
	.section	.AMDGPU.csdata,"",@progbits
; Kernel info:
; codeLenInByte = 5428
; TotalNumSgprs: 73
; NumVgprs: 98
; ScratchSize: 0
; MemoryBound: 0
; FloatMode: 240
; IeeeMode: 1
; LDSByteSize: 8448 bytes/workgroup (compile time only)
; SGPRBlocks: 0
; VGPRBlocks: 6
; NumSGPRsForWavesPerEU: 73
; NumVGPRsForWavesPerEU: 98
; NamedBarCnt: 0
; Occupancy: 9
; WaveLimiterHint : 0
; COMPUTE_PGM_RSRC2:SCRATCH_EN: 0
; COMPUTE_PGM_RSRC2:USER_SGPR: 4
; COMPUTE_PGM_RSRC2:TRAP_HANDLER: 0
; COMPUTE_PGM_RSRC2:TGID_X_EN: 1
; COMPUTE_PGM_RSRC2:TGID_Y_EN: 0
; COMPUTE_PGM_RSRC2:TGID_Z_EN: 1
; COMPUTE_PGM_RSRC2:TIDIG_COMP_CNT: 2
	.section	.text._ZL23rocblas_gemvt_sn_kernelILb1ELi256ELi4El19rocblas_complex_numIfES1_S1_EviiT4_lPKT3_lilS5_lilPT5_i,"axG",@progbits,_ZL23rocblas_gemvt_sn_kernelILb1ELi256ELi4El19rocblas_complex_numIfES1_S1_EviiT4_lPKT3_lilS5_lilPT5_i,comdat
	.globl	_ZL23rocblas_gemvt_sn_kernelILb1ELi256ELi4El19rocblas_complex_numIfES1_S1_EviiT4_lPKT3_lilS5_lilPT5_i ; -- Begin function _ZL23rocblas_gemvt_sn_kernelILb1ELi256ELi4El19rocblas_complex_numIfES1_S1_EviiT4_lPKT3_lilS5_lilPT5_i
	.p2align	8
	.type	_ZL23rocblas_gemvt_sn_kernelILb1ELi256ELi4El19rocblas_complex_numIfES1_S1_EviiT4_lPKT3_lilS5_lilPT5_i,@function
_ZL23rocblas_gemvt_sn_kernelILb1ELi256ELi4El19rocblas_complex_numIfES1_S1_EviiT4_lPKT3_lilS5_lilPT5_i: ; @_ZL23rocblas_gemvt_sn_kernelILb1ELi256ELi4El19rocblas_complex_numIfES1_S1_EviiT4_lPKT3_lilS5_lilPT5_i
; %bb.0:
	s_load_b32 s33, s[2:3], 0x60
	s_bfe_u32 s4, ttmp6, 0x40014
	s_lshr_b32 s5, ttmp7, 16
	s_add_co_i32 s4, s4, 1
	s_bfe_u32 s6, ttmp6, 0x40008
	s_mul_i32 s4, s5, s4
	s_getreg_b32 s25, hwreg(HW_REG_IB_STS2, 6, 4)
	s_add_co_i32 s6, s6, s4
	s_cmp_eq_u32 s25, 0
	s_mov_b32 s11, 0
	s_cselect_b32 s24, s5, s6
	s_wait_kmcnt 0x0
	s_cmp_ge_u32 s24, s33
	s_cbranch_scc1 .LBB139_84
; %bb.1:
	s_clause 0x1
	s_load_b32 s26, s[2:3], 0x28
	s_load_b96 s[8:10], s[2:3], 0x40
	s_load_b64 s[30:31], s[0:1], 0x4
	s_clause 0x4
	s_load_b128 s[12:15], s[2:3], 0x0
	s_load_b128 s[4:7], s[2:3], 0x18
	;; [unrolled: 1-line block ×4, first 2 shown]
	s_load_b32 s28, s[2:3], 0x68
	v_and_b32_e32 v1, 0x3ff, v0
	v_bfe_u32 v2, v0, 10, 10
	v_bfe_u32 v3, v0, 20, 10
	v_mbcnt_lo_u32_b32 v43, -1, 0
	s_mov_b32 s29, s11
	s_wait_xcnt 0x0
	v_cmp_eq_u32_e64 s0, 0, v1
	v_mov_b32_e32 v44, 0
	v_lshl_or_b32 v45, v43, 2, 64
	s_wait_kmcnt 0x0
	s_ashr_i32 s27, s26, 31
	s_ashr_i32 s47, s10, 31
	s_mov_b32 s46, s10
	s_or_b32 s10, s14, s15
	s_lshr_b32 s1, s30, 16
	s_bitset0_b32 s10, 31
	s_lshl_b64 s[2:3], s[8:9], 3
	s_lshl_b64 s[8:9], s[6:7], 3
	s_ashr_i32 s7, s13, 31
	s_cmp_eq_u32 s10, 0
	s_mul_i32 s1, s1, s31
	s_cselect_b32 s58, -1, 0
	s_cmp_gt_i32 s13, 0
	v_mul_lo_u32 v4, s1, v1
	s_cselect_b32 s6, -1, 0
	s_bfe_u32 s10, ttmp6, 0x4000c
	s_and_b32 s1, ttmp6, 15
	s_add_co_i32 s10, s10, 1
	s_and_b32 s59, s0, s6
	s_mul_i32 s10, ttmp9, s10
	v_mul_u32_u24_e32 v2, s31, v2
	s_add_co_i32 s1, s1, s10
	s_cmp_eq_u32 s25, 0
	s_add_nc_u64 s[18:19], s[18:19], s[2:3]
	s_cselect_b32 s10, ttmp9, s1
	v_add3_u32 v2, v4, v2, v3
	s_lshl_b32 s1, s10, 10
	s_add_nc_u64 s[2:3], s[4:5], s[8:9]
	v_lshl_or_b32 v6, v1, 2, s1
	s_ashr_i32 s1, s12, 31
	v_lshl_add_u32 v40, v2, 5, 0x100
	s_lshr_b32 s1, s1, 30
	s_lshr_b32 s4, s7, 30
	s_add_co_i32 s1, s12, s1
	v_dual_ashrrev_i32 v7, 31, v6 :: v_dual_add_nc_u32 v4, 4, v6
	s_and_b32 s1, s1, -4
	v_or_b32_e32 v8, 1, v6
	s_sub_co_i32 s61, s12, s1
	s_delay_alu instid0(SALU_CYCLE_1)
	v_dual_add_nc_u32 v5, s61, v6 :: v_dual_bitop2_b32 v10, 2, v6 bitop3:0x54
	v_or_b32_e32 v12, 3, v6
	v_lshl_add_u64 v[2:3], v[6:7], 3, s[2:3]
	v_cmp_ge_i32_e64 s1, s12, v4
	v_ashrrev_i32_e32 v9, 31, v8
	v_cmp_ge_i32_e64 s2, s12, v5
	v_mul_u64_e32 v[4:5], s[46:47], v[6:7]
	v_dual_ashrrev_i32 v11, 31, v10 :: v_dual_bitop2_b32 v14, 31, v0 bitop3:0x40
	v_lshrrev_b32_e32 v0, 2, v0
	v_ashrrev_i32_e32 v13, 31, v12
	v_mul_u64_e32 v[6:7], s[46:47], v[8:9]
	s_delay_alu instid0(VALU_DEP_4)
	v_lshlrev_b32_e32 v41, 3, v14
	v_mul_u64_e32 v[8:9], s[46:47], v[10:11]
	s_add_co_i32 s4, s13, s4
	v_mul_u64_e32 v[10:11], s[46:47], v[12:13]
	s_and_b32 s60, s4, -4
	v_cmp_eq_u32_e64 s4, 0, v14
	s_cmp_gt_i32 s60, 0
	v_add_nc_u64_e32 v[12:13], 4, v[2:3]
	s_cselect_b32 s62, -1, 0
	s_cmp_gt_i32 s61, 0
	v_mov_b64_e32 v[14:15], 0
	s_cselect_b32 s12, -1, 0
	v_cmp_gt_u32_e64 s3, 32, v1
	s_and_b32 s63, s12, s2
	s_cmp_gt_u32 s13, 1
	v_cmp_gt_u32_e64 s5, 8, v1
	s_cselect_b32 s8, -1, 0
	s_cmp_eq_u32 s28, 1
	v_and_b32_e32 v42, 56, v0
	s_cselect_b32 s9, -1, 0
	s_and_b32 s64, s13, 0x7ffffffe
	s_and_b32 s65, s8, s9
	s_cmp_lg_u32 s13, s64
	s_mov_b32 s6, s13
	s_cselect_b32 s66, -1, 0
	s_lshl_b64 s[36:37], s[10:11], 3
	v_lshl_add_u64 v[0:1], v[4:5], 3, s[18:19]
	s_mul_u64 s[30:31], s[6:7], s[28:29]
	s_mov_b32 s34, s15
	s_mov_b32 s35, s14
	s_add_nc_u64 s[38:39], s[22:23], s[36:37]
	s_lshl_b64 s[40:41], s[6:7], 3
	s_lshl_b64 s[42:43], s[28:29], 3
	;; [unrolled: 1-line block ×7, first 2 shown]
	s_branch .LBB139_3
.LBB139_2:                              ;   in Loop: Header=BB139_3 Depth=1
	s_add_co_i32 s24, s24, 0x10000
	s_delay_alu instid0(SALU_CYCLE_1)
	s_cmp_lt_u32 s24, s33
	s_cbranch_scc0 .LBB139_84
.LBB139_3:                              ; =>This Loop Header: Depth=1
                                        ;     Child Loop BB139_7 Depth 2
                                        ;     Child Loop BB139_11 Depth 2
	;; [unrolled: 1-line block ×3, first 2 shown]
                                        ;       Child Loop BB139_47 Depth 3
                                        ;       Child Loop BB139_49 Depth 3
                                        ;     Child Loop BB139_65 Depth 2
                                        ;       Child Loop BB139_77 Depth 3
                                        ;       Child Loop BB139_79 Depth 3
	s_mov_b32 s25, s11
	s_and_not1_b32 vcc_lo, exec_lo, s58
	s_mul_u64 s[6:7], s[30:31], s[24:25]
	s_delay_alu instid0(SALU_CYCLE_1) | instskip(NEXT) | instid1(SALU_CYCLE_1)
	s_lshl_b64 s[6:7], s[6:7], 3
	s_add_nc_u64 s[54:55], s[22:23], s[6:7]
	s_mov_b32 s6, -1
	s_cbranch_vccnz .LBB139_13
; %bb.4:                                ;   in Loop: Header=BB139_3 Depth=1
	s_and_saveexec_b32 s67, s59
	s_cbranch_execz .LBB139_12
; %bb.5:                                ;   in Loop: Header=BB139_3 Depth=1
	s_and_not1_b32 vcc_lo, exec_lo, s65
	s_cbranch_vccnz .LBB139_9
; %bb.6:                                ;   in Loop: Header=BB139_3 Depth=1
	s_add_nc_u64 s[6:7], s[54:55], s[36:37]
	s_mov_b32 s8, 1
	s_mov_b32 s10, 0
	;; [unrolled: 1-line block ×3, first 2 shown]
.LBB139_7:                              ;   Parent Loop BB139_3 Depth=1
                                        ; =>  This Inner Loop Header: Depth=2
	s_mov_b32 s9, s11
	s_wait_xcnt 0x1
	s_lshl_b64 s[70:71], s[10:11], 3
	s_add_co_i32 s57, s57, -2
	s_add_co_i32 s10, s10, 2
	s_wait_xcnt 0x0
	s_lshl_b64 s[72:73], s[8:9], 3
	s_add_co_i32 s8, s8, 2
	s_mov_b32 s56, s64
	s_mov_b32 s68, s66
	s_add_nc_u64 s[70:71], s[6:7], s[70:71]
	s_cmp_lg_u32 s57, 0
	s_add_nc_u64 s[72:73], s[6:7], s[72:73]
	s_clause 0x1
	global_store_b64 v44, v[14:15], s[70:71]
	global_store_b64 v44, v[14:15], s[72:73]
	s_cbranch_scc1 .LBB139_7
; %bb.8:                                ;   in Loop: Header=BB139_3 Depth=1
	s_and_b32 vcc_lo, exec_lo, s68
	s_cbranch_vccnz .LBB139_10
	s_branch .LBB139_12
.LBB139_9:                              ;   in Loop: Header=BB139_3 Depth=1
	s_mov_b32 s56, 0
	s_cbranch_execz .LBB139_12
.LBB139_10:                             ;   in Loop: Header=BB139_3 Depth=1
	s_mov_b32 s57, s11
	s_mul_u64 s[6:7], s[40:41], s[24:25]
	s_lshl_b64 s[8:9], s[56:57], 3
	s_delay_alu instid0(SALU_CYCLE_1) | instskip(SKIP_2) | instid1(SALU_CYCLE_1)
	s_add_nc_u64 s[6:7], s[6:7], s[8:9]
	s_sub_co_i32 s8, s13, s56
	s_mul_u64 s[6:7], s[28:29], s[6:7]
	s_add_nc_u64 s[6:7], s[38:39], s[6:7]
.LBB139_11:                             ;   Parent Loop BB139_3 Depth=1
                                        ; =>  This Inner Loop Header: Depth=2
	s_add_co_i32 s8, s8, -1
	global_store_b64 v44, v[14:15], s[6:7]
	s_cmp_eq_u32 s8, 0
	s_wait_xcnt 0x0
	s_add_nc_u64 s[6:7], s[6:7], s[42:43]
	s_cbranch_scc0 .LBB139_11
.LBB139_12:                             ;   in Loop: Header=BB139_3 Depth=1
	s_wait_xcnt 0x0
	s_or_b32 exec_lo, exec_lo, s67
	s_mov_b32 s6, 0
.LBB139_13:                             ;   in Loop: Header=BB139_3 Depth=1
	s_delay_alu instid0(SALU_CYCLE_1)
	s_and_not1_b32 vcc_lo, exec_lo, s6
	s_cbranch_vccnz .LBB139_2
; %bb.14:                               ;   in Loop: Header=BB139_3 Depth=1
	v_mad_nc_u64_u32 v[16:17], s44, s24, v[0:1]
	s_mul_u64 s[6:7], s[20:21], s[24:25]
	s_mul_u64 s[8:9], s[16:17], s[24:25]
	s_lshl_b64 s[6:7], s[6:7], 3
	v_lshl_add_u64 v[18:19], s[8:9], 3, v[2:3]
	s_add_nc_u64 s[6:7], s[18:19], s[6:7]
	v_cmp_gt_u32_e64 s9, 24, v43
	v_lshl_add_u64 v[20:21], v[4:5], 3, s[6:7]
	v_lshl_add_u64 v[22:23], v[6:7], 3, s[6:7]
	;; [unrolled: 1-line block ×4, first 2 shown]
	v_mad_u32 v17, s45, s24, v17
	v_cmp_gt_u32_e64 s8, 28, v43
	v_cmp_gt_u32_e64 s7, 30, v43
	v_cmp_ne_u32_e64 s6, 31, v43
	s_mul_u64 s[56:57], s[48:49], s[24:25]
	s_and_not1_b32 vcc_lo, exec_lo, s62
	s_add_nc_u64 s[54:55], s[54:55], s[36:37]
	s_cbranch_vccnz .LBB139_61
; %bb.15:                               ;   in Loop: Header=BB139_3 Depth=1
	s_wait_dscnt 0x0
	v_cndmask_b32_e64 v30, 0, 8, s9
	v_cndmask_b32_e64 v31, 0, 4, s8
	;; [unrolled: 1-line block ×3, first 2 shown]
	v_add_co_ci_u32_e64 v33, null, 0, v43, s6
	v_add_nc_u64_e32 v[28:29], s[56:57], v[2:3]
	v_add_lshl_u32 v46, v30, v43, 2
	v_add_lshl_u32 v47, v31, v43, 2
	;; [unrolled: 1-line block ×3, first 2 shown]
	v_lshlrev_b32_e32 v49, 2, v33
	s_mov_b32 s10, 0
	s_branch .LBB139_17
.LBB139_16:                             ;   in Loop: Header=BB139_17 Depth=2
	s_wait_xcnt 0x0
	s_or_b32 exec_lo, exec_lo, s6
	v_add_nc_u64_e32 v[28:29], s[50:51], v[28:29]
	s_add_co_i32 s10, s10, 4
	s_delay_alu instid0(SALU_CYCLE_1)
	s_cmp_ge_i32 s10, s60
	s_cbranch_scc1 .LBB139_62
.LBB139_17:                             ;   Parent Loop BB139_3 Depth=1
                                        ; =>  This Loop Header: Depth=2
                                        ;       Child Loop BB139_47 Depth 3
                                        ;       Child Loop BB139_49 Depth 3
                                        ; implicit-def: $vgpr35
                                        ; implicit-def: $vgpr37
                                        ; implicit-def: $vgpr33
                                        ; implicit-def: $vgpr31
	s_and_saveexec_b32 s6, s1
	s_delay_alu instid0(SALU_CYCLE_1)
	s_xor_b32 s6, exec_lo, s6
	s_cbranch_execnz .LBB139_44
; %bb.18:                               ;   in Loop: Header=BB139_17 Depth=2
	s_and_not1_saveexec_b32 s6, s6
	s_cbranch_execnz .LBB139_45
.LBB139_19:                             ;   in Loop: Header=BB139_17 Depth=2
	s_or_b32 exec_lo, exec_lo, s6
	s_and_saveexec_b32 s6, s3
.LBB139_20:                             ;   in Loop: Header=BB139_17 Depth=2
	ds_store_b64 v41, v[14:15]
.LBB139_21:                             ;   in Loop: Header=BB139_17 Depth=2
	s_or_b32 exec_lo, exec_lo, s6
	ds_bpermute_b32 v38, v45, v34
	ds_bpermute_b32 v39, v45, v35
	s_wait_storecnt_dscnt 0x0
	s_barrier_signal -1
	s_barrier_wait -1
	v_pk_add_f32 v[34:35], v[34:35], v[38:39]
	ds_bpermute_b32 v38, v46, v34
	ds_bpermute_b32 v39, v46, v35
	s_wait_dscnt 0x0
	v_pk_add_f32 v[34:35], v[34:35], v[38:39]
	ds_bpermute_b32 v38, v47, v34
	ds_bpermute_b32 v39, v47, v35
	s_wait_dscnt 0x0
	;; [unrolled: 4-line block ×3, first 2 shown]
	v_pk_add_f32 v[34:35], v[34:35], v[38:39]
	ds_bpermute_b32 v38, v49, v34
	ds_bpermute_b32 v39, v49, v35
	s_and_saveexec_b32 s6, s4
	s_cbranch_execz .LBB139_23
; %bb.22:                               ;   in Loop: Header=BB139_17 Depth=2
	s_wait_dscnt 0x0
	v_pk_add_f32 v[34:35], v[34:35], v[38:39]
	ds_store_b64 v42, v[34:35]
.LBB139_23:                             ;   in Loop: Header=BB139_17 Depth=2
	s_or_b32 exec_lo, exec_lo, s6
	v_mov_b64_e32 v[34:35], 0
	s_wait_dscnt 0x0
	s_barrier_signal -1
	s_barrier_wait -1
	s_and_saveexec_b32 s6, s5
	s_cbranch_execnz .LBB139_50
; %bb.24:                               ;   in Loop: Header=BB139_17 Depth=2
	s_or_b32 exec_lo, exec_lo, s6
	s_and_saveexec_b32 s6, s3
	s_cbranch_execnz .LBB139_51
.LBB139_25:                             ;   in Loop: Header=BB139_17 Depth=2
	s_or_b32 exec_lo, exec_lo, s6
	s_and_saveexec_b32 s6, s3
.LBB139_26:                             ;   in Loop: Header=BB139_17 Depth=2
	ds_store_b64 v41, v[14:15]
.LBB139_27:                             ;   in Loop: Header=BB139_17 Depth=2
	s_or_b32 exec_lo, exec_lo, s6
	ds_bpermute_b32 v38, v45, v36
	ds_bpermute_b32 v39, v45, v37
	s_wait_dscnt 0x0
	s_barrier_signal -1
	s_barrier_wait -1
	v_pk_add_f32 v[36:37], v[36:37], v[38:39]
	ds_bpermute_b32 v38, v46, v36
	ds_bpermute_b32 v39, v46, v37
	s_wait_dscnt 0x0
	v_pk_add_f32 v[36:37], v[36:37], v[38:39]
	ds_bpermute_b32 v38, v47, v36
	ds_bpermute_b32 v39, v47, v37
	s_wait_dscnt 0x0
	;; [unrolled: 4-line block ×3, first 2 shown]
	v_pk_add_f32 v[36:37], v[36:37], v[38:39]
	ds_bpermute_b32 v38, v49, v36
	ds_bpermute_b32 v39, v49, v37
	s_and_saveexec_b32 s6, s4
	s_cbranch_execz .LBB139_29
; %bb.28:                               ;   in Loop: Header=BB139_17 Depth=2
	s_wait_dscnt 0x0
	v_pk_add_f32 v[36:37], v[36:37], v[38:39]
	ds_store_b64 v42, v[36:37]
.LBB139_29:                             ;   in Loop: Header=BB139_17 Depth=2
	s_or_b32 exec_lo, exec_lo, s6
	v_mov_b64_e32 v[36:37], 0
	s_wait_dscnt 0x0
	s_barrier_signal -1
	s_barrier_wait -1
	s_and_saveexec_b32 s6, s5
	s_cbranch_execnz .LBB139_52
; %bb.30:                               ;   in Loop: Header=BB139_17 Depth=2
	s_or_b32 exec_lo, exec_lo, s6
	s_and_saveexec_b32 s6, s3
	s_cbranch_execnz .LBB139_53
.LBB139_31:                             ;   in Loop: Header=BB139_17 Depth=2
	s_or_b32 exec_lo, exec_lo, s6
	s_and_saveexec_b32 s6, s3
.LBB139_32:                             ;   in Loop: Header=BB139_17 Depth=2
	ds_store_b64 v41, v[14:15]
.LBB139_33:                             ;   in Loop: Header=BB139_17 Depth=2
	s_or_b32 exec_lo, exec_lo, s6
	ds_bpermute_b32 v38, v45, v32
	ds_bpermute_b32 v39, v45, v33
	s_wait_dscnt 0x0
	s_barrier_signal -1
	s_barrier_wait -1
	v_pk_add_f32 v[32:33], v[32:33], v[38:39]
	ds_bpermute_b32 v38, v46, v32
	ds_bpermute_b32 v39, v46, v33
	s_wait_dscnt 0x0
	v_pk_add_f32 v[32:33], v[32:33], v[38:39]
	ds_bpermute_b32 v38, v47, v32
	ds_bpermute_b32 v39, v47, v33
	s_wait_dscnt 0x0
	;; [unrolled: 4-line block ×3, first 2 shown]
	v_pk_add_f32 v[32:33], v[32:33], v[38:39]
	ds_bpermute_b32 v38, v49, v32
	ds_bpermute_b32 v39, v49, v33
	s_and_saveexec_b32 s6, s4
	s_cbranch_execz .LBB139_35
; %bb.34:                               ;   in Loop: Header=BB139_17 Depth=2
	s_wait_dscnt 0x0
	v_pk_add_f32 v[32:33], v[32:33], v[38:39]
	ds_store_b64 v42, v[32:33]
.LBB139_35:                             ;   in Loop: Header=BB139_17 Depth=2
	s_or_b32 exec_lo, exec_lo, s6
	v_mov_b64_e32 v[32:33], 0
	s_wait_dscnt 0x0
	s_barrier_signal -1
	s_barrier_wait -1
	s_and_saveexec_b32 s6, s5
	s_cbranch_execnz .LBB139_54
; %bb.36:                               ;   in Loop: Header=BB139_17 Depth=2
	s_or_b32 exec_lo, exec_lo, s6
	s_and_saveexec_b32 s6, s3
	s_cbranch_execnz .LBB139_55
.LBB139_37:                             ;   in Loop: Header=BB139_17 Depth=2
	s_or_b32 exec_lo, exec_lo, s6
	s_and_saveexec_b32 s6, s3
.LBB139_38:                             ;   in Loop: Header=BB139_17 Depth=2
	ds_store_b64 v41, v[14:15]
.LBB139_39:                             ;   in Loop: Header=BB139_17 Depth=2
	s_or_b32 exec_lo, exec_lo, s6
	ds_bpermute_b32 v38, v45, v30
	ds_bpermute_b32 v39, v45, v31
	s_wait_dscnt 0x0
	s_barrier_signal -1
	s_barrier_wait -1
	v_pk_add_f32 v[30:31], v[30:31], v[38:39]
	ds_bpermute_b32 v38, v46, v30
	ds_bpermute_b32 v39, v46, v31
	s_wait_dscnt 0x0
	v_pk_add_f32 v[30:31], v[30:31], v[38:39]
	ds_bpermute_b32 v38, v47, v30
	ds_bpermute_b32 v39, v47, v31
	s_wait_dscnt 0x0
	;; [unrolled: 4-line block ×3, first 2 shown]
	v_pk_add_f32 v[30:31], v[30:31], v[38:39]
	ds_bpermute_b32 v38, v49, v30
	ds_bpermute_b32 v39, v49, v31
	s_and_saveexec_b32 s6, s4
	s_cbranch_execz .LBB139_41
; %bb.40:                               ;   in Loop: Header=BB139_17 Depth=2
	s_wait_dscnt 0x0
	v_pk_add_f32 v[30:31], v[30:31], v[38:39]
	ds_store_b64 v42, v[30:31]
.LBB139_41:                             ;   in Loop: Header=BB139_17 Depth=2
	s_or_b32 exec_lo, exec_lo, s6
	v_mov_b64_e32 v[30:31], 0
	s_wait_dscnt 0x0
	s_barrier_signal -1
	s_barrier_wait -1
	s_and_saveexec_b32 s6, s5
	s_cbranch_execnz .LBB139_56
; %bb.42:                               ;   in Loop: Header=BB139_17 Depth=2
	s_or_b32 exec_lo, exec_lo, s6
	s_and_saveexec_b32 s6, s3
	s_cbranch_execnz .LBB139_57
.LBB139_43:                             ;   in Loop: Header=BB139_17 Depth=2
	s_or_b32 exec_lo, exec_lo, s6
	s_and_saveexec_b32 s6, s0
	s_cbranch_execz .LBB139_16
	s_branch .LBB139_58
.LBB139_44:                             ;   in Loop: Header=BB139_17 Depth=2
	s_mul_u64 s[8:9], s[10:11], s[26:27]
	s_or_b32 s68, s10, 1
	s_mov_b32 s69, s11
	v_lshl_add_u64 v[38:39], s[8:9], 3, v[18:19]
	s_mul_u64 s[8:9], s[68:69], s[26:27]
	s_or_b32 s68, s10, 3
	v_lshl_add_u64 v[60:61], s[8:9], 3, v[18:19]
	s_mul_u64 s[8:9], s[68:69], s[26:27]
	s_clause 0x1
	global_load_b64 v[50:51], v[20:21], off
	global_load_b64 v[52:53], v[22:23], off
	s_wait_dscnt 0x0
	global_load_b128 v[30:33], v[38:39], off
	v_lshl_add_u64 v[78:79], s[8:9], 3, v[18:19]
	s_or_b32 s8, s10, 2
	s_mov_b32 s9, s11
	global_load_b128 v[34:37], v[60:61], off
	s_mul_u64 s[8:9], s[8:9], s[26:27]
	global_load_b128 v[54:57], v[38:39], off offset:16
	global_load_b64 v[58:59], v[24:25], off
	s_wait_xcnt 0x1
	v_lshl_add_u64 v[38:39], s[8:9], 3, v[18:19]
	s_clause 0x2
	global_load_b128 v[62:65], v[78:79], off
	global_load_b128 v[66:69], v[38:39], off
	global_load_b128 v[70:73], v[60:61], off offset:16
	global_load_b64 v[60:61], v[26:27], off
	global_load_b128 v[74:77], v[38:39], off offset:16
	s_wait_loadcnt 0x8
	s_wait_xcnt 0x0
	v_dual_mul_f32 v38, v31, v51 :: v_dual_mul_f32 v31, v31, v50
	v_pk_mul_f32 v[80:81], v[32:33], v[52:53] op_sel:[0,1]
	s_wait_loadcnt 0x6
	v_dual_mul_f32 v86, v35, v51 :: v_dual_mov_b32 v82, v57
	s_delay_alu instid0(VALU_DEP_3)
	v_dual_mul_f32 v35, v35, v50 :: v_dual_fmac_f32 v38, v30, v50
	s_wait_loadcnt 0x4
	v_dual_mul_f32 v88, v63, v51 :: v_dual_mul_f32 v57, v63, v50
	s_wait_loadcnt 0x3
	v_dual_mul_f32 v92, v67, v51 :: v_dual_fma_f32 v39, v30, v51, -v31
	v_pk_mul_f32 v[30:31], v[36:37], v[52:53] op_sel:[0,1]
	v_pk_mul_f32 v[90:91], v[64:65], v[52:53] op_sel:[0,1]
	v_fma_f32 v89, v62, v51, -v57
	v_dual_fmac_f32 v86, v34, v50 :: v_dual_fma_f32 v87, v34, v51, -v35
	s_delay_alu instid0(VALU_DEP_4)
	v_pk_fma_f32 v[34:35], v[36:37], v[52:53], v[30:31] op_sel:[0,0,1] op_sel_hi:[1,1,0]
	v_pk_fma_f32 v[36:37], v[36:37], v[52:53], v[30:31] op_sel:[0,0,1] op_sel_hi:[1,0,0] neg_lo:[1,0,0] neg_hi:[1,0,0]
	s_wait_loadcnt 0x2
	v_mov_b32_e32 v30, v73
	v_pk_mul_f32 v[84:85], v[58:59], v[54:55] op_sel:[1,1] op_sel_hi:[0,1]
	v_dual_mul_f32 v67, v67, v50 :: v_dual_fmac_f32 v88, v62, v50
	v_pk_fma_f32 v[62:63], v[64:65], v[52:53], v[90:91] op_sel:[0,0,1] op_sel_hi:[1,1,0]
	v_pk_fma_f32 v[64:65], v[64:65], v[52:53], v[90:91] op_sel:[0,0,1] op_sel_hi:[1,0,0] neg_lo:[1,0,0] neg_hi:[1,0,0]
	v_pk_mul_f32 v[90:91], v[58:59], v[70:71] op_sel:[1,1] op_sel_hi:[0,1]
	s_wait_loadcnt 0x1
	v_pk_mul_f32 v[82:83], v[60:61], v[82:83] op_sel:[1,0] op_sel_hi:[0,0]
	v_pk_mul_f32 v[30:31], v[60:61], v[30:31] op_sel:[1,0] op_sel_hi:[0,0]
	v_pk_fma_f32 v[94:95], v[32:33], v[52:53], v[80:81] op_sel:[0,0,1] op_sel_hi:[1,1,0]
	v_pk_fma_f32 v[80:81], v[32:33], v[52:53], v[80:81] op_sel:[0,0,1] op_sel_hi:[1,0,0] neg_lo:[1,0,0] neg_hi:[1,0,0]
	v_pk_mul_f32 v[32:33], v[68:69], v[52:53] op_sel:[0,1]
	v_pk_fma_f32 v[96:97], v[58:59], v[54:55], v[84:85]
	v_pk_fma_f32 v[54:55], v[58:59], v[54:55], v[84:85] op_sel_hi:[1,0,1] neg_lo:[0,0,1] neg_hi:[0,0,1]
	v_pk_fma_f32 v[84:85], v[60:61], v[56:57], v[82:83]
	v_pk_fma_f32 v[56:57], v[60:61], v[56:57], v[82:83] op_sel_hi:[1,0,1] neg_lo:[0,0,1] neg_hi:[0,0,1]
	v_pk_fma_f32 v[82:83], v[58:59], v[70:71], v[90:91]
	v_pk_fma_f32 v[70:71], v[58:59], v[70:71], v[90:91] op_sel_hi:[1,0,1] neg_lo:[0,0,1] neg_hi:[0,0,1]
	v_pk_fma_f32 v[90:91], v[60:61], v[72:73], v[30:31]
	v_pk_fma_f32 v[72:73], v[60:61], v[72:73], v[30:31] op_sel_hi:[1,0,1] neg_lo:[0,0,1] neg_hi:[0,0,1]
	s_wait_loadcnt 0x0
	v_dual_mov_b32 v30, v77 :: v_dual_fmac_f32 v92, v66, v50
	v_fma_f32 v93, v66, v51, -v67
	v_pk_fma_f32 v[66:67], v[68:69], v[52:53], v[32:33] op_sel:[0,0,1] op_sel_hi:[1,1,0]
	v_pk_fma_f32 v[68:69], v[68:69], v[52:53], v[32:33] op_sel:[0,0,1] op_sel_hi:[1,0,0] neg_lo:[1,0,0] neg_hi:[1,0,0]
	v_pk_mul_f32 v[32:33], v[58:59], v[74:75] op_sel:[1,1] op_sel_hi:[0,1]
	v_pk_mul_f32 v[30:31], v[60:61], v[30:31] op_sel:[1,0] op_sel_hi:[0,0]
	v_dual_mov_b32 v95, v81 :: v_dual_mov_b32 v97, v55
	v_pk_add_f32 v[38:39], v[38:39], 0 op_sel_hi:[1,0]
	s_delay_alu instid0(VALU_DEP_4)
	v_pk_fma_f32 v[98:99], v[58:59], v[74:75], v[32:33]
	v_pk_fma_f32 v[74:75], v[58:59], v[74:75], v[32:33] op_sel_hi:[1,0,1] neg_lo:[0,0,1] neg_hi:[0,0,1]
	v_pk_fma_f32 v[100:101], v[60:61], v[76:77], v[30:31]
	v_pk_fma_f32 v[76:77], v[60:61], v[76:77], v[30:31] op_sel_hi:[1,0,1] neg_lo:[0,0,1] neg_hi:[0,0,1]
	global_load_b128 v[30:33], v[78:79], off offset:16
	v_dual_mov_b32 v35, v37 :: v_dual_mov_b32 v83, v71
	v_dual_mov_b32 v67, v69 :: v_dual_mov_b32 v99, v75
	v_pk_add_f32 v[54:55], v[92:93], 0 op_sel_hi:[1,0]
	v_pk_add_f32 v[38:39], v[38:39], v[94:95]
	v_dual_mov_b32 v85, v57 :: v_dual_mov_b32 v91, v73
	ds_store_b128 v40, v[50:53]
	ds_store_b128 v40, v[58:61] offset:16
	s_wait_loadcnt 0x0
	v_pk_mul_f32 v[102:103], v[58:59], v[30:31] op_sel:[1,1] op_sel_hi:[0,1]
	v_mov_b32_e32 v36, v33
	s_delay_alu instid0(VALU_DEP_2) | instskip(SKIP_2) | instid1(VALU_DEP_3)
	v_pk_fma_f32 v[104:105], v[58:59], v[30:31], v[102:103]
	v_pk_fma_f32 v[30:31], v[58:59], v[30:31], v[102:103] op_sel_hi:[1,0,1] neg_lo:[0,0,1] neg_hi:[0,0,1]
	s_wait_xcnt 0x0
	v_pk_mul_f32 v[78:79], v[60:61], v[36:37] op_sel:[1,0] op_sel_hi:[0,0]
	v_mov_b32_e32 v63, v65
	v_pk_add_f32 v[36:37], v[86:87], 0 op_sel_hi:[1,0]
	v_mov_b32_e32 v105, v31
	v_pk_add_f32 v[30:31], v[88:89], 0 op_sel_hi:[1,0]
	v_pk_fma_f32 v[102:103], v[60:61], v[32:33], v[78:79]
	v_pk_fma_f32 v[32:33], v[60:61], v[32:33], v[78:79] op_sel_hi:[1,0,1] neg_lo:[0,0,1] neg_hi:[0,0,1]
	v_pk_add_f32 v[34:35], v[36:37], v[34:35]
	v_pk_add_f32 v[36:37], v[54:55], v[66:67]
	v_pk_add_f32 v[30:31], v[30:31], v[62:63]
	s_delay_alu instid0(VALU_DEP_4) | instskip(SKIP_4) | instid1(VALU_DEP_4)
	v_dual_mov_b32 v101, v77 :: v_dual_mov_b32 v103, v33
	v_pk_add_f32 v[32:33], v[38:39], v[96:97]
	v_pk_add_f32 v[38:39], v[34:35], v[82:83]
	;; [unrolled: 1-line block ×5, first 2 shown]
	s_delay_alu instid0(VALU_DEP_4) | instskip(NEXT) | instid1(VALU_DEP_4)
	v_pk_add_f32 v[36:37], v[38:39], v[90:91]
	v_pk_add_f32 v[32:33], v[54:55], v[100:101]
	s_delay_alu instid0(VALU_DEP_4)
	v_pk_add_f32 v[30:31], v[30:31], v[102:103]
	s_and_not1_saveexec_b32 s6, s6
	s_cbranch_execz .LBB139_19
.LBB139_45:                             ;   in Loop: Header=BB139_17 Depth=2
	v_dual_mov_b32 v35, 0 :: v_dual_mov_b32 v34, 0
	v_dual_mov_b32 v37, 0 :: v_dual_mov_b32 v36, 0
	;; [unrolled: 1-line block ×3, first 2 shown]
	s_wait_dscnt 0x0
	v_dual_mov_b32 v31, 0 :: v_dual_mov_b32 v30, 0
	s_and_saveexec_b32 s7, s2
	s_cbranch_execz .LBB139_60
; %bb.46:                               ;   in Loop: Header=BB139_17 Depth=2
	v_mov_b64_e32 v[30:31], v[16:17]
	v_mov_b32_e32 v32, v40
	s_and_not1_b32 vcc_lo, exec_lo, s12
	s_mov_b32 s8, s61
	s_cbranch_vccnz .LBB139_59
.LBB139_47:                             ;   Parent Loop BB139_3 Depth=1
                                        ;     Parent Loop BB139_17 Depth=2
                                        ; =>    This Inner Loop Header: Depth=3
	global_load_b64 v[34:35], v[30:31], off
	s_wait_xcnt 0x0
	v_add_nc_u64_e32 v[30:31], s[46:47], v[30:31]
	s_add_co_i32 s8, s8, -1
	s_delay_alu instid0(SALU_CYCLE_1)
	s_cmp_eq_u32 s8, 0
	s_wait_loadcnt 0x0
	ds_store_b64 v32, v[34:35]
	v_add_nc_u32_e32 v32, 8, v32
	s_cbranch_scc0 .LBB139_47
; %bb.48:                               ;   in Loop: Header=BB139_17 Depth=2
	v_dual_mov_b32 v30, 0 :: v_dual_mov_b32 v50, v40
	v_mov_b64_e32 v[38:39], v[28:29]
	s_mov_b32 s8, s61
	s_delay_alu instid0(VALU_DEP_2)
	v_dual_mov_b32 v31, v30 :: v_dual_mov_b32 v32, v30
	v_dual_mov_b32 v33, v30 :: v_dual_mov_b32 v36, v30
	;; [unrolled: 1-line block ×3, first 2 shown]
	v_mov_b32_e32 v35, v30
.LBB139_49:                             ;   Parent Loop BB139_3 Depth=1
                                        ;     Parent Loop BB139_17 Depth=2
                                        ; =>    This Inner Loop Header: Depth=3
	v_add_nc_u64_e32 v[52:53], s[52:53], v[38:39]
	s_add_co_i32 s8, s8, -1
	s_delay_alu instid0(SALU_CYCLE_1) | instskip(NEXT) | instid1(VALU_DEP_1)
	s_cmp_lg_u32 s8, 0
	v_add_nc_u64_e32 v[54:55], s[52:53], v[52:53]
	s_delay_alu instid0(VALU_DEP_1)
	v_add_nc_u64_e32 v[56:57], s[52:53], v[54:55]
	s_clause 0x3
	global_load_b64 v[58:59], v[38:39], off
	global_load_b64 v[52:53], v[52:53], off
	;; [unrolled: 1-line block ×4, first 2 shown]
	ds_load_b64 v[60:61], v50
	s_wait_xcnt 0x3
	v_add_nc_u64_e32 v[38:39], 8, v[38:39]
	s_wait_loadcnt_dscnt 0x300
	v_pk_mul_f32 v[62:63], v[60:61], v[58:59] op_sel:[1,1] op_sel_hi:[0,1]
	s_wait_loadcnt 0x0
	v_pk_mul_f32 v[66:67], v[60:61], v[56:57] op_sel:[1,1] op_sel_hi:[0,1]
	s_delay_alu instid0(VALU_DEP_2)
	v_pk_fma_f32 v[64:65], v[60:61], v[58:59], v[62:63] op_sel_hi:[1,0,1] neg_lo:[0,0,1] neg_hi:[0,0,1]
	v_pk_fma_f32 v[58:59], v[60:61], v[58:59], v[62:63]
	v_add_nc_u32_e32 v50, 8, v50
	v_pk_mul_f32 v[62:63], v[60:61], v[52:53] op_sel:[1,1] op_sel_hi:[0,1]
	v_pk_fma_f32 v[70:71], v[60:61], v[56:57], v[66:67] op_sel_hi:[1,0,1] neg_lo:[0,0,1] neg_hi:[0,0,1]
	v_mov_b32_e32 v59, v65
	v_pk_mul_f32 v[64:65], v[60:61], v[54:55] op_sel:[1,1] op_sel_hi:[0,1]
	s_wait_xcnt 0x0
	v_pk_fma_f32 v[56:57], v[60:61], v[56:57], v[66:67]
	v_pk_fma_f32 v[68:69], v[60:61], v[52:53], v[62:63] op_sel_hi:[1,0,1] neg_lo:[0,0,1] neg_hi:[0,0,1]
	v_pk_fma_f32 v[52:53], v[60:61], v[52:53], v[62:63]
	v_mov_b32_e32 v57, v71
	v_pk_fma_f32 v[62:63], v[60:61], v[54:55], v[64:65] op_sel_hi:[1,0,1] neg_lo:[0,0,1] neg_hi:[0,0,1]
	v_pk_fma_f32 v[54:55], v[60:61], v[54:55], v[64:65]
	v_mov_b32_e32 v53, v69
	v_pk_add_f32 v[34:35], v[34:35], v[58:59]
	v_pk_add_f32 v[30:31], v[30:31], v[56:57]
	v_mov_b32_e32 v55, v63
	s_delay_alu instid0(VALU_DEP_4) | instskip(NEXT) | instid1(VALU_DEP_2)
	v_pk_add_f32 v[36:37], v[36:37], v[52:53]
	v_pk_add_f32 v[32:33], v[32:33], v[54:55]
	s_cbranch_scc1 .LBB139_49
	s_branch .LBB139_60
.LBB139_50:                             ;   in Loop: Header=BB139_17 Depth=2
	ds_load_b64 v[34:35], v41
	s_or_b32 exec_lo, exec_lo, s6
	s_and_saveexec_b32 s6, s3
	s_cbranch_execz .LBB139_25
.LBB139_51:                             ;   in Loop: Header=BB139_17 Depth=2
	s_wait_dscnt 0x0
	ds_bpermute_b32 v38, v47, v34
	ds_bpermute_b32 v39, v47, v35
	s_wait_dscnt 0x0
	v_pk_add_f32 v[34:35], v[34:35], v[38:39]
	ds_bpermute_b32 v38, v48, v34
	ds_bpermute_b32 v39, v48, v35
	s_wait_dscnt 0x0
	v_pk_add_f32 v[34:35], v[34:35], v[38:39]
	;; [unrolled: 4-line block ×3, first 2 shown]
	s_or_b32 exec_lo, exec_lo, s6
	s_and_saveexec_b32 s6, s3
	s_cbranch_execnz .LBB139_26
	s_branch .LBB139_27
.LBB139_52:                             ;   in Loop: Header=BB139_17 Depth=2
	ds_load_b64 v[36:37], v41
	s_or_b32 exec_lo, exec_lo, s6
	s_and_saveexec_b32 s6, s3
	s_cbranch_execz .LBB139_31
.LBB139_53:                             ;   in Loop: Header=BB139_17 Depth=2
	s_wait_dscnt 0x0
	ds_bpermute_b32 v38, v47, v36
	ds_bpermute_b32 v39, v47, v37
	s_wait_dscnt 0x0
	v_pk_add_f32 v[36:37], v[36:37], v[38:39]
	ds_bpermute_b32 v38, v48, v36
	ds_bpermute_b32 v39, v48, v37
	s_wait_dscnt 0x0
	v_pk_add_f32 v[36:37], v[36:37], v[38:39]
	;; [unrolled: 4-line block ×3, first 2 shown]
	s_or_b32 exec_lo, exec_lo, s6
	s_and_saveexec_b32 s6, s3
	s_cbranch_execnz .LBB139_32
	s_branch .LBB139_33
.LBB139_54:                             ;   in Loop: Header=BB139_17 Depth=2
	ds_load_b64 v[32:33], v41
	s_or_b32 exec_lo, exec_lo, s6
	s_and_saveexec_b32 s6, s3
	s_cbranch_execz .LBB139_37
.LBB139_55:                             ;   in Loop: Header=BB139_17 Depth=2
	s_wait_dscnt 0x0
	ds_bpermute_b32 v38, v47, v32
	ds_bpermute_b32 v39, v47, v33
	s_wait_dscnt 0x0
	v_pk_add_f32 v[32:33], v[32:33], v[38:39]
	ds_bpermute_b32 v38, v48, v32
	ds_bpermute_b32 v39, v48, v33
	s_wait_dscnt 0x0
	v_pk_add_f32 v[32:33], v[32:33], v[38:39]
	;; [unrolled: 4-line block ×3, first 2 shown]
	s_or_b32 exec_lo, exec_lo, s6
	s_and_saveexec_b32 s6, s3
	s_cbranch_execnz .LBB139_38
	s_branch .LBB139_39
.LBB139_56:                             ;   in Loop: Header=BB139_17 Depth=2
	ds_load_b64 v[30:31], v41
	s_or_b32 exec_lo, exec_lo, s6
	s_and_saveexec_b32 s6, s3
	s_cbranch_execz .LBB139_43
.LBB139_57:                             ;   in Loop: Header=BB139_17 Depth=2
	s_wait_dscnt 0x0
	ds_bpermute_b32 v38, v47, v30
	ds_bpermute_b32 v39, v47, v31
	s_wait_dscnt 0x0
	v_pk_add_f32 v[30:31], v[30:31], v[38:39]
	ds_bpermute_b32 v38, v48, v30
	ds_bpermute_b32 v39, v48, v31
	s_wait_dscnt 0x0
	v_pk_add_f32 v[30:31], v[30:31], v[38:39]
	;; [unrolled: 4-line block ×3, first 2 shown]
	s_or_b32 exec_lo, exec_lo, s6
	s_and_saveexec_b32 s6, s0
	s_cbranch_execz .LBB139_16
.LBB139_58:                             ;   in Loop: Header=BB139_17 Depth=2
	v_mov_b64_e32 v[38:39], s[34:35]
	v_mov_b64_e32 v[50:51], s[14:15]
	s_or_b32 s68, s10, 1
	s_mov_b32 s69, s11
	s_mul_u64 s[8:9], s[10:11], s[28:29]
	s_mul_u64 s[68:69], s[68:69], s[28:29]
	s_lshl_b64 s[8:9], s[8:9], 3
	v_pk_mul_f32 v[52:53], v[34:35], v[38:39] op_sel:[1,0]
	v_pk_mul_f32 v[54:55], v[36:37], v[38:39] op_sel:[1,0]
	s_lshl_b64 s[68:69], s[68:69], 3
	s_add_nc_u64 s[8:9], s[54:55], s[8:9]
	s_add_nc_u64 s[68:69], s[54:55], s[68:69]
	v_pk_fma_f32 v[56:57], v[34:35], v[50:51], v[52:53] op_sel_hi:[0,1,1]
	v_pk_fma_f32 v[58:59], v[36:37], v[50:51], v[54:55] op_sel_hi:[0,1,1]
	v_pk_fma_f32 v[34:35], v[34:35], v[50:51], v[52:53] neg_lo:[0,0,1] neg_hi:[0,0,1]
	v_pk_fma_f32 v[36:37], v[36:37], v[50:51], v[54:55] neg_lo:[0,0,1] neg_hi:[0,0,1]
	s_or_b32 s70, s10, 2
	s_delay_alu instid0(VALU_DEP_3)
	v_dual_mov_b32 v35, v57 :: v_dual_mov_b32 v37, v59
	s_mov_b32 s71, s11
	global_store_b64 v44, v[34:35], s[8:9]
	s_wait_xcnt 0x0
	v_pk_mul_f32 v[34:35], v[32:33], v[38:39] op_sel:[1,0]
	global_store_b64 v44, v[36:37], s[68:69]
	s_wait_dscnt 0x0
	s_wait_xcnt 0x0
	v_pk_mul_f32 v[36:37], v[30:31], v[38:39] op_sel:[1,0]
	s_or_b32 s68, s10, 3
	s_mov_b32 s69, s11
	v_pk_fma_f32 v[38:39], v[32:33], v[50:51], v[34:35] op_sel_hi:[0,1,1]
	v_pk_fma_f32 v[32:33], v[32:33], v[50:51], v[34:35] neg_lo:[0,0,1] neg_hi:[0,0,1]
	v_pk_fma_f32 v[34:35], v[30:31], v[50:51], v[36:37] op_sel_hi:[0,1,1]
	s_mul_u64 s[8:9], s[70:71], s[28:29]
	s_mul_u64 s[68:69], s[68:69], s[28:29]
	v_mov_b32_e32 v33, v39
	v_pk_fma_f32 v[30:31], v[30:31], v[50:51], v[36:37] neg_lo:[0,0,1] neg_hi:[0,0,1]
	s_lshl_b64 s[8:9], s[8:9], 3
	v_mov_b32_e32 v31, v35
	s_lshl_b64 s[68:69], s[68:69], 3
	s_add_nc_u64 s[8:9], s[54:55], s[8:9]
	s_add_nc_u64 s[68:69], s[54:55], s[68:69]
	s_clause 0x1
	global_store_b64 v44, v[32:33], s[8:9]
	global_store_b64 v44, v[30:31], s[68:69]
	s_branch .LBB139_16
.LBB139_59:                             ;   in Loop: Header=BB139_17 Depth=2
	v_mov_b32_e32 v35, 0
	s_delay_alu instid0(VALU_DEP_1)
	v_dual_mov_b32 v34, v35 :: v_dual_mov_b32 v37, v35
	v_dual_mov_b32 v36, v35 :: v_dual_mov_b32 v33, v35
	;; [unrolled: 1-line block ×3, first 2 shown]
	v_mov_b32_e32 v30, v35
.LBB139_60:                             ;   in Loop: Header=BB139_17 Depth=2
	s_or_b32 exec_lo, exec_lo, s7
	s_delay_alu instid0(SALU_CYCLE_1)
	s_or_b32 exec_lo, exec_lo, s6
	s_and_saveexec_b32 s6, s3
	s_cbranch_execnz .LBB139_20
	s_branch .LBB139_21
.LBB139_61:                             ;   in Loop: Header=BB139_3 Depth=1
	s_mov_b32 s10, 0
.LBB139_62:                             ;   in Loop: Header=BB139_3 Depth=1
	s_delay_alu instid0(SALU_CYCLE_1)
	s_cmp_ge_i32 s10, s13
	s_cbranch_scc1 .LBB139_2
; %bb.63:                               ;   in Loop: Header=BB139_3 Depth=1
	v_cmp_gt_u32_e32 vcc_lo, 24, v43
	s_mul_u64 s[6:7], s[52:53], s[10:11]
	s_delay_alu instid0(SALU_CYCLE_1) | instskip(SKIP_2) | instid1(VALU_DEP_2)
	s_add_nc_u64 s[6:7], s[6:7], s[56:57]
	v_cndmask_b32_e64 v28, 0, 8, vcc_lo
	v_cmp_gt_u32_e32 vcc_lo, 28, v43
	v_add_lshl_u32 v34, v28, v43, 2
	v_cndmask_b32_e64 v29, 0, 4, vcc_lo
	v_cmp_gt_u32_e32 vcc_lo, 30, v43
	s_delay_alu instid0(VALU_DEP_2) | instskip(SKIP_4) | instid1(VALU_DEP_3)
	v_add_lshl_u32 v35, v29, v43, 2
	s_wait_dscnt 0x0
	v_cndmask_b32_e64 v30, 0, 2, vcc_lo
	v_cmp_ne_u32_e32 vcc_lo, 31, v43
	v_add_nc_u64_e32 v[28:29], s[6:7], v[12:13]
	v_add_lshl_u32 v36, v30, v43, 2
	v_add_co_ci_u32_e64 v31, null, 0, v43, vcc_lo
	s_delay_alu instid0(VALU_DEP_1)
	v_lshlrev_b32_e32 v37, 2, v31
	s_branch .LBB139_65
.LBB139_64:                             ;   in Loop: Header=BB139_65 Depth=2
	s_wait_xcnt 0x0
	s_or_b32 exec_lo, exec_lo, s6
	v_add_nc_u64_e32 v[28:29], s[52:53], v[28:29]
	s_add_co_i32 s10, s10, 1
	s_delay_alu instid0(SALU_CYCLE_1)
	s_cmp_ge_i32 s10, s13
	s_cbranch_scc1 .LBB139_2
.LBB139_65:                             ;   Parent Loop BB139_3 Depth=1
                                        ; =>  This Loop Header: Depth=2
                                        ;       Child Loop BB139_77 Depth 3
                                        ;       Child Loop BB139_79 Depth 3
                                        ; implicit-def: $vgpr31
	s_and_saveexec_b32 s6, s1
	s_delay_alu instid0(SALU_CYCLE_1)
	s_xor_b32 s6, exec_lo, s6
	s_cbranch_execnz .LBB139_74
; %bb.66:                               ;   in Loop: Header=BB139_65 Depth=2
	s_and_not1_saveexec_b32 s6, s6
	s_cbranch_execnz .LBB139_75
.LBB139_67:                             ;   in Loop: Header=BB139_65 Depth=2
	s_or_b32 exec_lo, exec_lo, s6
	s_and_saveexec_b32 s6, s3
.LBB139_68:                             ;   in Loop: Header=BB139_65 Depth=2
	ds_store_b64 v41, v[14:15]
.LBB139_69:                             ;   in Loop: Header=BB139_65 Depth=2
	s_or_b32 exec_lo, exec_lo, s6
	s_wait_dscnt 0x0
	ds_bpermute_b32 v32, v45, v30
	ds_bpermute_b32 v33, v45, v31
	s_wait_storecnt_dscnt 0x0
	s_barrier_signal -1
	s_barrier_wait -1
	v_pk_add_f32 v[30:31], v[30:31], v[32:33]
	ds_bpermute_b32 v32, v34, v30
	ds_bpermute_b32 v33, v34, v31
	s_wait_dscnt 0x0
	v_pk_add_f32 v[30:31], v[30:31], v[32:33]
	ds_bpermute_b32 v32, v35, v30
	ds_bpermute_b32 v33, v35, v31
	s_wait_dscnt 0x0
	v_pk_add_f32 v[30:31], v[30:31], v[32:33]
	ds_bpermute_b32 v32, v36, v30
	ds_bpermute_b32 v33, v36, v31
	s_wait_dscnt 0x0
	v_pk_add_f32 v[30:31], v[30:31], v[32:33]
	ds_bpermute_b32 v32, v37, v30
	ds_bpermute_b32 v33, v37, v31
	s_and_saveexec_b32 s6, s4
	s_cbranch_execz .LBB139_71
; %bb.70:                               ;   in Loop: Header=BB139_65 Depth=2
	s_wait_dscnt 0x0
	v_pk_add_f32 v[30:31], v[30:31], v[32:33]
	ds_store_b64 v42, v[30:31]
.LBB139_71:                             ;   in Loop: Header=BB139_65 Depth=2
	s_or_b32 exec_lo, exec_lo, s6
	v_mov_b64_e32 v[30:31], 0
	s_wait_dscnt 0x0
	s_barrier_signal -1
	s_barrier_wait -1
	s_and_saveexec_b32 s6, s5
	s_cbranch_execnz .LBB139_81
; %bb.72:                               ;   in Loop: Header=BB139_65 Depth=2
	s_or_b32 exec_lo, exec_lo, s6
	s_and_saveexec_b32 s6, s3
	s_cbranch_execnz .LBB139_82
.LBB139_73:                             ;   in Loop: Header=BB139_65 Depth=2
	s_or_b32 exec_lo, exec_lo, s6
	s_and_saveexec_b32 s6, s0
	s_cbranch_execz .LBB139_64
	s_branch .LBB139_83
.LBB139_74:                             ;   in Loop: Header=BB139_65 Depth=2
	s_mul_u64 s[8:9], s[10:11], s[26:27]
	s_delay_alu instid0(SALU_CYCLE_1)
	v_lshl_add_u64 v[38:39], s[8:9], 3, v[18:19]
	s_clause 0x2
	global_load_b64 v[46:47], v[20:21], off
	global_load_b64 v[48:49], v[22:23], off
	;; [unrolled: 1-line block ×3, first 2 shown]
	s_wait_dscnt 0x0
	s_clause 0x1
	global_load_b128 v[30:33], v[38:39], off
	global_load_b128 v[54:57], v[38:39], off offset:16
	global_load_b64 v[52:53], v[26:27], off
	s_wait_loadcnt 0x4
	ds_store_b128 v40, v[46:49]
	s_wait_loadcnt 0x0
	ds_store_b128 v40, v[50:53] offset:16
	v_dual_mul_f32 v60, v31, v47 :: v_dual_mul_f32 v31, v31, v46
	v_dual_mov_b32 v62, v33 :: v_dual_mov_b32 v63, v32
	v_pk_mul_f32 v[32:33], v[32:33], v[48:49] op_sel_hi:[1,0]
	s_wait_xcnt 0x1
	v_dual_mov_b32 v38, v49 :: v_dual_mov_b32 v58, v51
	v_pk_mul_f32 v[64:65], v[54:55], v[50:51] op_sel_hi:[1,0]
	v_dual_mov_b32 v66, v57 :: v_dual_fmac_f32 v60, v30, v46
	v_dual_fma_f32 v61, v30, v47, -v31 :: v_dual_mov_b32 v67, v56
	v_pk_fma_f32 v[30:31], v[62:63], v[48:49], v[32:33] op_sel:[0,1,0] neg_lo:[0,0,1] neg_hi:[0,0,1]
	v_pk_fma_f32 v[32:33], v[62:63], v[38:39], v[32:33]
	v_pk_fma_f32 v[38:39], v[54:55], v[50:51], v[64:65] op_sel:[1,1,0] op_sel_hi:[0,1,1] neg_lo:[0,0,1] neg_hi:[0,0,1]
	s_delay_alu instid0(VALU_DEP_4) | instskip(NEXT) | instid1(VALU_DEP_4)
	v_pk_add_f32 v[60:61], v[60:61], 0 op_sel_hi:[1,0]
	v_dual_mov_b32 v38, v53 :: v_dual_mov_b32 v33, v31
	v_pk_mul_f32 v[30:31], v[56:57], v[52:53] op_sel_hi:[1,0]
	v_pk_fma_f32 v[54:55], v[54:55], v[58:59], v[64:65] op_sel:[1,0,0] op_sel_hi:[0,1,1]
	s_delay_alu instid0(VALU_DEP_3) | instskip(NEXT) | instid1(VALU_DEP_3)
	v_pk_add_f32 v[32:33], v[60:61], v[32:33]
	v_pk_fma_f32 v[56:57], v[66:67], v[52:53], v[30:31] op_sel:[0,1,0] neg_lo:[0,0,1] neg_hi:[0,0,1]
	v_mov_b32_e32 v55, v39
	v_pk_fma_f32 v[30:31], v[66:67], v[38:39], v[30:31]
	s_delay_alu instid0(VALU_DEP_3) | instskip(NEXT) | instid1(VALU_DEP_3)
	v_mov_b32_e32 v31, v57
	v_pk_add_f32 v[32:33], v[32:33], v[54:55]
	s_delay_alu instid0(VALU_DEP_1)
	v_pk_add_f32 v[30:31], v[32:33], v[30:31]
	s_wait_xcnt 0x0
	s_and_not1_saveexec_b32 s6, s6
	s_cbranch_execz .LBB139_67
.LBB139_75:                             ;   in Loop: Header=BB139_65 Depth=2
	s_wait_dscnt 0x0
	v_mov_b32_e32 v31, 0
	s_delay_alu instid0(VALU_DEP_1)
	v_mov_b32_e32 v30, v31
	s_and_saveexec_b32 s7, s63
	s_cbranch_execz .LBB139_80
; %bb.76:                               ;   in Loop: Header=BB139_65 Depth=2
	v_mov_b64_e32 v[30:31], v[16:17]
	v_mov_b32_e32 v32, v40
	s_mov_b32 s8, s61
.LBB139_77:                             ;   Parent Loop BB139_3 Depth=1
                                        ;     Parent Loop BB139_65 Depth=2
                                        ; =>    This Inner Loop Header: Depth=3
	global_load_b64 v[38:39], v[30:31], off
	s_wait_xcnt 0x0
	v_add_nc_u64_e32 v[30:31], s[46:47], v[30:31]
	s_add_co_i32 s8, s8, -1
	s_delay_alu instid0(SALU_CYCLE_1)
	s_cmp_eq_u32 s8, 0
	s_wait_loadcnt 0x0
	ds_store_b64 v32, v[38:39]
	v_add_nc_u32_e32 v32, 8, v32
	s_cbranch_scc0 .LBB139_77
; %bb.78:                               ;   in Loop: Header=BB139_65 Depth=2
	v_dual_mov_b32 v30, 0 :: v_dual_mov_b32 v38, v40
	v_mov_b64_e32 v[32:33], v[28:29]
	s_mov_b32 s8, s61
	s_delay_alu instid0(VALU_DEP_2)
	v_mov_b32_e32 v31, v30
.LBB139_79:                             ;   Parent Loop BB139_3 Depth=1
                                        ;     Parent Loop BB139_65 Depth=2
                                        ; =>    This Inner Loop Header: Depth=3
	global_load_b64 v[46:47], v[32:33], off offset:-4
	ds_load_b64 v[48:49], v38
	s_wait_xcnt 0x0
	v_add_nc_u64_e32 v[32:33], 8, v[32:33]
	s_add_co_i32 s8, s8, -1
	v_add_nc_u32_e32 v38, 8, v38
	s_cmp_lg_u32 s8, 0
	s_wait_loadcnt_dscnt 0x0
	v_pk_mul_f32 v[50:51], v[46:47], v[48:49] op_sel:[1,1] op_sel_hi:[1,0]
	s_delay_alu instid0(VALU_DEP_1) | instskip(SKIP_1) | instid1(VALU_DEP_2)
	v_pk_fma_f32 v[52:53], v[46:47], v[48:49], v[50:51] op_sel_hi:[0,1,1] neg_lo:[0,0,1] neg_hi:[0,0,1]
	v_pk_fma_f32 v[46:47], v[46:47], v[48:49], v[50:51]
	v_mov_b32_e32 v47, v53
	s_delay_alu instid0(VALU_DEP_1)
	v_pk_add_f32 v[30:31], v[30:31], v[46:47]
	s_cbranch_scc1 .LBB139_79
.LBB139_80:                             ;   in Loop: Header=BB139_65 Depth=2
	s_or_b32 exec_lo, exec_lo, s7
	s_delay_alu instid0(SALU_CYCLE_1)
	s_or_b32 exec_lo, exec_lo, s6
	s_and_saveexec_b32 s6, s3
	s_cbranch_execnz .LBB139_68
	s_branch .LBB139_69
.LBB139_81:                             ;   in Loop: Header=BB139_65 Depth=2
	ds_load_b64 v[30:31], v41
	s_or_b32 exec_lo, exec_lo, s6
	s_and_saveexec_b32 s6, s3
	s_cbranch_execz .LBB139_73
.LBB139_82:                             ;   in Loop: Header=BB139_65 Depth=2
	s_wait_dscnt 0x0
	ds_bpermute_b32 v32, v35, v30
	ds_bpermute_b32 v33, v35, v31
	s_wait_dscnt 0x0
	v_pk_add_f32 v[30:31], v[30:31], v[32:33]
	ds_bpermute_b32 v32, v36, v30
	ds_bpermute_b32 v33, v36, v31
	s_wait_dscnt 0x0
	v_pk_add_f32 v[30:31], v[30:31], v[32:33]
	;; [unrolled: 4-line block ×3, first 2 shown]
	s_or_b32 exec_lo, exec_lo, s6
	s_and_saveexec_b32 s6, s0
	s_cbranch_execz .LBB139_64
.LBB139_83:                             ;   in Loop: Header=BB139_65 Depth=2
	v_mov_b64_e32 v[32:33], s[34:35]
	v_mov_b64_e32 v[38:39], s[14:15]
	s_mul_u64 s[8:9], s[10:11], s[28:29]
	s_delay_alu instid0(SALU_CYCLE_1) | instskip(NEXT) | instid1(SALU_CYCLE_1)
	s_lshl_b64 s[8:9], s[8:9], 3
	s_add_nc_u64 s[8:9], s[54:55], s[8:9]
	s_wait_dscnt 0x0
	s_delay_alu instid0(VALU_DEP_2) | instskip(NEXT) | instid1(VALU_DEP_1)
	v_pk_mul_f32 v[32:33], v[30:31], v[32:33] op_sel:[1,0]
	v_pk_fma_f32 v[46:47], v[30:31], v[38:39], v[32:33] op_sel_hi:[0,1,1]
	v_pk_fma_f32 v[30:31], v[30:31], v[38:39], v[32:33] neg_lo:[0,0,1] neg_hi:[0,0,1]
	s_delay_alu instid0(VALU_DEP_2)
	v_mov_b32_e32 v31, v47
	global_store_b64 v44, v[30:31], s[8:9]
	s_branch .LBB139_64
.LBB139_84:
	s_sendmsg sendmsg(MSG_DEALLOC_VGPRS)
	s_endpgm
	.section	.rodata,"a",@progbits
	.p2align	6, 0x0
	.amdhsa_kernel _ZL23rocblas_gemvt_sn_kernelILb1ELi256ELi4El19rocblas_complex_numIfES1_S1_EviiT4_lPKT3_lilS5_lilPT5_i
		.amdhsa_group_segment_fixed_size 8448
		.amdhsa_private_segment_fixed_size 0
		.amdhsa_kernarg_size 360
		.amdhsa_user_sgpr_count 4
		.amdhsa_user_sgpr_dispatch_ptr 1
		.amdhsa_user_sgpr_queue_ptr 0
		.amdhsa_user_sgpr_kernarg_segment_ptr 1
		.amdhsa_user_sgpr_dispatch_id 0
		.amdhsa_user_sgpr_kernarg_preload_length 0
		.amdhsa_user_sgpr_kernarg_preload_offset 0
		.amdhsa_user_sgpr_private_segment_size 0
		.amdhsa_wavefront_size32 1
		.amdhsa_uses_dynamic_stack 0
		.amdhsa_enable_private_segment 0
		.amdhsa_system_sgpr_workgroup_id_x 1
		.amdhsa_system_sgpr_workgroup_id_y 0
		.amdhsa_system_sgpr_workgroup_id_z 1
		.amdhsa_system_sgpr_workgroup_info 0
		.amdhsa_system_vgpr_workitem_id 2
		.amdhsa_next_free_vgpr 106
		.amdhsa_next_free_sgpr 74
		.amdhsa_named_barrier_count 0
		.amdhsa_reserve_vcc 1
		.amdhsa_float_round_mode_32 0
		.amdhsa_float_round_mode_16_64 0
		.amdhsa_float_denorm_mode_32 3
		.amdhsa_float_denorm_mode_16_64 3
		.amdhsa_fp16_overflow 0
		.amdhsa_memory_ordered 1
		.amdhsa_forward_progress 1
		.amdhsa_inst_pref_size 43
		.amdhsa_round_robin_scheduling 0
		.amdhsa_exception_fp_ieee_invalid_op 0
		.amdhsa_exception_fp_denorm_src 0
		.amdhsa_exception_fp_ieee_div_zero 0
		.amdhsa_exception_fp_ieee_overflow 0
		.amdhsa_exception_fp_ieee_underflow 0
		.amdhsa_exception_fp_ieee_inexact 0
		.amdhsa_exception_int_div_zero 0
	.end_amdhsa_kernel
	.section	.text._ZL23rocblas_gemvt_sn_kernelILb1ELi256ELi4El19rocblas_complex_numIfES1_S1_EviiT4_lPKT3_lilS5_lilPT5_i,"axG",@progbits,_ZL23rocblas_gemvt_sn_kernelILb1ELi256ELi4El19rocblas_complex_numIfES1_S1_EviiT4_lPKT3_lilS5_lilPT5_i,comdat
.Lfunc_end139:
	.size	_ZL23rocblas_gemvt_sn_kernelILb1ELi256ELi4El19rocblas_complex_numIfES1_S1_EviiT4_lPKT3_lilS5_lilPT5_i, .Lfunc_end139-_ZL23rocblas_gemvt_sn_kernelILb1ELi256ELi4El19rocblas_complex_numIfES1_S1_EviiT4_lPKT3_lilS5_lilPT5_i
                                        ; -- End function
	.set _ZL23rocblas_gemvt_sn_kernelILb1ELi256ELi4El19rocblas_complex_numIfES1_S1_EviiT4_lPKT3_lilS5_lilPT5_i.num_vgpr, 106
	.set _ZL23rocblas_gemvt_sn_kernelILb1ELi256ELi4El19rocblas_complex_numIfES1_S1_EviiT4_lPKT3_lilS5_lilPT5_i.num_agpr, 0
	.set _ZL23rocblas_gemvt_sn_kernelILb1ELi256ELi4El19rocblas_complex_numIfES1_S1_EviiT4_lPKT3_lilS5_lilPT5_i.numbered_sgpr, 74
	.set _ZL23rocblas_gemvt_sn_kernelILb1ELi256ELi4El19rocblas_complex_numIfES1_S1_EviiT4_lPKT3_lilS5_lilPT5_i.num_named_barrier, 0
	.set _ZL23rocblas_gemvt_sn_kernelILb1ELi256ELi4El19rocblas_complex_numIfES1_S1_EviiT4_lPKT3_lilS5_lilPT5_i.private_seg_size, 0
	.set _ZL23rocblas_gemvt_sn_kernelILb1ELi256ELi4El19rocblas_complex_numIfES1_S1_EviiT4_lPKT3_lilS5_lilPT5_i.uses_vcc, 1
	.set _ZL23rocblas_gemvt_sn_kernelILb1ELi256ELi4El19rocblas_complex_numIfES1_S1_EviiT4_lPKT3_lilS5_lilPT5_i.uses_flat_scratch, 0
	.set _ZL23rocblas_gemvt_sn_kernelILb1ELi256ELi4El19rocblas_complex_numIfES1_S1_EviiT4_lPKT3_lilS5_lilPT5_i.has_dyn_sized_stack, 0
	.set _ZL23rocblas_gemvt_sn_kernelILb1ELi256ELi4El19rocblas_complex_numIfES1_S1_EviiT4_lPKT3_lilS5_lilPT5_i.has_recursion, 0
	.set _ZL23rocblas_gemvt_sn_kernelILb1ELi256ELi4El19rocblas_complex_numIfES1_S1_EviiT4_lPKT3_lilS5_lilPT5_i.has_indirect_call, 0
	.section	.AMDGPU.csdata,"",@progbits
; Kernel info:
; codeLenInByte = 5436
; TotalNumSgprs: 76
; NumVgprs: 106
; ScratchSize: 0
; MemoryBound: 0
; FloatMode: 240
; IeeeMode: 1
; LDSByteSize: 8448 bytes/workgroup (compile time only)
; SGPRBlocks: 0
; VGPRBlocks: 6
; NumSGPRsForWavesPerEU: 76
; NumVGPRsForWavesPerEU: 106
; NamedBarCnt: 0
; Occupancy: 9
; WaveLimiterHint : 0
; COMPUTE_PGM_RSRC2:SCRATCH_EN: 0
; COMPUTE_PGM_RSRC2:USER_SGPR: 4
; COMPUTE_PGM_RSRC2:TRAP_HANDLER: 0
; COMPUTE_PGM_RSRC2:TGID_X_EN: 1
; COMPUTE_PGM_RSRC2:TGID_Y_EN: 0
; COMPUTE_PGM_RSRC2:TGID_Z_EN: 1
; COMPUTE_PGM_RSRC2:TIDIG_COMP_CNT: 2
	.section	.text._ZL20rocblas_gemvt_kernelILb1ELi256E19rocblas_complex_numIfEPKS1_S1_EviiT2_lPKT1_lilS7_lilS4_lPT3_lili,"axG",@progbits,_ZL20rocblas_gemvt_kernelILb1ELi256E19rocblas_complex_numIfEPKS1_S1_EviiT2_lPKT1_lilS7_lilS4_lPT3_lili,comdat
	.globl	_ZL20rocblas_gemvt_kernelILb1ELi256E19rocblas_complex_numIfEPKS1_S1_EviiT2_lPKT1_lilS7_lilS4_lPT3_lili ; -- Begin function _ZL20rocblas_gemvt_kernelILb1ELi256E19rocblas_complex_numIfEPKS1_S1_EviiT2_lPKT1_lilS7_lilS4_lPT3_lili
	.p2align	8
	.type	_ZL20rocblas_gemvt_kernelILb1ELi256E19rocblas_complex_numIfEPKS1_S1_EviiT2_lPKT1_lilS7_lilS4_lPT3_lili,@function
_ZL20rocblas_gemvt_kernelILb1ELi256E19rocblas_complex_numIfEPKS1_S1_EviiT2_lPKT1_lilS7_lilS4_lPT3_lili: ; @_ZL20rocblas_gemvt_kernelILb1ELi256E19rocblas_complex_numIfEPKS1_S1_EviiT2_lPKT1_lilS7_lilS4_lPT3_lili
; %bb.0:
	s_load_b32 s33, s[0:1], 0x88
	s_bfe_u32 s2, ttmp6, 0x40014
	s_lshr_b32 s3, ttmp7, 16
	s_add_co_i32 s2, s2, 1
	s_bfe_u32 s4, ttmp6, 0x40008
	s_mul_i32 s2, s3, s2
	s_getreg_b32 s7, hwreg(HW_REG_IB_STS2, 6, 4)
	s_add_co_i32 s4, s4, s2
	s_cmp_eq_u32 s7, 0
	s_mov_b32 s35, 0
	s_cselect_b32 s34, s3, s4
	s_wait_kmcnt 0x0
	s_cmp_ge_u32 s34, s33
	s_cbranch_scc1 .LBB140_39
; %bb.1:
	s_clause 0x5
	s_load_b32 s2, s[0:1], 0x28
	s_load_b96 s[4:6], s[0:1], 0x40
	s_load_b96 s[8:10], s[0:1], 0x70
	s_load_b256 s[12:19], s[0:1], 0x8
	s_load_b32 s44, s[0:1], 0x0
	s_load_b128 s[28:31], s[0:1], 0x30
	s_bfe_u32 s3, ttmp6, 0x4000c
	s_and_b32 s11, ttmp6, 15
	s_add_co_i32 s3, s3, 1
	s_load_b256 s[20:27], s[0:1], 0x50
	s_mul_i32 s3, ttmp9, s3
	s_load_b64 s[36:37], s[0:1], 0x80
	s_add_co_i32 s11, s11, s3
	v_lshlrev_b32_e32 v18, 3, v0
	s_wait_kmcnt 0x0
	s_ashr_i32 s3, s2, 31
	s_ashr_i32 s39, s6, 31
	;; [unrolled: 1-line block ×3, first 2 shown]
	s_lshl_b64 s[0:1], s[4:5], 3
	s_lshl_b64 s[4:5], s[8:9], 3
	s_lshl_b64 s[8:9], s[18:19], 3
	s_cmp_eq_u32 s7, 0
	v_cmp_gt_i32_e32 vcc_lo, s44, v0
	s_cselect_b32 s42, ttmp9, s11
	s_ashr_i32 s7, s44, 31
	s_mov_b32 s38, s6
	s_lshr_b32 s7, s7, 24
	s_ashr_i32 s43, s42, 31
	s_add_co_i32 s7, s44, s7
	s_mul_u64 s[2:3], s[2:3], s[42:43]
	s_and_b32 s18, s7, 0xffffff00
	s_delay_alu instid0(SALU_CYCLE_1) | instskip(SKIP_3) | instid1(VALU_DEP_2)
	v_dual_mov_b32 v3, 0 :: v_dual_bitop2_b32 v8, s18, v0 bitop3:0x54
	v_cndmask_b32_e32 v2, 0, v0, vcc_lo
	s_lshl_b64 s[2:3], s[2:3], 3
	s_add_nc_u64 s[26:27], s[26:27], s[4:5]
	v_dual_mov_b32 v1, v3 :: v_dual_ashrrev_i32 v9, 31, v8
	s_delay_alu instid0(VALU_DEP_2) | instskip(SKIP_2) | instid1(VALU_DEP_2)
	v_lshlrev_b32_e32 v2, 3, v2
	s_add_nc_u64 s[4:5], s[2:3], s[8:9]
	s_mov_b32 s40, s10
	v_mul_u64_e32 v[10:11], s[38:39], v[0:1]
	v_mul_u64_e32 v[4:5], s[38:39], v[8:9]
	s_add_nc_u64 s[10:11], s[30:31], s[0:1]
	s_add_nc_u64 s[0:1], s[16:17], s[8:9]
	;; [unrolled: 1-line block ×3, first 2 shown]
	v_add_nc_u64_e32 v[6:7], s[0:1], v[2:3]
	v_cmp_gt_i32_e64 s1, s44, v8
	v_add_nc_u64_e32 v[8:9], s[4:5], v[2:3]
	v_cmp_eq_u32_e64 s0, 0, v0
	v_cmp_gt_u32_e64 s4, 32, v0
	v_cmp_gt_u32_e64 s5, 16, v0
	;; [unrolled: 1-line block ×3, first 2 shown]
	v_add_nc_u64_e32 v[6:7], s[2:3], v[6:7]
	v_cmp_gt_u32_e64 s2, 0x80, v0
	v_add_nc_u64_e32 v[8:9], 4, v[8:9]
	v_cmp_gt_u32_e64 s3, 64, v0
	v_cmp_gt_u32_e64 s7, 4, v0
	;; [unrolled: 1-line block ×3, first 2 shown]
	s_mul_u64 s[40:41], s[40:41], s[42:43]
	s_cmp_gt_i32 s44, 0xff
	s_cselect_b32 s46, -1, 0
	s_ashr_i32 s19, s18, 31
	s_lshl_b64 s[16:17], s[20:21], 3
	s_lshl_b64 s[30:31], s[38:39], 11
	;; [unrolled: 1-line block ×4, first 2 shown]
	v_lshl_add_u64 v[0:1], v[10:11], 3, s[10:11]
	s_branch .LBB140_5
.LBB140_2:                              ;   in Loop: Header=BB140_5 Depth=1
	s_delay_alu instid0(VALU_DEP_1)
	v_mov_b32_e32 v13, v15
	global_store_b64 v3, v[12:13], s[42:43]
.LBB140_3:                              ;   in Loop: Header=BB140_5 Depth=1
	s_wait_xcnt 0x0
	s_or_b32 exec_lo, exec_lo, s47
.LBB140_4:                              ;   in Loop: Header=BB140_5 Depth=1
	s_add_co_i32 s34, s34, 0x10000
	s_delay_alu instid0(SALU_CYCLE_1)
	s_cmp_lt_u32 s34, s33
	s_cbranch_scc0 .LBB140_39
.LBB140_5:                              ; =>This Loop Header: Depth=1
                                        ;     Child Loop BB140_16 Depth 2
	s_mul_u64 s[42:43], s[14:15], s[34:35]
	s_delay_alu instid0(SALU_CYCLE_1) | instskip(NEXT) | instid1(SALU_CYCLE_1)
	s_lshl_b64 s[42:43], s[42:43], 3
	s_add_nc_u64 s[42:43], s[12:13], s[42:43]
	global_load_b64 v[12:13], v3, s[42:43]
	s_wait_xcnt 0x0
	s_mul_u64 s[42:43], s[24:25], s[34:35]
	s_delay_alu instid0(SALU_CYCLE_1) | instskip(NEXT) | instid1(SALU_CYCLE_1)
	s_lshl_b64 s[42:43], s[42:43], 3
	s_add_nc_u64 s[42:43], s[22:23], s[42:43]
	global_load_b64 v[10:11], v3, s[42:43]
	s_wait_loadcnt 0x1
	s_wait_xcnt 0x0
	v_readfirstlane_b32 s43, v13
	v_readfirstlane_b32 s42, v12
	s_cmp_eq_f32 s43, 0
	s_wait_loadcnt 0x0
	v_cmp_eq_f32_e32 vcc_lo, 1.0, v10
	v_cmp_eq_f32_e64 s9, 0, v11
	s_cselect_b32 s44, -1, 0
	s_cmp_eq_f32 s42, 0
	s_cselect_b32 s45, -1, 0
	s_and_b32 s9, vcc_lo, s9
	s_and_b32 s44, s45, s44
	s_delay_alu instid0(SALU_CYCLE_1) | instskip(NEXT) | instid1(SALU_CYCLE_1)
	s_and_b32 s9, s44, s9
	s_and_b32 vcc_lo, exec_lo, s9
	s_cbranch_vccnz .LBB140_4
; %bb.6:                                ;   in Loop: Header=BB140_5 Depth=1
	s_mul_u64 s[44:45], s[36:37], s[34:35]
	s_or_b32 s9, s42, s43
	s_lshl_b64 s[44:45], s[44:45], 3
	s_bitset0_b32 s9, 31
	s_add_nc_u64 s[44:45], s[26:27], s[44:45]
	s_cmp_lg_u32 s9, 0
	s_mov_b32 s9, -1
	s_cbranch_scc1 .LBB140_13
; %bb.7:                                ;   in Loop: Header=BB140_5 Depth=1
	s_and_saveexec_b32 s47, s0
	s_cbranch_execz .LBB140_12
; %bb.8:                                ;   in Loop: Header=BB140_5 Depth=1
	v_cmp_neq_f32_e32 vcc_lo, 0, v10
	v_cmp_neq_f32_e64 s9, 0, v11
	s_or_b32 s9, vcc_lo, s9
	s_delay_alu instid0(SALU_CYCLE_1)
	s_and_not1_b32 vcc_lo, exec_lo, s9
	s_cbranch_vccnz .LBB140_10
; %bb.9:                                ;   in Loop: Header=BB140_5 Depth=1
	s_add_nc_u64 s[48:49], s[44:45], s[40:41]
	global_load_b64 v[12:13], v3, s[48:49]
	s_wait_loadcnt 0x0
	v_pk_mul_f32 v[14:15], v[10:11], v[12:13] op_sel:[1,1] op_sel_hi:[0,1]
	s_delay_alu instid0(VALU_DEP_1) | instskip(SKIP_1) | instid1(VALU_DEP_2)
	v_pk_fma_f32 v[16:17], v[10:11], v[12:13], v[14:15] op_sel_hi:[1,0,1]
	v_pk_fma_f32 v[12:13], v[10:11], v[12:13], v[14:15] neg_lo:[0,0,1] neg_hi:[0,0,1]
	v_mov_b32_e32 v13, v17
	s_branch .LBB140_11
.LBB140_10:                             ;   in Loop: Header=BB140_5 Depth=1
	v_dual_mov_b32 v13, 0 :: v_dual_mov_b32 v12, 0
.LBB140_11:                             ;   in Loop: Header=BB140_5 Depth=1
	s_wait_xcnt 0x0
	s_add_nc_u64 s[48:49], s[44:45], s[40:41]
	global_store_b64 v3, v[12:13], s[48:49]
.LBB140_12:                             ;   in Loop: Header=BB140_5 Depth=1
	s_wait_xcnt 0x0
	s_or_b32 exec_lo, exec_lo, s47
	s_mov_b32 s9, 0
.LBB140_13:                             ;   in Loop: Header=BB140_5 Depth=1
	s_delay_alu instid0(SALU_CYCLE_1)
	s_and_not1_b32 vcc_lo, exec_lo, s9
	s_cbranch_vccnz .LBB140_4
; %bb.14:                               ;   in Loop: Header=BB140_5 Depth=1
	s_and_not1_b32 vcc_lo, exec_lo, s46
	s_cbranch_vccnz .LBB140_38
; %bb.15:                               ;   in Loop: Header=BB140_5 Depth=1
	v_mad_nc_u64_u32 v[14:15], s16, s34, v[0:1]
	v_mad_nc_u64_u32 v[16:17], s38, s34, v[8:9]
	v_mov_b32_e32 v12, 0
	s_mov_b32 s9, 0
	s_delay_alu instid0(VALU_DEP_1) | instskip(NEXT) | instid1(VALU_DEP_4)
	v_mov_b32_e32 v13, v12
	v_mad_u32 v15, s17, s34, v15
	s_delay_alu instid0(VALU_DEP_4)
	v_mad_u32 v17, s39, s34, v17
.LBB140_16:                             ;   Parent Loop BB140_5 Depth=1
                                        ; =>  This Inner Loop Header: Depth=2
	global_load_b64 v[20:21], v[16:17], off offset:-4
	global_load_b64 v[22:23], v[14:15], off
	s_wait_xcnt 0x0
	v_add_nc_u64_e32 v[14:15], s[30:31], v[14:15]
	v_add_nc_u64_e32 v[16:17], 0x800, v[16:17]
	s_addk_co_i32 s9, 0x100
	s_delay_alu instid0(SALU_CYCLE_1) | instskip(SKIP_2) | instid1(VALU_DEP_1)
	s_cmp_ge_i32 s9, s18
	s_wait_loadcnt 0x0
	v_pk_mul_f32 v[24:25], v[20:21], v[22:23] op_sel:[1,1] op_sel_hi:[1,0]
	v_pk_fma_f32 v[26:27], v[20:21], v[22:23], v[24:25] op_sel_hi:[0,1,1] neg_lo:[0,0,1] neg_hi:[0,0,1]
	v_pk_fma_f32 v[20:21], v[20:21], v[22:23], v[24:25]
	s_delay_alu instid0(VALU_DEP_2) | instskip(NEXT) | instid1(VALU_DEP_1)
	v_mov_b32_e32 v21, v27
	v_pk_add_f32 v[12:13], v[12:13], v[20:21]
	s_cbranch_scc0 .LBB140_16
; %bb.17:                               ;   in Loop: Header=BB140_5 Depth=1
	s_and_saveexec_b32 s9, s1
	s_cbranch_execz .LBB140_19
.LBB140_18:                             ;   in Loop: Header=BB140_5 Depth=1
	s_mul_u64 s[48:49], s[28:29], s[34:35]
	s_mul_u64 s[50:51], s[20:21], s[34:35]
	v_lshl_add_u64 v[14:15], s[48:49], 3, v[6:7]
	s_lshl_b64 s[48:49], s[50:51], 3
	s_delay_alu instid0(SALU_CYCLE_1) | instskip(NEXT) | instid1(SALU_CYCLE_1)
	s_add_nc_u64 s[48:49], s[10:11], s[48:49]
	v_lshl_add_u64 v[16:17], v[4:5], 3, s[48:49]
	s_delay_alu instid0(VALU_DEP_2)
	v_lshl_add_u64 v[14:15], s[18:19], 3, v[14:15]
	global_load_b64 v[20:21], v[14:15], off
	global_load_b64 v[22:23], v[16:17], off
	s_wait_loadcnt 0x0
	s_wait_xcnt 0x1
	v_pk_mul_f32 v[14:15], v[20:21], v[22:23] op_sel:[1,1] op_sel_hi:[1,0]
	s_wait_xcnt 0x0
	s_delay_alu instid0(VALU_DEP_1) | instskip(SKIP_1) | instid1(VALU_DEP_2)
	v_pk_fma_f32 v[16:17], v[20:21], v[22:23], v[14:15] op_sel_hi:[0,1,1] neg_lo:[0,0,1] neg_hi:[0,0,1]
	v_pk_fma_f32 v[14:15], v[20:21], v[22:23], v[14:15]
	v_mov_b32_e32 v15, v17
	s_delay_alu instid0(VALU_DEP_1)
	v_pk_add_f32 v[12:13], v[12:13], v[14:15]
.LBB140_19:                             ;   in Loop: Header=BB140_5 Depth=1
	s_or_b32 exec_lo, exec_lo, s9
	ds_store_b64 v18, v[12:13]
	s_wait_storecnt_dscnt 0x0
	s_barrier_signal -1
	s_barrier_wait -1
	s_and_saveexec_b32 s9, s2
	s_cbranch_execz .LBB140_21
; %bb.20:                               ;   in Loop: Header=BB140_5 Depth=1
	ds_load_2addr_stride64_b64 v[12:15], v18 offset1:2
	s_wait_dscnt 0x0
	v_pk_add_f32 v[12:13], v[14:15], v[12:13]
	ds_store_b64 v18, v[12:13]
.LBB140_21:                             ;   in Loop: Header=BB140_5 Depth=1
	s_or_b32 exec_lo, exec_lo, s9
	s_wait_dscnt 0x0
	s_barrier_signal -1
	s_barrier_wait -1
	s_and_saveexec_b32 s9, s3
	s_cbranch_execz .LBB140_23
; %bb.22:                               ;   in Loop: Header=BB140_5 Depth=1
	ds_load_2addr_stride64_b64 v[12:15], v18 offset1:1
	s_wait_dscnt 0x0
	v_pk_add_f32 v[12:13], v[14:15], v[12:13]
	ds_store_b64 v18, v[12:13]
.LBB140_23:                             ;   in Loop: Header=BB140_5 Depth=1
	s_or_b32 exec_lo, exec_lo, s9
	s_wait_dscnt 0x0
	s_barrier_signal -1
	s_barrier_wait -1
	s_and_saveexec_b32 s9, s4
	s_cbranch_execz .LBB140_25
; %bb.24:                               ;   in Loop: Header=BB140_5 Depth=1
	ds_load_2addr_b64 v[12:15], v18 offset1:32
	s_wait_dscnt 0x0
	v_pk_add_f32 v[12:13], v[14:15], v[12:13]
	ds_store_b64 v18, v[12:13]
.LBB140_25:                             ;   in Loop: Header=BB140_5 Depth=1
	s_or_b32 exec_lo, exec_lo, s9
	s_wait_dscnt 0x0
	s_barrier_signal -1
	s_barrier_wait -1
	s_and_saveexec_b32 s9, s5
	s_cbranch_execz .LBB140_27
; %bb.26:                               ;   in Loop: Header=BB140_5 Depth=1
	ds_load_2addr_b64 v[12:15], v18 offset1:16
	s_wait_dscnt 0x0
	v_pk_add_f32 v[12:13], v[14:15], v[12:13]
	ds_store_b64 v18, v[12:13]
.LBB140_27:                             ;   in Loop: Header=BB140_5 Depth=1
	;; [unrolled: 12-line block ×5, first 2 shown]
	s_or_b32 exec_lo, exec_lo, s9
	s_wait_dscnt 0x0
	s_barrier_signal -1
	s_barrier_wait -1
	s_and_saveexec_b32 s9, s0
	s_cbranch_execz .LBB140_35
; %bb.34:                               ;   in Loop: Header=BB140_5 Depth=1
	ds_load_b128 v[12:15], v3
	s_wait_dscnt 0x0
	v_pk_add_f32 v[12:13], v[14:15], v[12:13]
	ds_store_b64 v3, v[12:13]
.LBB140_35:                             ;   in Loop: Header=BB140_5 Depth=1
	s_or_b32 exec_lo, exec_lo, s9
	s_wait_dscnt 0x0
	s_barrier_signal -1
	s_barrier_wait -1
	s_and_saveexec_b32 s47, s0
	s_cbranch_execz .LBB140_3
; %bb.36:                               ;   in Loop: Header=BB140_5 Depth=1
	ds_load_b64 v[14:15], v3
	v_mov_b64_e32 v[12:13], s[42:43]
	v_cmp_neq_f32_e32 vcc_lo, 0, v10
	v_cmp_neq_f32_e64 s9, 0, v11
	s_or_b32 s9, vcc_lo, s9
	s_delay_alu instid0(SALU_CYCLE_1) | instskip(SKIP_2) | instid1(VALU_DEP_1)
	s_and_not1_b32 vcc_lo, exec_lo, s9
	s_wait_dscnt 0x0
	v_pk_mul_f32 v[16:17], v[14:15], v[12:13] op_sel:[1,1] op_sel_hi:[0,1]
	v_pk_fma_f32 v[12:13], v[14:15], s[42:43], v[16:17] op_sel_hi:[1,0,1] neg_lo:[0,0,1] neg_hi:[0,0,1]
	v_pk_fma_f32 v[14:15], v[14:15], s[42:43], v[16:17] op_sel_hi:[1,0,1]
	s_add_nc_u64 s[42:43], s[44:45], s[40:41]
	s_cbranch_vccnz .LBB140_2
; %bb.37:                               ;   in Loop: Header=BB140_5 Depth=1
	global_load_b64 v[16:17], v3, s[42:43]
	s_wait_loadcnt 0x0
	v_pk_mul_f32 v[20:21], v[10:11], v[16:17] op_sel:[1,1] op_sel_hi:[0,1]
	s_delay_alu instid0(VALU_DEP_1) | instskip(SKIP_1) | instid1(VALU_DEP_2)
	v_pk_fma_f32 v[22:23], v[10:11], v[16:17], v[20:21] op_sel_hi:[1,0,1]
	v_pk_fma_f32 v[10:11], v[10:11], v[16:17], v[20:21] neg_lo:[0,0,1] neg_hi:[0,0,1]
	v_dual_mov_b32 v13, v15 :: v_dual_mov_b32 v11, v23
	s_delay_alu instid0(VALU_DEP_1) | instskip(NEXT) | instid1(VALU_DEP_1)
	v_pk_add_f32 v[12:13], v[12:13], v[10:11]
	v_mov_b32_e32 v15, v13
	s_branch .LBB140_2
.LBB140_38:                             ;   in Loop: Header=BB140_5 Depth=1
	v_mov_b64_e32 v[12:13], 0
	s_and_saveexec_b32 s9, s1
	s_cbranch_execnz .LBB140_18
	s_branch .LBB140_19
.LBB140_39:
	s_endpgm
	.section	.rodata,"a",@progbits
	.p2align	6, 0x0
	.amdhsa_kernel _ZL20rocblas_gemvt_kernelILb1ELi256E19rocblas_complex_numIfEPKS1_S1_EviiT2_lPKT1_lilS7_lilS4_lPT3_lili
		.amdhsa_group_segment_fixed_size 2048
		.amdhsa_private_segment_fixed_size 0
		.amdhsa_kernarg_size 140
		.amdhsa_user_sgpr_count 2
		.amdhsa_user_sgpr_dispatch_ptr 0
		.amdhsa_user_sgpr_queue_ptr 0
		.amdhsa_user_sgpr_kernarg_segment_ptr 1
		.amdhsa_user_sgpr_dispatch_id 0
		.amdhsa_user_sgpr_kernarg_preload_length 0
		.amdhsa_user_sgpr_kernarg_preload_offset 0
		.amdhsa_user_sgpr_private_segment_size 0
		.amdhsa_wavefront_size32 1
		.amdhsa_uses_dynamic_stack 0
		.amdhsa_enable_private_segment 0
		.amdhsa_system_sgpr_workgroup_id_x 1
		.amdhsa_system_sgpr_workgroup_id_y 0
		.amdhsa_system_sgpr_workgroup_id_z 1
		.amdhsa_system_sgpr_workgroup_info 0
		.amdhsa_system_vgpr_workitem_id 0
		.amdhsa_next_free_vgpr 28
		.amdhsa_next_free_sgpr 52
		.amdhsa_named_barrier_count 0
		.amdhsa_reserve_vcc 1
		.amdhsa_float_round_mode_32 0
		.amdhsa_float_round_mode_16_64 0
		.amdhsa_float_denorm_mode_32 3
		.amdhsa_float_denorm_mode_16_64 3
		.amdhsa_fp16_overflow 0
		.amdhsa_memory_ordered 1
		.amdhsa_forward_progress 1
		.amdhsa_inst_pref_size 14
		.amdhsa_round_robin_scheduling 0
		.amdhsa_exception_fp_ieee_invalid_op 0
		.amdhsa_exception_fp_denorm_src 0
		.amdhsa_exception_fp_ieee_div_zero 0
		.amdhsa_exception_fp_ieee_overflow 0
		.amdhsa_exception_fp_ieee_underflow 0
		.amdhsa_exception_fp_ieee_inexact 0
		.amdhsa_exception_int_div_zero 0
	.end_amdhsa_kernel
	.section	.text._ZL20rocblas_gemvt_kernelILb1ELi256E19rocblas_complex_numIfEPKS1_S1_EviiT2_lPKT1_lilS7_lilS4_lPT3_lili,"axG",@progbits,_ZL20rocblas_gemvt_kernelILb1ELi256E19rocblas_complex_numIfEPKS1_S1_EviiT2_lPKT1_lilS7_lilS4_lPT3_lili,comdat
.Lfunc_end140:
	.size	_ZL20rocblas_gemvt_kernelILb1ELi256E19rocblas_complex_numIfEPKS1_S1_EviiT2_lPKT1_lilS7_lilS4_lPT3_lili, .Lfunc_end140-_ZL20rocblas_gemvt_kernelILb1ELi256E19rocblas_complex_numIfEPKS1_S1_EviiT2_lPKT1_lilS7_lilS4_lPT3_lili
                                        ; -- End function
	.set _ZL20rocblas_gemvt_kernelILb1ELi256E19rocblas_complex_numIfEPKS1_S1_EviiT2_lPKT1_lilS7_lilS4_lPT3_lili.num_vgpr, 28
	.set _ZL20rocblas_gemvt_kernelILb1ELi256E19rocblas_complex_numIfEPKS1_S1_EviiT2_lPKT1_lilS7_lilS4_lPT3_lili.num_agpr, 0
	.set _ZL20rocblas_gemvt_kernelILb1ELi256E19rocblas_complex_numIfEPKS1_S1_EviiT2_lPKT1_lilS7_lilS4_lPT3_lili.numbered_sgpr, 52
	.set _ZL20rocblas_gemvt_kernelILb1ELi256E19rocblas_complex_numIfEPKS1_S1_EviiT2_lPKT1_lilS7_lilS4_lPT3_lili.num_named_barrier, 0
	.set _ZL20rocblas_gemvt_kernelILb1ELi256E19rocblas_complex_numIfEPKS1_S1_EviiT2_lPKT1_lilS7_lilS4_lPT3_lili.private_seg_size, 0
	.set _ZL20rocblas_gemvt_kernelILb1ELi256E19rocblas_complex_numIfEPKS1_S1_EviiT2_lPKT1_lilS7_lilS4_lPT3_lili.uses_vcc, 1
	.set _ZL20rocblas_gemvt_kernelILb1ELi256E19rocblas_complex_numIfEPKS1_S1_EviiT2_lPKT1_lilS7_lilS4_lPT3_lili.uses_flat_scratch, 0
	.set _ZL20rocblas_gemvt_kernelILb1ELi256E19rocblas_complex_numIfEPKS1_S1_EviiT2_lPKT1_lilS7_lilS4_lPT3_lili.has_dyn_sized_stack, 0
	.set _ZL20rocblas_gemvt_kernelILb1ELi256E19rocblas_complex_numIfEPKS1_S1_EviiT2_lPKT1_lilS7_lilS4_lPT3_lili.has_recursion, 0
	.set _ZL20rocblas_gemvt_kernelILb1ELi256E19rocblas_complex_numIfEPKS1_S1_EviiT2_lPKT1_lilS7_lilS4_lPT3_lili.has_indirect_call, 0
	.section	.AMDGPU.csdata,"",@progbits
; Kernel info:
; codeLenInByte = 1720
; TotalNumSgprs: 54
; NumVgprs: 28
; ScratchSize: 0
; MemoryBound: 0
; FloatMode: 240
; IeeeMode: 1
; LDSByteSize: 2048 bytes/workgroup (compile time only)
; SGPRBlocks: 0
; VGPRBlocks: 1
; NumSGPRsForWavesPerEU: 54
; NumVGPRsForWavesPerEU: 28
; NamedBarCnt: 0
; Occupancy: 16
; WaveLimiterHint : 0
; COMPUTE_PGM_RSRC2:SCRATCH_EN: 0
; COMPUTE_PGM_RSRC2:USER_SGPR: 2
; COMPUTE_PGM_RSRC2:TRAP_HANDLER: 0
; COMPUTE_PGM_RSRC2:TGID_X_EN: 1
; COMPUTE_PGM_RSRC2:TGID_Y_EN: 0
; COMPUTE_PGM_RSRC2:TGID_Z_EN: 1
; COMPUTE_PGM_RSRC2:TIDIG_COMP_CNT: 0
	.section	.text._ZL20rocblas_gemvt_kernelILb1ELi256E19rocblas_complex_numIfES1_S1_EviiT2_lPKT1_lilS5_lilS2_lPT3_lili,"axG",@progbits,_ZL20rocblas_gemvt_kernelILb1ELi256E19rocblas_complex_numIfES1_S1_EviiT2_lPKT1_lilS5_lilS2_lPT3_lili,comdat
	.globl	_ZL20rocblas_gemvt_kernelILb1ELi256E19rocblas_complex_numIfES1_S1_EviiT2_lPKT1_lilS5_lilS2_lPT3_lili ; -- Begin function _ZL20rocblas_gemvt_kernelILb1ELi256E19rocblas_complex_numIfES1_S1_EviiT2_lPKT1_lilS5_lilS2_lPT3_lili
	.p2align	8
	.type	_ZL20rocblas_gemvt_kernelILb1ELi256E19rocblas_complex_numIfES1_S1_EviiT2_lPKT1_lilS5_lilS2_lPT3_lili,@function
_ZL20rocblas_gemvt_kernelILb1ELi256E19rocblas_complex_numIfES1_S1_EviiT2_lPKT1_lilS5_lilS2_lPT3_lili: ; @_ZL20rocblas_gemvt_kernelILb1ELi256E19rocblas_complex_numIfES1_S1_EviiT2_lPKT1_lilS5_lilS2_lPT3_lili
; %bb.0:
	s_load_b32 s33, s[0:1], 0x88
	s_bfe_u32 s2, ttmp6, 0x40014
	s_lshr_b32 s3, ttmp7, 16
	s_add_co_i32 s2, s2, 1
	s_bfe_u32 s4, ttmp6, 0x40008
	s_mul_i32 s2, s3, s2
	s_getreg_b32 s11, hwreg(HW_REG_IB_STS2, 6, 4)
	s_add_co_i32 s4, s4, s2
	s_cmp_eq_u32 s11, 0
	s_mov_b32 s25, 0
	s_cselect_b32 s24, s3, s4
	s_wait_kmcnt 0x0
	s_cmp_ge_u32 s24, s33
	s_cbranch_scc1 .LBB141_39
; %bb.1:
	s_clause 0x8
	s_load_b32 s2, s[0:1], 0x28
	s_load_b96 s[8:10], s[0:1], 0x40
	s_load_b32 s34, s[0:1], 0x78
	s_load_b128 s[4:7], s[0:1], 0x68
	s_load_b128 s[20:23], s[0:1], 0x18
	s_load_b64 s[26:27], s[0:1], 0x8
	s_load_b128 s[12:15], s[0:1], 0x50
	s_load_b64 s[28:29], s[0:1], 0x80
	s_load_b128 s[16:19], s[0:1], 0x30
	v_lshlrev_b32_e32 v16, 3, v0
	s_wait_kmcnt 0x0
	s_ashr_i32 s3, s2, 31
	s_ashr_i32 s37, s10, 31
	;; [unrolled: 1-line block ×3, first 2 shown]
	s_lshl_b64 s[38:39], s[8:9], 3
	s_lshl_b64 s[6:7], s[6:7], 3
	;; [unrolled: 1-line block ×3, first 2 shown]
	s_cmp_neq_f32 s27, 0
	s_mov_b32 s36, s10
	s_cselect_b32 s8, -1, 0
	s_cmp_neq_f32 s26, 0
	s_cselect_b32 s9, -1, 0
	s_delay_alu instid0(SALU_CYCLE_1)
	s_or_b32 s42, s9, s8
	s_cmp_neq_f32 s14, 1.0
	s_load_b32 s8, s[0:1], 0x0
	s_cselect_b32 s43, -1, 0
	s_cmp_neq_f32 s15, 0
	s_cselect_b32 s46, -1, 0
	s_or_b32 s9, s26, s27
	s_delay_alu instid0(SALU_CYCLE_1) | instskip(NEXT) | instid1(SALU_CYCLE_1)
	s_bitset0_b32 s9, 31
	s_cmp_eq_u32 s9, 0
	s_cselect_b32 s9, -1, 0
	s_cmp_neq_f32 s14, 0
	s_wait_xcnt 0x0
	s_cselect_b32 s0, -1, 0
	s_bfe_u32 s1, ttmp6, 0x4000c
	s_and_b32 s10, ttmp6, 15
	s_add_co_i32 s1, s1, 1
	s_or_b32 s44, s0, s46
	s_mul_i32 s1, ttmp9, s1
	s_wait_kmcnt 0x0
	v_cmp_gt_i32_e32 vcc_lo, s8, v0
	s_add_co_i32 s0, s10, s1
	s_cmp_eq_u32 s11, 0
	s_add_nc_u64 s[10:11], s[18:19], s[38:39]
	s_cselect_b32 s38, ttmp9, s0
	s_ashr_i32 s0, s8, 31
	v_dual_mov_b32 v3, 0 :: v_dual_cndmask_b32 v2, 0, v0
	s_add_nc_u64 s[18:19], s[4:5], s[6:7]
	s_lshr_b32 s4, s0, 24
	s_ashr_i32 s39, s38, 31
	s_add_co_i32 s4, s8, s4
	v_dual_mov_b32 v1, v3 :: v_dual_lshlrev_b32 v2, 3, v2
	s_and_b32 s22, s4, 0xffffff00
	s_mul_u64 s[2:3], s[2:3], s[38:39]
	v_or_b32_e32 v10, s22, v0
	s_delay_alu instid0(VALU_DEP_2)
	v_mul_u64_e32 v[8:9], s[36:37], v[0:1]
	s_mul_u64 s[40:41], s[34:35], s[38:39]
	s_lshl_b64 s[34:35], s[2:3], 3
	s_add_nc_u64 s[0:1], s[20:21], s[30:31]
	v_ashrrev_i32_e32 v11, 31, v10
	s_add_nc_u64 s[30:31], s[34:35], s[30:31]
	v_add_nc_u64_e32 v[4:5], s[0:1], v[2:3]
	s_add_nc_u64 s[30:31], s[20:21], s[30:31]
	v_cmp_gt_i32_e64 s1, s8, v10
	v_mul_u64_e32 v[6:7], s[36:37], v[10:11]
	v_add_nc_u64_e32 v[10:11], s[30:31], v[2:3]
	v_cmp_eq_u32_e64 s0, 0, v0
	s_cmp_gt_i32 s8, 0xff
	v_add_nc_u64_e32 v[4:5], s[34:35], v[4:5]
	v_cmp_gt_u32_e64 s2, 0x80, v0
	v_cmp_gt_u32_e64 s3, 64, v0
	;; [unrolled: 1-line block ×7, first 2 shown]
	s_cselect_b32 s45, -1, 0
	s_or_b32 s38, s42, s43
	s_ashr_i32 s23, s22, 31
	s_mov_b32 s20, s26
	s_mov_b32 s21, s26
	;; [unrolled: 1-line block ×5, first 2 shown]
	s_lshl_b64 s[34:35], s[12:13], 3
	s_or_b32 s46, s38, s46
	s_lshl_b64 s[36:37], s[36:37], 11
	v_lshl_add_u64 v[0:1], v[8:9], 3, s[10:11]
	v_add_nc_u64_e32 v[8:9], 4, v[10:11]
	s_lshl_b64 s[38:39], s[16:17], 3
	s_lshl_b64 s[40:41], s[40:41], 3
	s_branch .LBB141_5
.LBB141_2:                              ;   in Loop: Header=BB141_5 Depth=1
	s_delay_alu instid0(VALU_DEP_1)
	v_mov_b32_e32 v11, v13
	global_store_b64 v3, v[10:11], s[42:43]
.LBB141_3:                              ;   in Loop: Header=BB141_5 Depth=1
	s_wait_xcnt 0x0
	s_or_b32 exec_lo, exec_lo, s47
.LBB141_4:                              ;   in Loop: Header=BB141_5 Depth=1
	s_add_co_i32 s24, s24, 0x10000
	s_delay_alu instid0(SALU_CYCLE_1)
	s_cmp_lt_u32 s24, s33
	s_cbranch_scc0 .LBB141_39
.LBB141_5:                              ; =>This Loop Header: Depth=1
                                        ;     Child Loop BB141_16 Depth 2
	s_and_not1_b32 vcc_lo, exec_lo, s46
	s_cbranch_vccnz .LBB141_4
; %bb.6:                                ;   in Loop: Header=BB141_5 Depth=1
	s_mul_u64 s[42:43], s[28:29], s[24:25]
	s_and_not1_b32 vcc_lo, exec_lo, s9
	s_lshl_b64 s[42:43], s[42:43], 3
	s_mov_b32 s47, -1
	s_add_nc_u64 s[42:43], s[18:19], s[42:43]
	s_cbranch_vccnz .LBB141_13
; %bb.7:                                ;   in Loop: Header=BB141_5 Depth=1
	s_and_saveexec_b32 s47, s0
	s_cbranch_execz .LBB141_12
; %bb.8:                                ;   in Loop: Header=BB141_5 Depth=1
	s_and_not1_b32 vcc_lo, exec_lo, s44
	s_cbranch_vccnz .LBB141_10
; %bb.9:                                ;   in Loop: Header=BB141_5 Depth=1
	s_add_nc_u64 s[48:49], s[42:43], s[40:41]
	v_mov_b64_e32 v[12:13], s[30:31]
	global_load_b64 v[10:11], v3, s[48:49]
	v_mov_b64_e32 v[14:15], s[14:15]
	s_wait_loadcnt 0x0
	v_pk_mul_f32 v[12:13], v[12:13], v[10:11] op_sel:[0,1]
	s_delay_alu instid0(VALU_DEP_1) | instskip(SKIP_1) | instid1(VALU_DEP_2)
	v_pk_fma_f32 v[18:19], v[14:15], v[10:11], v[12:13] op_sel_hi:[1,0,1]
	v_pk_fma_f32 v[10:11], v[14:15], v[10:11], v[12:13] neg_lo:[0,0,1] neg_hi:[0,0,1]
	v_mov_b32_e32 v11, v19
	s_branch .LBB141_11
.LBB141_10:                             ;   in Loop: Header=BB141_5 Depth=1
	v_dual_mov_b32 v11, 0 :: v_dual_mov_b32 v10, 0
.LBB141_11:                             ;   in Loop: Header=BB141_5 Depth=1
	s_wait_xcnt 0x0
	s_add_nc_u64 s[48:49], s[42:43], s[40:41]
	global_store_b64 v3, v[10:11], s[48:49]
.LBB141_12:                             ;   in Loop: Header=BB141_5 Depth=1
	s_wait_xcnt 0x0
	s_or_b32 exec_lo, exec_lo, s47
	s_mov_b32 s47, 0
.LBB141_13:                             ;   in Loop: Header=BB141_5 Depth=1
	s_delay_alu instid0(SALU_CYCLE_1)
	s_and_not1_b32 vcc_lo, exec_lo, s47
	s_cbranch_vccnz .LBB141_4
; %bb.14:                               ;   in Loop: Header=BB141_5 Depth=1
	s_and_not1_b32 vcc_lo, exec_lo, s45
	s_cbranch_vccnz .LBB141_38
; %bb.15:                               ;   in Loop: Header=BB141_5 Depth=1
	v_mad_nc_u64_u32 v[12:13], s34, s24, v[0:1]
	v_mad_nc_u64_u32 v[14:15], s38, s24, v[8:9]
	v_mov_b32_e32 v10, 0
	s_mov_b32 s47, 0
	s_delay_alu instid0(VALU_DEP_1) | instskip(NEXT) | instid1(VALU_DEP_4)
	v_mov_b32_e32 v11, v10
	v_mad_u32 v13, s35, s24, v13
	s_delay_alu instid0(VALU_DEP_4)
	v_mad_u32 v15, s39, s24, v15
.LBB141_16:                             ;   Parent Loop BB141_5 Depth=1
                                        ; =>  This Inner Loop Header: Depth=2
	global_load_b64 v[18:19], v[14:15], off offset:-4
	global_load_b64 v[20:21], v[12:13], off
	s_wait_xcnt 0x0
	v_add_nc_u64_e32 v[12:13], s[36:37], v[12:13]
	v_add_nc_u64_e32 v[14:15], 0x800, v[14:15]
	s_addk_co_i32 s47, 0x100
	s_delay_alu instid0(SALU_CYCLE_1) | instskip(SKIP_2) | instid1(VALU_DEP_1)
	s_cmp_ge_i32 s47, s22
	s_wait_loadcnt 0x0
	v_pk_mul_f32 v[22:23], v[18:19], v[20:21] op_sel:[1,1] op_sel_hi:[1,0]
	v_pk_fma_f32 v[24:25], v[18:19], v[20:21], v[22:23] op_sel_hi:[0,1,1] neg_lo:[0,0,1] neg_hi:[0,0,1]
	v_pk_fma_f32 v[18:19], v[18:19], v[20:21], v[22:23]
	s_delay_alu instid0(VALU_DEP_2) | instskip(NEXT) | instid1(VALU_DEP_1)
	v_mov_b32_e32 v19, v25
	v_pk_add_f32 v[10:11], v[10:11], v[18:19]
	s_cbranch_scc0 .LBB141_16
; %bb.17:                               ;   in Loop: Header=BB141_5 Depth=1
	s_and_saveexec_b32 s47, s1
	s_cbranch_execz .LBB141_19
.LBB141_18:                             ;   in Loop: Header=BB141_5 Depth=1
	s_mul_u64 s[48:49], s[16:17], s[24:25]
	s_mul_u64 s[50:51], s[12:13], s[24:25]
	v_lshl_add_u64 v[12:13], s[48:49], 3, v[4:5]
	s_lshl_b64 s[48:49], s[50:51], 3
	s_delay_alu instid0(SALU_CYCLE_1) | instskip(NEXT) | instid1(SALU_CYCLE_1)
	s_add_nc_u64 s[48:49], s[10:11], s[48:49]
	v_lshl_add_u64 v[14:15], v[6:7], 3, s[48:49]
	s_delay_alu instid0(VALU_DEP_2)
	v_lshl_add_u64 v[12:13], s[22:23], 3, v[12:13]
	global_load_b64 v[18:19], v[12:13], off
	global_load_b64 v[20:21], v[14:15], off
	s_wait_loadcnt 0x0
	s_wait_xcnt 0x1
	v_pk_mul_f32 v[12:13], v[18:19], v[20:21] op_sel:[1,1] op_sel_hi:[1,0]
	s_wait_xcnt 0x0
	s_delay_alu instid0(VALU_DEP_1) | instskip(SKIP_1) | instid1(VALU_DEP_2)
	v_pk_fma_f32 v[14:15], v[18:19], v[20:21], v[12:13] op_sel_hi:[0,1,1] neg_lo:[0,0,1] neg_hi:[0,0,1]
	v_pk_fma_f32 v[12:13], v[18:19], v[20:21], v[12:13]
	v_mov_b32_e32 v13, v15
	s_delay_alu instid0(VALU_DEP_1)
	v_pk_add_f32 v[10:11], v[10:11], v[12:13]
.LBB141_19:                             ;   in Loop: Header=BB141_5 Depth=1
	s_or_b32 exec_lo, exec_lo, s47
	ds_store_b64 v16, v[10:11]
	s_wait_storecnt_dscnt 0x0
	s_barrier_signal -1
	s_barrier_wait -1
	s_and_saveexec_b32 s47, s2
	s_cbranch_execz .LBB141_21
; %bb.20:                               ;   in Loop: Header=BB141_5 Depth=1
	ds_load_2addr_stride64_b64 v[10:13], v16 offset1:2
	s_wait_dscnt 0x0
	v_pk_add_f32 v[10:11], v[12:13], v[10:11]
	ds_store_b64 v16, v[10:11]
.LBB141_21:                             ;   in Loop: Header=BB141_5 Depth=1
	s_or_b32 exec_lo, exec_lo, s47
	s_wait_dscnt 0x0
	s_barrier_signal -1
	s_barrier_wait -1
	s_and_saveexec_b32 s47, s3
	s_cbranch_execz .LBB141_23
; %bb.22:                               ;   in Loop: Header=BB141_5 Depth=1
	ds_load_2addr_stride64_b64 v[10:13], v16 offset1:1
	s_wait_dscnt 0x0
	v_pk_add_f32 v[10:11], v[12:13], v[10:11]
	ds_store_b64 v16, v[10:11]
.LBB141_23:                             ;   in Loop: Header=BB141_5 Depth=1
	s_or_b32 exec_lo, exec_lo, s47
	s_wait_dscnt 0x0
	s_barrier_signal -1
	s_barrier_wait -1
	s_and_saveexec_b32 s47, s4
	s_cbranch_execz .LBB141_25
; %bb.24:                               ;   in Loop: Header=BB141_5 Depth=1
	ds_load_2addr_b64 v[10:13], v16 offset1:32
	s_wait_dscnt 0x0
	v_pk_add_f32 v[10:11], v[12:13], v[10:11]
	ds_store_b64 v16, v[10:11]
.LBB141_25:                             ;   in Loop: Header=BB141_5 Depth=1
	s_or_b32 exec_lo, exec_lo, s47
	s_wait_dscnt 0x0
	s_barrier_signal -1
	s_barrier_wait -1
	s_and_saveexec_b32 s47, s5
	s_cbranch_execz .LBB141_27
; %bb.26:                               ;   in Loop: Header=BB141_5 Depth=1
	ds_load_2addr_b64 v[10:13], v16 offset1:16
	s_wait_dscnt 0x0
	v_pk_add_f32 v[10:11], v[12:13], v[10:11]
	ds_store_b64 v16, v[10:11]
.LBB141_27:                             ;   in Loop: Header=BB141_5 Depth=1
	;; [unrolled: 12-line block ×5, first 2 shown]
	s_or_b32 exec_lo, exec_lo, s47
	s_wait_dscnt 0x0
	s_barrier_signal -1
	s_barrier_wait -1
	s_and_saveexec_b32 s47, s0
	s_cbranch_execz .LBB141_35
; %bb.34:                               ;   in Loop: Header=BB141_5 Depth=1
	ds_load_b128 v[10:13], v3
	s_wait_dscnt 0x0
	v_pk_add_f32 v[10:11], v[12:13], v[10:11]
	ds_store_b64 v3, v[10:11]
.LBB141_35:                             ;   in Loop: Header=BB141_5 Depth=1
	s_or_b32 exec_lo, exec_lo, s47
	s_wait_dscnt 0x0
	s_barrier_signal -1
	s_barrier_wait -1
	s_and_saveexec_b32 s47, s0
	s_cbranch_execz .LBB141_3
; %bb.36:                               ;   in Loop: Header=BB141_5 Depth=1
	ds_load_b64 v[12:13], v3
	v_mov_b64_e32 v[10:11], s[26:27]
	v_mov_b64_e32 v[14:15], s[20:21]
	s_and_not1_b32 vcc_lo, exec_lo, s44
	s_add_nc_u64 s[42:43], s[42:43], s[40:41]
	s_wait_dscnt 0x0
	s_delay_alu instid0(VALU_DEP_2) | instskip(NEXT) | instid1(VALU_DEP_1)
	v_pk_mul_f32 v[18:19], v[12:13], v[10:11] op_sel:[1,0] op_sel_hi:[0,1]
	v_pk_fma_f32 v[10:11], v[12:13], v[14:15], v[18:19] neg_lo:[0,0,1] neg_hi:[0,0,1]
	v_pk_fma_f32 v[12:13], v[12:13], v[14:15], v[18:19]
	s_cbranch_vccnz .LBB141_2
; %bb.37:                               ;   in Loop: Header=BB141_5 Depth=1
	global_load_b64 v[14:15], v3, s[42:43]
	v_mov_b64_e32 v[18:19], s[30:31]
	v_mov_b64_e32 v[20:21], s[14:15]
	s_wait_loadcnt 0x0
	s_delay_alu instid0(VALU_DEP_2) | instskip(NEXT) | instid1(VALU_DEP_1)
	v_pk_mul_f32 v[18:19], v[18:19], v[14:15] op_sel:[0,1]
	v_pk_fma_f32 v[22:23], v[20:21], v[14:15], v[18:19] op_sel_hi:[1,0,1]
	v_mov_b32_e32 v11, v13
	v_pk_fma_f32 v[12:13], v[20:21], v[14:15], v[18:19] neg_lo:[0,0,1] neg_hi:[0,0,1]
	s_delay_alu instid0(VALU_DEP_3) | instskip(NEXT) | instid1(VALU_DEP_1)
	v_mov_b32_e32 v13, v23
	v_pk_add_f32 v[10:11], v[10:11], v[12:13]
	s_delay_alu instid0(VALU_DEP_1)
	v_mov_b32_e32 v13, v11
	s_branch .LBB141_2
.LBB141_38:                             ;   in Loop: Header=BB141_5 Depth=1
	v_mov_b64_e32 v[10:11], 0
	s_and_saveexec_b32 s47, s1
	s_cbranch_execnz .LBB141_18
	s_branch .LBB141_19
.LBB141_39:
	s_endpgm
	.section	.rodata,"a",@progbits
	.p2align	6, 0x0
	.amdhsa_kernel _ZL20rocblas_gemvt_kernelILb1ELi256E19rocblas_complex_numIfES1_S1_EviiT2_lPKT1_lilS5_lilS2_lPT3_lili
		.amdhsa_group_segment_fixed_size 2048
		.amdhsa_private_segment_fixed_size 0
		.amdhsa_kernarg_size 140
		.amdhsa_user_sgpr_count 2
		.amdhsa_user_sgpr_dispatch_ptr 0
		.amdhsa_user_sgpr_queue_ptr 0
		.amdhsa_user_sgpr_kernarg_segment_ptr 1
		.amdhsa_user_sgpr_dispatch_id 0
		.amdhsa_user_sgpr_kernarg_preload_length 0
		.amdhsa_user_sgpr_kernarg_preload_offset 0
		.amdhsa_user_sgpr_private_segment_size 0
		.amdhsa_wavefront_size32 1
		.amdhsa_uses_dynamic_stack 0
		.amdhsa_enable_private_segment 0
		.amdhsa_system_sgpr_workgroup_id_x 1
		.amdhsa_system_sgpr_workgroup_id_y 0
		.amdhsa_system_sgpr_workgroup_id_z 1
		.amdhsa_system_sgpr_workgroup_info 0
		.amdhsa_system_vgpr_workitem_id 0
		.amdhsa_next_free_vgpr 26
		.amdhsa_next_free_sgpr 52
		.amdhsa_named_barrier_count 0
		.amdhsa_reserve_vcc 1
		.amdhsa_float_round_mode_32 0
		.amdhsa_float_round_mode_16_64 0
		.amdhsa_float_denorm_mode_32 3
		.amdhsa_float_denorm_mode_16_64 3
		.amdhsa_fp16_overflow 0
		.amdhsa_memory_ordered 1
		.amdhsa_forward_progress 1
		.amdhsa_inst_pref_size 14
		.amdhsa_round_robin_scheduling 0
		.amdhsa_exception_fp_ieee_invalid_op 0
		.amdhsa_exception_fp_denorm_src 0
		.amdhsa_exception_fp_ieee_div_zero 0
		.amdhsa_exception_fp_ieee_overflow 0
		.amdhsa_exception_fp_ieee_underflow 0
		.amdhsa_exception_fp_ieee_inexact 0
		.amdhsa_exception_int_div_zero 0
	.end_amdhsa_kernel
	.section	.text._ZL20rocblas_gemvt_kernelILb1ELi256E19rocblas_complex_numIfES1_S1_EviiT2_lPKT1_lilS5_lilS2_lPT3_lili,"axG",@progbits,_ZL20rocblas_gemvt_kernelILb1ELi256E19rocblas_complex_numIfES1_S1_EviiT2_lPKT1_lilS5_lilS2_lPT3_lili,comdat
.Lfunc_end141:
	.size	_ZL20rocblas_gemvt_kernelILb1ELi256E19rocblas_complex_numIfES1_S1_EviiT2_lPKT1_lilS5_lilS2_lPT3_lili, .Lfunc_end141-_ZL20rocblas_gemvt_kernelILb1ELi256E19rocblas_complex_numIfES1_S1_EviiT2_lPKT1_lilS5_lilS2_lPT3_lili
                                        ; -- End function
	.set _ZL20rocblas_gemvt_kernelILb1ELi256E19rocblas_complex_numIfES1_S1_EviiT2_lPKT1_lilS5_lilS2_lPT3_lili.num_vgpr, 26
	.set _ZL20rocblas_gemvt_kernelILb1ELi256E19rocblas_complex_numIfES1_S1_EviiT2_lPKT1_lilS5_lilS2_lPT3_lili.num_agpr, 0
	.set _ZL20rocblas_gemvt_kernelILb1ELi256E19rocblas_complex_numIfES1_S1_EviiT2_lPKT1_lilS5_lilS2_lPT3_lili.numbered_sgpr, 52
	.set _ZL20rocblas_gemvt_kernelILb1ELi256E19rocblas_complex_numIfES1_S1_EviiT2_lPKT1_lilS5_lilS2_lPT3_lili.num_named_barrier, 0
	.set _ZL20rocblas_gemvt_kernelILb1ELi256E19rocblas_complex_numIfES1_S1_EviiT2_lPKT1_lilS5_lilS2_lPT3_lili.private_seg_size, 0
	.set _ZL20rocblas_gemvt_kernelILb1ELi256E19rocblas_complex_numIfES1_S1_EviiT2_lPKT1_lilS5_lilS2_lPT3_lili.uses_vcc, 1
	.set _ZL20rocblas_gemvt_kernelILb1ELi256E19rocblas_complex_numIfES1_S1_EviiT2_lPKT1_lilS5_lilS2_lPT3_lili.uses_flat_scratch, 0
	.set _ZL20rocblas_gemvt_kernelILb1ELi256E19rocblas_complex_numIfES1_S1_EviiT2_lPKT1_lilS5_lilS2_lPT3_lili.has_dyn_sized_stack, 0
	.set _ZL20rocblas_gemvt_kernelILb1ELi256E19rocblas_complex_numIfES1_S1_EviiT2_lPKT1_lilS5_lilS2_lPT3_lili.has_recursion, 0
	.set _ZL20rocblas_gemvt_kernelILb1ELi256E19rocblas_complex_numIfES1_S1_EviiT2_lPKT1_lilS5_lilS2_lPT3_lili.has_indirect_call, 0
	.section	.AMDGPU.csdata,"",@progbits
; Kernel info:
; codeLenInByte = 1680
; TotalNumSgprs: 54
; NumVgprs: 26
; ScratchSize: 0
; MemoryBound: 0
; FloatMode: 240
; IeeeMode: 1
; LDSByteSize: 2048 bytes/workgroup (compile time only)
; SGPRBlocks: 0
; VGPRBlocks: 1
; NumSGPRsForWavesPerEU: 54
; NumVGPRsForWavesPerEU: 26
; NamedBarCnt: 0
; Occupancy: 16
; WaveLimiterHint : 1
; COMPUTE_PGM_RSRC2:SCRATCH_EN: 0
; COMPUTE_PGM_RSRC2:USER_SGPR: 2
; COMPUTE_PGM_RSRC2:TRAP_HANDLER: 0
; COMPUTE_PGM_RSRC2:TGID_X_EN: 1
; COMPUTE_PGM_RSRC2:TGID_Y_EN: 0
; COMPUTE_PGM_RSRC2:TGID_Z_EN: 1
; COMPUTE_PGM_RSRC2:TIDIG_COMP_CNT: 0
	.section	.text._ZL32rocblas_gemvt_warp_reduce_kernelILb1ELi1024Ei19rocblas_complex_numIfEPKS1_S1_EviiT3_lPKT2_lT1_lS7_lS8_lS4_lPT4_lS8_li,"axG",@progbits,_ZL32rocblas_gemvt_warp_reduce_kernelILb1ELi1024Ei19rocblas_complex_numIfEPKS1_S1_EviiT3_lPKT2_lT1_lS7_lS8_lS4_lPT4_lS8_li,comdat
	.globl	_ZL32rocblas_gemvt_warp_reduce_kernelILb1ELi1024Ei19rocblas_complex_numIfEPKS1_S1_EviiT3_lPKT2_lT1_lS7_lS8_lS4_lPT4_lS8_li ; -- Begin function _ZL32rocblas_gemvt_warp_reduce_kernelILb1ELi1024Ei19rocblas_complex_numIfEPKS1_S1_EviiT3_lPKT2_lT1_lS7_lS8_lS4_lPT4_lS8_li
	.p2align	8
	.type	_ZL32rocblas_gemvt_warp_reduce_kernelILb1ELi1024Ei19rocblas_complex_numIfEPKS1_S1_EviiT3_lPKT2_lT1_lS7_lS8_lS4_lPT4_lS8_li,@function
_ZL32rocblas_gemvt_warp_reduce_kernelILb1ELi1024Ei19rocblas_complex_numIfEPKS1_S1_EviiT3_lPKT2_lT1_lS7_lS8_lS4_lPT4_lS8_li: ; @_ZL32rocblas_gemvt_warp_reduce_kernelILb1ELi1024Ei19rocblas_complex_numIfEPKS1_S1_EviiT3_lPKT2_lT1_lS7_lS8_lS4_lPT4_lS8_li
; %bb.0:
	s_load_b32 s33, s[0:1], 0x88
	s_bfe_u32 s2, ttmp6, 0x40014
	s_lshr_b32 s3, ttmp7, 16
	s_add_co_i32 s2, s2, 1
	s_bfe_u32 s5, ttmp6, 0x40008
	s_mul_i32 s4, s3, s2
	s_getreg_b32 s2, hwreg(HW_REG_IB_STS2, 6, 4)
	s_add_co_i32 s5, s5, s4
	s_cmp_eq_u32 s2, 0
	s_mov_b32 s35, 0
	s_cselect_b32 s34, s3, s5
	s_wait_kmcnt 0x0
	s_cmp_ge_u32 s34, s33
	s_cbranch_scc1 .LBB142_31
; %bb.1:
	s_clause 0x7
	s_load_b96 s[4:6], s[0:1], 0x40
	s_load_b96 s[28:30], s[0:1], 0x70
	s_load_b256 s[8:15], s[0:1], 0x8
	s_load_b32 s7, s[0:1], 0x0
	s_load_b32 s31, s[0:1], 0x28
	s_load_b128 s[24:27], s[0:1], 0x30
	s_load_b256 s[16:23], s[0:1], 0x50
	s_load_b64 s[36:37], s[0:1], 0x80
	s_wait_xcnt 0x0
	s_bfe_u32 s1, ttmp6, 0x4000c
	s_and_b32 s3, ttmp6, 15
	s_add_co_i32 s1, s1, 1
	v_dual_mov_b32 v3, 0 :: v_dual_bitop2_b32 v10, 31, v0 bitop3:0x40
	s_mul_i32 s1, ttmp9, s1
	v_lshrrev_b32_e32 v12, 2, v0
	s_add_co_i32 s3, s3, s1
	v_cmp_eq_u32_e64 s0, 0, v0
	v_cmp_gt_u32_e64 s1, 32, v0
	v_mbcnt_lo_u32_b32 v21, -1, 0
	s_wait_kmcnt 0x0
	s_lshl_b64 s[4:5], s[4:5], 3
	s_lshl_b64 s[28:29], s[28:29], 3
	;; [unrolled: 1-line block ×3, first 2 shown]
	s_cmp_eq_u32 s2, 0
	v_cmp_gt_i32_e32 vcc_lo, s7, v0
	s_cselect_b32 s40, ttmp9, s3
	s_ashr_i32 s2, s7, 31
	s_add_nc_u64 s[14:15], s[26:27], s[4:5]
	s_lshr_b32 s2, s2, 22
	s_mul_i32 s4, s31, s40
	s_add_co_i32 s2, s7, s2
	s_ashr_i32 s5, s4, 31
	s_and_b32 s26, s2, 0xfffffc00
	s_delay_alu instid0(SALU_CYCLE_1)
	v_dual_cndmask_b32 v1, 0, v0, vcc_lo :: v_dual_bitop2_b32 v5, s26, v0 bitop3:0x54
	s_lshl_b64 s[4:5], s[4:5], 3
	s_add_nc_u64 s[22:23], s[22:23], s[28:29]
	s_mul_i32 s28, s30, s40
	s_add_nc_u64 s[30:31], s[38:39], s[4:5]
	v_mul_lo_u32 v4, s6, v5
	v_lshlrev_b32_e32 v2, 3, v1
	s_add_nc_u64 s[2:3], s[12:13], s[38:39]
	s_add_nc_u64 s[12:13], s[12:13], s[30:31]
	v_mul_lo_u32 v1, v0, s6
	s_ashr_i32 s29, s28, 31
	v_add_nc_u64_e32 v[6:7], s[2:3], v[2:3]
	v_cmp_gt_i32_e64 s3, s7, v5
	v_cmp_gt_i32_e64 s2, s26, v0
	s_ashr_i32 s27, s26, 31
	s_lshl_b32 s38, s6, 10
	v_ashrrev_i32_e32 v5, 31, v4
	v_add_nc_u64_e32 v[8:9], s[12:13], v[2:3]
	v_add_nc_u64_e32 v[6:7], s[4:5], v[6:7]
	v_lshlrev_b32_e32 v2, 3, v10
	v_cmp_eq_u32_e64 s4, 0, v10
	v_mov_b64_e32 v[10:11], 0
	v_and_b32_e32 v20, 0xf8, v12
	s_lshl_b64 s[12:13], s[24:25], 3
	v_add_nc_u64_e32 v[8:9], 4, v[8:9]
	s_lshl_b64 s[28:29], s[28:29], 3
	s_branch .LBB142_5
.LBB142_2:                              ;   in Loop: Header=BB142_5 Depth=1
	s_delay_alu instid0(VALU_DEP_1)
	v_mov_b32_e32 v19, v15
	global_store_b64 v3, v[18:19], s[6:7]
.LBB142_3:                              ;   in Loop: Header=BB142_5 Depth=1
	s_wait_xcnt 0x0
	s_or_b32 exec_lo, exec_lo, s30
.LBB142_4:                              ;   in Loop: Header=BB142_5 Depth=1
	s_add_co_i32 s34, s34, 0x10000
	s_delay_alu instid0(SALU_CYCLE_1)
	s_cmp_lt_u32 s34, s33
	s_cbranch_scc0 .LBB142_31
.LBB142_5:                              ; =>This Loop Header: Depth=1
                                        ;     Child Loop BB142_24 Depth 2
	s_mul_u64 s[6:7], s[10:11], s[34:35]
	s_wait_xcnt 0x0
	s_mul_u64 s[30:31], s[20:21], s[34:35]
	s_lshl_b64 s[6:7], s[6:7], 3
	s_lshl_b64 s[30:31], s[30:31], 3
	s_add_nc_u64 s[6:7], s[8:9], s[6:7]
	s_add_nc_u64 s[30:31], s[18:19], s[30:31]
	s_clause 0x1
	global_load_b64 v[14:15], v3, s[6:7]
	global_load_b64 v[12:13], v3, s[30:31]
	s_wait_loadcnt 0x1
	v_cmp_eq_f32_e32 vcc_lo, 0, v14
	v_cmp_eq_f32_e64 s5, 0, v15
	s_wait_loadcnt 0x0
	s_wait_xcnt 0x1
	v_cmp_eq_f32_e64 s6, 1.0, v12
	v_cmp_eq_f32_e64 s7, 0, v13
	s_and_b32 s5, vcc_lo, s5
	s_and_b32 s6, s6, s7
	s_delay_alu instid0(SALU_CYCLE_1) | instskip(NEXT) | instid1(SALU_CYCLE_1)
	s_and_b32 s5, s5, s6
	s_and_b32 vcc_lo, exec_lo, s5
	s_cbranch_vccnz .LBB142_4
; %bb.6:                                ;   in Loop: Header=BB142_5 Depth=1
	s_wait_dscnt 0x0
	v_or_b32_e32 v16, v14, v15
	s_mul_u64 s[6:7], s[36:37], s[34:35]
	s_mov_b32 s5, -1
	s_lshl_b64 s[6:7], s[6:7], 3
	s_delay_alu instid0(SALU_CYCLE_1) | instskip(SKIP_1) | instid1(VALU_DEP_1)
	s_add_nc_u64 s[6:7], s[22:23], s[6:7]
	v_and_b32_e32 v16, 0x7fffffff, v16
	v_cmp_ne_u32_e32 vcc_lo, 0, v16
	s_cbranch_vccnz .LBB142_13
; %bb.7:                                ;   in Loop: Header=BB142_5 Depth=1
	s_wait_xcnt 0x0
	s_and_saveexec_b32 s39, s0
	s_cbranch_execz .LBB142_12
; %bb.8:                                ;   in Loop: Header=BB142_5 Depth=1
	v_cmp_neq_f32_e32 vcc_lo, 0, v12
	v_cmp_neq_f32_e64 s5, 0, v13
	s_add_nc_u64 s[30:31], s[6:7], s[28:29]
	s_or_b32 s5, vcc_lo, s5
	s_delay_alu instid0(SALU_CYCLE_1)
	s_and_not1_b32 vcc_lo, exec_lo, s5
	s_cbranch_vccnz .LBB142_10
; %bb.9:                                ;   in Loop: Header=BB142_5 Depth=1
	global_load_b64 v[16:17], v3, s[30:31]
	s_wait_loadcnt 0x0
	v_pk_mul_f32 v[18:19], v[12:13], v[16:17] op_sel:[1,1] op_sel_hi:[0,1]
	s_delay_alu instid0(VALU_DEP_1) | instskip(SKIP_1) | instid1(VALU_DEP_2)
	v_pk_fma_f32 v[22:23], v[12:13], v[16:17], v[18:19] op_sel_hi:[1,0,1]
	v_pk_fma_f32 v[16:17], v[12:13], v[16:17], v[18:19] neg_lo:[0,0,1] neg_hi:[0,0,1]
	v_mov_b32_e32 v17, v23
	s_branch .LBB142_11
.LBB142_10:                             ;   in Loop: Header=BB142_5 Depth=1
	v_dual_mov_b32 v17, 0 :: v_dual_mov_b32 v16, 0
.LBB142_11:                             ;   in Loop: Header=BB142_5 Depth=1
	global_store_b64 v3, v[16:17], s[30:31]
.LBB142_12:                             ;   in Loop: Header=BB142_5 Depth=1
	s_wait_xcnt 0x0
	s_or_b32 exec_lo, exec_lo, s39
	s_mov_b32 s5, 0
.LBB142_13:                             ;   in Loop: Header=BB142_5 Depth=1
	s_delay_alu instid0(SALU_CYCLE_1)
	s_and_not1_b32 vcc_lo, exec_lo, s5
	s_cbranch_vccnz .LBB142_4
; %bb.14:                               ;   in Loop: Header=BB142_5 Depth=1
	v_mov_b64_e32 v[16:17], 0
	s_wait_xcnt 0x0
	s_mul_u64 s[30:31], s[16:17], s[34:35]
	s_delay_alu instid0(SALU_CYCLE_1) | instskip(NEXT) | instid1(SALU_CYCLE_1)
	s_lshl_b64 s[30:31], s[30:31], 3
	s_add_nc_u64 s[30:31], s[14:15], s[30:31]
	s_and_saveexec_b32 s5, s2
	s_cbranch_execnz .LBB142_23
; %bb.15:                               ;   in Loop: Header=BB142_5 Depth=1
	s_or_b32 exec_lo, exec_lo, s5
	s_and_saveexec_b32 s5, s3
	s_cbranch_execnz .LBB142_26
.LBB142_16:                             ;   in Loop: Header=BB142_5 Depth=1
	s_or_b32 exec_lo, exec_lo, s5
	s_and_saveexec_b32 s5, s1
.LBB142_17:                             ;   in Loop: Header=BB142_5 Depth=1
	ds_store_b64 v2, v[10:11]
.LBB142_18:                             ;   in Loop: Header=BB142_5 Depth=1
	s_or_b32 exec_lo, exec_lo, s5
	v_lshl_or_b32 v22, v21, 2, 64
	v_cmp_gt_u32_e32 vcc_lo, 24, v21
	s_wait_storecnt_dscnt 0x0
	s_barrier_signal -1
	s_barrier_wait -1
	ds_bpermute_b32 v18, v22, v16
	ds_bpermute_b32 v19, v22, v17
	v_cndmask_b32_e64 v23, 0, 8, vcc_lo
	v_cmp_gt_u32_e32 vcc_lo, 28, v21
	s_wait_dscnt 0x0
	s_delay_alu instid0(VALU_DEP_2) | instskip(SKIP_2) | instid1(VALU_DEP_2)
	v_add_lshl_u32 v23, v23, v21, 2
	v_cndmask_b32_e64 v24, 0, 4, vcc_lo
	v_cmp_gt_u32_e32 vcc_lo, 30, v21
	v_add_lshl_u32 v24, v24, v21, 2
	v_cndmask_b32_e64 v25, 0, 2, vcc_lo
	v_cmp_ne_u32_e32 vcc_lo, 31, v21
	s_delay_alu instid0(VALU_DEP_2) | instskip(SKIP_2) | instid1(VALU_DEP_2)
	v_add_lshl_u32 v25, v25, v21, 2
	v_add_co_ci_u32_e64 v26, null, 0, v21, vcc_lo
	v_pk_add_f32 v[16:17], v[16:17], v[18:19]
	v_lshlrev_b32_e32 v26, 2, v26
	ds_bpermute_b32 v18, v23, v16
	ds_bpermute_b32 v19, v23, v17
	s_wait_dscnt 0x0
	v_pk_add_f32 v[16:17], v[16:17], v[18:19]
	ds_bpermute_b32 v18, v24, v16
	ds_bpermute_b32 v19, v24, v17
	s_wait_dscnt 0x0
	v_pk_add_f32 v[16:17], v[16:17], v[18:19]
	;; [unrolled: 4-line block ×3, first 2 shown]
	ds_bpermute_b32 v18, v26, v16
	ds_bpermute_b32 v19, v26, v17
	s_and_saveexec_b32 s5, s4
	s_cbranch_execz .LBB142_20
; %bb.19:                               ;   in Loop: Header=BB142_5 Depth=1
	s_wait_dscnt 0x0
	v_pk_add_f32 v[16:17], v[16:17], v[18:19]
	ds_store_b64 v20, v[16:17]
.LBB142_20:                             ;   in Loop: Header=BB142_5 Depth=1
	s_or_b32 exec_lo, exec_lo, s5
	v_mov_b64_e32 v[16:17], 0
	s_wait_dscnt 0x0
	s_barrier_signal -1
	s_barrier_wait -1
	s_and_saveexec_b32 s5, s1
	s_cbranch_execnz .LBB142_27
; %bb.21:                               ;   in Loop: Header=BB142_5 Depth=1
	s_or_b32 exec_lo, exec_lo, s5
	s_and_saveexec_b32 s5, s1
	s_cbranch_execnz .LBB142_28
.LBB142_22:                             ;   in Loop: Header=BB142_5 Depth=1
	s_or_b32 exec_lo, exec_lo, s5
	s_and_saveexec_b32 s30, s0
	s_cbranch_execz .LBB142_3
	s_branch .LBB142_29
.LBB142_23:                             ;   in Loop: Header=BB142_5 Depth=1
	v_mad_nc_u64_u32 v[18:19], s12, s34, v[8:9]
	v_dual_mov_b32 v16, 0 :: v_dual_mov_b32 v22, v0
	v_mov_b32_e32 v23, v1
	s_mov_b32 s39, 0
	s_delay_alu instid0(VALU_DEP_2) | instskip(NEXT) | instid1(VALU_DEP_4)
	v_mov_b32_e32 v17, v16
	v_mad_u32 v19, s13, s34, v19
.LBB142_24:                             ;   Parent Loop BB142_5 Depth=1
                                        ; =>  This Inner Loop Header: Depth=2
	global_load_b64 v[24:25], v[18:19], off offset:-4
	global_load_b64 v[26:27], v23, s[30:31] scale_offset
	s_wait_xcnt 0x1
	v_add_nc_u64_e32 v[18:19], 0x2000, v[18:19]
	s_wait_xcnt 0x0
	v_add_nc_u32_e32 v23, s38, v23
	s_wait_loadcnt 0x0
	v_pk_mul_f32 v[28:29], v[24:25], v[26:27] op_sel:[1,1] op_sel_hi:[1,0]
	s_delay_alu instid0(VALU_DEP_1) | instskip(SKIP_2) | instid1(VALU_DEP_3)
	v_pk_fma_f32 v[30:31], v[24:25], v[26:27], v[28:29] op_sel_hi:[0,1,1] neg_lo:[0,0,1] neg_hi:[0,0,1]
	v_add_nc_u32_e32 v22, 0x400, v22
	v_pk_fma_f32 v[24:25], v[24:25], v[26:27], v[28:29]
	v_mov_b32_e32 v25, v31
	s_delay_alu instid0(VALU_DEP_3) | instskip(NEXT) | instid1(VALU_DEP_2)
	v_cmp_le_i32_e32 vcc_lo, s26, v22
	v_pk_add_f32 v[16:17], v[16:17], v[24:25]
	s_or_b32 s39, vcc_lo, s39
	s_delay_alu instid0(SALU_CYCLE_1)
	s_and_not1_b32 exec_lo, exec_lo, s39
	s_cbranch_execnz .LBB142_24
; %bb.25:                               ;   in Loop: Header=BB142_5 Depth=1
	s_or_b32 exec_lo, exec_lo, s39
	s_delay_alu instid0(SALU_CYCLE_1)
	s_or_b32 exec_lo, exec_lo, s5
	s_and_saveexec_b32 s5, s3
	s_cbranch_execz .LBB142_16
.LBB142_26:                             ;   in Loop: Header=BB142_5 Depth=1
	s_mul_u64 s[40:41], s[24:25], s[34:35]
	v_lshl_add_u64 v[22:23], v[4:5], 3, s[30:31]
	v_lshl_add_u64 v[18:19], s[40:41], 3, v[6:7]
	s_delay_alu instid0(VALU_DEP_1)
	v_lshl_add_u64 v[18:19], s[26:27], 3, v[18:19]
	global_load_b64 v[24:25], v[18:19], off
	global_load_b64 v[26:27], v[22:23], off
	s_wait_loadcnt 0x0
	s_wait_xcnt 0x1
	v_pk_mul_f32 v[18:19], v[24:25], v[26:27] op_sel:[1,1] op_sel_hi:[1,0]
	s_wait_xcnt 0x0
	s_delay_alu instid0(VALU_DEP_1) | instskip(SKIP_1) | instid1(VALU_DEP_2)
	v_pk_fma_f32 v[22:23], v[24:25], v[26:27], v[18:19] op_sel_hi:[0,1,1] neg_lo:[0,0,1] neg_hi:[0,0,1]
	v_pk_fma_f32 v[18:19], v[24:25], v[26:27], v[18:19]
	v_mov_b32_e32 v19, v23
	s_delay_alu instid0(VALU_DEP_1)
	v_pk_add_f32 v[16:17], v[16:17], v[18:19]
	s_or_b32 exec_lo, exec_lo, s5
	s_and_saveexec_b32 s5, s1
	s_cbranch_execnz .LBB142_17
	s_branch .LBB142_18
.LBB142_27:                             ;   in Loop: Header=BB142_5 Depth=1
	ds_load_b64 v[16:17], v2
	s_or_b32 exec_lo, exec_lo, s5
	s_and_saveexec_b32 s5, s1
	s_cbranch_execz .LBB142_22
.LBB142_28:                             ;   in Loop: Header=BB142_5 Depth=1
	s_wait_dscnt 0x0
	ds_bpermute_b32 v18, v22, v16
	ds_bpermute_b32 v19, v22, v17
	s_wait_dscnt 0x0
	v_pk_add_f32 v[16:17], v[16:17], v[18:19]
	ds_bpermute_b32 v18, v23, v16
	ds_bpermute_b32 v19, v23, v17
	s_wait_dscnt 0x0
	v_pk_add_f32 v[16:17], v[16:17], v[18:19]
	;; [unrolled: 4-line block ×5, first 2 shown]
	s_or_b32 exec_lo, exec_lo, s5
	s_and_saveexec_b32 s30, s0
	s_cbranch_execz .LBB142_3
.LBB142_29:                             ;   in Loop: Header=BB142_5 Depth=1
	s_wait_dscnt 0x0
	v_pk_mul_f32 v[22:23], v[16:17], v[14:15] op_sel:[1,1] op_sel_hi:[1,0]
	v_cmp_neq_f32_e32 vcc_lo, 0, v12
	v_cmp_neq_f32_e64 s5, 0, v13
	s_add_nc_u64 s[6:7], s[6:7], s[28:29]
	v_pk_fma_f32 v[18:19], v[16:17], v[14:15], v[22:23] op_sel_hi:[0,1,1] neg_lo:[0,0,1] neg_hi:[0,0,1]
	v_pk_fma_f32 v[14:15], v[16:17], v[14:15], v[22:23] op_sel_hi:[0,1,1]
	s_or_b32 s5, vcc_lo, s5
	s_delay_alu instid0(SALU_CYCLE_1)
	s_and_not1_b32 vcc_lo, exec_lo, s5
	s_cbranch_vccnz .LBB142_2
; %bb.30:                               ;   in Loop: Header=BB142_5 Depth=1
	global_load_b64 v[16:17], v3, s[6:7]
	s_wait_loadcnt 0x0
	v_pk_mul_f32 v[22:23], v[12:13], v[16:17] op_sel:[1,1] op_sel_hi:[0,1]
	s_delay_alu instid0(VALU_DEP_1) | instskip(SKIP_1) | instid1(VALU_DEP_2)
	v_pk_fma_f32 v[24:25], v[12:13], v[16:17], v[22:23] op_sel_hi:[1,0,1]
	v_pk_fma_f32 v[12:13], v[12:13], v[16:17], v[22:23] neg_lo:[0,0,1] neg_hi:[0,0,1]
	v_dual_mov_b32 v19, v15 :: v_dual_mov_b32 v13, v25
	s_delay_alu instid0(VALU_DEP_1) | instskip(NEXT) | instid1(VALU_DEP_1)
	v_pk_add_f32 v[18:19], v[18:19], v[12:13]
	v_mov_b32_e32 v15, v19
	s_branch .LBB142_2
.LBB142_31:
	s_endpgm
	.section	.rodata,"a",@progbits
	.p2align	6, 0x0
	.amdhsa_kernel _ZL32rocblas_gemvt_warp_reduce_kernelILb1ELi1024Ei19rocblas_complex_numIfEPKS1_S1_EviiT3_lPKT2_lT1_lS7_lS8_lS4_lPT4_lS8_li
		.amdhsa_group_segment_fixed_size 256
		.amdhsa_private_segment_fixed_size 0
		.amdhsa_kernarg_size 140
		.amdhsa_user_sgpr_count 2
		.amdhsa_user_sgpr_dispatch_ptr 0
		.amdhsa_user_sgpr_queue_ptr 0
		.amdhsa_user_sgpr_kernarg_segment_ptr 1
		.amdhsa_user_sgpr_dispatch_id 0
		.amdhsa_user_sgpr_kernarg_preload_length 0
		.amdhsa_user_sgpr_kernarg_preload_offset 0
		.amdhsa_user_sgpr_private_segment_size 0
		.amdhsa_wavefront_size32 1
		.amdhsa_uses_dynamic_stack 0
		.amdhsa_enable_private_segment 0
		.amdhsa_system_sgpr_workgroup_id_x 1
		.amdhsa_system_sgpr_workgroup_id_y 0
		.amdhsa_system_sgpr_workgroup_id_z 1
		.amdhsa_system_sgpr_workgroup_info 0
		.amdhsa_system_vgpr_workitem_id 0
		.amdhsa_next_free_vgpr 32
		.amdhsa_next_free_sgpr 42
		.amdhsa_named_barrier_count 0
		.amdhsa_reserve_vcc 1
		.amdhsa_float_round_mode_32 0
		.amdhsa_float_round_mode_16_64 0
		.amdhsa_float_denorm_mode_32 3
		.amdhsa_float_denorm_mode_16_64 3
		.amdhsa_fp16_overflow 0
		.amdhsa_memory_ordered 1
		.amdhsa_forward_progress 1
		.amdhsa_inst_pref_size 14
		.amdhsa_round_robin_scheduling 0
		.amdhsa_exception_fp_ieee_invalid_op 0
		.amdhsa_exception_fp_denorm_src 0
		.amdhsa_exception_fp_ieee_div_zero 0
		.amdhsa_exception_fp_ieee_overflow 0
		.amdhsa_exception_fp_ieee_underflow 0
		.amdhsa_exception_fp_ieee_inexact 0
		.amdhsa_exception_int_div_zero 0
	.end_amdhsa_kernel
	.section	.text._ZL32rocblas_gemvt_warp_reduce_kernelILb1ELi1024Ei19rocblas_complex_numIfEPKS1_S1_EviiT3_lPKT2_lT1_lS7_lS8_lS4_lPT4_lS8_li,"axG",@progbits,_ZL32rocblas_gemvt_warp_reduce_kernelILb1ELi1024Ei19rocblas_complex_numIfEPKS1_S1_EviiT3_lPKT2_lT1_lS7_lS8_lS4_lPT4_lS8_li,comdat
.Lfunc_end142:
	.size	_ZL32rocblas_gemvt_warp_reduce_kernelILb1ELi1024Ei19rocblas_complex_numIfEPKS1_S1_EviiT3_lPKT2_lT1_lS7_lS8_lS4_lPT4_lS8_li, .Lfunc_end142-_ZL32rocblas_gemvt_warp_reduce_kernelILb1ELi1024Ei19rocblas_complex_numIfEPKS1_S1_EviiT3_lPKT2_lT1_lS7_lS8_lS4_lPT4_lS8_li
                                        ; -- End function
	.set _ZL32rocblas_gemvt_warp_reduce_kernelILb1ELi1024Ei19rocblas_complex_numIfEPKS1_S1_EviiT3_lPKT2_lT1_lS7_lS8_lS4_lPT4_lS8_li.num_vgpr, 32
	.set _ZL32rocblas_gemvt_warp_reduce_kernelILb1ELi1024Ei19rocblas_complex_numIfEPKS1_S1_EviiT3_lPKT2_lT1_lS7_lS8_lS4_lPT4_lS8_li.num_agpr, 0
	.set _ZL32rocblas_gemvt_warp_reduce_kernelILb1ELi1024Ei19rocblas_complex_numIfEPKS1_S1_EviiT3_lPKT2_lT1_lS7_lS8_lS4_lPT4_lS8_li.numbered_sgpr, 42
	.set _ZL32rocblas_gemvt_warp_reduce_kernelILb1ELi1024Ei19rocblas_complex_numIfEPKS1_S1_EviiT3_lPKT2_lT1_lS7_lS8_lS4_lPT4_lS8_li.num_named_barrier, 0
	.set _ZL32rocblas_gemvt_warp_reduce_kernelILb1ELi1024Ei19rocblas_complex_numIfEPKS1_S1_EviiT3_lPKT2_lT1_lS7_lS8_lS4_lPT4_lS8_li.private_seg_size, 0
	.set _ZL32rocblas_gemvt_warp_reduce_kernelILb1ELi1024Ei19rocblas_complex_numIfEPKS1_S1_EviiT3_lPKT2_lT1_lS7_lS8_lS4_lPT4_lS8_li.uses_vcc, 1
	.set _ZL32rocblas_gemvt_warp_reduce_kernelILb1ELi1024Ei19rocblas_complex_numIfEPKS1_S1_EviiT3_lPKT2_lT1_lS7_lS8_lS4_lPT4_lS8_li.uses_flat_scratch, 0
	.set _ZL32rocblas_gemvt_warp_reduce_kernelILb1ELi1024Ei19rocblas_complex_numIfEPKS1_S1_EviiT3_lPKT2_lT1_lS7_lS8_lS4_lPT4_lS8_li.has_dyn_sized_stack, 0
	.set _ZL32rocblas_gemvt_warp_reduce_kernelILb1ELi1024Ei19rocblas_complex_numIfEPKS1_S1_EviiT3_lPKT2_lT1_lS7_lS8_lS4_lPT4_lS8_li.has_recursion, 0
	.set _ZL32rocblas_gemvt_warp_reduce_kernelILb1ELi1024Ei19rocblas_complex_numIfEPKS1_S1_EviiT3_lPKT2_lT1_lS7_lS8_lS4_lPT4_lS8_li.has_indirect_call, 0
	.section	.AMDGPU.csdata,"",@progbits
; Kernel info:
; codeLenInByte = 1768
; TotalNumSgprs: 44
; NumVgprs: 32
; ScratchSize: 0
; MemoryBound: 0
; FloatMode: 240
; IeeeMode: 1
; LDSByteSize: 256 bytes/workgroup (compile time only)
; SGPRBlocks: 0
; VGPRBlocks: 1
; NumSGPRsForWavesPerEU: 44
; NumVGPRsForWavesPerEU: 32
; NamedBarCnt: 0
; Occupancy: 16
; WaveLimiterHint : 0
; COMPUTE_PGM_RSRC2:SCRATCH_EN: 0
; COMPUTE_PGM_RSRC2:USER_SGPR: 2
; COMPUTE_PGM_RSRC2:TRAP_HANDLER: 0
; COMPUTE_PGM_RSRC2:TGID_X_EN: 1
; COMPUTE_PGM_RSRC2:TGID_Y_EN: 0
; COMPUTE_PGM_RSRC2:TGID_Z_EN: 1
; COMPUTE_PGM_RSRC2:TIDIG_COMP_CNT: 0
	.section	.text._ZL32rocblas_gemvt_warp_reduce_kernelILb1ELi1024El19rocblas_complex_numIfEPKS1_S1_EviiT3_lPKT2_lT1_lS7_lS8_lS4_lPT4_lS8_li,"axG",@progbits,_ZL32rocblas_gemvt_warp_reduce_kernelILb1ELi1024El19rocblas_complex_numIfEPKS1_S1_EviiT3_lPKT2_lT1_lS7_lS8_lS4_lPT4_lS8_li,comdat
	.globl	_ZL32rocblas_gemvt_warp_reduce_kernelILb1ELi1024El19rocblas_complex_numIfEPKS1_S1_EviiT3_lPKT2_lT1_lS7_lS8_lS4_lPT4_lS8_li ; -- Begin function _ZL32rocblas_gemvt_warp_reduce_kernelILb1ELi1024El19rocblas_complex_numIfEPKS1_S1_EviiT3_lPKT2_lT1_lS7_lS8_lS4_lPT4_lS8_li
	.p2align	8
	.type	_ZL32rocblas_gemvt_warp_reduce_kernelILb1ELi1024El19rocblas_complex_numIfEPKS1_S1_EviiT3_lPKT2_lT1_lS7_lS8_lS4_lPT4_lS8_li,@function
_ZL32rocblas_gemvt_warp_reduce_kernelILb1ELi1024El19rocblas_complex_numIfEPKS1_S1_EviiT3_lPKT2_lT1_lS7_lS8_lS4_lPT4_lS8_li: ; @_ZL32rocblas_gemvt_warp_reduce_kernelILb1ELi1024El19rocblas_complex_numIfEPKS1_S1_EviiT3_lPKT2_lT1_lS7_lS8_lS4_lPT4_lS8_li
; %bb.0:
	s_load_b32 s30, s[0:1], 0x88
	s_bfe_u32 s2, ttmp6, 0x40014
	s_lshr_b32 s3, ttmp7, 16
	s_add_co_i32 s2, s2, 1
	s_bfe_u32 s5, ttmp6, 0x40008
	s_mul_i32 s4, s3, s2
	s_getreg_b32 s2, hwreg(HW_REG_IB_STS2, 6, 4)
	s_add_co_i32 s5, s5, s4
	s_cmp_eq_u32 s2, 0
	s_mov_b32 s25, 0
	s_cselect_b32 s24, s3, s5
	s_wait_kmcnt 0x0
	s_cmp_ge_u32 s24, s30
	s_cbranch_scc1 .LBB143_31
; %bb.1:
	s_clause 0x2
	s_load_b512 s[8:23], s[0:1], 0x8
	s_load_b512 s[36:51], s[0:1], 0x48
	s_load_b32 s26, s[0:1], 0x0
	s_wait_xcnt 0x0
	s_bfe_u32 s0, ttmp6, 0x4000c
	s_and_b32 s1, ttmp6, 15
	s_add_co_i32 s0, s0, 1
	v_and_b32_e32 v10, 31, v0
	s_mul_i32 s0, ttmp9, s0
	v_mbcnt_lo_u32_b32 v24, -1, 0
	s_add_co_i32 s3, s1, s0
	s_wait_kmcnt 0x0
	s_lshl_b64 s[0:1], s[22:23], 3
	s_lshl_b64 s[4:5], s[46:47], 3
	s_lshl_b64 s[6:7], s[14:15], 3
	s_cmp_eq_u32 s2, 0
	v_cmp_gt_i32_e32 vcc_lo, s26, v0
	s_cselect_b32 s2, ttmp9, s3
	s_ashr_i32 s3, s26, 31
	s_add_nc_u64 s[22:23], s[12:13], s[6:7]
	s_lshr_b32 s3, s3, 22
	s_add_nc_u64 s[20:21], s[20:21], s[0:1]
	s_add_co_i32 s3, s26, s3
	v_cmp_eq_u32_e64 s0, 0, v0
	s_and_b32 s14, s3, 0xfffffc00
	s_delay_alu instid0(SALU_CYCLE_1) | instskip(SKIP_3) | instid1(VALU_DEP_3)
	v_dual_mov_b32 v3, 0 :: v_dual_bitop2_b32 v8, s14, v0 bitop3:0x54
	v_cndmask_b32_e32 v2, 0, v0, vcc_lo
	s_ashr_i32 s3, s2, 31
	v_cmp_gt_i32_e64 s1, s14, v0
	v_dual_mov_b32 v1, v3 :: v_dual_ashrrev_i32 v9, 31, v8
	s_delay_alu instid0(VALU_DEP_3) | instskip(SKIP_2) | instid1(VALU_DEP_2)
	v_lshlrev_b32_e32 v2, 3, v2
	s_mul_u64 s[28:29], s[48:49], s[2:3]
	s_ashr_i32 s15, s14, 31
	v_mul_u64_e32 v[12:13], s[36:37], v[0:1]
	v_mul_u64_e32 v[4:5], s[36:37], v[8:9]
	v_add_nc_u64_e32 v[6:7], s[22:23], v[2:3]
	s_add_nc_u64 s[22:23], s[44:45], s[4:5]
	s_mul_u64 s[4:5], s[16:17], s[2:3]
	v_cmp_gt_i32_e64 s2, s26, v8
	s_lshl_b64 s[4:5], s[4:5], 3
	v_cmp_gt_u32_e64 s3, 32, v0
	s_lshl_b64 s[16:17], s[38:39], 3
	v_add_nc_u64_e32 v[6:7], s[4:5], v[6:7]
	s_add_nc_u64 s[4:5], s[4:5], s[6:7]
	s_lshl_b64 s[26:27], s[36:37], 13
	s_add_nc_u64 s[4:5], s[12:13], s[4:5]
	s_lshl_b64 s[12:13], s[18:19], 3
	v_add_nc_u64_e32 v[8:9], s[4:5], v[2:3]
	v_dual_lshrrev_b32 v2, 2, v0 :: v_dual_lshlrev_b32 v1, 3, v10
	v_cmp_eq_u32_e64 s4, 0, v10
	v_mov_b64_e32 v[10:11], 0
	s_lshl_b64 s[28:29], s[28:29], 3
	v_and_b32_e32 v2, 0xf8, v2
	v_add_nc_u64_e32 v[8:9], 4, v[8:9]
	v_lshl_add_u64 v[12:13], v[12:13], 3, s[20:21]
	s_branch .LBB143_5
.LBB143_2:                              ;   in Loop: Header=BB143_5 Depth=1
	s_delay_alu instid0(VALU_DEP_1)
	v_mov_b32_e32 v21, v17
	global_store_b64 v3, v[20:21], s[6:7]
.LBB143_3:                              ;   in Loop: Header=BB143_5 Depth=1
	s_wait_xcnt 0x0
	s_or_b32 exec_lo, exec_lo, s31
.LBB143_4:                              ;   in Loop: Header=BB143_5 Depth=1
	s_add_co_i32 s24, s24, 0x10000
	s_delay_alu instid0(SALU_CYCLE_1)
	s_cmp_lt_u32 s24, s30
	s_cbranch_scc0 .LBB143_31
.LBB143_5:                              ; =>This Loop Header: Depth=1
                                        ;     Child Loop BB143_24 Depth 2
	s_mul_u64 s[6:7], s[10:11], s[24:25]
	s_wait_xcnt 0x0
	s_mul_u64 s[34:35], s[42:43], s[24:25]
	s_lshl_b64 s[6:7], s[6:7], 3
	s_lshl_b64 s[34:35], s[34:35], 3
	s_add_nc_u64 s[6:7], s[8:9], s[6:7]
	s_add_nc_u64 s[34:35], s[40:41], s[34:35]
	s_clause 0x1
	global_load_b64 v[16:17], v3, s[6:7]
	global_load_b64 v[14:15], v3, s[34:35]
	s_wait_loadcnt 0x1
	v_cmp_eq_f32_e32 vcc_lo, 0, v16
	v_cmp_eq_f32_e64 s5, 0, v17
	s_wait_loadcnt 0x0
	s_wait_xcnt 0x1
	v_cmp_eq_f32_e64 s6, 1.0, v14
	v_cmp_eq_f32_e64 s7, 0, v15
	s_and_b32 s5, vcc_lo, s5
	s_and_b32 s6, s6, s7
	s_delay_alu instid0(SALU_CYCLE_1) | instskip(NEXT) | instid1(SALU_CYCLE_1)
	s_and_b32 s5, s5, s6
	s_and_b32 vcc_lo, exec_lo, s5
	s_cbranch_vccnz .LBB143_4
; %bb.6:                                ;   in Loop: Header=BB143_5 Depth=1
	s_wait_dscnt 0x0
	v_or_b32_e32 v18, v16, v17
	s_mul_u64 s[6:7], s[50:51], s[24:25]
	s_mov_b32 s5, -1
	s_lshl_b64 s[6:7], s[6:7], 3
	s_delay_alu instid0(SALU_CYCLE_1) | instskip(SKIP_1) | instid1(VALU_DEP_1)
	s_add_nc_u64 s[6:7], s[22:23], s[6:7]
	v_and_b32_e32 v18, 0x7fffffff, v18
	v_cmp_ne_u32_e32 vcc_lo, 0, v18
	s_cbranch_vccnz .LBB143_13
; %bb.7:                                ;   in Loop: Header=BB143_5 Depth=1
	s_wait_xcnt 0x0
	s_and_saveexec_b32 s31, s0
	s_cbranch_execz .LBB143_12
; %bb.8:                                ;   in Loop: Header=BB143_5 Depth=1
	v_cmp_neq_f32_e32 vcc_lo, 0, v14
	v_cmp_neq_f32_e64 s5, 0, v15
	s_or_b32 s5, vcc_lo, s5
	s_delay_alu instid0(SALU_CYCLE_1)
	s_and_not1_b32 vcc_lo, exec_lo, s5
	s_cbranch_vccnz .LBB143_10
; %bb.9:                                ;   in Loop: Header=BB143_5 Depth=1
	s_add_nc_u64 s[34:35], s[6:7], s[28:29]
	global_load_b64 v[18:19], v3, s[34:35]
	s_wait_loadcnt 0x0
	v_pk_mul_f32 v[20:21], v[14:15], v[18:19] op_sel:[1,1] op_sel_hi:[0,1]
	s_delay_alu instid0(VALU_DEP_1) | instskip(SKIP_1) | instid1(VALU_DEP_2)
	v_pk_fma_f32 v[22:23], v[14:15], v[18:19], v[20:21] op_sel_hi:[1,0,1]
	v_pk_fma_f32 v[18:19], v[14:15], v[18:19], v[20:21] neg_lo:[0,0,1] neg_hi:[0,0,1]
	v_mov_b32_e32 v19, v23
	s_branch .LBB143_11
.LBB143_10:                             ;   in Loop: Header=BB143_5 Depth=1
	v_dual_mov_b32 v19, 0 :: v_dual_mov_b32 v18, 0
.LBB143_11:                             ;   in Loop: Header=BB143_5 Depth=1
	s_wait_xcnt 0x0
	s_add_nc_u64 s[34:35], s[6:7], s[28:29]
	global_store_b64 v3, v[18:19], s[34:35]
.LBB143_12:                             ;   in Loop: Header=BB143_5 Depth=1
	s_wait_xcnt 0x0
	s_or_b32 exec_lo, exec_lo, s31
	s_mov_b32 s5, 0
.LBB143_13:                             ;   in Loop: Header=BB143_5 Depth=1
	s_delay_alu instid0(SALU_CYCLE_1)
	s_and_not1_b32 vcc_lo, exec_lo, s5
	s_cbranch_vccnz .LBB143_4
; %bb.14:                               ;   in Loop: Header=BB143_5 Depth=1
	v_mov_b64_e32 v[18:19], 0
	s_wait_xcnt 0x0
	s_and_saveexec_b32 s5, s1
	s_cbranch_execnz .LBB143_23
; %bb.15:                               ;   in Loop: Header=BB143_5 Depth=1
	s_or_b32 exec_lo, exec_lo, s5
	s_and_saveexec_b32 s5, s2
	s_cbranch_execnz .LBB143_26
.LBB143_16:                             ;   in Loop: Header=BB143_5 Depth=1
	s_or_b32 exec_lo, exec_lo, s5
	s_and_saveexec_b32 s5, s3
.LBB143_17:                             ;   in Loop: Header=BB143_5 Depth=1
	ds_store_b64 v1, v[10:11]
.LBB143_18:                             ;   in Loop: Header=BB143_5 Depth=1
	s_or_b32 exec_lo, exec_lo, s5
	v_lshl_or_b32 v22, v24, 2, 64
	v_cmp_gt_u32_e32 vcc_lo, 24, v24
	s_wait_storecnt_dscnt 0x0
	s_barrier_signal -1
	s_barrier_wait -1
	ds_bpermute_b32 v20, v22, v18
	ds_bpermute_b32 v21, v22, v19
	v_cndmask_b32_e64 v23, 0, 8, vcc_lo
	v_cmp_gt_u32_e32 vcc_lo, 28, v24
	s_wait_dscnt 0x0
	s_delay_alu instid0(VALU_DEP_2) | instskip(SKIP_2) | instid1(VALU_DEP_2)
	v_add_lshl_u32 v23, v23, v24, 2
	v_cndmask_b32_e64 v25, 0, 4, vcc_lo
	v_cmp_gt_u32_e32 vcc_lo, 30, v24
	v_add_lshl_u32 v25, v25, v24, 2
	v_cndmask_b32_e64 v26, 0, 2, vcc_lo
	v_cmp_ne_u32_e32 vcc_lo, 31, v24
	s_delay_alu instid0(VALU_DEP_2) | instskip(SKIP_2) | instid1(VALU_DEP_2)
	v_add_lshl_u32 v26, v26, v24, 2
	v_add_co_ci_u32_e64 v27, null, 0, v24, vcc_lo
	v_pk_add_f32 v[18:19], v[18:19], v[20:21]
	v_lshlrev_b32_e32 v27, 2, v27
	ds_bpermute_b32 v20, v23, v18
	ds_bpermute_b32 v21, v23, v19
	s_wait_dscnt 0x0
	v_pk_add_f32 v[18:19], v[18:19], v[20:21]
	ds_bpermute_b32 v20, v25, v18
	ds_bpermute_b32 v21, v25, v19
	s_wait_dscnt 0x0
	v_pk_add_f32 v[18:19], v[18:19], v[20:21]
	;; [unrolled: 4-line block ×3, first 2 shown]
	ds_bpermute_b32 v20, v27, v18
	ds_bpermute_b32 v21, v27, v19
	s_and_saveexec_b32 s5, s4
	s_cbranch_execz .LBB143_20
; %bb.19:                               ;   in Loop: Header=BB143_5 Depth=1
	s_wait_dscnt 0x0
	v_pk_add_f32 v[18:19], v[18:19], v[20:21]
	ds_store_b64 v2, v[18:19]
.LBB143_20:                             ;   in Loop: Header=BB143_5 Depth=1
	s_or_b32 exec_lo, exec_lo, s5
	v_mov_b64_e32 v[18:19], 0
	s_wait_dscnt 0x0
	s_barrier_signal -1
	s_barrier_wait -1
	s_and_saveexec_b32 s5, s3
	s_cbranch_execnz .LBB143_27
; %bb.21:                               ;   in Loop: Header=BB143_5 Depth=1
	s_or_b32 exec_lo, exec_lo, s5
	s_and_saveexec_b32 s5, s3
	s_cbranch_execnz .LBB143_28
.LBB143_22:                             ;   in Loop: Header=BB143_5 Depth=1
	s_or_b32 exec_lo, exec_lo, s5
	s_and_saveexec_b32 s31, s0
	s_cbranch_execz .LBB143_3
	s_branch .LBB143_29
.LBB143_23:                             ;   in Loop: Header=BB143_5 Depth=1
	v_mad_nc_u64_u32 v[20:21], s12, s24, v[8:9]
	v_mad_nc_u64_u32 v[22:23], s16, s24, v[12:13]
	v_dual_mov_b32 v18, 0 :: v_dual_mov_b32 v25, v0
	s_mov_b32 s31, 0
	s_delay_alu instid0(VALU_DEP_1) | instskip(NEXT) | instid1(VALU_DEP_4)
	v_mov_b32_e32 v19, v18
	v_mad_u32 v21, s13, s24, v21
	s_delay_alu instid0(VALU_DEP_4)
	v_mad_u32 v23, s17, s24, v23
.LBB143_24:                             ;   Parent Loop BB143_5 Depth=1
                                        ; =>  This Inner Loop Header: Depth=2
	global_load_b64 v[26:27], v[20:21], off offset:-4
	global_load_b64 v[28:29], v[22:23], off
	v_add_nc_u32_e32 v25, 0x400, v25
	s_wait_xcnt 0x1
	v_add_nc_u64_e32 v[20:21], 0x2000, v[20:21]
	s_wait_xcnt 0x0
	v_add_nc_u64_e32 v[22:23], s[26:27], v[22:23]
	v_cmp_le_i32_e32 vcc_lo, s14, v25
	s_or_b32 s31, vcc_lo, s31
	s_wait_loadcnt 0x0
	v_pk_mul_f32 v[30:31], v[26:27], v[28:29] op_sel:[1,1] op_sel_hi:[1,0]
	s_delay_alu instid0(VALU_DEP_1) | instskip(SKIP_1) | instid1(VALU_DEP_2)
	v_pk_fma_f32 v[32:33], v[26:27], v[28:29], v[30:31] op_sel_hi:[0,1,1] neg_lo:[0,0,1] neg_hi:[0,0,1]
	v_pk_fma_f32 v[26:27], v[26:27], v[28:29], v[30:31]
	v_mov_b32_e32 v27, v33
	s_delay_alu instid0(VALU_DEP_1)
	v_pk_add_f32 v[18:19], v[18:19], v[26:27]
	s_and_not1_b32 exec_lo, exec_lo, s31
	s_cbranch_execnz .LBB143_24
; %bb.25:                               ;   in Loop: Header=BB143_5 Depth=1
	s_or_b32 exec_lo, exec_lo, s31
	s_delay_alu instid0(SALU_CYCLE_1)
	s_or_b32 exec_lo, exec_lo, s5
	s_and_saveexec_b32 s5, s2
	s_cbranch_execz .LBB143_16
.LBB143_26:                             ;   in Loop: Header=BB143_5 Depth=1
	s_mul_u64 s[34:35], s[18:19], s[24:25]
	s_mul_u64 s[36:37], s[38:39], s[24:25]
	v_lshl_add_u64 v[20:21], s[34:35], 3, v[6:7]
	s_lshl_b64 s[34:35], s[36:37], 3
	s_delay_alu instid0(SALU_CYCLE_1) | instskip(NEXT) | instid1(SALU_CYCLE_1)
	s_add_nc_u64 s[34:35], s[20:21], s[34:35]
	v_lshl_add_u64 v[22:23], v[4:5], 3, s[34:35]
	s_delay_alu instid0(VALU_DEP_2)
	v_lshl_add_u64 v[20:21], s[14:15], 3, v[20:21]
	global_load_b64 v[26:27], v[20:21], off
	global_load_b64 v[28:29], v[22:23], off
	s_wait_loadcnt 0x0
	s_wait_xcnt 0x1
	v_pk_mul_f32 v[20:21], v[26:27], v[28:29] op_sel:[1,1] op_sel_hi:[1,0]
	s_wait_xcnt 0x0
	s_delay_alu instid0(VALU_DEP_1) | instskip(SKIP_1) | instid1(VALU_DEP_2)
	v_pk_fma_f32 v[22:23], v[26:27], v[28:29], v[20:21] op_sel_hi:[0,1,1] neg_lo:[0,0,1] neg_hi:[0,0,1]
	v_pk_fma_f32 v[20:21], v[26:27], v[28:29], v[20:21]
	v_mov_b32_e32 v21, v23
	s_delay_alu instid0(VALU_DEP_1)
	v_pk_add_f32 v[18:19], v[18:19], v[20:21]
	s_or_b32 exec_lo, exec_lo, s5
	s_and_saveexec_b32 s5, s3
	s_cbranch_execnz .LBB143_17
	s_branch .LBB143_18
.LBB143_27:                             ;   in Loop: Header=BB143_5 Depth=1
	ds_load_b64 v[18:19], v1
	s_or_b32 exec_lo, exec_lo, s5
	s_and_saveexec_b32 s5, s3
	s_cbranch_execz .LBB143_22
.LBB143_28:                             ;   in Loop: Header=BB143_5 Depth=1
	s_wait_dscnt 0x0
	ds_bpermute_b32 v20, v22, v18
	ds_bpermute_b32 v21, v22, v19
	s_wait_dscnt 0x0
	v_pk_add_f32 v[18:19], v[18:19], v[20:21]
	ds_bpermute_b32 v20, v23, v18
	ds_bpermute_b32 v21, v23, v19
	s_wait_dscnt 0x0
	v_pk_add_f32 v[18:19], v[18:19], v[20:21]
	;; [unrolled: 4-line block ×5, first 2 shown]
	s_or_b32 exec_lo, exec_lo, s5
	s_and_saveexec_b32 s31, s0
	s_cbranch_execz .LBB143_3
.LBB143_29:                             ;   in Loop: Header=BB143_5 Depth=1
	s_wait_dscnt 0x0
	v_pk_mul_f32 v[22:23], v[18:19], v[16:17] op_sel:[1,1] op_sel_hi:[1,0]
	v_cmp_neq_f32_e32 vcc_lo, 0, v14
	v_cmp_neq_f32_e64 s5, 0, v15
	s_add_nc_u64 s[6:7], s[6:7], s[28:29]
	v_pk_fma_f32 v[20:21], v[18:19], v[16:17], v[22:23] op_sel_hi:[0,1,1] neg_lo:[0,0,1] neg_hi:[0,0,1]
	v_pk_fma_f32 v[16:17], v[18:19], v[16:17], v[22:23] op_sel_hi:[0,1,1]
	s_or_b32 s5, vcc_lo, s5
	s_delay_alu instid0(SALU_CYCLE_1)
	s_and_not1_b32 vcc_lo, exec_lo, s5
	s_cbranch_vccnz .LBB143_2
; %bb.30:                               ;   in Loop: Header=BB143_5 Depth=1
	global_load_b64 v[18:19], v3, s[6:7]
	s_wait_loadcnt 0x0
	v_pk_mul_f32 v[22:23], v[14:15], v[18:19] op_sel:[1,1] op_sel_hi:[0,1]
	s_delay_alu instid0(VALU_DEP_1) | instskip(SKIP_1) | instid1(VALU_DEP_2)
	v_pk_fma_f32 v[26:27], v[14:15], v[18:19], v[22:23] op_sel_hi:[1,0,1]
	v_pk_fma_f32 v[14:15], v[14:15], v[18:19], v[22:23] neg_lo:[0,0,1] neg_hi:[0,0,1]
	v_dual_mov_b32 v21, v17 :: v_dual_mov_b32 v15, v27
	s_delay_alu instid0(VALU_DEP_1) | instskip(NEXT) | instid1(VALU_DEP_1)
	v_pk_add_f32 v[20:21], v[20:21], v[14:15]
	v_mov_b32_e32 v17, v21
	s_branch .LBB143_2
.LBB143_31:
	s_endpgm
	.section	.rodata,"a",@progbits
	.p2align	6, 0x0
	.amdhsa_kernel _ZL32rocblas_gemvt_warp_reduce_kernelILb1ELi1024El19rocblas_complex_numIfEPKS1_S1_EviiT3_lPKT2_lT1_lS7_lS8_lS4_lPT4_lS8_li
		.amdhsa_group_segment_fixed_size 256
		.amdhsa_private_segment_fixed_size 0
		.amdhsa_kernarg_size 140
		.amdhsa_user_sgpr_count 2
		.amdhsa_user_sgpr_dispatch_ptr 0
		.amdhsa_user_sgpr_queue_ptr 0
		.amdhsa_user_sgpr_kernarg_segment_ptr 1
		.amdhsa_user_sgpr_dispatch_id 0
		.amdhsa_user_sgpr_kernarg_preload_length 0
		.amdhsa_user_sgpr_kernarg_preload_offset 0
		.amdhsa_user_sgpr_private_segment_size 0
		.amdhsa_wavefront_size32 1
		.amdhsa_uses_dynamic_stack 0
		.amdhsa_enable_private_segment 0
		.amdhsa_system_sgpr_workgroup_id_x 1
		.amdhsa_system_sgpr_workgroup_id_y 0
		.amdhsa_system_sgpr_workgroup_id_z 1
		.amdhsa_system_sgpr_workgroup_info 0
		.amdhsa_system_vgpr_workitem_id 0
		.amdhsa_next_free_vgpr 34
		.amdhsa_next_free_sgpr 52
		.amdhsa_named_barrier_count 0
		.amdhsa_reserve_vcc 1
		.amdhsa_float_round_mode_32 0
		.amdhsa_float_round_mode_16_64 0
		.amdhsa_float_denorm_mode_32 3
		.amdhsa_float_denorm_mode_16_64 3
		.amdhsa_fp16_overflow 0
		.amdhsa_memory_ordered 1
		.amdhsa_forward_progress 1
		.amdhsa_inst_pref_size 14
		.amdhsa_round_robin_scheduling 0
		.amdhsa_exception_fp_ieee_invalid_op 0
		.amdhsa_exception_fp_denorm_src 0
		.amdhsa_exception_fp_ieee_div_zero 0
		.amdhsa_exception_fp_ieee_overflow 0
		.amdhsa_exception_fp_ieee_underflow 0
		.amdhsa_exception_fp_ieee_inexact 0
		.amdhsa_exception_int_div_zero 0
	.end_amdhsa_kernel
	.section	.text._ZL32rocblas_gemvt_warp_reduce_kernelILb1ELi1024El19rocblas_complex_numIfEPKS1_S1_EviiT3_lPKT2_lT1_lS7_lS8_lS4_lPT4_lS8_li,"axG",@progbits,_ZL32rocblas_gemvt_warp_reduce_kernelILb1ELi1024El19rocblas_complex_numIfEPKS1_S1_EviiT3_lPKT2_lT1_lS7_lS8_lS4_lPT4_lS8_li,comdat
.Lfunc_end143:
	.size	_ZL32rocblas_gemvt_warp_reduce_kernelILb1ELi1024El19rocblas_complex_numIfEPKS1_S1_EviiT3_lPKT2_lT1_lS7_lS8_lS4_lPT4_lS8_li, .Lfunc_end143-_ZL32rocblas_gemvt_warp_reduce_kernelILb1ELi1024El19rocblas_complex_numIfEPKS1_S1_EviiT3_lPKT2_lT1_lS7_lS8_lS4_lPT4_lS8_li
                                        ; -- End function
	.set _ZL32rocblas_gemvt_warp_reduce_kernelILb1ELi1024El19rocblas_complex_numIfEPKS1_S1_EviiT3_lPKT2_lT1_lS7_lS8_lS4_lPT4_lS8_li.num_vgpr, 34
	.set _ZL32rocblas_gemvt_warp_reduce_kernelILb1ELi1024El19rocblas_complex_numIfEPKS1_S1_EviiT3_lPKT2_lT1_lS7_lS8_lS4_lPT4_lS8_li.num_agpr, 0
	.set _ZL32rocblas_gemvt_warp_reduce_kernelILb1ELi1024El19rocblas_complex_numIfEPKS1_S1_EviiT3_lPKT2_lT1_lS7_lS8_lS4_lPT4_lS8_li.numbered_sgpr, 52
	.set _ZL32rocblas_gemvt_warp_reduce_kernelILb1ELi1024El19rocblas_complex_numIfEPKS1_S1_EviiT3_lPKT2_lT1_lS7_lS8_lS4_lPT4_lS8_li.num_named_barrier, 0
	.set _ZL32rocblas_gemvt_warp_reduce_kernelILb1ELi1024El19rocblas_complex_numIfEPKS1_S1_EviiT3_lPKT2_lT1_lS7_lS8_lS4_lPT4_lS8_li.private_seg_size, 0
	.set _ZL32rocblas_gemvt_warp_reduce_kernelILb1ELi1024El19rocblas_complex_numIfEPKS1_S1_EviiT3_lPKT2_lT1_lS7_lS8_lS4_lPT4_lS8_li.uses_vcc, 1
	.set _ZL32rocblas_gemvt_warp_reduce_kernelILb1ELi1024El19rocblas_complex_numIfEPKS1_S1_EviiT3_lPKT2_lT1_lS7_lS8_lS4_lPT4_lS8_li.uses_flat_scratch, 0
	.set _ZL32rocblas_gemvt_warp_reduce_kernelILb1ELi1024El19rocblas_complex_numIfEPKS1_S1_EviiT3_lPKT2_lT1_lS7_lS8_lS4_lPT4_lS8_li.has_dyn_sized_stack, 0
	.set _ZL32rocblas_gemvt_warp_reduce_kernelILb1ELi1024El19rocblas_complex_numIfEPKS1_S1_EviiT3_lPKT2_lT1_lS7_lS8_lS4_lPT4_lS8_li.has_recursion, 0
	.set _ZL32rocblas_gemvt_warp_reduce_kernelILb1ELi1024El19rocblas_complex_numIfEPKS1_S1_EviiT3_lPKT2_lT1_lS7_lS8_lS4_lPT4_lS8_li.has_indirect_call, 0
	.section	.AMDGPU.csdata,"",@progbits
; Kernel info:
; codeLenInByte = 1756
; TotalNumSgprs: 54
; NumVgprs: 34
; ScratchSize: 0
; MemoryBound: 0
; FloatMode: 240
; IeeeMode: 1
; LDSByteSize: 256 bytes/workgroup (compile time only)
; SGPRBlocks: 0
; VGPRBlocks: 2
; NumSGPRsForWavesPerEU: 54
; NumVGPRsForWavesPerEU: 34
; NamedBarCnt: 0
; Occupancy: 16
; WaveLimiterHint : 0
; COMPUTE_PGM_RSRC2:SCRATCH_EN: 0
; COMPUTE_PGM_RSRC2:USER_SGPR: 2
; COMPUTE_PGM_RSRC2:TRAP_HANDLER: 0
; COMPUTE_PGM_RSRC2:TGID_X_EN: 1
; COMPUTE_PGM_RSRC2:TGID_Y_EN: 0
; COMPUTE_PGM_RSRC2:TGID_Z_EN: 1
; COMPUTE_PGM_RSRC2:TIDIG_COMP_CNT: 0
	.section	.text._ZL32rocblas_gemvt_warp_reduce_kernelILb1ELi1024Ei19rocblas_complex_numIfES1_S1_EviiT3_lPKT2_lT1_lS5_lS6_lS2_lPT4_lS6_li,"axG",@progbits,_ZL32rocblas_gemvt_warp_reduce_kernelILb1ELi1024Ei19rocblas_complex_numIfES1_S1_EviiT3_lPKT2_lT1_lS5_lS6_lS2_lPT4_lS6_li,comdat
	.globl	_ZL32rocblas_gemvt_warp_reduce_kernelILb1ELi1024Ei19rocblas_complex_numIfES1_S1_EviiT3_lPKT2_lT1_lS5_lS6_lS2_lPT4_lS6_li ; -- Begin function _ZL32rocblas_gemvt_warp_reduce_kernelILb1ELi1024Ei19rocblas_complex_numIfES1_S1_EviiT3_lPKT2_lT1_lS5_lS6_lS2_lPT4_lS6_li
	.p2align	8
	.type	_ZL32rocblas_gemvt_warp_reduce_kernelILb1ELi1024Ei19rocblas_complex_numIfES1_S1_EviiT3_lPKT2_lT1_lS5_lS6_lS2_lPT4_lS6_li,@function
_ZL32rocblas_gemvt_warp_reduce_kernelILb1ELi1024Ei19rocblas_complex_numIfES1_S1_EviiT3_lPKT2_lT1_lS5_lS6_lS2_lPT4_lS6_li: ; @_ZL32rocblas_gemvt_warp_reduce_kernelILb1ELi1024Ei19rocblas_complex_numIfES1_S1_EviiT3_lPKT2_lT1_lS5_lS6_lS2_lPT4_lS6_li
; %bb.0:
	s_load_b32 s33, s[0:1], 0x88
	s_bfe_u32 s2, ttmp6, 0x40014
	s_lshr_b32 s4, ttmp7, 16
	s_add_co_i32 s2, s2, 1
	s_bfe_u32 s5, ttmp6, 0x40008
	s_mul_i32 s2, s4, s2
	s_getreg_b32 s3, hwreg(HW_REG_IB_STS2, 6, 4)
	s_add_co_i32 s5, s5, s2
	s_cmp_eq_u32 s3, 0
	s_mov_b32 s25, 0
	s_cselect_b32 s24, s4, s5
	s_wait_kmcnt 0x0
	s_cmp_ge_u32 s24, s33
	s_cbranch_scc1 .LBB144_31
; %bb.1:
	s_clause 0x7
	s_load_b96 s[20:22], s[0:1], 0x40
	s_load_b128 s[16:19], s[0:1], 0x68
	s_load_b128 s[4:7], s[0:1], 0x18
	s_load_b64 s[26:27], s[0:1], 0x8
	s_load_b128 s[8:11], s[0:1], 0x50
	s_load_b128 s[12:15], s[0:1], 0x30
	s_load_b32 s23, s[0:1], 0x0
	s_load_b32 s36, s[0:1], 0x28
	v_dual_mov_b32 v3, 0 :: v_dual_bitop2_b32 v2, 31, v0 bitop3:0x40
	v_lshrrev_b32_e32 v6, 2, v0
	v_mov_b64_e32 v[4:5], 0
	s_delay_alu instid0(VALU_DEP_3) | instskip(NEXT) | instid1(VALU_DEP_3)
	v_lshlrev_b32_e32 v1, 3, v2
	v_and_b32_e32 v16, 0xf8, v6
	s_wait_kmcnt 0x0
	s_lshl_b64 s[28:29], s[20:21], 3
	s_lshl_b64 s[34:35], s[18:19], 3
	;; [unrolled: 1-line block ×3, first 2 shown]
	s_cmp_neq_f32 s26, 0
	s_add_nc_u64 s[16:17], s[16:17], s[34:35]
	s_add_nc_u64 s[14:15], s[14:15], s[28:29]
	v_cmp_gt_i32_e32 vcc_lo, s23, v0
	s_cselect_b32 s2, -1, 0
	s_cmp_neq_f32 s27, 0
	s_add_nc_u64 s[28:29], s[4:5], s[30:31]
	s_clause 0x1
	s_load_b32 s37, s[0:1], 0x78
	s_load_b64 s[6:7], s[0:1], 0x80
	v_mul_lo_u32 v17, v0, s22
	s_cselect_b32 s18, -1, 0
	s_wait_xcnt 0x0
	v_cmp_eq_u32_e64 s0, 0, v0
	s_or_b32 s40, s2, s18
	s_cmp_neq_f32 s10, 1.0
	v_cmp_eq_u32_e64 s2, 0, v2
	v_cndmask_b32_e32 v2, 0, v0, vcc_lo
	v_cmp_gt_u32_e64 s1, 32, v0
	s_cselect_b32 s41, -1, 0
	s_cmp_neq_f32 s11, 0
	s_mov_b32 s18, s11
	v_lshlrev_b32_e32 v2, 3, v2
	s_mov_b32 s19, s10
	s_cselect_b32 s42, -1, 0
	s_or_b32 s21, s26, s27
	s_mov_b32 s20, s27
	s_and_b32 s38, s21, 0x7fffffff
	v_add_nc_u64_e32 v[8:9], s[28:29], v[2:3]
	s_cmp_eq_u32 s38, 0
	s_mov_b32 s21, s26
	s_cselect_b32 s38, -1, 0
	s_cmp_neq_f32 s10, 0
	s_cselect_b32 s34, -1, 0
	s_bfe_u32 s35, ttmp6, 0x4000c
	s_and_b32 s43, ttmp6, 15
	s_add_co_i32 s35, s35, 1
	s_or_b32 s39, s34, s42
	s_mul_i32 s35, ttmp9, s35
	s_delay_alu instid0(SALU_CYCLE_1)
	s_add_co_i32 s43, s43, s35
	s_cmp_eq_u32 s3, 0
	s_cselect_b32 s3, ttmp9, s43
	s_ashr_i32 s28, s23, 31
	s_mul_i32 s34, s36, s3
	s_lshr_b32 s28, s28, 22
	s_ashr_i32 s35, s34, 31
	s_add_co_i32 s28, s23, s28
	s_lshl_b64 s[34:35], s[34:35], 3
	s_and_b32 s28, s28, 0xfffffc00
	s_add_nc_u64 s[30:31], s[30:31], s[34:35]
	v_or_b32_e32 v7, s28, v0
	s_add_nc_u64 s[4:5], s[4:5], s[30:31]
	v_add_nc_u64_e32 v[8:9], s[34:35], v[8:9]
	v_add_nc_u64_e32 v[10:11], s[4:5], v[2:3]
	s_wait_kmcnt 0x0
	s_mul_i32 s30, s37, s3
	v_mul_lo_u32 v6, s22, v7
	v_cmp_gt_i32_e64 s3, s28, v0
	v_cmp_gt_i32_e64 s4, s23, v7
	v_mbcnt_lo_u32_b32 v2, -1, 0
	s_or_b32 s29, s40, s41
	v_add_nc_u64_e32 v[10:11], 4, v[10:11]
	s_ashr_i32 s31, s30, 31
	s_or_b32 s5, s29, s42
	s_ashr_i32 s29, s28, 31
	s_lshl_b32 s40, s22, 10
	s_lshl_b64 s[22:23], s[12:13], 3
	v_ashrrev_i32_e32 v7, 31, v6
	s_lshl_b64 s[30:31], s[30:31], 3
	s_branch .LBB144_5
.LBB144_2:                              ;   in Loop: Header=BB144_5 Depth=1
	s_delay_alu instid0(VALU_DEP_1)
	v_mov_b32_e32 v15, v13
	global_store_b64 v3, v[14:15], s[34:35]
.LBB144_3:                              ;   in Loop: Header=BB144_5 Depth=1
	s_wait_xcnt 0x0
	s_or_b32 exec_lo, exec_lo, s36
.LBB144_4:                              ;   in Loop: Header=BB144_5 Depth=1
	s_add_co_i32 s24, s24, 0x10000
	s_delay_alu instid0(SALU_CYCLE_1)
	s_cmp_lt_u32 s24, s33
	s_cbranch_scc0 .LBB144_31
.LBB144_5:                              ; =>This Loop Header: Depth=1
                                        ;     Child Loop BB144_24 Depth 2
	s_and_not1_b32 vcc_lo, exec_lo, s5
	s_cbranch_vccnz .LBB144_4
; %bb.6:                                ;   in Loop: Header=BB144_5 Depth=1
	s_mul_u64 s[34:35], s[6:7], s[24:25]
	s_and_not1_b32 vcc_lo, exec_lo, s38
	s_lshl_b64 s[34:35], s[34:35], 3
	s_mov_b32 s36, -1
	s_add_nc_u64 s[34:35], s[16:17], s[34:35]
	s_cbranch_vccnz .LBB144_13
; %bb.7:                                ;   in Loop: Header=BB144_5 Depth=1
	s_and_saveexec_b32 s41, s0
	s_cbranch_execz .LBB144_12
; %bb.8:                                ;   in Loop: Header=BB144_5 Depth=1
	s_and_not1_b32 vcc_lo, exec_lo, s39
	s_add_nc_u64 s[36:37], s[34:35], s[30:31]
	s_cbranch_vccnz .LBB144_10
; %bb.9:                                ;   in Loop: Header=BB144_5 Depth=1
	s_wait_dscnt 0x0
	global_load_b64 v[12:13], v3, s[36:37]
	v_mov_b64_e32 v[14:15], s[18:19]
	v_mov_b64_e32 v[18:19], s[10:11]
	s_wait_loadcnt 0x0
	s_delay_alu instid0(VALU_DEP_2) | instskip(NEXT) | instid1(VALU_DEP_1)
	v_pk_mul_f32 v[14:15], v[14:15], v[12:13] op_sel:[0,1]
	v_pk_fma_f32 v[20:21], v[18:19], v[12:13], v[14:15] op_sel_hi:[1,0,1]
	v_pk_fma_f32 v[12:13], v[18:19], v[12:13], v[14:15] neg_lo:[0,0,1] neg_hi:[0,0,1]
	s_delay_alu instid0(VALU_DEP_2)
	v_mov_b32_e32 v13, v21
	s_branch .LBB144_11
.LBB144_10:                             ;   in Loop: Header=BB144_5 Depth=1
	s_wait_dscnt 0x0
	v_dual_mov_b32 v13, 0 :: v_dual_mov_b32 v12, 0
.LBB144_11:                             ;   in Loop: Header=BB144_5 Depth=1
	global_store_b64 v3, v[12:13], s[36:37]
.LBB144_12:                             ;   in Loop: Header=BB144_5 Depth=1
	s_wait_xcnt 0x0
	s_or_b32 exec_lo, exec_lo, s41
	s_mov_b32 s36, 0
.LBB144_13:                             ;   in Loop: Header=BB144_5 Depth=1
	s_delay_alu instid0(SALU_CYCLE_1)
	s_and_not1_b32 vcc_lo, exec_lo, s36
	s_cbranch_vccnz .LBB144_4
; %bb.14:                               ;   in Loop: Header=BB144_5 Depth=1
	s_wait_dscnt 0x0
	v_mov_b64_e32 v[12:13], 0
	s_mul_u64 s[36:37], s[8:9], s[24:25]
	s_delay_alu instid0(SALU_CYCLE_1) | instskip(NEXT) | instid1(SALU_CYCLE_1)
	s_lshl_b64 s[36:37], s[36:37], 3
	s_add_nc_u64 s[36:37], s[14:15], s[36:37]
	s_and_saveexec_b32 s41, s3
	s_cbranch_execnz .LBB144_23
; %bb.15:                               ;   in Loop: Header=BB144_5 Depth=1
	s_or_b32 exec_lo, exec_lo, s41
	s_and_saveexec_b32 s41, s4
	s_cbranch_execnz .LBB144_26
.LBB144_16:                             ;   in Loop: Header=BB144_5 Depth=1
	s_or_b32 exec_lo, exec_lo, s41
	s_and_saveexec_b32 s36, s1
.LBB144_17:                             ;   in Loop: Header=BB144_5 Depth=1
	ds_store_b64 v1, v[4:5]
.LBB144_18:                             ;   in Loop: Header=BB144_5 Depth=1
	s_or_b32 exec_lo, exec_lo, s36
	v_lshl_or_b32 v18, v2, 2, 64
	v_cmp_gt_u32_e32 vcc_lo, 24, v2
	s_wait_storecnt_dscnt 0x0
	s_barrier_signal -1
	s_barrier_wait -1
	ds_bpermute_b32 v14, v18, v12
	ds_bpermute_b32 v15, v18, v13
	v_cndmask_b32_e64 v19, 0, 8, vcc_lo
	v_cmp_gt_u32_e32 vcc_lo, 28, v2
	s_wait_dscnt 0x0
	s_delay_alu instid0(VALU_DEP_2) | instskip(SKIP_2) | instid1(VALU_DEP_2)
	v_add_lshl_u32 v19, v19, v2, 2
	v_cndmask_b32_e64 v20, 0, 4, vcc_lo
	v_cmp_gt_u32_e32 vcc_lo, 30, v2
	v_add_lshl_u32 v20, v20, v2, 2
	v_cndmask_b32_e64 v21, 0, 2, vcc_lo
	v_cmp_ne_u32_e32 vcc_lo, 31, v2
	s_delay_alu instid0(VALU_DEP_2) | instskip(SKIP_2) | instid1(VALU_DEP_2)
	v_add_lshl_u32 v21, v21, v2, 2
	v_add_co_ci_u32_e64 v22, null, 0, v2, vcc_lo
	v_pk_add_f32 v[12:13], v[12:13], v[14:15]
	v_lshlrev_b32_e32 v22, 2, v22
	ds_bpermute_b32 v14, v19, v12
	ds_bpermute_b32 v15, v19, v13
	s_wait_dscnt 0x0
	v_pk_add_f32 v[12:13], v[12:13], v[14:15]
	ds_bpermute_b32 v14, v20, v12
	ds_bpermute_b32 v15, v20, v13
	s_wait_dscnt 0x0
	v_pk_add_f32 v[12:13], v[12:13], v[14:15]
	ds_bpermute_b32 v14, v21, v12
	ds_bpermute_b32 v15, v21, v13
	s_wait_dscnt 0x0
	v_pk_add_f32 v[12:13], v[12:13], v[14:15]
	ds_bpermute_b32 v14, v22, v12
	ds_bpermute_b32 v15, v22, v13
	s_and_saveexec_b32 s36, s2
	s_cbranch_execz .LBB144_20
; %bb.19:                               ;   in Loop: Header=BB144_5 Depth=1
	s_wait_dscnt 0x0
	v_pk_add_f32 v[12:13], v[12:13], v[14:15]
	ds_store_b64 v16, v[12:13]
.LBB144_20:                             ;   in Loop: Header=BB144_5 Depth=1
	s_or_b32 exec_lo, exec_lo, s36
	v_mov_b64_e32 v[12:13], 0
	s_wait_dscnt 0x0
	s_barrier_signal -1
	s_barrier_wait -1
	s_and_saveexec_b32 s36, s1
	s_cbranch_execnz .LBB144_27
; %bb.21:                               ;   in Loop: Header=BB144_5 Depth=1
	s_or_b32 exec_lo, exec_lo, s36
	s_and_saveexec_b32 s36, s1
	s_cbranch_execnz .LBB144_28
.LBB144_22:                             ;   in Loop: Header=BB144_5 Depth=1
	s_or_b32 exec_lo, exec_lo, s36
	s_and_saveexec_b32 s36, s0
	s_cbranch_execz .LBB144_3
	s_branch .LBB144_29
.LBB144_23:                             ;   in Loop: Header=BB144_5 Depth=1
	v_mad_nc_u64_u32 v[14:15], s22, s24, v[10:11]
	v_dual_mov_b32 v12, 0 :: v_dual_mov_b32 v18, v0
	v_mov_b32_e32 v19, v17
	s_mov_b32 s42, 0
	s_delay_alu instid0(VALU_DEP_2) | instskip(NEXT) | instid1(VALU_DEP_4)
	v_mov_b32_e32 v13, v12
	v_mad_u32 v15, s23, s24, v15
.LBB144_24:                             ;   Parent Loop BB144_5 Depth=1
                                        ; =>  This Inner Loop Header: Depth=2
	global_load_b64 v[20:21], v[14:15], off offset:-4
	global_load_b64 v[22:23], v19, s[36:37] scale_offset
	s_wait_xcnt 0x1
	v_add_nc_u64_e32 v[14:15], 0x2000, v[14:15]
	s_wait_xcnt 0x0
	v_add_nc_u32_e32 v19, s40, v19
	s_wait_loadcnt 0x0
	v_pk_mul_f32 v[24:25], v[20:21], v[22:23] op_sel:[1,1] op_sel_hi:[1,0]
	s_delay_alu instid0(VALU_DEP_1) | instskip(SKIP_2) | instid1(VALU_DEP_3)
	v_pk_fma_f32 v[26:27], v[20:21], v[22:23], v[24:25] op_sel_hi:[0,1,1] neg_lo:[0,0,1] neg_hi:[0,0,1]
	v_add_nc_u32_e32 v18, 0x400, v18
	v_pk_fma_f32 v[20:21], v[20:21], v[22:23], v[24:25]
	v_mov_b32_e32 v21, v27
	s_delay_alu instid0(VALU_DEP_3) | instskip(NEXT) | instid1(VALU_DEP_2)
	v_cmp_le_i32_e32 vcc_lo, s28, v18
	v_pk_add_f32 v[12:13], v[12:13], v[20:21]
	s_or_b32 s42, vcc_lo, s42
	s_delay_alu instid0(SALU_CYCLE_1)
	s_and_not1_b32 exec_lo, exec_lo, s42
	s_cbranch_execnz .LBB144_24
; %bb.25:                               ;   in Loop: Header=BB144_5 Depth=1
	s_or_b32 exec_lo, exec_lo, s42
	s_delay_alu instid0(SALU_CYCLE_1)
	s_or_b32 exec_lo, exec_lo, s41
	s_and_saveexec_b32 s41, s4
	s_cbranch_execz .LBB144_16
.LBB144_26:                             ;   in Loop: Header=BB144_5 Depth=1
	s_mul_u64 s[42:43], s[12:13], s[24:25]
	v_lshl_add_u64 v[18:19], v[6:7], 3, s[36:37]
	v_lshl_add_u64 v[14:15], s[42:43], 3, v[8:9]
	s_delay_alu instid0(VALU_DEP_1)
	v_lshl_add_u64 v[14:15], s[28:29], 3, v[14:15]
	global_load_b64 v[20:21], v[14:15], off
	global_load_b64 v[22:23], v[18:19], off
	s_wait_loadcnt 0x0
	s_wait_xcnt 0x1
	v_pk_mul_f32 v[14:15], v[20:21], v[22:23] op_sel:[1,1] op_sel_hi:[1,0]
	s_wait_xcnt 0x0
	s_delay_alu instid0(VALU_DEP_1) | instskip(SKIP_1) | instid1(VALU_DEP_2)
	v_pk_fma_f32 v[18:19], v[20:21], v[22:23], v[14:15] op_sel_hi:[0,1,1] neg_lo:[0,0,1] neg_hi:[0,0,1]
	v_pk_fma_f32 v[14:15], v[20:21], v[22:23], v[14:15]
	v_mov_b32_e32 v15, v19
	s_delay_alu instid0(VALU_DEP_1)
	v_pk_add_f32 v[12:13], v[12:13], v[14:15]
	s_or_b32 exec_lo, exec_lo, s41
	s_and_saveexec_b32 s36, s1
	s_cbranch_execnz .LBB144_17
	s_branch .LBB144_18
.LBB144_27:                             ;   in Loop: Header=BB144_5 Depth=1
	ds_load_b64 v[12:13], v1
	s_or_b32 exec_lo, exec_lo, s36
	s_and_saveexec_b32 s36, s1
	s_cbranch_execz .LBB144_22
.LBB144_28:                             ;   in Loop: Header=BB144_5 Depth=1
	s_wait_dscnt 0x0
	ds_bpermute_b32 v14, v18, v12
	ds_bpermute_b32 v15, v18, v13
	s_wait_dscnt 0x0
	v_pk_add_f32 v[12:13], v[12:13], v[14:15]
	ds_bpermute_b32 v14, v19, v12
	ds_bpermute_b32 v15, v19, v13
	s_wait_dscnt 0x0
	v_pk_add_f32 v[12:13], v[12:13], v[14:15]
	ds_bpermute_b32 v14, v20, v12
	ds_bpermute_b32 v15, v20, v13
	s_wait_dscnt 0x0
	v_pk_add_f32 v[12:13], v[12:13], v[14:15]
	ds_bpermute_b32 v14, v21, v12
	ds_bpermute_b32 v15, v21, v13
	s_wait_dscnt 0x0
	v_pk_add_f32 v[12:13], v[12:13], v[14:15]
	ds_bpermute_b32 v14, v22, v12
	ds_bpermute_b32 v15, v22, v13
	s_wait_dscnt 0x0
	v_pk_add_f32 v[12:13], v[12:13], v[14:15]
	s_or_b32 exec_lo, exec_lo, s36
	s_and_saveexec_b32 s36, s0
	s_cbranch_execz .LBB144_3
.LBB144_29:                             ;   in Loop: Header=BB144_5 Depth=1
	v_mov_b64_e32 v[14:15], s[20:21]
	v_mov_b64_e32 v[18:19], s[26:27]
	s_and_not1_b32 vcc_lo, exec_lo, s39
	s_add_nc_u64 s[34:35], s[34:35], s[30:31]
	s_wait_dscnt 0x0
	s_delay_alu instid0(VALU_DEP_2) | instskip(NEXT) | instid1(VALU_DEP_1)
	v_pk_mul_f32 v[20:21], v[12:13], v[14:15] op_sel:[1,0]
	v_pk_fma_f32 v[14:15], v[12:13], v[18:19], v[20:21] op_sel_hi:[0,1,1] neg_lo:[0,0,1] neg_hi:[0,0,1]
	v_pk_fma_f32 v[12:13], v[12:13], v[18:19], v[20:21] op_sel_hi:[0,1,1]
	s_cbranch_vccnz .LBB144_2
; %bb.30:                               ;   in Loop: Header=BB144_5 Depth=1
	global_load_b64 v[18:19], v3, s[34:35]
	v_mov_b64_e32 v[20:21], s[18:19]
	v_mov_b64_e32 v[22:23], s[10:11]
	s_wait_loadcnt 0x0
	s_delay_alu instid0(VALU_DEP_2) | instskip(NEXT) | instid1(VALU_DEP_1)
	v_pk_mul_f32 v[20:21], v[20:21], v[18:19] op_sel:[0,1]
	v_pk_fma_f32 v[24:25], v[22:23], v[18:19], v[20:21] op_sel_hi:[1,0,1]
	v_mov_b32_e32 v15, v13
	v_pk_fma_f32 v[12:13], v[22:23], v[18:19], v[20:21] neg_lo:[0,0,1] neg_hi:[0,0,1]
	s_delay_alu instid0(VALU_DEP_3) | instskip(NEXT) | instid1(VALU_DEP_1)
	v_mov_b32_e32 v13, v25
	v_pk_add_f32 v[14:15], v[14:15], v[12:13]
	s_delay_alu instid0(VALU_DEP_1)
	v_mov_b32_e32 v13, v15
	s_branch .LBB144_2
.LBB144_31:
	s_endpgm
	.section	.rodata,"a",@progbits
	.p2align	6, 0x0
	.amdhsa_kernel _ZL32rocblas_gemvt_warp_reduce_kernelILb1ELi1024Ei19rocblas_complex_numIfES1_S1_EviiT3_lPKT2_lT1_lS5_lS6_lS2_lPT4_lS6_li
		.amdhsa_group_segment_fixed_size 256
		.amdhsa_private_segment_fixed_size 0
		.amdhsa_kernarg_size 140
		.amdhsa_user_sgpr_count 2
		.amdhsa_user_sgpr_dispatch_ptr 0
		.amdhsa_user_sgpr_queue_ptr 0
		.amdhsa_user_sgpr_kernarg_segment_ptr 1
		.amdhsa_user_sgpr_dispatch_id 0
		.amdhsa_user_sgpr_kernarg_preload_length 0
		.amdhsa_user_sgpr_kernarg_preload_offset 0
		.amdhsa_user_sgpr_private_segment_size 0
		.amdhsa_wavefront_size32 1
		.amdhsa_uses_dynamic_stack 0
		.amdhsa_enable_private_segment 0
		.amdhsa_system_sgpr_workgroup_id_x 1
		.amdhsa_system_sgpr_workgroup_id_y 0
		.amdhsa_system_sgpr_workgroup_id_z 1
		.amdhsa_system_sgpr_workgroup_info 0
		.amdhsa_system_vgpr_workitem_id 0
		.amdhsa_next_free_vgpr 28
		.amdhsa_next_free_sgpr 44
		.amdhsa_named_barrier_count 0
		.amdhsa_reserve_vcc 1
		.amdhsa_float_round_mode_32 0
		.amdhsa_float_round_mode_16_64 0
		.amdhsa_float_denorm_mode_32 3
		.amdhsa_float_denorm_mode_16_64 3
		.amdhsa_fp16_overflow 0
		.amdhsa_memory_ordered 1
		.amdhsa_forward_progress 1
		.amdhsa_inst_pref_size 14
		.amdhsa_round_robin_scheduling 0
		.amdhsa_exception_fp_ieee_invalid_op 0
		.amdhsa_exception_fp_denorm_src 0
		.amdhsa_exception_fp_ieee_div_zero 0
		.amdhsa_exception_fp_ieee_overflow 0
		.amdhsa_exception_fp_ieee_underflow 0
		.amdhsa_exception_fp_ieee_inexact 0
		.amdhsa_exception_int_div_zero 0
	.end_amdhsa_kernel
	.section	.text._ZL32rocblas_gemvt_warp_reduce_kernelILb1ELi1024Ei19rocblas_complex_numIfES1_S1_EviiT3_lPKT2_lT1_lS5_lS6_lS2_lPT4_lS6_li,"axG",@progbits,_ZL32rocblas_gemvt_warp_reduce_kernelILb1ELi1024Ei19rocblas_complex_numIfES1_S1_EviiT3_lPKT2_lT1_lS5_lS6_lS2_lPT4_lS6_li,comdat
.Lfunc_end144:
	.size	_ZL32rocblas_gemvt_warp_reduce_kernelILb1ELi1024Ei19rocblas_complex_numIfES1_S1_EviiT3_lPKT2_lT1_lS5_lS6_lS2_lPT4_lS6_li, .Lfunc_end144-_ZL32rocblas_gemvt_warp_reduce_kernelILb1ELi1024Ei19rocblas_complex_numIfES1_S1_EviiT3_lPKT2_lT1_lS5_lS6_lS2_lPT4_lS6_li
                                        ; -- End function
	.set _ZL32rocblas_gemvt_warp_reduce_kernelILb1ELi1024Ei19rocblas_complex_numIfES1_S1_EviiT3_lPKT2_lT1_lS5_lS6_lS2_lPT4_lS6_li.num_vgpr, 28
	.set _ZL32rocblas_gemvt_warp_reduce_kernelILb1ELi1024Ei19rocblas_complex_numIfES1_S1_EviiT3_lPKT2_lT1_lS5_lS6_lS2_lPT4_lS6_li.num_agpr, 0
	.set _ZL32rocblas_gemvt_warp_reduce_kernelILb1ELi1024Ei19rocblas_complex_numIfES1_S1_EviiT3_lPKT2_lT1_lS5_lS6_lS2_lPT4_lS6_li.numbered_sgpr, 44
	.set _ZL32rocblas_gemvt_warp_reduce_kernelILb1ELi1024Ei19rocblas_complex_numIfES1_S1_EviiT3_lPKT2_lT1_lS5_lS6_lS2_lPT4_lS6_li.num_named_barrier, 0
	.set _ZL32rocblas_gemvt_warp_reduce_kernelILb1ELi1024Ei19rocblas_complex_numIfES1_S1_EviiT3_lPKT2_lT1_lS5_lS6_lS2_lPT4_lS6_li.private_seg_size, 0
	.set _ZL32rocblas_gemvt_warp_reduce_kernelILb1ELi1024Ei19rocblas_complex_numIfES1_S1_EviiT3_lPKT2_lT1_lS5_lS6_lS2_lPT4_lS6_li.uses_vcc, 1
	.set _ZL32rocblas_gemvt_warp_reduce_kernelILb1ELi1024Ei19rocblas_complex_numIfES1_S1_EviiT3_lPKT2_lT1_lS5_lS6_lS2_lPT4_lS6_li.uses_flat_scratch, 0
	.set _ZL32rocblas_gemvt_warp_reduce_kernelILb1ELi1024Ei19rocblas_complex_numIfES1_S1_EviiT3_lPKT2_lT1_lS5_lS6_lS2_lPT4_lS6_li.has_dyn_sized_stack, 0
	.set _ZL32rocblas_gemvt_warp_reduce_kernelILb1ELi1024Ei19rocblas_complex_numIfES1_S1_EviiT3_lPKT2_lT1_lS5_lS6_lS2_lPT4_lS6_li.has_recursion, 0
	.set _ZL32rocblas_gemvt_warp_reduce_kernelILb1ELi1024Ei19rocblas_complex_numIfES1_S1_EviiT3_lPKT2_lT1_lS5_lS6_lS2_lPT4_lS6_li.has_indirect_call, 0
	.section	.AMDGPU.csdata,"",@progbits
; Kernel info:
; codeLenInByte = 1748
; TotalNumSgprs: 46
; NumVgprs: 28
; ScratchSize: 0
; MemoryBound: 0
; FloatMode: 240
; IeeeMode: 1
; LDSByteSize: 256 bytes/workgroup (compile time only)
; SGPRBlocks: 0
; VGPRBlocks: 1
; NumSGPRsForWavesPerEU: 46
; NumVGPRsForWavesPerEU: 28
; NamedBarCnt: 0
; Occupancy: 16
; WaveLimiterHint : 1
; COMPUTE_PGM_RSRC2:SCRATCH_EN: 0
; COMPUTE_PGM_RSRC2:USER_SGPR: 2
; COMPUTE_PGM_RSRC2:TRAP_HANDLER: 0
; COMPUTE_PGM_RSRC2:TGID_X_EN: 1
; COMPUTE_PGM_RSRC2:TGID_Y_EN: 0
; COMPUTE_PGM_RSRC2:TGID_Z_EN: 1
; COMPUTE_PGM_RSRC2:TIDIG_COMP_CNT: 0
	.section	.text._ZL32rocblas_gemvt_warp_reduce_kernelILb1ELi1024El19rocblas_complex_numIfES1_S1_EviiT3_lPKT2_lT1_lS5_lS6_lS2_lPT4_lS6_li,"axG",@progbits,_ZL32rocblas_gemvt_warp_reduce_kernelILb1ELi1024El19rocblas_complex_numIfES1_S1_EviiT3_lPKT2_lT1_lS5_lS6_lS2_lPT4_lS6_li,comdat
	.globl	_ZL32rocblas_gemvt_warp_reduce_kernelILb1ELi1024El19rocblas_complex_numIfES1_S1_EviiT3_lPKT2_lT1_lS5_lS6_lS2_lPT4_lS6_li ; -- Begin function _ZL32rocblas_gemvt_warp_reduce_kernelILb1ELi1024El19rocblas_complex_numIfES1_S1_EviiT3_lPKT2_lT1_lS5_lS6_lS2_lPT4_lS6_li
	.p2align	8
	.type	_ZL32rocblas_gemvt_warp_reduce_kernelILb1ELi1024El19rocblas_complex_numIfES1_S1_EviiT3_lPKT2_lT1_lS5_lS6_lS2_lPT4_lS6_li,@function
_ZL32rocblas_gemvt_warp_reduce_kernelILb1ELi1024El19rocblas_complex_numIfES1_S1_EviiT3_lPKT2_lT1_lS5_lS6_lS2_lPT4_lS6_li: ; @_ZL32rocblas_gemvt_warp_reduce_kernelILb1ELi1024El19rocblas_complex_numIfES1_S1_EviiT3_lPKT2_lT1_lS5_lS6_lS2_lPT4_lS6_li
; %bb.0:
	s_load_b32 s33, s[0:1], 0x88
	s_bfe_u32 s2, ttmp6, 0x40014
	s_lshr_b32 s3, ttmp7, 16
	s_add_co_i32 s2, s2, 1
	s_bfe_u32 s5, ttmp6, 0x40008
	s_mul_i32 s4, s3, s2
	s_getreg_b32 s2, hwreg(HW_REG_IB_STS2, 6, 4)
	s_add_co_i32 s5, s5, s4
	s_cmp_eq_u32 s2, 0
	s_mov_b32 s29, 0
	s_cselect_b32 s28, s3, s5
	s_wait_kmcnt 0x0
	s_cmp_ge_u32 s28, s33
	s_cbranch_scc1 .LBB145_31
; %bb.1:
	s_clause 0x4
	s_load_b512 s[4:19], s[0:1], 0x18
	s_load_b256 s[20:27], s[0:1], 0x68
	s_load_b64 s[30:31], s[0:1], 0x8
	s_load_b64 s[34:35], s[0:1], 0x58
	s_load_b32 s43, s[0:1], 0x0
	v_mbcnt_lo_u32_b32 v20, -1, 0
	v_lshrrev_b32_e32 v12, 2, v0
	s_wait_kmcnt 0x0
	s_lshl_b64 s[14:15], s[14:15], 3
	s_lshl_b64 s[36:37], s[22:23], 3
	;; [unrolled: 1-line block ×3, first 2 shown]
	s_cmp_neq_f32 s30, 0
	v_cmp_gt_i32_e32 vcc_lo, s43, v0
	v_mov_b32_e32 v3, 0
	s_cselect_b32 s3, -1, 0
	s_cmp_neq_f32 s31, 0
	s_delay_alu instid0(VALU_DEP_1) | instskip(SKIP_1) | instid1(SALU_CYCLE_1)
	v_dual_cndmask_b32 v2, 0, v0 :: v_dual_mov_b32 v1, v3
	s_cselect_b32 s6, -1, 0
	s_or_b32 s38, s3, s6
	s_cmp_neq_f32 s34, 1.0
	s_add_nc_u64 s[6:7], s[12:13], s[14:15]
	v_lshlrev_b32_e32 v2, 3, v2
	v_mul_u64_e32 v[10:11], s[16:17], v[0:1]
	s_cselect_b32 s39, -1, 0
	s_cmp_neq_f32 s35, 0
	s_add_nc_u64 s[14:15], s[20:21], s[36:37]
	s_mov_b32 s20, s31
	s_mov_b32 s21, s30
	s_cselect_b32 s42, -1, 0
	s_or_b32 s3, s30, s31
	s_delay_alu instid0(SALU_CYCLE_1) | instskip(NEXT) | instid1(SALU_CYCLE_1)
	s_bitset0_b32 s3, 31
	s_cmp_eq_u32 s3, 0
	s_cselect_b32 s40, -1, 0
	s_cmp_neq_f32 s34, 0
	s_cselect_b32 s0, -1, 0
	s_bfe_u32 s1, ttmp6, 0x4000c
	s_and_b32 s3, ttmp6, 15
	s_add_co_i32 s1, s1, 1
	s_or_b32 s41, s0, s42
	s_mul_i32 s1, ttmp9, s1
	s_delay_alu instid0(SALU_CYCLE_1)
	s_add_co_i32 s3, s3, s1
	s_cmp_eq_u32 s2, 0
	s_cselect_b32 s2, ttmp9, s3
	s_ashr_i32 s0, s43, 31
	s_ashr_i32 s3, s2, 31
	s_lshr_b32 s0, s0, 22
	s_mul_u64 s[8:9], s[8:9], s[2:3]
	s_add_co_i32 s0, s43, s0
	s_lshl_b64 s[8:9], s[8:9], 3
	s_and_b32 s12, s0, 0xfffffc00
	s_add_nc_u64 s[0:1], s[4:5], s[22:23]
	v_or_b32_e32 v8, s12, v0
	v_add_nc_u64_e32 v[6:7], s[0:1], v[2:3]
	s_mul_u64 s[36:37], s[24:25], s[2:3]
	v_cmp_eq_u32_e64 s0, 0, v0
	v_cmp_gt_i32_e64 s1, s12, v0
	v_ashrrev_i32_e32 v9, 31, v8
	v_cmp_gt_i32_e64 s2, s43, v8
	v_cmp_gt_u32_e64 s3, 32, v0
	v_add_nc_u64_e32 v[6:7], s[8:9], v[6:7]
	s_add_nc_u64 s[8:9], s[8:9], s[22:23]
	v_mul_u64_e32 v[4:5], s[16:17], v[8:9]
	v_and_b32_e32 v8, 31, v0
	s_add_nc_u64 s[8:9], s[4:5], s[8:9]
	v_lshl_add_u64 v[10:11], v[10:11], 3, s[6:7]
	s_or_b32 s5, s38, s39
	s_ashr_i32 s13, s12, 31
	v_lshlrev_b32_e32 v1, 3, v8
	v_cmp_eq_u32_e64 s4, 0, v8
	v_add_nc_u64_e32 v[8:9], s[8:9], v[2:3]
	v_and_b32_e32 v2, 0xf8, v12
	v_mov_b64_e32 v[12:13], 0
	s_mov_b32 s8, s35
	s_mov_b32 s9, s34
	s_lshl_b64 s[22:23], s[10:11], 3
	s_or_b32 s5, s5, s42
	v_add_nc_u64_e32 v[8:9], 4, v[8:9]
	s_lshl_b64 s[24:25], s[18:19], 3
	s_lshl_b64 s[16:17], s[16:17], 13
	;; [unrolled: 1-line block ×3, first 2 shown]
	s_branch .LBB145_5
.LBB145_2:                              ;   in Loop: Header=BB145_5 Depth=1
	s_delay_alu instid0(VALU_DEP_1)
	v_mov_b32_e32 v17, v15
	global_store_b64 v3, v[16:17], s[38:39]
.LBB145_3:                              ;   in Loop: Header=BB145_5 Depth=1
	s_wait_xcnt 0x0
	s_or_b32 exec_lo, exec_lo, s42
.LBB145_4:                              ;   in Loop: Header=BB145_5 Depth=1
	s_add_co_i32 s28, s28, 0x10000
	s_delay_alu instid0(SALU_CYCLE_1)
	s_cmp_lt_u32 s28, s33
	s_cbranch_scc0 .LBB145_31
.LBB145_5:                              ; =>This Loop Header: Depth=1
                                        ;     Child Loop BB145_24 Depth 2
	s_and_not1_b32 vcc_lo, exec_lo, s5
	s_cbranch_vccnz .LBB145_4
; %bb.6:                                ;   in Loop: Header=BB145_5 Depth=1
	s_mul_u64 s[38:39], s[26:27], s[28:29]
	s_and_not1_b32 vcc_lo, exec_lo, s40
	s_lshl_b64 s[38:39], s[38:39], 3
	s_mov_b32 s42, -1
	s_add_nc_u64 s[38:39], s[14:15], s[38:39]
	s_cbranch_vccnz .LBB145_13
; %bb.7:                                ;   in Loop: Header=BB145_5 Depth=1
	s_and_saveexec_b32 s42, s0
	s_cbranch_execz .LBB145_12
; %bb.8:                                ;   in Loop: Header=BB145_5 Depth=1
	s_and_not1_b32 vcc_lo, exec_lo, s41
	s_cbranch_vccnz .LBB145_10
; %bb.9:                                ;   in Loop: Header=BB145_5 Depth=1
	s_add_nc_u64 s[44:45], s[38:39], s[36:37]
	v_mov_b64_e32 v[16:17], s[8:9]
	s_wait_dscnt 0x0
	global_load_b64 v[14:15], v3, s[44:45]
	v_mov_b64_e32 v[18:19], s[34:35]
	s_wait_loadcnt 0x0
	v_pk_mul_f32 v[16:17], v[16:17], v[14:15] op_sel:[0,1]
	s_delay_alu instid0(VALU_DEP_1) | instskip(SKIP_1) | instid1(VALU_DEP_2)
	v_pk_fma_f32 v[22:23], v[18:19], v[14:15], v[16:17] op_sel_hi:[1,0,1]
	v_pk_fma_f32 v[14:15], v[18:19], v[14:15], v[16:17] neg_lo:[0,0,1] neg_hi:[0,0,1]
	v_mov_b32_e32 v15, v23
	s_branch .LBB145_11
.LBB145_10:                             ;   in Loop: Header=BB145_5 Depth=1
	s_wait_dscnt 0x0
	v_dual_mov_b32 v15, 0 :: v_dual_mov_b32 v14, 0
.LBB145_11:                             ;   in Loop: Header=BB145_5 Depth=1
	s_wait_xcnt 0x0
	s_add_nc_u64 s[44:45], s[38:39], s[36:37]
	global_store_b64 v3, v[14:15], s[44:45]
.LBB145_12:                             ;   in Loop: Header=BB145_5 Depth=1
	s_wait_xcnt 0x0
	s_or_b32 exec_lo, exec_lo, s42
	s_mov_b32 s42, 0
.LBB145_13:                             ;   in Loop: Header=BB145_5 Depth=1
	s_delay_alu instid0(SALU_CYCLE_1)
	s_and_not1_b32 vcc_lo, exec_lo, s42
	s_cbranch_vccnz .LBB145_4
; %bb.14:                               ;   in Loop: Header=BB145_5 Depth=1
	s_wait_dscnt 0x0
	v_mov_b64_e32 v[14:15], 0
	s_and_saveexec_b32 s42, s1
	s_cbranch_execnz .LBB145_23
; %bb.15:                               ;   in Loop: Header=BB145_5 Depth=1
	s_or_b32 exec_lo, exec_lo, s42
	s_and_saveexec_b32 s42, s2
	s_cbranch_execnz .LBB145_26
.LBB145_16:                             ;   in Loop: Header=BB145_5 Depth=1
	s_or_b32 exec_lo, exec_lo, s42
	s_and_saveexec_b32 s42, s3
.LBB145_17:                             ;   in Loop: Header=BB145_5 Depth=1
	ds_store_b64 v1, v[12:13]
.LBB145_18:                             ;   in Loop: Header=BB145_5 Depth=1
	s_or_b32 exec_lo, exec_lo, s42
	v_lshl_or_b32 v18, v20, 2, 64
	v_cmp_gt_u32_e32 vcc_lo, 24, v20
	s_wait_storecnt_dscnt 0x0
	s_barrier_signal -1
	s_barrier_wait -1
	ds_bpermute_b32 v16, v18, v14
	ds_bpermute_b32 v17, v18, v15
	v_cndmask_b32_e64 v19, 0, 8, vcc_lo
	v_cmp_gt_u32_e32 vcc_lo, 28, v20
	s_wait_dscnt 0x0
	s_delay_alu instid0(VALU_DEP_2) | instskip(SKIP_2) | instid1(VALU_DEP_2)
	v_add_lshl_u32 v19, v19, v20, 2
	v_cndmask_b32_e64 v21, 0, 4, vcc_lo
	v_cmp_gt_u32_e32 vcc_lo, 30, v20
	v_add_lshl_u32 v21, v21, v20, 2
	v_cndmask_b32_e64 v22, 0, 2, vcc_lo
	v_cmp_ne_u32_e32 vcc_lo, 31, v20
	s_delay_alu instid0(VALU_DEP_2) | instskip(SKIP_2) | instid1(VALU_DEP_2)
	v_add_lshl_u32 v22, v22, v20, 2
	v_add_co_ci_u32_e64 v23, null, 0, v20, vcc_lo
	v_pk_add_f32 v[14:15], v[14:15], v[16:17]
	v_lshlrev_b32_e32 v23, 2, v23
	ds_bpermute_b32 v16, v19, v14
	ds_bpermute_b32 v17, v19, v15
	s_wait_dscnt 0x0
	v_pk_add_f32 v[14:15], v[14:15], v[16:17]
	ds_bpermute_b32 v16, v21, v14
	ds_bpermute_b32 v17, v21, v15
	s_wait_dscnt 0x0
	v_pk_add_f32 v[14:15], v[14:15], v[16:17]
	;; [unrolled: 4-line block ×3, first 2 shown]
	ds_bpermute_b32 v16, v23, v14
	ds_bpermute_b32 v17, v23, v15
	s_and_saveexec_b32 s42, s4
	s_cbranch_execz .LBB145_20
; %bb.19:                               ;   in Loop: Header=BB145_5 Depth=1
	s_wait_dscnt 0x0
	v_pk_add_f32 v[14:15], v[14:15], v[16:17]
	ds_store_b64 v2, v[14:15]
.LBB145_20:                             ;   in Loop: Header=BB145_5 Depth=1
	s_or_b32 exec_lo, exec_lo, s42
	v_mov_b64_e32 v[14:15], 0
	s_wait_dscnt 0x0
	s_barrier_signal -1
	s_barrier_wait -1
	s_and_saveexec_b32 s42, s3
	s_cbranch_execnz .LBB145_27
; %bb.21:                               ;   in Loop: Header=BB145_5 Depth=1
	s_or_b32 exec_lo, exec_lo, s42
	s_and_saveexec_b32 s42, s3
	s_cbranch_execnz .LBB145_28
.LBB145_22:                             ;   in Loop: Header=BB145_5 Depth=1
	s_or_b32 exec_lo, exec_lo, s42
	s_and_saveexec_b32 s42, s0
	s_cbranch_execz .LBB145_3
	s_branch .LBB145_29
.LBB145_23:                             ;   in Loop: Header=BB145_5 Depth=1
	v_mad_nc_u64_u32 v[16:17], s22, s28, v[8:9]
	v_mad_nc_u64_u32 v[18:19], s24, s28, v[10:11]
	v_dual_mov_b32 v14, 0 :: v_dual_mov_b32 v21, v0
	s_mov_b32 s43, 0
	s_delay_alu instid0(VALU_DEP_1) | instskip(NEXT) | instid1(VALU_DEP_4)
	v_mov_b32_e32 v15, v14
	v_mad_u32 v17, s23, s28, v17
	s_delay_alu instid0(VALU_DEP_4)
	v_mad_u32 v19, s25, s28, v19
.LBB145_24:                             ;   Parent Loop BB145_5 Depth=1
                                        ; =>  This Inner Loop Header: Depth=2
	global_load_b64 v[22:23], v[16:17], off offset:-4
	global_load_b64 v[24:25], v[18:19], off
	v_add_nc_u32_e32 v21, 0x400, v21
	s_wait_xcnt 0x1
	v_add_nc_u64_e32 v[16:17], 0x2000, v[16:17]
	s_wait_xcnt 0x0
	v_add_nc_u64_e32 v[18:19], s[16:17], v[18:19]
	v_cmp_le_i32_e32 vcc_lo, s12, v21
	s_or_b32 s43, vcc_lo, s43
	s_wait_loadcnt 0x0
	v_pk_mul_f32 v[26:27], v[22:23], v[24:25] op_sel:[1,1] op_sel_hi:[1,0]
	s_delay_alu instid0(VALU_DEP_1) | instskip(SKIP_1) | instid1(VALU_DEP_2)
	v_pk_fma_f32 v[28:29], v[22:23], v[24:25], v[26:27] op_sel_hi:[0,1,1] neg_lo:[0,0,1] neg_hi:[0,0,1]
	v_pk_fma_f32 v[22:23], v[22:23], v[24:25], v[26:27]
	v_mov_b32_e32 v23, v29
	s_delay_alu instid0(VALU_DEP_1)
	v_pk_add_f32 v[14:15], v[14:15], v[22:23]
	s_and_not1_b32 exec_lo, exec_lo, s43
	s_cbranch_execnz .LBB145_24
; %bb.25:                               ;   in Loop: Header=BB145_5 Depth=1
	s_or_b32 exec_lo, exec_lo, s43
	s_delay_alu instid0(SALU_CYCLE_1)
	s_or_b32 exec_lo, exec_lo, s42
	s_and_saveexec_b32 s42, s2
	s_cbranch_execz .LBB145_16
.LBB145_26:                             ;   in Loop: Header=BB145_5 Depth=1
	s_mul_u64 s[44:45], s[10:11], s[28:29]
	s_mul_u64 s[46:47], s[18:19], s[28:29]
	v_lshl_add_u64 v[16:17], s[44:45], 3, v[6:7]
	s_lshl_b64 s[44:45], s[46:47], 3
	s_delay_alu instid0(SALU_CYCLE_1) | instskip(NEXT) | instid1(SALU_CYCLE_1)
	s_add_nc_u64 s[44:45], s[6:7], s[44:45]
	v_lshl_add_u64 v[18:19], v[4:5], 3, s[44:45]
	s_delay_alu instid0(VALU_DEP_2)
	v_lshl_add_u64 v[16:17], s[12:13], 3, v[16:17]
	global_load_b64 v[22:23], v[16:17], off
	global_load_b64 v[24:25], v[18:19], off
	s_wait_loadcnt 0x0
	s_wait_xcnt 0x1
	v_pk_mul_f32 v[16:17], v[22:23], v[24:25] op_sel:[1,1] op_sel_hi:[1,0]
	s_wait_xcnt 0x0
	s_delay_alu instid0(VALU_DEP_1) | instskip(SKIP_1) | instid1(VALU_DEP_2)
	v_pk_fma_f32 v[18:19], v[22:23], v[24:25], v[16:17] op_sel_hi:[0,1,1] neg_lo:[0,0,1] neg_hi:[0,0,1]
	v_pk_fma_f32 v[16:17], v[22:23], v[24:25], v[16:17]
	v_mov_b32_e32 v17, v19
	s_delay_alu instid0(VALU_DEP_1)
	v_pk_add_f32 v[14:15], v[14:15], v[16:17]
	s_or_b32 exec_lo, exec_lo, s42
	s_and_saveexec_b32 s42, s3
	s_cbranch_execnz .LBB145_17
	s_branch .LBB145_18
.LBB145_27:                             ;   in Loop: Header=BB145_5 Depth=1
	ds_load_b64 v[14:15], v1
	s_or_b32 exec_lo, exec_lo, s42
	s_and_saveexec_b32 s42, s3
	s_cbranch_execz .LBB145_22
.LBB145_28:                             ;   in Loop: Header=BB145_5 Depth=1
	s_wait_dscnt 0x0
	ds_bpermute_b32 v16, v18, v14
	ds_bpermute_b32 v17, v18, v15
	s_wait_dscnt 0x0
	v_pk_add_f32 v[14:15], v[14:15], v[16:17]
	ds_bpermute_b32 v16, v19, v14
	ds_bpermute_b32 v17, v19, v15
	s_wait_dscnt 0x0
	v_pk_add_f32 v[14:15], v[14:15], v[16:17]
	ds_bpermute_b32 v16, v21, v14
	ds_bpermute_b32 v17, v21, v15
	s_wait_dscnt 0x0
	v_pk_add_f32 v[14:15], v[14:15], v[16:17]
	ds_bpermute_b32 v16, v22, v14
	ds_bpermute_b32 v17, v22, v15
	s_wait_dscnt 0x0
	v_pk_add_f32 v[14:15], v[14:15], v[16:17]
	ds_bpermute_b32 v16, v23, v14
	ds_bpermute_b32 v17, v23, v15
	s_wait_dscnt 0x0
	v_pk_add_f32 v[14:15], v[14:15], v[16:17]
	s_or_b32 exec_lo, exec_lo, s42
	s_and_saveexec_b32 s42, s0
	s_cbranch_execz .LBB145_3
.LBB145_29:                             ;   in Loop: Header=BB145_5 Depth=1
	v_mov_b64_e32 v[16:17], s[20:21]
	v_mov_b64_e32 v[18:19], s[30:31]
	s_and_not1_b32 vcc_lo, exec_lo, s41
	s_add_nc_u64 s[38:39], s[38:39], s[36:37]
	s_wait_dscnt 0x0
	s_delay_alu instid0(VALU_DEP_2) | instskip(NEXT) | instid1(VALU_DEP_1)
	v_pk_mul_f32 v[22:23], v[14:15], v[16:17] op_sel:[1,0]
	v_pk_fma_f32 v[16:17], v[14:15], v[18:19], v[22:23] op_sel_hi:[0,1,1] neg_lo:[0,0,1] neg_hi:[0,0,1]
	v_pk_fma_f32 v[14:15], v[14:15], v[18:19], v[22:23] op_sel_hi:[0,1,1]
	s_cbranch_vccnz .LBB145_2
; %bb.30:                               ;   in Loop: Header=BB145_5 Depth=1
	global_load_b64 v[18:19], v3, s[38:39]
	v_mov_b64_e32 v[22:23], s[8:9]
	v_mov_b64_e32 v[24:25], s[34:35]
	s_wait_loadcnt 0x0
	s_delay_alu instid0(VALU_DEP_2) | instskip(NEXT) | instid1(VALU_DEP_1)
	v_pk_mul_f32 v[22:23], v[22:23], v[18:19] op_sel:[0,1]
	v_pk_fma_f32 v[26:27], v[24:25], v[18:19], v[22:23] op_sel_hi:[1,0,1]
	v_mov_b32_e32 v17, v15
	v_pk_fma_f32 v[14:15], v[24:25], v[18:19], v[22:23] neg_lo:[0,0,1] neg_hi:[0,0,1]
	s_delay_alu instid0(VALU_DEP_3) | instskip(NEXT) | instid1(VALU_DEP_1)
	v_mov_b32_e32 v15, v27
	v_pk_add_f32 v[16:17], v[16:17], v[14:15]
	s_delay_alu instid0(VALU_DEP_1)
	v_mov_b32_e32 v15, v17
	s_branch .LBB145_2
.LBB145_31:
	s_endpgm
	.section	.rodata,"a",@progbits
	.p2align	6, 0x0
	.amdhsa_kernel _ZL32rocblas_gemvt_warp_reduce_kernelILb1ELi1024El19rocblas_complex_numIfES1_S1_EviiT3_lPKT2_lT1_lS5_lS6_lS2_lPT4_lS6_li
		.amdhsa_group_segment_fixed_size 256
		.amdhsa_private_segment_fixed_size 0
		.amdhsa_kernarg_size 140
		.amdhsa_user_sgpr_count 2
		.amdhsa_user_sgpr_dispatch_ptr 0
		.amdhsa_user_sgpr_queue_ptr 0
		.amdhsa_user_sgpr_kernarg_segment_ptr 1
		.amdhsa_user_sgpr_dispatch_id 0
		.amdhsa_user_sgpr_kernarg_preload_length 0
		.amdhsa_user_sgpr_kernarg_preload_offset 0
		.amdhsa_user_sgpr_private_segment_size 0
		.amdhsa_wavefront_size32 1
		.amdhsa_uses_dynamic_stack 0
		.amdhsa_enable_private_segment 0
		.amdhsa_system_sgpr_workgroup_id_x 1
		.amdhsa_system_sgpr_workgroup_id_y 0
		.amdhsa_system_sgpr_workgroup_id_z 1
		.amdhsa_system_sgpr_workgroup_info 0
		.amdhsa_system_vgpr_workitem_id 0
		.amdhsa_next_free_vgpr 30
		.amdhsa_next_free_sgpr 48
		.amdhsa_named_barrier_count 0
		.amdhsa_reserve_vcc 1
		.amdhsa_float_round_mode_32 0
		.amdhsa_float_round_mode_16_64 0
		.amdhsa_float_denorm_mode_32 3
		.amdhsa_float_denorm_mode_16_64 3
		.amdhsa_fp16_overflow 0
		.amdhsa_memory_ordered 1
		.amdhsa_forward_progress 1
		.amdhsa_inst_pref_size 14
		.amdhsa_round_robin_scheduling 0
		.amdhsa_exception_fp_ieee_invalid_op 0
		.amdhsa_exception_fp_denorm_src 0
		.amdhsa_exception_fp_ieee_div_zero 0
		.amdhsa_exception_fp_ieee_overflow 0
		.amdhsa_exception_fp_ieee_underflow 0
		.amdhsa_exception_fp_ieee_inexact 0
		.amdhsa_exception_int_div_zero 0
	.end_amdhsa_kernel
	.section	.text._ZL32rocblas_gemvt_warp_reduce_kernelILb1ELi1024El19rocblas_complex_numIfES1_S1_EviiT3_lPKT2_lT1_lS5_lS6_lS2_lPT4_lS6_li,"axG",@progbits,_ZL32rocblas_gemvt_warp_reduce_kernelILb1ELi1024El19rocblas_complex_numIfES1_S1_EviiT3_lPKT2_lT1_lS5_lS6_lS2_lPT4_lS6_li,comdat
.Lfunc_end145:
	.size	_ZL32rocblas_gemvt_warp_reduce_kernelILb1ELi1024El19rocblas_complex_numIfES1_S1_EviiT3_lPKT2_lT1_lS5_lS6_lS2_lPT4_lS6_li, .Lfunc_end145-_ZL32rocblas_gemvt_warp_reduce_kernelILb1ELi1024El19rocblas_complex_numIfES1_S1_EviiT3_lPKT2_lT1_lS5_lS6_lS2_lPT4_lS6_li
                                        ; -- End function
	.set _ZL32rocblas_gemvt_warp_reduce_kernelILb1ELi1024El19rocblas_complex_numIfES1_S1_EviiT3_lPKT2_lT1_lS5_lS6_lS2_lPT4_lS6_li.num_vgpr, 30
	.set _ZL32rocblas_gemvt_warp_reduce_kernelILb1ELi1024El19rocblas_complex_numIfES1_S1_EviiT3_lPKT2_lT1_lS5_lS6_lS2_lPT4_lS6_li.num_agpr, 0
	.set _ZL32rocblas_gemvt_warp_reduce_kernelILb1ELi1024El19rocblas_complex_numIfES1_S1_EviiT3_lPKT2_lT1_lS5_lS6_lS2_lPT4_lS6_li.numbered_sgpr, 48
	.set _ZL32rocblas_gemvt_warp_reduce_kernelILb1ELi1024El19rocblas_complex_numIfES1_S1_EviiT3_lPKT2_lT1_lS5_lS6_lS2_lPT4_lS6_li.num_named_barrier, 0
	.set _ZL32rocblas_gemvt_warp_reduce_kernelILb1ELi1024El19rocblas_complex_numIfES1_S1_EviiT3_lPKT2_lT1_lS5_lS6_lS2_lPT4_lS6_li.private_seg_size, 0
	.set _ZL32rocblas_gemvt_warp_reduce_kernelILb1ELi1024El19rocblas_complex_numIfES1_S1_EviiT3_lPKT2_lT1_lS5_lS6_lS2_lPT4_lS6_li.uses_vcc, 1
	.set _ZL32rocblas_gemvt_warp_reduce_kernelILb1ELi1024El19rocblas_complex_numIfES1_S1_EviiT3_lPKT2_lT1_lS5_lS6_lS2_lPT4_lS6_li.uses_flat_scratch, 0
	.set _ZL32rocblas_gemvt_warp_reduce_kernelILb1ELi1024El19rocblas_complex_numIfES1_S1_EviiT3_lPKT2_lT1_lS5_lS6_lS2_lPT4_lS6_li.has_dyn_sized_stack, 0
	.set _ZL32rocblas_gemvt_warp_reduce_kernelILb1ELi1024El19rocblas_complex_numIfES1_S1_EviiT3_lPKT2_lT1_lS5_lS6_lS2_lPT4_lS6_li.has_recursion, 0
	.set _ZL32rocblas_gemvt_warp_reduce_kernelILb1ELi1024El19rocblas_complex_numIfES1_S1_EviiT3_lPKT2_lT1_lS5_lS6_lS2_lPT4_lS6_li.has_indirect_call, 0
	.section	.AMDGPU.csdata,"",@progbits
; Kernel info:
; codeLenInByte = 1708
; TotalNumSgprs: 50
; NumVgprs: 30
; ScratchSize: 0
; MemoryBound: 0
; FloatMode: 240
; IeeeMode: 1
; LDSByteSize: 256 bytes/workgroup (compile time only)
; SGPRBlocks: 0
; VGPRBlocks: 1
; NumSGPRsForWavesPerEU: 50
; NumVGPRsForWavesPerEU: 30
; NamedBarCnt: 0
; Occupancy: 16
; WaveLimiterHint : 1
; COMPUTE_PGM_RSRC2:SCRATCH_EN: 0
; COMPUTE_PGM_RSRC2:USER_SGPR: 2
; COMPUTE_PGM_RSRC2:TRAP_HANDLER: 0
; COMPUTE_PGM_RSRC2:TGID_X_EN: 1
; COMPUTE_PGM_RSRC2:TGID_Y_EN: 0
; COMPUTE_PGM_RSRC2:TGID_Z_EN: 1
; COMPUTE_PGM_RSRC2:TIDIG_COMP_CNT: 0
	.section	.text._ZL34rocblas_gemvn_sm_mn_batched_kernelILi32ELi24E19rocblas_complex_numIdEPKS1_S1_EviiT2_lPKT1_lilS7_lilS4_lPT3_lili,"axG",@progbits,_ZL34rocblas_gemvn_sm_mn_batched_kernelILi32ELi24E19rocblas_complex_numIdEPKS1_S1_EviiT2_lPKT1_lilS7_lilS4_lPT3_lili,comdat
	.globl	_ZL34rocblas_gemvn_sm_mn_batched_kernelILi32ELi24E19rocblas_complex_numIdEPKS1_S1_EviiT2_lPKT1_lilS7_lilS4_lPT3_lili ; -- Begin function _ZL34rocblas_gemvn_sm_mn_batched_kernelILi32ELi24E19rocblas_complex_numIdEPKS1_S1_EviiT2_lPKT1_lilS7_lilS4_lPT3_lili
	.p2align	8
	.type	_ZL34rocblas_gemvn_sm_mn_batched_kernelILi32ELi24E19rocblas_complex_numIdEPKS1_S1_EviiT2_lPKT1_lilS7_lilS4_lPT3_lili,@function
_ZL34rocblas_gemvn_sm_mn_batched_kernelILi32ELi24E19rocblas_complex_numIdEPKS1_S1_EviiT2_lPKT1_lilS7_lilS4_lPT3_lili: ; @_ZL34rocblas_gemvn_sm_mn_batched_kernelILi32ELi24E19rocblas_complex_numIdEPKS1_S1_EviiT2_lPKT1_lilS7_lilS4_lPT3_lili
; %bb.0:
	s_endpgm
	.section	.rodata,"a",@progbits
	.p2align	6, 0x0
	.amdhsa_kernel _ZL34rocblas_gemvn_sm_mn_batched_kernelILi32ELi24E19rocblas_complex_numIdEPKS1_S1_EviiT2_lPKT1_lilS7_lilS4_lPT3_lili
		.amdhsa_group_segment_fixed_size 0
		.amdhsa_private_segment_fixed_size 0
		.amdhsa_kernarg_size 140
		.amdhsa_user_sgpr_count 2
		.amdhsa_user_sgpr_dispatch_ptr 0
		.amdhsa_user_sgpr_queue_ptr 0
		.amdhsa_user_sgpr_kernarg_segment_ptr 1
		.amdhsa_user_sgpr_dispatch_id 0
		.amdhsa_user_sgpr_kernarg_preload_length 0
		.amdhsa_user_sgpr_kernarg_preload_offset 0
		.amdhsa_user_sgpr_private_segment_size 0
		.amdhsa_wavefront_size32 1
		.amdhsa_uses_dynamic_stack 0
		.amdhsa_enable_private_segment 0
		.amdhsa_system_sgpr_workgroup_id_x 1
		.amdhsa_system_sgpr_workgroup_id_y 0
		.amdhsa_system_sgpr_workgroup_id_z 0
		.amdhsa_system_sgpr_workgroup_info 0
		.amdhsa_system_vgpr_workitem_id 0
		.amdhsa_next_free_vgpr 1
		.amdhsa_next_free_sgpr 1
		.amdhsa_named_barrier_count 0
		.amdhsa_reserve_vcc 0
		.amdhsa_float_round_mode_32 0
		.amdhsa_float_round_mode_16_64 0
		.amdhsa_float_denorm_mode_32 3
		.amdhsa_float_denorm_mode_16_64 3
		.amdhsa_fp16_overflow 0
		.amdhsa_memory_ordered 1
		.amdhsa_forward_progress 1
		.amdhsa_inst_pref_size 1
		.amdhsa_round_robin_scheduling 0
		.amdhsa_exception_fp_ieee_invalid_op 0
		.amdhsa_exception_fp_denorm_src 0
		.amdhsa_exception_fp_ieee_div_zero 0
		.amdhsa_exception_fp_ieee_overflow 0
		.amdhsa_exception_fp_ieee_underflow 0
		.amdhsa_exception_fp_ieee_inexact 0
		.amdhsa_exception_int_div_zero 0
	.end_amdhsa_kernel
	.section	.text._ZL34rocblas_gemvn_sm_mn_batched_kernelILi32ELi24E19rocblas_complex_numIdEPKS1_S1_EviiT2_lPKT1_lilS7_lilS4_lPT3_lili,"axG",@progbits,_ZL34rocblas_gemvn_sm_mn_batched_kernelILi32ELi24E19rocblas_complex_numIdEPKS1_S1_EviiT2_lPKT1_lilS7_lilS4_lPT3_lili,comdat
.Lfunc_end146:
	.size	_ZL34rocblas_gemvn_sm_mn_batched_kernelILi32ELi24E19rocblas_complex_numIdEPKS1_S1_EviiT2_lPKT1_lilS7_lilS4_lPT3_lili, .Lfunc_end146-_ZL34rocblas_gemvn_sm_mn_batched_kernelILi32ELi24E19rocblas_complex_numIdEPKS1_S1_EviiT2_lPKT1_lilS7_lilS4_lPT3_lili
                                        ; -- End function
	.set _ZL34rocblas_gemvn_sm_mn_batched_kernelILi32ELi24E19rocblas_complex_numIdEPKS1_S1_EviiT2_lPKT1_lilS7_lilS4_lPT3_lili.num_vgpr, 0
	.set _ZL34rocblas_gemvn_sm_mn_batched_kernelILi32ELi24E19rocblas_complex_numIdEPKS1_S1_EviiT2_lPKT1_lilS7_lilS4_lPT3_lili.num_agpr, 0
	.set _ZL34rocblas_gemvn_sm_mn_batched_kernelILi32ELi24E19rocblas_complex_numIdEPKS1_S1_EviiT2_lPKT1_lilS7_lilS4_lPT3_lili.numbered_sgpr, 0
	.set _ZL34rocblas_gemvn_sm_mn_batched_kernelILi32ELi24E19rocblas_complex_numIdEPKS1_S1_EviiT2_lPKT1_lilS7_lilS4_lPT3_lili.num_named_barrier, 0
	.set _ZL34rocblas_gemvn_sm_mn_batched_kernelILi32ELi24E19rocblas_complex_numIdEPKS1_S1_EviiT2_lPKT1_lilS7_lilS4_lPT3_lili.private_seg_size, 0
	.set _ZL34rocblas_gemvn_sm_mn_batched_kernelILi32ELi24E19rocblas_complex_numIdEPKS1_S1_EviiT2_lPKT1_lilS7_lilS4_lPT3_lili.uses_vcc, 0
	.set _ZL34rocblas_gemvn_sm_mn_batched_kernelILi32ELi24E19rocblas_complex_numIdEPKS1_S1_EviiT2_lPKT1_lilS7_lilS4_lPT3_lili.uses_flat_scratch, 0
	.set _ZL34rocblas_gemvn_sm_mn_batched_kernelILi32ELi24E19rocblas_complex_numIdEPKS1_S1_EviiT2_lPKT1_lilS7_lilS4_lPT3_lili.has_dyn_sized_stack, 0
	.set _ZL34rocblas_gemvn_sm_mn_batched_kernelILi32ELi24E19rocblas_complex_numIdEPKS1_S1_EviiT2_lPKT1_lilS7_lilS4_lPT3_lili.has_recursion, 0
	.set _ZL34rocblas_gemvn_sm_mn_batched_kernelILi32ELi24E19rocblas_complex_numIdEPKS1_S1_EviiT2_lPKT1_lilS7_lilS4_lPT3_lili.has_indirect_call, 0
	.section	.AMDGPU.csdata,"",@progbits
; Kernel info:
; codeLenInByte = 4
; TotalNumSgprs: 0
; NumVgprs: 0
; ScratchSize: 0
; MemoryBound: 0
; FloatMode: 240
; IeeeMode: 1
; LDSByteSize: 0 bytes/workgroup (compile time only)
; SGPRBlocks: 0
; VGPRBlocks: 0
; NumSGPRsForWavesPerEU: 1
; NumVGPRsForWavesPerEU: 1
; NamedBarCnt: 0
; Occupancy: 16
; WaveLimiterHint : 0
; COMPUTE_PGM_RSRC2:SCRATCH_EN: 0
; COMPUTE_PGM_RSRC2:USER_SGPR: 2
; COMPUTE_PGM_RSRC2:TRAP_HANDLER: 0
; COMPUTE_PGM_RSRC2:TGID_X_EN: 1
; COMPUTE_PGM_RSRC2:TGID_Y_EN: 0
; COMPUTE_PGM_RSRC2:TGID_Z_EN: 0
; COMPUTE_PGM_RSRC2:TIDIG_COMP_CNT: 0
	.section	.text._ZL34rocblas_gemvn_sm_mn_batched_kernelILi32ELi24E19rocblas_complex_numIdES1_S1_EviiT2_lPKT1_lilS5_lilS2_lPT3_lili,"axG",@progbits,_ZL34rocblas_gemvn_sm_mn_batched_kernelILi32ELi24E19rocblas_complex_numIdES1_S1_EviiT2_lPKT1_lilS5_lilS2_lPT3_lili,comdat
	.globl	_ZL34rocblas_gemvn_sm_mn_batched_kernelILi32ELi24E19rocblas_complex_numIdES1_S1_EviiT2_lPKT1_lilS5_lilS2_lPT3_lili ; -- Begin function _ZL34rocblas_gemvn_sm_mn_batched_kernelILi32ELi24E19rocblas_complex_numIdES1_S1_EviiT2_lPKT1_lilS5_lilS2_lPT3_lili
	.p2align	8
	.type	_ZL34rocblas_gemvn_sm_mn_batched_kernelILi32ELi24E19rocblas_complex_numIdES1_S1_EviiT2_lPKT1_lilS5_lilS2_lPT3_lili,@function
_ZL34rocblas_gemvn_sm_mn_batched_kernelILi32ELi24E19rocblas_complex_numIdES1_S1_EviiT2_lPKT1_lilS5_lilS2_lPT3_lili: ; @_ZL34rocblas_gemvn_sm_mn_batched_kernelILi32ELi24E19rocblas_complex_numIdES1_S1_EviiT2_lPKT1_lilS5_lilS2_lPT3_lili
; %bb.0:
	s_endpgm
	.section	.rodata,"a",@progbits
	.p2align	6, 0x0
	.amdhsa_kernel _ZL34rocblas_gemvn_sm_mn_batched_kernelILi32ELi24E19rocblas_complex_numIdES1_S1_EviiT2_lPKT1_lilS5_lilS2_lPT3_lili
		.amdhsa_group_segment_fixed_size 0
		.amdhsa_private_segment_fixed_size 0
		.amdhsa_kernarg_size 156
		.amdhsa_user_sgpr_count 2
		.amdhsa_user_sgpr_dispatch_ptr 0
		.amdhsa_user_sgpr_queue_ptr 0
		.amdhsa_user_sgpr_kernarg_segment_ptr 1
		.amdhsa_user_sgpr_dispatch_id 0
		.amdhsa_user_sgpr_kernarg_preload_length 0
		.amdhsa_user_sgpr_kernarg_preload_offset 0
		.amdhsa_user_sgpr_private_segment_size 0
		.amdhsa_wavefront_size32 1
		.amdhsa_uses_dynamic_stack 0
		.amdhsa_enable_private_segment 0
		.amdhsa_system_sgpr_workgroup_id_x 1
		.amdhsa_system_sgpr_workgroup_id_y 0
		.amdhsa_system_sgpr_workgroup_id_z 0
		.amdhsa_system_sgpr_workgroup_info 0
		.amdhsa_system_vgpr_workitem_id 0
		.amdhsa_next_free_vgpr 1
		.amdhsa_next_free_sgpr 1
		.amdhsa_named_barrier_count 0
		.amdhsa_reserve_vcc 0
		.amdhsa_float_round_mode_32 0
		.amdhsa_float_round_mode_16_64 0
		.amdhsa_float_denorm_mode_32 3
		.amdhsa_float_denorm_mode_16_64 3
		.amdhsa_fp16_overflow 0
		.amdhsa_memory_ordered 1
		.amdhsa_forward_progress 1
		.amdhsa_inst_pref_size 1
		.amdhsa_round_robin_scheduling 0
		.amdhsa_exception_fp_ieee_invalid_op 0
		.amdhsa_exception_fp_denorm_src 0
		.amdhsa_exception_fp_ieee_div_zero 0
		.amdhsa_exception_fp_ieee_overflow 0
		.amdhsa_exception_fp_ieee_underflow 0
		.amdhsa_exception_fp_ieee_inexact 0
		.amdhsa_exception_int_div_zero 0
	.end_amdhsa_kernel
	.section	.text._ZL34rocblas_gemvn_sm_mn_batched_kernelILi32ELi24E19rocblas_complex_numIdES1_S1_EviiT2_lPKT1_lilS5_lilS2_lPT3_lili,"axG",@progbits,_ZL34rocblas_gemvn_sm_mn_batched_kernelILi32ELi24E19rocblas_complex_numIdES1_S1_EviiT2_lPKT1_lilS5_lilS2_lPT3_lili,comdat
.Lfunc_end147:
	.size	_ZL34rocblas_gemvn_sm_mn_batched_kernelILi32ELi24E19rocblas_complex_numIdES1_S1_EviiT2_lPKT1_lilS5_lilS2_lPT3_lili, .Lfunc_end147-_ZL34rocblas_gemvn_sm_mn_batched_kernelILi32ELi24E19rocblas_complex_numIdES1_S1_EviiT2_lPKT1_lilS5_lilS2_lPT3_lili
                                        ; -- End function
	.set _ZL34rocblas_gemvn_sm_mn_batched_kernelILi32ELi24E19rocblas_complex_numIdES1_S1_EviiT2_lPKT1_lilS5_lilS2_lPT3_lili.num_vgpr, 0
	.set _ZL34rocblas_gemvn_sm_mn_batched_kernelILi32ELi24E19rocblas_complex_numIdES1_S1_EviiT2_lPKT1_lilS5_lilS2_lPT3_lili.num_agpr, 0
	.set _ZL34rocblas_gemvn_sm_mn_batched_kernelILi32ELi24E19rocblas_complex_numIdES1_S1_EviiT2_lPKT1_lilS5_lilS2_lPT3_lili.numbered_sgpr, 0
	.set _ZL34rocblas_gemvn_sm_mn_batched_kernelILi32ELi24E19rocblas_complex_numIdES1_S1_EviiT2_lPKT1_lilS5_lilS2_lPT3_lili.num_named_barrier, 0
	.set _ZL34rocblas_gemvn_sm_mn_batched_kernelILi32ELi24E19rocblas_complex_numIdES1_S1_EviiT2_lPKT1_lilS5_lilS2_lPT3_lili.private_seg_size, 0
	.set _ZL34rocblas_gemvn_sm_mn_batched_kernelILi32ELi24E19rocblas_complex_numIdES1_S1_EviiT2_lPKT1_lilS5_lilS2_lPT3_lili.uses_vcc, 0
	.set _ZL34rocblas_gemvn_sm_mn_batched_kernelILi32ELi24E19rocblas_complex_numIdES1_S1_EviiT2_lPKT1_lilS5_lilS2_lPT3_lili.uses_flat_scratch, 0
	.set _ZL34rocblas_gemvn_sm_mn_batched_kernelILi32ELi24E19rocblas_complex_numIdES1_S1_EviiT2_lPKT1_lilS5_lilS2_lPT3_lili.has_dyn_sized_stack, 0
	.set _ZL34rocblas_gemvn_sm_mn_batched_kernelILi32ELi24E19rocblas_complex_numIdES1_S1_EviiT2_lPKT1_lilS5_lilS2_lPT3_lili.has_recursion, 0
	.set _ZL34rocblas_gemvn_sm_mn_batched_kernelILi32ELi24E19rocblas_complex_numIdES1_S1_EviiT2_lPKT1_lilS5_lilS2_lPT3_lili.has_indirect_call, 0
	.section	.AMDGPU.csdata,"",@progbits
; Kernel info:
; codeLenInByte = 4
; TotalNumSgprs: 0
; NumVgprs: 0
; ScratchSize: 0
; MemoryBound: 0
; FloatMode: 240
; IeeeMode: 1
; LDSByteSize: 0 bytes/workgroup (compile time only)
; SGPRBlocks: 0
; VGPRBlocks: 0
; NumSGPRsForWavesPerEU: 1
; NumVGPRsForWavesPerEU: 1
; NamedBarCnt: 0
; Occupancy: 16
; WaveLimiterHint : 0
; COMPUTE_PGM_RSRC2:SCRATCH_EN: 0
; COMPUTE_PGM_RSRC2:USER_SGPR: 2
; COMPUTE_PGM_RSRC2:TRAP_HANDLER: 0
; COMPUTE_PGM_RSRC2:TGID_X_EN: 1
; COMPUTE_PGM_RSRC2:TGID_Y_EN: 0
; COMPUTE_PGM_RSRC2:TGID_Z_EN: 0
; COMPUTE_PGM_RSRC2:TIDIG_COMP_CNT: 0
	.section	.text._ZL20rocblas_gemvn_kernelILi64ELi4Ei19rocblas_complex_numIdEPKS1_S1_EviiT3_lPKT2_lT1_lS7_lS8_lS4_lPT4_lS8_li,"axG",@progbits,_ZL20rocblas_gemvn_kernelILi64ELi4Ei19rocblas_complex_numIdEPKS1_S1_EviiT3_lPKT2_lT1_lS7_lS8_lS4_lPT4_lS8_li,comdat
	.globl	_ZL20rocblas_gemvn_kernelILi64ELi4Ei19rocblas_complex_numIdEPKS1_S1_EviiT3_lPKT2_lT1_lS7_lS8_lS4_lPT4_lS8_li ; -- Begin function _ZL20rocblas_gemvn_kernelILi64ELi4Ei19rocblas_complex_numIdEPKS1_S1_EviiT3_lPKT2_lT1_lS7_lS8_lS4_lPT4_lS8_li
	.p2align	8
	.type	_ZL20rocblas_gemvn_kernelILi64ELi4Ei19rocblas_complex_numIdEPKS1_S1_EviiT3_lPKT2_lT1_lS7_lS8_lS4_lPT4_lS8_li,@function
_ZL20rocblas_gemvn_kernelILi64ELi4Ei19rocblas_complex_numIdEPKS1_S1_EviiT3_lPKT2_lT1_lS7_lS8_lS4_lPT4_lS8_li: ; @_ZL20rocblas_gemvn_kernelILi64ELi4Ei19rocblas_complex_numIdEPKS1_S1_EviiT3_lPKT2_lT1_lS7_lS8_lS4_lPT4_lS8_li
; %bb.0:
	s_load_b64 s[2:3], s[0:1], 0x9c
	s_wait_kmcnt 0x0
	s_lshr_b32 s4, s2, 16
	s_and_b32 s2, s2, 0xffff
	s_and_b32 s3, s3, 0xffff
	s_mul_i32 s4, s4, s2
	s_delay_alu instid0(SALU_CYCLE_1) | instskip(NEXT) | instid1(SALU_CYCLE_1)
	s_mul_i32 s4, s4, s3
	s_cmp_lg_u32 s4, 0x100
	s_cbranch_scc1 .LBB148_36
; %bb.1:
	s_load_b32 s7, s[0:1], 0x88
	s_bfe_u32 s3, ttmp6, 0x40014
	s_lshr_b32 s4, ttmp7, 16
	s_add_co_i32 s3, s3, 1
	s_bfe_u32 s6, ttmp6, 0x40008
	s_mul_i32 s5, s4, s3
	s_getreg_b32 s3, hwreg(HW_REG_IB_STS2, 6, 4)
	s_add_co_i32 s6, s6, s5
	s_cmp_eq_u32 s3, 0
	s_mov_b32 s35, 0
	s_cselect_b32 s34, s4, s6
	s_wait_kmcnt 0x0
	s_cmp_ge_u32 s34, s7
	s_cbranch_scc1 .LBB148_36
; %bb.2:
	s_clause 0x6
	s_load_b256 s[8:15], s[0:1], 0x8
	s_load_b96 s[4:6], s[0:1], 0x40
	s_load_b96 s[28:30], s[0:1], 0x70
	s_load_b64 s[36:37], s[0:1], 0x0
	s_load_b128 s[24:27], s[0:1], 0x30
	s_load_b256 s[16:23], s[0:1], 0x50
	s_load_b64 s[38:39], s[0:1], 0x80
	s_bfe_u32 s31, ttmp6, 0x4000c
	v_and_b32_e32 v1, 0x3ff, v0
	s_add_co_i32 s31, s31, 1
	v_bfe_u32 v0, v0, 10, 10
	s_and_b32 s33, ttmp6, 15
	s_mul_i32 s31, ttmp9, s31
	v_mov_b32_e32 v17, 0
	s_add_co_i32 s33, s33, s31
	v_mad_u32_u24 v0, v0, s2, v1
	s_load_b32 s31, s[0:1], 0x28
	s_wait_kmcnt 0x0
	s_lshl_b64 s[14:15], s[14:15], 4
	s_lshl_b64 s[4:5], s[4:5], 4
	;; [unrolled: 1-line block ×3, first 2 shown]
	s_ashr_i32 s41, s30, 31
	s_cmp_eq_u32 s3, 0
	s_mov_b32 s40, s30
	s_cselect_b32 s2, ttmp9, s33
	s_ashr_i32 s1, s36, 31
	s_lshl_b32 s42, s2, 6
	s_mov_b32 s0, s36
	v_dual_add_nc_u32 v16, s42, v0 :: v_dual_bitop2_b32 v1, 63, v0 bitop3:0x40
	v_dual_lshlrev_b32 v24, 4, v0 :: v_dual_bitop2_b32 v2, s42, v0 bitop3:0x54
	s_add_nc_u64 s[12:13], s[12:13], s[14:15]
	s_delay_alu instid0(VALU_DEP_2)
	v_mul_u64_e32 v[18:19], s[40:41], v[16:17]
	v_cmp_gt_i64_e32 vcc_lo, s[0:1], v[16:17]
	v_lshrrev_b32_e32 v16, 6, v0
	s_ashr_i32 s0, s37, 31
	v_mul_lo_u32 v20, v2, s30
	s_lshr_b32 s0, s0, 30
	v_or_b32_e32 v22, s42, v1
	v_mul_lo_u32 v3, s31, v16
	s_add_co_i32 s0, s37, s0
	v_mul_lo_u32 v23, s6, v16
	s_and_b32 s33, s0, -4
	v_cmp_gt_i32_e64 s3, s36, v2
	s_sub_co_i32 s2, s37, s33
	v_cmp_gt_i32_e64 s0, s33, v16
	s_cmp_gt_i32 s2, 0
	v_cmp_gt_u32_e64 s2, 64, v0
	v_ashrrev_i32_e32 v21, 31, v20
	v_cmp_gt_i32_e64 s1, s36, v22
	v_add3_u32 v25, v3, s42, v1
	s_add_nc_u64 s[14:15], s[26:27], s[4:5]
	s_add_nc_u64 s[22:23], s[22:23], s[28:29]
	s_cselect_b32 s30, -1, 0
	s_and_b32 s36, s2, vcc_lo
	s_lshl_b32 s40, s6, 2
	s_lshl_b32 s41, s31, 2
	s_branch .LBB148_5
.LBB148_3:                              ;   in Loop: Header=BB148_5 Depth=1
	s_wait_xcnt 0x0
	s_or_b32 exec_lo, exec_lo, s4
.LBB148_4:                              ;   in Loop: Header=BB148_5 Depth=1
	s_add_co_i32 s34, s34, 0x10000
	s_delay_alu instid0(SALU_CYCLE_1)
	s_cmp_lt_u32 s34, s7
	s_cbranch_scc0 .LBB148_36
.LBB148_5:                              ; =>This Loop Header: Depth=1
                                        ;     Child Loop BB148_17 Depth 2
	s_mul_u64 s[4:5], s[10:11], s[34:35]
	s_delay_alu instid0(SALU_CYCLE_1) | instskip(NEXT) | instid1(SALU_CYCLE_1)
	s_lshl_b64 s[4:5], s[4:5], 4
	s_add_nc_u64 s[4:5], s[8:9], s[4:5]
	global_load_b128 v[4:7], v17, s[4:5]
	s_wait_xcnt 0x0
	s_mul_u64 s[4:5], s[20:21], s[34:35]
	s_delay_alu instid0(SALU_CYCLE_1) | instskip(NEXT) | instid1(SALU_CYCLE_1)
	s_lshl_b64 s[4:5], s[4:5], 4
	s_add_nc_u64 s[4:5], s[18:19], s[4:5]
	s_wait_loadcnt 0x1
	global_load_b128 v[0:3], v17, s[4:5]
	s_wait_loadcnt 0x1
	v_cmp_neq_f64_e32 vcc_lo, 0, v[4:5]
	s_wait_xcnt 0x0
	v_cmp_neq_f64_e64 s4, 0, v[6:7]
	s_or_b32 s5, vcc_lo, s4
	s_mov_b32 s4, -1
	s_and_b32 vcc_lo, exec_lo, s5
	s_cbranch_vccz .LBB148_7
; %bb.6:                                ;   in Loop: Header=BB148_5 Depth=1
	s_and_not1_b32 vcc_lo, exec_lo, s4
	s_cbranch_vccnz .LBB148_4
	s_branch .LBB148_8
.LBB148_7:                              ;   in Loop: Header=BB148_5 Depth=1
	s_wait_loadcnt 0x0
	v_cmp_neq_f64_e32 vcc_lo, 1.0, v[0:1]
	v_cmp_neq_f64_e64 s4, 0, v[2:3]
	s_or_b32 s4, vcc_lo, s4
	s_delay_alu instid0(SALU_CYCLE_1)
	s_and_not1_b32 vcc_lo, exec_lo, s4
	s_cbranch_vccnz .LBB148_4
.LBB148_8:                              ;   in Loop: Header=BB148_5 Depth=1
	s_xor_b32 s26, s5, -1
	s_mul_u64 s[4:5], s[38:39], s[34:35]
	s_and_not1_b32 vcc_lo, exec_lo, s26
	s_lshl_b64 s[4:5], s[4:5], 4
	s_delay_alu instid0(SALU_CYCLE_1)
	s_add_nc_u64 s[26:27], s[22:23], s[4:5]
	s_cbranch_vccnz .LBB148_13
; %bb.9:                                ;   in Loop: Header=BB148_5 Depth=1
	s_mov_b32 s5, 0
	s_mov_b32 s42, 0
                                        ; implicit-def: $vgpr10_vgpr11
	s_and_saveexec_b32 s28, s36
	s_cbranch_execz .LBB148_19
; %bb.10:                               ;   in Loop: Header=BB148_5 Depth=1
	s_wait_loadcnt 0x0
	v_cmp_neq_f64_e32 vcc_lo, 0, v[0:1]
	v_cmp_neq_f64_e64 s4, 0, v[2:3]
	v_mov_b64_e32 v[10:11], 0
	v_mov_b64_e32 v[8:9], 0
	s_or_b32 s4, vcc_lo, s4
	s_delay_alu instid0(SALU_CYCLE_1)
	s_and_not1_b32 vcc_lo, exec_lo, s4
	s_cbranch_vccnz .LBB148_12
; %bb.11:                               ;   in Loop: Header=BB148_5 Depth=1
	v_lshl_add_u64 v[8:9], v[18:19], 4, s[26:27]
	global_load_b128 v[12:15], v[8:9], off
	s_wait_loadcnt 0x0
	s_wait_xcnt 0x0
	v_mul_f64_e32 v[8:9], v[2:3], v[14:15]
	v_mul_f64_e32 v[10:11], v[0:1], v[14:15]
	s_delay_alu instid0(VALU_DEP_2) | instskip(NEXT) | instid1(VALU_DEP_2)
	v_fma_f64 v[8:9], v[0:1], v[12:13], -v[8:9]
	v_fmac_f64_e32 v[10:11], v[2:3], v[12:13]
.LBB148_12:                             ;   in Loop: Header=BB148_5 Depth=1
	s_mov_b32 s42, exec_lo
	s_or_b32 exec_lo, exec_lo, s28
	s_delay_alu instid0(SALU_CYCLE_1)
	s_and_b32 vcc_lo, exec_lo, s5
	s_cbranch_vccnz .LBB148_14
	s_branch .LBB148_20
.LBB148_13:                             ;   in Loop: Header=BB148_5 Depth=1
	s_mov_b32 s42, 0
                                        ; implicit-def: $vgpr10_vgpr11
	s_cbranch_execz .LBB148_20
.LBB148_14:                             ;   in Loop: Header=BB148_5 Depth=1
	v_mov_b64_e32 v[10:11], 0
	v_mov_b64_e32 v[8:9], 0
	s_mul_u64 s[4:5], s[24:25], s[34:35]
	s_mul_u64 s[28:29], s[16:17], s[34:35]
	v_mov_b32_e32 v26, v16
	s_lshl_b64 s[4:5], s[4:5], 4
	s_lshl_b64 s[28:29], s[28:29], 4
	s_add_nc_u64 s[4:5], s[12:13], s[4:5]
	s_add_nc_u64 s[28:29], s[14:15], s[28:29]
	s_and_saveexec_b32 s43, s0
	s_cbranch_execz .LBB148_22
; %bb.15:                               ;   in Loop: Header=BB148_5 Depth=1
	v_mov_b64_e32 v[10:11], 0
	v_dual_mov_b32 v12, v25 :: v_dual_mov_b32 v13, v23
	v_mov_b32_e32 v26, v16
	s_mov_b32 s44, 0
	s_delay_alu instid0(VALU_DEP_3)
	v_mov_b64_e32 v[8:9], v[10:11]
	s_branch .LBB148_17
.LBB148_16:                             ;   in Loop: Header=BB148_17 Depth=2
	s_wait_xcnt 0x0
	s_or_b32 exec_lo, exec_lo, s45
	v_dual_add_nc_u32 v26, 4, v26 :: v_dual_add_nc_u32 v13, s40, v13
	v_add_nc_u32_e32 v12, s41, v12
	s_delay_alu instid0(VALU_DEP_2) | instskip(SKIP_1) | instid1(SALU_CYCLE_1)
	v_cmp_le_i32_e32 vcc_lo, s33, v26
	s_or_b32 s44, vcc_lo, s44
	s_and_not1_b32 exec_lo, exec_lo, s44
	s_cbranch_execz .LBB148_21
.LBB148_17:                             ;   Parent Loop BB148_5 Depth=1
                                        ; =>  This Inner Loop Header: Depth=2
	s_and_saveexec_b32 s45, s1
	s_cbranch_execz .LBB148_16
; %bb.18:                               ;   in Loop: Header=BB148_17 Depth=2
	global_load_b128 v[28:31], v13, s[28:29] scale_offset
	global_load_b128 v[32:35], v12, s[4:5] scale_offset
	s_wait_loadcnt 0x0
	v_mul_f64_e32 v[14:15], v[30:31], v[34:35]
	v_mul_f64_e32 v[34:35], v[28:29], v[34:35]
	s_delay_alu instid0(VALU_DEP_2) | instskip(NEXT) | instid1(VALU_DEP_2)
	v_fma_f64 v[14:15], v[28:29], v[32:33], -v[14:15]
	v_fmac_f64_e32 v[34:35], v[30:31], v[32:33]
	s_delay_alu instid0(VALU_DEP_2) | instskip(NEXT) | instid1(VALU_DEP_2)
	v_add_f64_e32 v[8:9], v[8:9], v[14:15]
	v_add_f64_e32 v[10:11], v[10:11], v[34:35]
	s_branch .LBB148_16
.LBB148_19:                             ;   in Loop: Header=BB148_5 Depth=1
	s_or_b32 exec_lo, exec_lo, s28
	s_delay_alu instid0(SALU_CYCLE_1)
	s_and_b32 vcc_lo, exec_lo, s5
	s_cbranch_vccnz .LBB148_14
.LBB148_20:                             ;   in Loop: Header=BB148_5 Depth=1
	s_wait_loadcnt 0x0
	v_mov_b64_e32 v[0:1], v[18:19]
	s_and_saveexec_b32 s4, s42
	s_cbranch_execz .LBB148_3
	s_branch .LBB148_35
.LBB148_21:                             ;   in Loop: Header=BB148_5 Depth=1
	s_or_b32 exec_lo, exec_lo, s44
.LBB148_22:                             ;   in Loop: Header=BB148_5 Depth=1
	s_delay_alu instid0(SALU_CYCLE_1) | instskip(NEXT) | instid1(SALU_CYCLE_1)
	s_or_b32 exec_lo, exec_lo, s43
	s_and_not1_b32 vcc_lo, exec_lo, s30
	s_cbranch_vccnz .LBB148_28
; %bb.23:                               ;   in Loop: Header=BB148_5 Depth=1
	v_mov_b64_e32 v[12:13], 0
	v_mov_b64_e32 v[14:15], 0
	v_cmp_gt_i32_e32 vcc_lo, s37, v26
	s_and_saveexec_b32 s43, vcc_lo
	s_cbranch_execz .LBB148_25
; %bb.24:                               ;   in Loop: Header=BB148_5 Depth=1
	v_mul_lo_u32 v12, v26, s6
	global_load_b128 v[12:15], v12, s[28:29] scale_offset
.LBB148_25:                             ;   in Loop: Header=BB148_5 Depth=1
	s_wait_xcnt 0x0
	s_or_b32 exec_lo, exec_lo, s43
	s_and_saveexec_b32 s28, s1
	s_cbranch_execz .LBB148_27
; %bb.26:                               ;   in Loop: Header=BB148_5 Depth=1
	v_mul_lo_u32 v26, v26, s31
	s_delay_alu instid0(VALU_DEP_1) | instskip(NEXT) | instid1(VALU_DEP_1)
	v_cndmask_b32_e32 v26, 0, v26, vcc_lo
	v_add_nc_u32_e32 v26, v26, v22
	global_load_b128 v[26:29], v26, s[4:5] scale_offset
	s_wait_loadcnt 0x0
	v_mul_f64_e32 v[30:31], v[14:15], v[28:29]
	v_mul_f64_e32 v[28:29], v[12:13], v[28:29]
	s_delay_alu instid0(VALU_DEP_2) | instskip(NEXT) | instid1(VALU_DEP_2)
	v_fma_f64 v[12:13], v[12:13], v[26:27], -v[30:31]
	v_fmac_f64_e32 v[28:29], v[14:15], v[26:27]
	s_delay_alu instid0(VALU_DEP_2) | instskip(NEXT) | instid1(VALU_DEP_2)
	v_add_f64_e32 v[8:9], v[8:9], v[12:13]
	v_add_f64_e32 v[10:11], v[10:11], v[28:29]
.LBB148_27:                             ;   in Loop: Header=BB148_5 Depth=1
	s_wait_xcnt 0x0
	s_or_b32 exec_lo, exec_lo, s28
.LBB148_28:                             ;   in Loop: Header=BB148_5 Depth=1
	ds_store_b128 v24, v[8:11]
	s_wait_loadcnt_dscnt 0x0
	s_barrier_signal -1
	s_barrier_wait -1
                                        ; implicit-def: $vgpr10_vgpr11
	s_and_saveexec_b32 s5, s2
	s_cbranch_execz .LBB148_34
; %bb.29:                               ;   in Loop: Header=BB148_5 Depth=1
	ds_load_b128 v[8:11], v24
	ds_load_b128 v[12:15], v24 offset:1024
	s_mov_b32 s4, s42
	s_wait_dscnt 0x0
	v_add_f64_e32 v[26:27], v[8:9], v[12:13]
	v_add_f64_e32 v[28:29], v[10:11], v[14:15]
	ds_load_b128 v[8:11], v24 offset:2048
	ds_load_b128 v[12:15], v24 offset:3072
	s_wait_dscnt 0x1
	v_add_f64_e32 v[8:9], v[26:27], v[8:9]
	v_add_f64_e32 v[10:11], v[28:29], v[10:11]
	s_wait_dscnt 0x0
	s_delay_alu instid0(VALU_DEP_2) | instskip(NEXT) | instid1(VALU_DEP_2)
	v_add_f64_e32 v[12:13], v[8:9], v[12:13]
	v_add_f64_e32 v[14:15], v[10:11], v[14:15]
                                        ; implicit-def: $vgpr10_vgpr11
	ds_store_b128 v24, v[12:15]
	s_and_saveexec_b32 s28, s3
	s_cbranch_execz .LBB148_33
; %bb.30:                               ;   in Loop: Header=BB148_5 Depth=1
	v_mul_f64_e32 v[8:9], v[6:7], v[14:15]
	v_mul_f64_e32 v[10:11], v[4:5], v[14:15]
	v_cmp_neq_f64_e32 vcc_lo, 0, v[0:1]
	v_cmp_neq_f64_e64 s4, 0, v[2:3]
	s_delay_alu instid0(VALU_DEP_4) | instskip(NEXT) | instid1(VALU_DEP_4)
	v_fma_f64 v[8:9], v[4:5], v[12:13], -v[8:9]
	v_fmac_f64_e32 v[10:11], v[6:7], v[12:13]
	s_or_b32 s4, vcc_lo, s4
	s_delay_alu instid0(SALU_CYCLE_1)
	s_and_not1_b32 vcc_lo, exec_lo, s4
	s_cbranch_vccnz .LBB148_32
; %bb.31:                               ;   in Loop: Header=BB148_5 Depth=1
	v_lshl_add_u64 v[4:5], v[20:21], 4, s[26:27]
	global_load_b128 v[4:7], v[4:5], off
	s_wait_loadcnt 0x0
	v_mul_f64_e32 v[12:13], v[2:3], v[6:7]
	v_mul_f64_e32 v[6:7], v[0:1], v[6:7]
	s_delay_alu instid0(VALU_DEP_2) | instskip(NEXT) | instid1(VALU_DEP_2)
	v_fma_f64 v[0:1], v[0:1], v[4:5], -v[12:13]
	v_fmac_f64_e32 v[6:7], v[2:3], v[4:5]
	s_delay_alu instid0(VALU_DEP_2) | instskip(NEXT) | instid1(VALU_DEP_2)
	v_add_f64_e32 v[8:9], v[8:9], v[0:1]
	v_add_f64_e32 v[10:11], v[10:11], v[6:7]
.LBB148_32:                             ;   in Loop: Header=BB148_5 Depth=1
	s_or_b32 s4, s42, exec_lo
.LBB148_33:                             ;   in Loop: Header=BB148_5 Depth=1
	s_wait_xcnt 0x0
	s_or_b32 exec_lo, exec_lo, s28
	s_delay_alu instid0(SALU_CYCLE_1) | instskip(SKIP_1) | instid1(SALU_CYCLE_1)
	s_and_not1_b32 s28, s42, exec_lo
	s_and_b32 s4, s4, exec_lo
	s_or_b32 s42, s28, s4
.LBB148_34:                             ;   in Loop: Header=BB148_5 Depth=1
	s_or_b32 exec_lo, exec_lo, s5
	v_mov_b64_e32 v[0:1], v[20:21]
	s_and_saveexec_b32 s4, s42
	s_cbranch_execz .LBB148_3
.LBB148_35:                             ;   in Loop: Header=BB148_5 Depth=1
	s_delay_alu instid0(VALU_DEP_1)
	v_lshl_add_u64 v[0:1], v[0:1], 4, s[26:27]
	global_store_b128 v[0:1], v[8:11], off
	s_branch .LBB148_3
.LBB148_36:
	s_endpgm
	.section	.rodata,"a",@progbits
	.p2align	6, 0x0
	.amdhsa_kernel _ZL20rocblas_gemvn_kernelILi64ELi4Ei19rocblas_complex_numIdEPKS1_S1_EviiT3_lPKT2_lT1_lS7_lS8_lS4_lPT4_lS8_li
		.amdhsa_group_segment_fixed_size 4096
		.amdhsa_private_segment_fixed_size 0
		.amdhsa_kernarg_size 400
		.amdhsa_user_sgpr_count 2
		.amdhsa_user_sgpr_dispatch_ptr 0
		.amdhsa_user_sgpr_queue_ptr 0
		.amdhsa_user_sgpr_kernarg_segment_ptr 1
		.amdhsa_user_sgpr_dispatch_id 0
		.amdhsa_user_sgpr_kernarg_preload_length 0
		.amdhsa_user_sgpr_kernarg_preload_offset 0
		.amdhsa_user_sgpr_private_segment_size 0
		.amdhsa_wavefront_size32 1
		.amdhsa_uses_dynamic_stack 0
		.amdhsa_enable_private_segment 0
		.amdhsa_system_sgpr_workgroup_id_x 1
		.amdhsa_system_sgpr_workgroup_id_y 0
		.amdhsa_system_sgpr_workgroup_id_z 1
		.amdhsa_system_sgpr_workgroup_info 0
		.amdhsa_system_vgpr_workitem_id 1
		.amdhsa_next_free_vgpr 36
		.amdhsa_next_free_sgpr 46
		.amdhsa_named_barrier_count 0
		.amdhsa_reserve_vcc 1
		.amdhsa_float_round_mode_32 0
		.amdhsa_float_round_mode_16_64 0
		.amdhsa_float_denorm_mode_32 3
		.amdhsa_float_denorm_mode_16_64 3
		.amdhsa_fp16_overflow 0
		.amdhsa_memory_ordered 1
		.amdhsa_forward_progress 1
		.amdhsa_inst_pref_size 12
		.amdhsa_round_robin_scheduling 0
		.amdhsa_exception_fp_ieee_invalid_op 0
		.amdhsa_exception_fp_denorm_src 0
		.amdhsa_exception_fp_ieee_div_zero 0
		.amdhsa_exception_fp_ieee_overflow 0
		.amdhsa_exception_fp_ieee_underflow 0
		.amdhsa_exception_fp_ieee_inexact 0
		.amdhsa_exception_int_div_zero 0
	.end_amdhsa_kernel
	.section	.text._ZL20rocblas_gemvn_kernelILi64ELi4Ei19rocblas_complex_numIdEPKS1_S1_EviiT3_lPKT2_lT1_lS7_lS8_lS4_lPT4_lS8_li,"axG",@progbits,_ZL20rocblas_gemvn_kernelILi64ELi4Ei19rocblas_complex_numIdEPKS1_S1_EviiT3_lPKT2_lT1_lS7_lS8_lS4_lPT4_lS8_li,comdat
.Lfunc_end148:
	.size	_ZL20rocblas_gemvn_kernelILi64ELi4Ei19rocblas_complex_numIdEPKS1_S1_EviiT3_lPKT2_lT1_lS7_lS8_lS4_lPT4_lS8_li, .Lfunc_end148-_ZL20rocblas_gemvn_kernelILi64ELi4Ei19rocblas_complex_numIdEPKS1_S1_EviiT3_lPKT2_lT1_lS7_lS8_lS4_lPT4_lS8_li
                                        ; -- End function
	.set _ZL20rocblas_gemvn_kernelILi64ELi4Ei19rocblas_complex_numIdEPKS1_S1_EviiT3_lPKT2_lT1_lS7_lS8_lS4_lPT4_lS8_li.num_vgpr, 36
	.set _ZL20rocblas_gemvn_kernelILi64ELi4Ei19rocblas_complex_numIdEPKS1_S1_EviiT3_lPKT2_lT1_lS7_lS8_lS4_lPT4_lS8_li.num_agpr, 0
	.set _ZL20rocblas_gemvn_kernelILi64ELi4Ei19rocblas_complex_numIdEPKS1_S1_EviiT3_lPKT2_lT1_lS7_lS8_lS4_lPT4_lS8_li.numbered_sgpr, 46
	.set _ZL20rocblas_gemvn_kernelILi64ELi4Ei19rocblas_complex_numIdEPKS1_S1_EviiT3_lPKT2_lT1_lS7_lS8_lS4_lPT4_lS8_li.num_named_barrier, 0
	.set _ZL20rocblas_gemvn_kernelILi64ELi4Ei19rocblas_complex_numIdEPKS1_S1_EviiT3_lPKT2_lT1_lS7_lS8_lS4_lPT4_lS8_li.private_seg_size, 0
	.set _ZL20rocblas_gemvn_kernelILi64ELi4Ei19rocblas_complex_numIdEPKS1_S1_EviiT3_lPKT2_lT1_lS7_lS8_lS4_lPT4_lS8_li.uses_vcc, 1
	.set _ZL20rocblas_gemvn_kernelILi64ELi4Ei19rocblas_complex_numIdEPKS1_S1_EviiT3_lPKT2_lT1_lS7_lS8_lS4_lPT4_lS8_li.uses_flat_scratch, 0
	.set _ZL20rocblas_gemvn_kernelILi64ELi4Ei19rocblas_complex_numIdEPKS1_S1_EviiT3_lPKT2_lT1_lS7_lS8_lS4_lPT4_lS8_li.has_dyn_sized_stack, 0
	.set _ZL20rocblas_gemvn_kernelILi64ELi4Ei19rocblas_complex_numIdEPKS1_S1_EviiT3_lPKT2_lT1_lS7_lS8_lS4_lPT4_lS8_li.has_recursion, 0
	.set _ZL20rocblas_gemvn_kernelILi64ELi4Ei19rocblas_complex_numIdEPKS1_S1_EviiT3_lPKT2_lT1_lS7_lS8_lS4_lPT4_lS8_li.has_indirect_call, 0
	.section	.AMDGPU.csdata,"",@progbits
; Kernel info:
; codeLenInByte = 1492
; TotalNumSgprs: 48
; NumVgprs: 36
; ScratchSize: 0
; MemoryBound: 1
; FloatMode: 240
; IeeeMode: 1
; LDSByteSize: 4096 bytes/workgroup (compile time only)
; SGPRBlocks: 0
; VGPRBlocks: 2
; NumSGPRsForWavesPerEU: 48
; NumVGPRsForWavesPerEU: 36
; NamedBarCnt: 0
; Occupancy: 16
; WaveLimiterHint : 1
; COMPUTE_PGM_RSRC2:SCRATCH_EN: 0
; COMPUTE_PGM_RSRC2:USER_SGPR: 2
; COMPUTE_PGM_RSRC2:TRAP_HANDLER: 0
; COMPUTE_PGM_RSRC2:TGID_X_EN: 1
; COMPUTE_PGM_RSRC2:TGID_Y_EN: 0
; COMPUTE_PGM_RSRC2:TGID_Z_EN: 1
; COMPUTE_PGM_RSRC2:TIDIG_COMP_CNT: 1
	.section	.text._ZL20rocblas_gemvn_kernelILi64ELi4El19rocblas_complex_numIdEPKS1_S1_EviiT3_lPKT2_lT1_lS7_lS8_lS4_lPT4_lS8_li,"axG",@progbits,_ZL20rocblas_gemvn_kernelILi64ELi4El19rocblas_complex_numIdEPKS1_S1_EviiT3_lPKT2_lT1_lS7_lS8_lS4_lPT4_lS8_li,comdat
	.globl	_ZL20rocblas_gemvn_kernelILi64ELi4El19rocblas_complex_numIdEPKS1_S1_EviiT3_lPKT2_lT1_lS7_lS8_lS4_lPT4_lS8_li ; -- Begin function _ZL20rocblas_gemvn_kernelILi64ELi4El19rocblas_complex_numIdEPKS1_S1_EviiT3_lPKT2_lT1_lS7_lS8_lS4_lPT4_lS8_li
	.p2align	8
	.type	_ZL20rocblas_gemvn_kernelILi64ELi4El19rocblas_complex_numIdEPKS1_S1_EviiT3_lPKT2_lT1_lS7_lS8_lS4_lPT4_lS8_li,@function
_ZL20rocblas_gemvn_kernelILi64ELi4El19rocblas_complex_numIdEPKS1_S1_EviiT3_lPKT2_lT1_lS7_lS8_lS4_lPT4_lS8_li: ; @_ZL20rocblas_gemvn_kernelILi64ELi4El19rocblas_complex_numIdEPKS1_S1_EviiT3_lPKT2_lT1_lS7_lS8_lS4_lPT4_lS8_li
; %bb.0:
	s_load_b64 s[4:5], s[0:1], 0x9c
	s_wait_kmcnt 0x0
	s_lshr_b32 s2, s4, 16
	s_and_b32 s3, s4, 0xffff
	s_and_b32 s4, s5, 0xffff
	s_mul_i32 s2, s2, s3
	s_delay_alu instid0(SALU_CYCLE_1) | instskip(NEXT) | instid1(SALU_CYCLE_1)
	s_mul_i32 s2, s2, s4
	s_cmp_lg_u32 s2, 0x100
	s_cbranch_scc1 .LBB149_36
; %bb.1:
	s_load_b32 s33, s[0:1], 0x88
	s_bfe_u32 s2, ttmp6, 0x40014
	s_lshr_b32 s4, ttmp7, 16
	s_add_co_i32 s2, s2, 1
	s_bfe_u32 s6, ttmp6, 0x40008
	s_mul_i32 s5, s4, s2
	s_getreg_b32 s2, hwreg(HW_REG_IB_STS2, 6, 4)
	s_add_co_i32 s6, s6, s5
	s_cmp_eq_u32 s2, 0
	s_mov_b32 s7, 0
	s_cselect_b32 s6, s4, s6
	s_wait_kmcnt 0x0
	s_cmp_ge_u32 s6, s33
	s_cbranch_scc1 .LBB149_36
; %bb.2:
	s_clause 0x1
	s_load_b512 s[8:23], s[0:1], 0x8
	s_load_b512 s[36:51], s[0:1], 0x48
	v_and_b32_e32 v1, 0x3ff, v0
	v_bfe_u32 v0, v0, 10, 10
	s_load_b64 s[4:5], s[0:1], 0x0
	s_delay_alu instid0(VALU_DEP_1) | instskip(SKIP_3) | instid1(SALU_CYCLE_1)
	v_mad_u32_u24 v6, v0, s3, v1
	s_bfe_u32 s3, ttmp6, 0x4000c
	v_mov_b32_e32 v17, 0
	s_add_co_i32 s3, s3, 1
	s_mul_i32 s3, ttmp9, s3
	v_lshrrev_b32_e32 v18, 6, v6
	s_wait_kmcnt 0x0
	s_lshl_b64 s[0:1], s[14:15], 4
	s_and_b32 s14, ttmp6, 15
	s_lshl_b64 s[22:23], s[22:23], 4
	s_lshl_b64 s[24:25], s[46:47], 4
	s_add_co_i32 s14, s14, s3
	s_cmp_eq_u32 s2, 0
	s_add_nc_u64 s[20:21], s[20:21], s[22:23]
	s_cselect_b32 s2, ttmp9, s14
	s_add_nc_u64 s[22:23], s[44:45], s[24:25]
	s_lshl_b32 s2, s2, 6
	s_delay_alu instid0(SALU_CYCLE_1) | instskip(SKIP_3) | instid1(VALU_DEP_3)
	v_dual_mov_b32 v19, v17 :: v_dual_bitop2_b32 v4, s2, v6 bitop3:0x54
	v_add_nc_u32_e32 v16, s2, v6
	v_and_or_b32 v24, v6, 63, s2
	s_ashr_i32 s2, s5, 31
	v_mul_u64_e32 v[0:1], s[16:17], v[18:19]
	v_mul_u64_e32 v[2:3], s[36:37], v[18:19]
	v_ashrrev_i32_e32 v5, 31, v4
	v_mul_u64_e32 v[20:21], s[48:49], v[16:17]
	v_dual_ashrrev_i32 v25, 31, v24 :: v_dual_lshlrev_b32 v19, 4, v6
	s_lshr_b32 s24, s2, 30
	s_delay_alu instid0(VALU_DEP_3) | instskip(SKIP_3) | instid1(SALU_CYCLE_1)
	v_mul_u64_e32 v[22:23], s[48:49], v[4:5]
	s_add_nc_u64 s[14:15], s[12:13], s[0:1]
	s_ashr_i32 s3, s4, 31
	s_mov_b32 s2, s4
	v_cmp_gt_i64_e32 vcc_lo, s[2:3], v[16:17]
	v_cmp_gt_i32_e64 s3, s4, v4
	v_lshl_add_u64 v[0:1], v[0:1], 4, s[0:1]
	s_add_co_i32 s0, s5, s24
	v_lshl_add_u64 v[2:3], v[2:3], 4, s[20:21]
	s_and_b32 s34, s0, -4
	v_cmp_gt_i32_e64 s1, s4, v24
	v_lshl_add_u64 v[0:1], v[24:25], 4, v[0:1]
	s_sub_co_i32 s2, s5, s34
	v_add_nc_u64_e32 v[26:27], 8, v[2:3]
	s_cmp_gt_i32 s2, 0
	v_cmp_gt_u32_e64 s2, 64, v6
	v_add_nc_u64_e32 v[0:1], s[12:13], v[0:1]
	v_cmp_gt_i32_e64 s0, s34, v18
	s_cselect_b32 s35, -1, 0
	s_lshl_b64 s[12:13], s[38:39], 4
	s_and_b32 s44, s2, vcc_lo
	s_lshl_b64 s[24:25], s[36:37], 6
	s_lshl_b64 s[26:27], s[18:19], 4
	v_add_nc_u64_e32 v[28:29], 8, v[0:1]
	s_lshl_b64 s[28:29], s[16:17], 6
	s_branch .LBB149_5
.LBB149_3:                              ;   in Loop: Header=BB149_5 Depth=1
	s_wait_xcnt 0x0
	s_or_b32 exec_lo, exec_lo, s4
.LBB149_4:                              ;   in Loop: Header=BB149_5 Depth=1
	s_add_co_i32 s6, s6, 0x10000
	s_delay_alu instid0(SALU_CYCLE_1)
	s_cmp_lt_u32 s6, s33
	s_cbranch_scc0 .LBB149_36
.LBB149_5:                              ; =>This Loop Header: Depth=1
                                        ;     Child Loop BB149_17 Depth 2
	s_mul_u64 s[30:31], s[10:11], s[6:7]
	s_delay_alu instid0(SALU_CYCLE_1) | instskip(NEXT) | instid1(SALU_CYCLE_1)
	s_lshl_b64 s[30:31], s[30:31], 4
	s_add_nc_u64 s[30:31], s[8:9], s[30:31]
	global_load_b128 v[4:7], v17, s[30:31]
	s_wait_xcnt 0x0
	s_mul_u64 s[30:31], s[42:43], s[6:7]
	s_delay_alu instid0(SALU_CYCLE_1) | instskip(NEXT) | instid1(SALU_CYCLE_1)
	s_lshl_b64 s[30:31], s[30:31], 4
	s_add_nc_u64 s[30:31], s[40:41], s[30:31]
	s_wait_loadcnt 0x1
	global_load_b128 v[0:3], v17, s[30:31]
	s_wait_loadcnt 0x1
	v_cmp_neq_f64_e32 vcc_lo, 0, v[4:5]
	v_cmp_neq_f64_e64 s4, 0, v[6:7]
	s_wait_xcnt 0x0
	s_or_b32 s30, vcc_lo, s4
	s_mov_b32 s4, -1
	s_and_b32 vcc_lo, exec_lo, s30
	s_cbranch_vccz .LBB149_7
; %bb.6:                                ;   in Loop: Header=BB149_5 Depth=1
	s_and_not1_b32 vcc_lo, exec_lo, s4
	s_cbranch_vccnz .LBB149_4
	s_branch .LBB149_8
.LBB149_7:                              ;   in Loop: Header=BB149_5 Depth=1
	s_wait_loadcnt 0x0
	v_cmp_neq_f64_e32 vcc_lo, 1.0, v[0:1]
	v_cmp_neq_f64_e64 s4, 0, v[2:3]
	s_or_b32 s4, vcc_lo, s4
	s_delay_alu instid0(SALU_CYCLE_1)
	s_and_not1_b32 vcc_lo, exec_lo, s4
	s_cbranch_vccnz .LBB149_4
.LBB149_8:                              ;   in Loop: Header=BB149_5 Depth=1
	s_xor_b32 s4, s30, -1
	s_mul_u64 s[30:31], s[50:51], s[6:7]
	s_and_not1_b32 vcc_lo, exec_lo, s4
	s_lshl_b64 s[30:31], s[30:31], 4
	s_delay_alu instid0(SALU_CYCLE_1)
	s_add_nc_u64 s[30:31], s[22:23], s[30:31]
	s_cbranch_vccnz .LBB149_13
; %bb.9:                                ;   in Loop: Header=BB149_5 Depth=1
	s_mov_b32 s46, 0
	s_mov_b32 s45, 0
                                        ; implicit-def: $vgpr10_vgpr11
	s_and_saveexec_b32 s47, s44
	s_cbranch_execz .LBB149_19
; %bb.10:                               ;   in Loop: Header=BB149_5 Depth=1
	s_wait_loadcnt 0x0
	v_cmp_neq_f64_e32 vcc_lo, 0, v[0:1]
	v_cmp_neq_f64_e64 s4, 0, v[2:3]
	v_mov_b64_e32 v[10:11], 0
	v_mov_b64_e32 v[8:9], 0
	s_or_b32 s4, vcc_lo, s4
	s_delay_alu instid0(SALU_CYCLE_1)
	s_and_not1_b32 vcc_lo, exec_lo, s4
	s_cbranch_vccnz .LBB149_12
; %bb.11:                               ;   in Loop: Header=BB149_5 Depth=1
	v_lshl_add_u64 v[8:9], v[20:21], 4, s[30:31]
	global_load_b128 v[12:15], v[8:9], off
	s_wait_loadcnt 0x0
	s_wait_xcnt 0x0
	v_mul_f64_e32 v[8:9], v[2:3], v[14:15]
	v_mul_f64_e32 v[10:11], v[0:1], v[14:15]
	s_delay_alu instid0(VALU_DEP_2) | instskip(NEXT) | instid1(VALU_DEP_2)
	v_fma_f64 v[8:9], v[0:1], v[12:13], -v[8:9]
	v_fmac_f64_e32 v[10:11], v[2:3], v[12:13]
.LBB149_12:                             ;   in Loop: Header=BB149_5 Depth=1
	s_mov_b32 s45, exec_lo
	s_or_b32 exec_lo, exec_lo, s47
	s_delay_alu instid0(SALU_CYCLE_1)
	s_and_b32 vcc_lo, exec_lo, s46
	s_cbranch_vccnz .LBB149_14
	s_branch .LBB149_20
.LBB149_13:                             ;   in Loop: Header=BB149_5 Depth=1
	s_mov_b32 s45, 0
                                        ; implicit-def: $vgpr10_vgpr11
	s_cbranch_execz .LBB149_20
.LBB149_14:                             ;   in Loop: Header=BB149_5 Depth=1
	v_mov_b64_e32 v[10:11], 0
	v_mov_b64_e32 v[8:9], 0
	v_mov_b32_e32 v16, v18
	s_and_saveexec_b32 s4, s0
	s_cbranch_execz .LBB149_22
; %bb.15:                               ;   in Loop: Header=BB149_5 Depth=1
	v_mad_nc_u64_u32 v[12:13], s12, s6, v[26:27]
	v_mad_nc_u64_u32 v[14:15], s26, s6, v[28:29]
	v_mov_b64_e32 v[10:11], 0
	v_mov_b32_e32 v16, v18
	s_mov_b32 s46, 0
	s_delay_alu instid0(VALU_DEP_2)
	v_mov_b64_e32 v[8:9], v[10:11]
	v_mad_u32 v13, s13, s6, v13
	v_mad_u32 v15, s27, s6, v15
	s_branch .LBB149_17
.LBB149_16:                             ;   in Loop: Header=BB149_17 Depth=2
	s_wait_xcnt 0x0
	s_or_b32 exec_lo, exec_lo, s47
	v_add_nc_u32_e32 v16, 4, v16
	s_delay_alu instid0(VALU_DEP_3) | instskip(NEXT) | instid1(VALU_DEP_3)
	v_add_nc_u64_e32 v[12:13], s[24:25], v[12:13]
	v_add_nc_u64_e32 v[14:15], s[28:29], v[14:15]
	s_delay_alu instid0(VALU_DEP_3) | instskip(SKIP_1) | instid1(SALU_CYCLE_1)
	v_cmp_le_i32_e32 vcc_lo, s34, v16
	s_or_b32 s46, vcc_lo, s46
	s_and_not1_b32 exec_lo, exec_lo, s46
	s_cbranch_execz .LBB149_21
.LBB149_17:                             ;   Parent Loop BB149_5 Depth=1
                                        ; =>  This Inner Loop Header: Depth=2
	s_and_saveexec_b32 s47, s1
	s_cbranch_execz .LBB149_16
; %bb.18:                               ;   in Loop: Header=BB149_17 Depth=2
	global_load_b128 v[30:33], v[12:13], off offset:-8
	global_load_b128 v[34:37], v[14:15], off offset:-8
	s_wait_loadcnt 0x0
	v_mul_f64_e32 v[38:39], v[32:33], v[36:37]
	v_mul_f64_e32 v[36:37], v[30:31], v[36:37]
	s_delay_alu instid0(VALU_DEP_2) | instskip(NEXT) | instid1(VALU_DEP_2)
	v_fma_f64 v[30:31], v[30:31], v[34:35], -v[38:39]
	v_fmac_f64_e32 v[36:37], v[32:33], v[34:35]
	s_delay_alu instid0(VALU_DEP_2) | instskip(NEXT) | instid1(VALU_DEP_2)
	v_add_f64_e32 v[8:9], v[8:9], v[30:31]
	v_add_f64_e32 v[10:11], v[10:11], v[36:37]
	s_branch .LBB149_16
.LBB149_19:                             ;   in Loop: Header=BB149_5 Depth=1
	s_or_b32 exec_lo, exec_lo, s47
	s_delay_alu instid0(SALU_CYCLE_1)
	s_and_b32 vcc_lo, exec_lo, s46
	s_cbranch_vccnz .LBB149_14
.LBB149_20:                             ;   in Loop: Header=BB149_5 Depth=1
	s_wait_loadcnt 0x0
	v_mov_b64_e32 v[0:1], v[20:21]
	s_and_saveexec_b32 s4, s45
	s_cbranch_execz .LBB149_3
	s_branch .LBB149_35
.LBB149_21:                             ;   in Loop: Header=BB149_5 Depth=1
	s_or_b32 exec_lo, exec_lo, s46
.LBB149_22:                             ;   in Loop: Header=BB149_5 Depth=1
	s_delay_alu instid0(SALU_CYCLE_1) | instskip(NEXT) | instid1(SALU_CYCLE_1)
	s_or_b32 exec_lo, exec_lo, s4
	s_and_not1_b32 vcc_lo, exec_lo, s35
	s_cbranch_vccnz .LBB149_28
; %bb.23:                               ;   in Loop: Header=BB149_5 Depth=1
	v_mov_b64_e32 v[12:13], 0
	v_mov_b64_e32 v[14:15], 0
	v_cmp_gt_i32_e32 vcc_lo, s5, v16
	s_and_saveexec_b32 s4, vcc_lo
	s_cbranch_execz .LBB149_25
; %bb.24:                               ;   in Loop: Header=BB149_5 Depth=1
	v_mul_u64_e32 v[12:13], s[36:37], v[16:17]
	s_mul_u64 s[46:47], s[38:39], s[6:7]
	s_delay_alu instid0(SALU_CYCLE_1) | instskip(NEXT) | instid1(SALU_CYCLE_1)
	s_lshl_b64 s[46:47], s[46:47], 4
	s_add_nc_u64 s[46:47], s[20:21], s[46:47]
	s_delay_alu instid0(VALU_DEP_1) | instid1(SALU_CYCLE_1)
	v_lshl_add_u64 v[12:13], v[12:13], 4, s[46:47]
	global_load_b128 v[12:15], v[12:13], off
.LBB149_25:                             ;   in Loop: Header=BB149_5 Depth=1
	s_wait_xcnt 0x0
	s_or_b32 exec_lo, exec_lo, s4
	s_and_saveexec_b32 s4, s1
	s_cbranch_execz .LBB149_27
; %bb.26:                               ;   in Loop: Header=BB149_5 Depth=1
	v_mul_u64_e32 v[30:31], s[16:17], v[16:17]
	s_mul_u64 s[46:47], s[18:19], s[6:7]
	s_delay_alu instid0(SALU_CYCLE_1) | instskip(NEXT) | instid1(SALU_CYCLE_1)
	s_lshl_b64 s[46:47], s[46:47], 4
	s_add_nc_u64 s[46:47], s[14:15], s[46:47]
	s_delay_alu instid0(VALU_DEP_1) | instskip(NEXT) | instid1(VALU_DEP_1)
	v_dual_cndmask_b32 v31, 0, v31 :: v_dual_cndmask_b32 v30, 0, v30
	v_lshl_add_u64 v[30:31], v[30:31], 4, s[46:47]
	s_delay_alu instid0(VALU_DEP_1) | instskip(SKIP_4) | instid1(VALU_DEP_2)
	v_lshl_add_u64 v[30:31], v[24:25], 4, v[30:31]
	global_load_b128 v[30:33], v[30:31], off
	s_wait_loadcnt 0x0
	v_mul_f64_e32 v[34:35], v[14:15], v[32:33]
	v_mul_f64_e32 v[32:33], v[12:13], v[32:33]
	v_fma_f64 v[12:13], v[12:13], v[30:31], -v[34:35]
	s_delay_alu instid0(VALU_DEP_2) | instskip(NEXT) | instid1(VALU_DEP_2)
	v_fmac_f64_e32 v[32:33], v[14:15], v[30:31]
	v_add_f64_e32 v[8:9], v[8:9], v[12:13]
	s_delay_alu instid0(VALU_DEP_2)
	v_add_f64_e32 v[10:11], v[10:11], v[32:33]
.LBB149_27:                             ;   in Loop: Header=BB149_5 Depth=1
	s_wait_xcnt 0x0
	s_or_b32 exec_lo, exec_lo, s4
.LBB149_28:                             ;   in Loop: Header=BB149_5 Depth=1
	ds_store_b128 v19, v[8:11]
	s_wait_loadcnt_dscnt 0x0
	s_barrier_signal -1
	s_barrier_wait -1
                                        ; implicit-def: $vgpr10_vgpr11
	s_and_saveexec_b32 s46, s2
	s_cbranch_execz .LBB149_34
; %bb.29:                               ;   in Loop: Header=BB149_5 Depth=1
	ds_load_b128 v[8:11], v19
	ds_load_b128 v[12:15], v19 offset:1024
	s_mov_b32 s4, s45
	s_wait_dscnt 0x0
	v_add_f64_e32 v[30:31], v[8:9], v[12:13]
	v_add_f64_e32 v[32:33], v[10:11], v[14:15]
	ds_load_b128 v[8:11], v19 offset:2048
	ds_load_b128 v[12:15], v19 offset:3072
	s_wait_dscnt 0x1
	v_add_f64_e32 v[8:9], v[30:31], v[8:9]
	v_add_f64_e32 v[10:11], v[32:33], v[10:11]
	s_wait_dscnt 0x0
	s_delay_alu instid0(VALU_DEP_2) | instskip(NEXT) | instid1(VALU_DEP_2)
	v_add_f64_e32 v[12:13], v[8:9], v[12:13]
	v_add_f64_e32 v[14:15], v[10:11], v[14:15]
                                        ; implicit-def: $vgpr10_vgpr11
	ds_store_b128 v19, v[12:15]
	s_and_saveexec_b32 s47, s3
	s_cbranch_execz .LBB149_33
; %bb.30:                               ;   in Loop: Header=BB149_5 Depth=1
	v_mul_f64_e32 v[8:9], v[6:7], v[14:15]
	v_mul_f64_e32 v[10:11], v[4:5], v[14:15]
	v_cmp_neq_f64_e32 vcc_lo, 0, v[0:1]
	v_cmp_neq_f64_e64 s4, 0, v[2:3]
	s_delay_alu instid0(VALU_DEP_4) | instskip(NEXT) | instid1(VALU_DEP_4)
	v_fma_f64 v[8:9], v[4:5], v[12:13], -v[8:9]
	v_fmac_f64_e32 v[10:11], v[6:7], v[12:13]
	s_or_b32 s4, vcc_lo, s4
	s_delay_alu instid0(SALU_CYCLE_1)
	s_and_not1_b32 vcc_lo, exec_lo, s4
	s_cbranch_vccnz .LBB149_32
; %bb.31:                               ;   in Loop: Header=BB149_5 Depth=1
	v_lshl_add_u64 v[4:5], v[22:23], 4, s[30:31]
	global_load_b128 v[4:7], v[4:5], off
	s_wait_loadcnt 0x0
	v_mul_f64_e32 v[12:13], v[2:3], v[6:7]
	v_mul_f64_e32 v[6:7], v[0:1], v[6:7]
	s_delay_alu instid0(VALU_DEP_2) | instskip(NEXT) | instid1(VALU_DEP_2)
	v_fma_f64 v[0:1], v[0:1], v[4:5], -v[12:13]
	v_fmac_f64_e32 v[6:7], v[2:3], v[4:5]
	s_delay_alu instid0(VALU_DEP_2) | instskip(NEXT) | instid1(VALU_DEP_2)
	v_add_f64_e32 v[8:9], v[8:9], v[0:1]
	v_add_f64_e32 v[10:11], v[10:11], v[6:7]
.LBB149_32:                             ;   in Loop: Header=BB149_5 Depth=1
	s_or_b32 s4, s45, exec_lo
.LBB149_33:                             ;   in Loop: Header=BB149_5 Depth=1
	s_wait_xcnt 0x0
	s_or_b32 exec_lo, exec_lo, s47
	s_delay_alu instid0(SALU_CYCLE_1) | instskip(SKIP_1) | instid1(SALU_CYCLE_1)
	s_and_not1_b32 s45, s45, exec_lo
	s_and_b32 s4, s4, exec_lo
	s_or_b32 s45, s45, s4
.LBB149_34:                             ;   in Loop: Header=BB149_5 Depth=1
	s_or_b32 exec_lo, exec_lo, s46
	v_mov_b64_e32 v[0:1], v[22:23]
	s_and_saveexec_b32 s4, s45
	s_cbranch_execz .LBB149_3
.LBB149_35:                             ;   in Loop: Header=BB149_5 Depth=1
	s_delay_alu instid0(VALU_DEP_1)
	v_lshl_add_u64 v[0:1], v[0:1], 4, s[30:31]
	global_store_b128 v[0:1], v[8:11], off
	s_branch .LBB149_3
.LBB149_36:
	s_endpgm
	.section	.rodata,"a",@progbits
	.p2align	6, 0x0
	.amdhsa_kernel _ZL20rocblas_gemvn_kernelILi64ELi4El19rocblas_complex_numIdEPKS1_S1_EviiT3_lPKT2_lT1_lS7_lS8_lS4_lPT4_lS8_li
		.amdhsa_group_segment_fixed_size 4096
		.amdhsa_private_segment_fixed_size 0
		.amdhsa_kernarg_size 400
		.amdhsa_user_sgpr_count 2
		.amdhsa_user_sgpr_dispatch_ptr 0
		.amdhsa_user_sgpr_queue_ptr 0
		.amdhsa_user_sgpr_kernarg_segment_ptr 1
		.amdhsa_user_sgpr_dispatch_id 0
		.amdhsa_user_sgpr_kernarg_preload_length 0
		.amdhsa_user_sgpr_kernarg_preload_offset 0
		.amdhsa_user_sgpr_private_segment_size 0
		.amdhsa_wavefront_size32 1
		.amdhsa_uses_dynamic_stack 0
		.amdhsa_enable_private_segment 0
		.amdhsa_system_sgpr_workgroup_id_x 1
		.amdhsa_system_sgpr_workgroup_id_y 0
		.amdhsa_system_sgpr_workgroup_id_z 1
		.amdhsa_system_sgpr_workgroup_info 0
		.amdhsa_system_vgpr_workitem_id 1
		.amdhsa_next_free_vgpr 40
		.amdhsa_next_free_sgpr 52
		.amdhsa_named_barrier_count 0
		.amdhsa_reserve_vcc 1
		.amdhsa_float_round_mode_32 0
		.amdhsa_float_round_mode_16_64 0
		.amdhsa_float_denorm_mode_32 3
		.amdhsa_float_denorm_mode_16_64 3
		.amdhsa_fp16_overflow 0
		.amdhsa_memory_ordered 1
		.amdhsa_forward_progress 1
		.amdhsa_inst_pref_size 13
		.amdhsa_round_robin_scheduling 0
		.amdhsa_exception_fp_ieee_invalid_op 0
		.amdhsa_exception_fp_denorm_src 0
		.amdhsa_exception_fp_ieee_div_zero 0
		.amdhsa_exception_fp_ieee_overflow 0
		.amdhsa_exception_fp_ieee_underflow 0
		.amdhsa_exception_fp_ieee_inexact 0
		.amdhsa_exception_int_div_zero 0
	.end_amdhsa_kernel
	.section	.text._ZL20rocblas_gemvn_kernelILi64ELi4El19rocblas_complex_numIdEPKS1_S1_EviiT3_lPKT2_lT1_lS7_lS8_lS4_lPT4_lS8_li,"axG",@progbits,_ZL20rocblas_gemvn_kernelILi64ELi4El19rocblas_complex_numIdEPKS1_S1_EviiT3_lPKT2_lT1_lS7_lS8_lS4_lPT4_lS8_li,comdat
.Lfunc_end149:
	.size	_ZL20rocblas_gemvn_kernelILi64ELi4El19rocblas_complex_numIdEPKS1_S1_EviiT3_lPKT2_lT1_lS7_lS8_lS4_lPT4_lS8_li, .Lfunc_end149-_ZL20rocblas_gemvn_kernelILi64ELi4El19rocblas_complex_numIdEPKS1_S1_EviiT3_lPKT2_lT1_lS7_lS8_lS4_lPT4_lS8_li
                                        ; -- End function
	.set _ZL20rocblas_gemvn_kernelILi64ELi4El19rocblas_complex_numIdEPKS1_S1_EviiT3_lPKT2_lT1_lS7_lS8_lS4_lPT4_lS8_li.num_vgpr, 40
	.set _ZL20rocblas_gemvn_kernelILi64ELi4El19rocblas_complex_numIdEPKS1_S1_EviiT3_lPKT2_lT1_lS7_lS8_lS4_lPT4_lS8_li.num_agpr, 0
	.set _ZL20rocblas_gemvn_kernelILi64ELi4El19rocblas_complex_numIdEPKS1_S1_EviiT3_lPKT2_lT1_lS7_lS8_lS4_lPT4_lS8_li.numbered_sgpr, 52
	.set _ZL20rocblas_gemvn_kernelILi64ELi4El19rocblas_complex_numIdEPKS1_S1_EviiT3_lPKT2_lT1_lS7_lS8_lS4_lPT4_lS8_li.num_named_barrier, 0
	.set _ZL20rocblas_gemvn_kernelILi64ELi4El19rocblas_complex_numIdEPKS1_S1_EviiT3_lPKT2_lT1_lS7_lS8_lS4_lPT4_lS8_li.private_seg_size, 0
	.set _ZL20rocblas_gemvn_kernelILi64ELi4El19rocblas_complex_numIdEPKS1_S1_EviiT3_lPKT2_lT1_lS7_lS8_lS4_lPT4_lS8_li.uses_vcc, 1
	.set _ZL20rocblas_gemvn_kernelILi64ELi4El19rocblas_complex_numIdEPKS1_S1_EviiT3_lPKT2_lT1_lS7_lS8_lS4_lPT4_lS8_li.uses_flat_scratch, 0
	.set _ZL20rocblas_gemvn_kernelILi64ELi4El19rocblas_complex_numIdEPKS1_S1_EviiT3_lPKT2_lT1_lS7_lS8_lS4_lPT4_lS8_li.has_dyn_sized_stack, 0
	.set _ZL20rocblas_gemvn_kernelILi64ELi4El19rocblas_complex_numIdEPKS1_S1_EviiT3_lPKT2_lT1_lS7_lS8_lS4_lPT4_lS8_li.has_recursion, 0
	.set _ZL20rocblas_gemvn_kernelILi64ELi4El19rocblas_complex_numIdEPKS1_S1_EviiT3_lPKT2_lT1_lS7_lS8_lS4_lPT4_lS8_li.has_indirect_call, 0
	.section	.AMDGPU.csdata,"",@progbits
; Kernel info:
; codeLenInByte = 1540
; TotalNumSgprs: 54
; NumVgprs: 40
; ScratchSize: 0
; MemoryBound: 0
; FloatMode: 240
; IeeeMode: 1
; LDSByteSize: 4096 bytes/workgroup (compile time only)
; SGPRBlocks: 0
; VGPRBlocks: 2
; NumSGPRsForWavesPerEU: 54
; NumVGPRsForWavesPerEU: 40
; NamedBarCnt: 0
; Occupancy: 16
; WaveLimiterHint : 1
; COMPUTE_PGM_RSRC2:SCRATCH_EN: 0
; COMPUTE_PGM_RSRC2:USER_SGPR: 2
; COMPUTE_PGM_RSRC2:TRAP_HANDLER: 0
; COMPUTE_PGM_RSRC2:TGID_X_EN: 1
; COMPUTE_PGM_RSRC2:TGID_Y_EN: 0
; COMPUTE_PGM_RSRC2:TGID_Z_EN: 1
; COMPUTE_PGM_RSRC2:TIDIG_COMP_CNT: 1
	.section	.text._ZL20rocblas_gemvn_kernelILi64ELi4Ei19rocblas_complex_numIdES1_S1_EviiT3_lPKT2_lT1_lS5_lS6_lS2_lPT4_lS6_li,"axG",@progbits,_ZL20rocblas_gemvn_kernelILi64ELi4Ei19rocblas_complex_numIdES1_S1_EviiT3_lPKT2_lT1_lS5_lS6_lS2_lPT4_lS6_li,comdat
	.globl	_ZL20rocblas_gemvn_kernelILi64ELi4Ei19rocblas_complex_numIdES1_S1_EviiT3_lPKT2_lT1_lS5_lS6_lS2_lPT4_lS6_li ; -- Begin function _ZL20rocblas_gemvn_kernelILi64ELi4Ei19rocblas_complex_numIdES1_S1_EviiT3_lPKT2_lT1_lS5_lS6_lS2_lPT4_lS6_li
	.p2align	8
	.type	_ZL20rocblas_gemvn_kernelILi64ELi4Ei19rocblas_complex_numIdES1_S1_EviiT3_lPKT2_lT1_lS5_lS6_lS2_lPT4_lS6_li,@function
_ZL20rocblas_gemvn_kernelILi64ELi4Ei19rocblas_complex_numIdES1_S1_EviiT3_lPKT2_lT1_lS5_lS6_lS2_lPT4_lS6_li: ; @_ZL20rocblas_gemvn_kernelILi64ELi4Ei19rocblas_complex_numIdES1_S1_EviiT3_lPKT2_lT1_lS5_lS6_lS2_lPT4_lS6_li
; %bb.0:
	s_load_b64 s[2:3], s[0:1], 0xac
	s_wait_kmcnt 0x0
	s_lshr_b32 s4, s2, 16
	s_and_b32 s2, s2, 0xffff
	s_and_b32 s3, s3, 0xffff
	s_mul_i32 s4, s4, s2
	s_delay_alu instid0(SALU_CYCLE_1) | instskip(NEXT) | instid1(SALU_CYCLE_1)
	s_mul_i32 s4, s4, s3
	s_cmp_lg_u32 s4, 0x100
	s_cbranch_scc1 .LBB150_34
; %bb.1:
	s_load_b32 s27, s[0:1], 0x98
	s_bfe_u32 s3, ttmp6, 0x40014
	s_lshr_b32 s4, ttmp7, 16
	s_add_co_i32 s3, s3, 1
	s_bfe_u32 s6, ttmp6, 0x40008
	s_mul_i32 s5, s4, s3
	s_getreg_b32 s3, hwreg(HW_REG_IB_STS2, 6, 4)
	s_add_co_i32 s6, s6, s5
	s_cmp_eq_u32 s3, 0
	s_mov_b32 s29, 0
	s_cselect_b32 s28, s4, s6
	s_wait_kmcnt 0x0
	s_cmp_ge_u32 s28, s27
	s_cbranch_scc1 .LBB150_34
; %bb.2:
	s_clause 0x7
	s_load_b128 s[4:7], s[0:1], 0x8
	s_load_b64 s[30:31], s[0:1], 0x68
	s_load_b128 s[8:11], s[0:1], 0x58
	s_load_b128 s[20:23], s[0:1], 0x20
	s_load_b96 s[24:26], s[0:1], 0x48
	s_load_b128 s[16:19], s[0:1], 0x78
	s_load_b32 s42, s[0:1], 0x88
	s_load_b64 s[34:35], s[0:1], 0x0
	s_bfe_u32 s41, ttmp6, 0x4000c
	v_and_b32_e32 v1, 0x3ff, v0
	v_bfe_u32 v0, v0, 10, 10
	s_add_co_i32 s41, s41, 1
	s_clause 0x2
	s_load_b128 s[12:15], s[0:1], 0x38
	s_load_b32 s33, s[0:1], 0x30
	s_load_b64 s[36:37], s[0:1], 0x90
	s_wait_xcnt 0x0
	s_and_b32 s0, ttmp6, 15
	s_mul_i32 s1, ttmp9, s41
	v_mad_u32_u24 v2, v0, s2, v1
	s_add_co_i32 s2, s0, s1
	s_delay_alu instid0(VALU_DEP_1)
	v_dual_lshrrev_b32 v12, 6, v2 :: v_dual_lshlrev_b32 v14, 4, v2
	s_wait_kmcnt 0x0
	s_lshl_b64 s[0:1], s[22:23], 4
	v_cmp_neq_f64_e64 s38, s[4:5], 0
	v_cmp_neq_f64_e64 s39, s[6:7], 0
	s_lshl_b64 s[22:23], s[24:25], 4
	s_lshl_b64 s[24:25], s[18:19], 4
	s_ashr_i32 s43, s42, 31
	v_cmp_neq_f64_e64 s44, s[30:31], 0
	v_cmp_neq_f64_e64 s40, s[10:11], 0
	v_cmp_neq_f64_e64 s46, s[10:11], 1.0
	s_add_nc_u64 s[18:19], s[20:21], s[0:1]
	s_add_nc_u64 s[14:15], s[14:15], s[22:23]
	;; [unrolled: 1-line block ×3, first 2 shown]
	v_mul_lo_u32 v3, s33, v12
	v_mul_lo_u32 v15, s26, v12
	s_or_b32 s45, s38, s39
	s_delay_alu instid0(SALU_CYCLE_1) | instskip(SKIP_4) | instid1(SALU_CYCLE_1)
	s_xor_b32 s38, s45, -1
	s_cmp_eq_u32 s3, 0
	s_cselect_b32 s2, ttmp9, s2
	s_ashr_i32 s3, s34, 31
	s_lshl_b32 s47, s2, 6
	v_dual_mov_b32 v1, 0 :: v_dual_add_nc_u32 v0, s47, v2
	s_mov_b32 s2, s34
	s_ashr_i32 s0, s35, 31
	s_or_b32 s39, s40, s44
	s_lshr_b32 s0, s0, 30
	v_mul_u64_e32 v[8:9], s[42:43], v[0:1]
	v_cmp_gt_i64_e32 vcc_lo, s[2:3], v[0:1]
	v_or_b32_e32 v0, s47, v2
	v_and_b32_e32 v1, 63, v2
	s_add_co_i32 s0, s35, s0
	v_cmp_gt_u32_e64 s2, 64, v2
	s_and_b32 s40, s0, -4
	v_mul_lo_u32 v10, v0, s42
	v_or_b32_e32 v13, s47, v1
	s_sub_co_i32 s1, s35, s40
	v_cmp_gt_i32_e64 s0, s40, v12
	s_cmp_gt_i32 s1, 0
	v_cmp_gt_i32_e64 s3, s34, v0
	s_cselect_b32 s41, -1, 0
	s_or_b32 s20, s45, s46
	v_add3_u32 v16, v3, s47, v1
	s_and_b32 s42, s2, vcc_lo
	s_lshl_b32 s43, s26, 2
	v_ashrrev_i32_e32 v11, 31, v10
	v_cmp_gt_i32_e64 s1, s34, v13
	s_or_b32 s34, s20, s44
	s_lshl_b32 s44, s33, 2
	s_branch .LBB150_5
.LBB150_3:                              ;   in Loop: Header=BB150_5 Depth=1
	s_wait_xcnt 0x0
	s_or_b32 exec_lo, exec_lo, s22
.LBB150_4:                              ;   in Loop: Header=BB150_5 Depth=1
	s_add_co_i32 s28, s28, 0x10000
	s_delay_alu instid0(SALU_CYCLE_1)
	s_cmp_lt_u32 s28, s27
	s_cbranch_scc0 .LBB150_34
.LBB150_5:                              ; =>This Loop Header: Depth=1
                                        ;     Child Loop BB150_15 Depth 2
	s_and_not1_b32 vcc_lo, exec_lo, s34
	s_cbranch_vccnz .LBB150_4
; %bb.6:                                ;   in Loop: Header=BB150_5 Depth=1
	s_mul_u64 s[20:21], s[36:37], s[28:29]
	s_and_not1_b32 vcc_lo, exec_lo, s38
	s_lshl_b64 s[20:21], s[20:21], 4
	s_delay_alu instid0(SALU_CYCLE_1)
	s_add_nc_u64 s[20:21], s[16:17], s[20:21]
	s_cbranch_vccnz .LBB150_11
; %bb.7:                                ;   in Loop: Header=BB150_5 Depth=1
	s_mov_b32 s22, 0
	s_mov_b32 s45, 0
                                        ; implicit-def: $vgpr2_vgpr3
	s_and_saveexec_b32 s23, s42
	s_cbranch_execz .LBB150_17
; %bb.8:                                ;   in Loop: Header=BB150_5 Depth=1
	v_mov_b64_e32 v[2:3], 0
	v_mov_b64_e32 v[0:1], 0
	s_and_not1_b32 vcc_lo, exec_lo, s39
	s_cbranch_vccnz .LBB150_10
; %bb.9:                                ;   in Loop: Header=BB150_5 Depth=1
	v_lshl_add_u64 v[0:1], v[8:9], 4, s[20:21]
	global_load_b128 v[4:7], v[0:1], off
	s_wait_loadcnt 0x0
	s_wait_xcnt 0x0
	v_mul_f64_e32 v[0:1], s[30:31], v[6:7]
	v_mul_f64_e32 v[2:3], s[10:11], v[6:7]
	s_delay_alu instid0(VALU_DEP_2) | instskip(NEXT) | instid1(VALU_DEP_2)
	v_fma_f64 v[0:1], s[10:11], v[4:5], -v[0:1]
	v_fmac_f64_e32 v[2:3], s[30:31], v[4:5]
.LBB150_10:                             ;   in Loop: Header=BB150_5 Depth=1
	s_mov_b32 s45, exec_lo
	s_or_b32 exec_lo, exec_lo, s23
	s_delay_alu instid0(SALU_CYCLE_1)
	s_and_b32 vcc_lo, exec_lo, s22
	s_cbranch_vccnz .LBB150_12
	s_branch .LBB150_18
.LBB150_11:                             ;   in Loop: Header=BB150_5 Depth=1
	s_mov_b32 s45, 0
                                        ; implicit-def: $vgpr2_vgpr3
	s_cbranch_execz .LBB150_18
.LBB150_12:                             ;   in Loop: Header=BB150_5 Depth=1
	v_mov_b64_e32 v[2:3], 0
	v_mov_b64_e32 v[0:1], 0
	s_mul_u64 s[22:23], s[12:13], s[28:29]
	s_mul_u64 s[24:25], s[8:9], s[28:29]
	v_mov_b32_e32 v17, v12
	s_lshl_b64 s[22:23], s[22:23], 4
	s_lshl_b64 s[24:25], s[24:25], 4
	s_add_nc_u64 s[22:23], s[18:19], s[22:23]
	s_add_nc_u64 s[24:25], s[14:15], s[24:25]
	s_and_saveexec_b32 s46, s0
	s_cbranch_execz .LBB150_20
; %bb.13:                               ;   in Loop: Header=BB150_5 Depth=1
	v_mov_b64_e32 v[2:3], 0
	v_dual_mov_b32 v4, v16 :: v_dual_mov_b32 v5, v15
	v_mov_b32_e32 v17, v12
	s_mov_b32 s47, 0
	s_delay_alu instid0(VALU_DEP_3)
	v_mov_b64_e32 v[0:1], v[2:3]
	s_branch .LBB150_15
.LBB150_14:                             ;   in Loop: Header=BB150_15 Depth=2
	s_wait_xcnt 0x0
	s_or_b32 exec_lo, exec_lo, s48
	v_dual_add_nc_u32 v17, 4, v17 :: v_dual_add_nc_u32 v4, s44, v4
	v_add_nc_u32_e32 v5, s43, v5
	s_delay_alu instid0(VALU_DEP_2) | instskip(SKIP_1) | instid1(SALU_CYCLE_1)
	v_cmp_le_i32_e32 vcc_lo, s40, v17
	s_or_b32 s47, vcc_lo, s47
	s_and_not1_b32 exec_lo, exec_lo, s47
	s_cbranch_execz .LBB150_19
.LBB150_15:                             ;   Parent Loop BB150_5 Depth=1
                                        ; =>  This Inner Loop Header: Depth=2
	s_and_saveexec_b32 s48, s1
	s_cbranch_execz .LBB150_14
; %bb.16:                               ;   in Loop: Header=BB150_15 Depth=2
	global_load_b128 v[18:21], v5, s[24:25] scale_offset
	global_load_b128 v[22:25], v4, s[22:23] scale_offset
	s_wait_loadcnt 0x0
	v_mul_f64_e32 v[6:7], v[20:21], v[24:25]
	v_mul_f64_e32 v[24:25], v[18:19], v[24:25]
	s_delay_alu instid0(VALU_DEP_2) | instskip(NEXT) | instid1(VALU_DEP_2)
	v_fma_f64 v[6:7], v[18:19], v[22:23], -v[6:7]
	v_fmac_f64_e32 v[24:25], v[20:21], v[22:23]
	s_delay_alu instid0(VALU_DEP_2) | instskip(NEXT) | instid1(VALU_DEP_2)
	v_add_f64_e32 v[0:1], v[0:1], v[6:7]
	v_add_f64_e32 v[2:3], v[2:3], v[24:25]
	s_branch .LBB150_14
.LBB150_17:                             ;   in Loop: Header=BB150_5 Depth=1
	s_or_b32 exec_lo, exec_lo, s23
	s_delay_alu instid0(SALU_CYCLE_1)
	s_and_b32 vcc_lo, exec_lo, s22
	s_cbranch_vccnz .LBB150_12
.LBB150_18:                             ;   in Loop: Header=BB150_5 Depth=1
	v_mov_b64_e32 v[4:5], v[8:9]
	s_and_saveexec_b32 s22, s45
	s_cbranch_execz .LBB150_3
	s_branch .LBB150_33
.LBB150_19:                             ;   in Loop: Header=BB150_5 Depth=1
	s_or_b32 exec_lo, exec_lo, s47
.LBB150_20:                             ;   in Loop: Header=BB150_5 Depth=1
	s_delay_alu instid0(SALU_CYCLE_1) | instskip(NEXT) | instid1(SALU_CYCLE_1)
	s_or_b32 exec_lo, exec_lo, s46
	s_and_not1_b32 vcc_lo, exec_lo, s41
	s_cbranch_vccnz .LBB150_26
; %bb.21:                               ;   in Loop: Header=BB150_5 Depth=1
	v_mov_b64_e32 v[4:5], 0
	v_mov_b64_e32 v[6:7], 0
	v_cmp_gt_i32_e32 vcc_lo, s35, v17
	s_and_saveexec_b32 s46, vcc_lo
	s_cbranch_execz .LBB150_23
; %bb.22:                               ;   in Loop: Header=BB150_5 Depth=1
	v_mul_lo_u32 v4, v17, s26
	global_load_b128 v[4:7], v4, s[24:25] scale_offset
.LBB150_23:                             ;   in Loop: Header=BB150_5 Depth=1
	s_wait_xcnt 0x0
	s_or_b32 exec_lo, exec_lo, s46
	s_and_saveexec_b32 s24, s1
	s_cbranch_execz .LBB150_25
; %bb.24:                               ;   in Loop: Header=BB150_5 Depth=1
	v_mul_lo_u32 v17, v17, s33
	s_delay_alu instid0(VALU_DEP_1) | instskip(NEXT) | instid1(VALU_DEP_1)
	v_cndmask_b32_e32 v17, 0, v17, vcc_lo
	v_add_nc_u32_e32 v17, v17, v13
	global_load_b128 v[18:21], v17, s[22:23] scale_offset
	s_wait_loadcnt 0x0
	v_mul_f64_e32 v[22:23], v[6:7], v[20:21]
	v_mul_f64_e32 v[20:21], v[4:5], v[20:21]
	s_delay_alu instid0(VALU_DEP_2) | instskip(NEXT) | instid1(VALU_DEP_2)
	v_fma_f64 v[4:5], v[4:5], v[18:19], -v[22:23]
	v_fmac_f64_e32 v[20:21], v[6:7], v[18:19]
	s_delay_alu instid0(VALU_DEP_2) | instskip(NEXT) | instid1(VALU_DEP_2)
	v_add_f64_e32 v[0:1], v[0:1], v[4:5]
	v_add_f64_e32 v[2:3], v[2:3], v[20:21]
.LBB150_25:                             ;   in Loop: Header=BB150_5 Depth=1
	s_wait_xcnt 0x0
	s_or_b32 exec_lo, exec_lo, s24
.LBB150_26:                             ;   in Loop: Header=BB150_5 Depth=1
	ds_store_b128 v14, v[0:3]
	s_wait_loadcnt_dscnt 0x0
	s_barrier_signal -1
	s_barrier_wait -1
                                        ; implicit-def: $vgpr2_vgpr3
	s_and_saveexec_b32 s22, s2
	s_cbranch_execz .LBB150_32
; %bb.27:                               ;   in Loop: Header=BB150_5 Depth=1
	ds_load_b128 v[0:3], v14
	ds_load_b128 v[4:7], v14 offset:1024
	s_mov_b32 s24, s45
	s_wait_dscnt 0x0
	v_add_f64_e32 v[18:19], v[0:1], v[4:5]
	v_add_f64_e32 v[20:21], v[2:3], v[6:7]
	ds_load_b128 v[0:3], v14 offset:2048
	ds_load_b128 v[4:7], v14 offset:3072
	s_wait_dscnt 0x1
	v_add_f64_e32 v[0:1], v[18:19], v[0:1]
	v_add_f64_e32 v[2:3], v[20:21], v[2:3]
	s_wait_dscnt 0x0
	s_delay_alu instid0(VALU_DEP_2) | instskip(NEXT) | instid1(VALU_DEP_2)
	v_add_f64_e32 v[4:5], v[0:1], v[4:5]
	v_add_f64_e32 v[6:7], v[2:3], v[6:7]
                                        ; implicit-def: $vgpr2_vgpr3
	ds_store_b128 v14, v[4:7]
	s_and_saveexec_b32 s23, s3
	s_cbranch_execz .LBB150_31
; %bb.28:                               ;   in Loop: Header=BB150_5 Depth=1
	v_mul_f64_e32 v[0:1], s[6:7], v[6:7]
	v_mul_f64_e32 v[2:3], s[4:5], v[6:7]
	s_and_not1_b32 vcc_lo, exec_lo, s39
	s_delay_alu instid0(VALU_DEP_2) | instskip(NEXT) | instid1(VALU_DEP_2)
	v_fma_f64 v[0:1], s[4:5], v[4:5], -v[0:1]
	v_fmac_f64_e32 v[2:3], s[6:7], v[4:5]
	s_cbranch_vccnz .LBB150_30
; %bb.29:                               ;   in Loop: Header=BB150_5 Depth=1
	v_lshl_add_u64 v[4:5], v[10:11], 4, s[20:21]
	global_load_b128 v[4:7], v[4:5], off
	s_wait_loadcnt 0x0
	v_mul_f64_e32 v[18:19], s[30:31], v[6:7]
	v_mul_f64_e32 v[6:7], s[10:11], v[6:7]
	s_delay_alu instid0(VALU_DEP_2) | instskip(NEXT) | instid1(VALU_DEP_2)
	v_fma_f64 v[18:19], s[10:11], v[4:5], -v[18:19]
	v_fmac_f64_e32 v[6:7], s[30:31], v[4:5]
	s_delay_alu instid0(VALU_DEP_2) | instskip(NEXT) | instid1(VALU_DEP_2)
	v_add_f64_e32 v[0:1], v[0:1], v[18:19]
	v_add_f64_e32 v[2:3], v[2:3], v[6:7]
.LBB150_30:                             ;   in Loop: Header=BB150_5 Depth=1
	s_or_b32 s24, s45, exec_lo
.LBB150_31:                             ;   in Loop: Header=BB150_5 Depth=1
	s_wait_xcnt 0x0
	s_or_b32 exec_lo, exec_lo, s23
	s_delay_alu instid0(SALU_CYCLE_1) | instskip(SKIP_1) | instid1(SALU_CYCLE_1)
	s_and_not1_b32 s23, s45, exec_lo
	s_and_b32 s24, s24, exec_lo
	s_or_b32 s45, s23, s24
.LBB150_32:                             ;   in Loop: Header=BB150_5 Depth=1
	s_or_b32 exec_lo, exec_lo, s22
	v_mov_b64_e32 v[4:5], v[10:11]
	s_and_saveexec_b32 s22, s45
	s_cbranch_execz .LBB150_3
.LBB150_33:                             ;   in Loop: Header=BB150_5 Depth=1
	s_delay_alu instid0(VALU_DEP_1)
	v_lshl_add_u64 v[4:5], v[4:5], 4, s[20:21]
	global_store_b128 v[4:5], v[0:3], off
	s_branch .LBB150_3
.LBB150_34:
	s_endpgm
	.section	.rodata,"a",@progbits
	.p2align	6, 0x0
	.amdhsa_kernel _ZL20rocblas_gemvn_kernelILi64ELi4Ei19rocblas_complex_numIdES1_S1_EviiT3_lPKT2_lT1_lS5_lS6_lS2_lPT4_lS6_li
		.amdhsa_group_segment_fixed_size 4096
		.amdhsa_private_segment_fixed_size 0
		.amdhsa_kernarg_size 416
		.amdhsa_user_sgpr_count 2
		.amdhsa_user_sgpr_dispatch_ptr 0
		.amdhsa_user_sgpr_queue_ptr 0
		.amdhsa_user_sgpr_kernarg_segment_ptr 1
		.amdhsa_user_sgpr_dispatch_id 0
		.amdhsa_user_sgpr_kernarg_preload_length 0
		.amdhsa_user_sgpr_kernarg_preload_offset 0
		.amdhsa_user_sgpr_private_segment_size 0
		.amdhsa_wavefront_size32 1
		.amdhsa_uses_dynamic_stack 0
		.amdhsa_enable_private_segment 0
		.amdhsa_system_sgpr_workgroup_id_x 1
		.amdhsa_system_sgpr_workgroup_id_y 0
		.amdhsa_system_sgpr_workgroup_id_z 1
		.amdhsa_system_sgpr_workgroup_info 0
		.amdhsa_system_vgpr_workitem_id 1
		.amdhsa_next_free_vgpr 26
		.amdhsa_next_free_sgpr 49
		.amdhsa_named_barrier_count 0
		.amdhsa_reserve_vcc 1
		.amdhsa_float_round_mode_32 0
		.amdhsa_float_round_mode_16_64 0
		.amdhsa_float_denorm_mode_32 3
		.amdhsa_float_denorm_mode_16_64 3
		.amdhsa_fp16_overflow 0
		.amdhsa_memory_ordered 1
		.amdhsa_forward_progress 1
		.amdhsa_inst_pref_size 11
		.amdhsa_round_robin_scheduling 0
		.amdhsa_exception_fp_ieee_invalid_op 0
		.amdhsa_exception_fp_denorm_src 0
		.amdhsa_exception_fp_ieee_div_zero 0
		.amdhsa_exception_fp_ieee_overflow 0
		.amdhsa_exception_fp_ieee_underflow 0
		.amdhsa_exception_fp_ieee_inexact 0
		.amdhsa_exception_int_div_zero 0
	.end_amdhsa_kernel
	.section	.text._ZL20rocblas_gemvn_kernelILi64ELi4Ei19rocblas_complex_numIdES1_S1_EviiT3_lPKT2_lT1_lS5_lS6_lS2_lPT4_lS6_li,"axG",@progbits,_ZL20rocblas_gemvn_kernelILi64ELi4Ei19rocblas_complex_numIdES1_S1_EviiT3_lPKT2_lT1_lS5_lS6_lS2_lPT4_lS6_li,comdat
.Lfunc_end150:
	.size	_ZL20rocblas_gemvn_kernelILi64ELi4Ei19rocblas_complex_numIdES1_S1_EviiT3_lPKT2_lT1_lS5_lS6_lS2_lPT4_lS6_li, .Lfunc_end150-_ZL20rocblas_gemvn_kernelILi64ELi4Ei19rocblas_complex_numIdES1_S1_EviiT3_lPKT2_lT1_lS5_lS6_lS2_lPT4_lS6_li
                                        ; -- End function
	.set _ZL20rocblas_gemvn_kernelILi64ELi4Ei19rocblas_complex_numIdES1_S1_EviiT3_lPKT2_lT1_lS5_lS6_lS2_lPT4_lS6_li.num_vgpr, 26
	.set _ZL20rocblas_gemvn_kernelILi64ELi4Ei19rocblas_complex_numIdES1_S1_EviiT3_lPKT2_lT1_lS5_lS6_lS2_lPT4_lS6_li.num_agpr, 0
	.set _ZL20rocblas_gemvn_kernelILi64ELi4Ei19rocblas_complex_numIdES1_S1_EviiT3_lPKT2_lT1_lS5_lS6_lS2_lPT4_lS6_li.numbered_sgpr, 49
	.set _ZL20rocblas_gemvn_kernelILi64ELi4Ei19rocblas_complex_numIdES1_S1_EviiT3_lPKT2_lT1_lS5_lS6_lS2_lPT4_lS6_li.num_named_barrier, 0
	.set _ZL20rocblas_gemvn_kernelILi64ELi4Ei19rocblas_complex_numIdES1_S1_EviiT3_lPKT2_lT1_lS5_lS6_lS2_lPT4_lS6_li.private_seg_size, 0
	.set _ZL20rocblas_gemvn_kernelILi64ELi4Ei19rocblas_complex_numIdES1_S1_EviiT3_lPKT2_lT1_lS5_lS6_lS2_lPT4_lS6_li.uses_vcc, 1
	.set _ZL20rocblas_gemvn_kernelILi64ELi4Ei19rocblas_complex_numIdES1_S1_EviiT3_lPKT2_lT1_lS5_lS6_lS2_lPT4_lS6_li.uses_flat_scratch, 0
	.set _ZL20rocblas_gemvn_kernelILi64ELi4Ei19rocblas_complex_numIdES1_S1_EviiT3_lPKT2_lT1_lS5_lS6_lS2_lPT4_lS6_li.has_dyn_sized_stack, 0
	.set _ZL20rocblas_gemvn_kernelILi64ELi4Ei19rocblas_complex_numIdES1_S1_EviiT3_lPKT2_lT1_lS5_lS6_lS2_lPT4_lS6_li.has_recursion, 0
	.set _ZL20rocblas_gemvn_kernelILi64ELi4Ei19rocblas_complex_numIdES1_S1_EviiT3_lPKT2_lT1_lS5_lS6_lS2_lPT4_lS6_li.has_indirect_call, 0
	.section	.AMDGPU.csdata,"",@progbits
; Kernel info:
; codeLenInByte = 1392
; TotalNumSgprs: 51
; NumVgprs: 26
; ScratchSize: 0
; MemoryBound: 1
; FloatMode: 240
; IeeeMode: 1
; LDSByteSize: 4096 bytes/workgroup (compile time only)
; SGPRBlocks: 0
; VGPRBlocks: 1
; NumSGPRsForWavesPerEU: 51
; NumVGPRsForWavesPerEU: 26
; NamedBarCnt: 0
; Occupancy: 16
; WaveLimiterHint : 1
; COMPUTE_PGM_RSRC2:SCRATCH_EN: 0
; COMPUTE_PGM_RSRC2:USER_SGPR: 2
; COMPUTE_PGM_RSRC2:TRAP_HANDLER: 0
; COMPUTE_PGM_RSRC2:TGID_X_EN: 1
; COMPUTE_PGM_RSRC2:TGID_Y_EN: 0
; COMPUTE_PGM_RSRC2:TGID_Z_EN: 1
; COMPUTE_PGM_RSRC2:TIDIG_COMP_CNT: 1
	.section	.text._ZL20rocblas_gemvn_kernelILi64ELi4El19rocblas_complex_numIdES1_S1_EviiT3_lPKT2_lT1_lS5_lS6_lS2_lPT4_lS6_li,"axG",@progbits,_ZL20rocblas_gemvn_kernelILi64ELi4El19rocblas_complex_numIdES1_S1_EviiT3_lPKT2_lT1_lS5_lS6_lS2_lPT4_lS6_li,comdat
	.globl	_ZL20rocblas_gemvn_kernelILi64ELi4El19rocblas_complex_numIdES1_S1_EviiT3_lPKT2_lT1_lS5_lS6_lS2_lPT4_lS6_li ; -- Begin function _ZL20rocblas_gemvn_kernelILi64ELi4El19rocblas_complex_numIdES1_S1_EviiT3_lPKT2_lT1_lS5_lS6_lS2_lPT4_lS6_li
	.p2align	8
	.type	_ZL20rocblas_gemvn_kernelILi64ELi4El19rocblas_complex_numIdES1_S1_EviiT3_lPKT2_lT1_lS5_lS6_lS2_lPT4_lS6_li,@function
_ZL20rocblas_gemvn_kernelILi64ELi4El19rocblas_complex_numIdES1_S1_EviiT3_lPKT2_lT1_lS5_lS6_lS2_lPT4_lS6_li: ; @_ZL20rocblas_gemvn_kernelILi64ELi4El19rocblas_complex_numIdES1_S1_EviiT3_lPKT2_lT1_lS5_lS6_lS2_lPT4_lS6_li
; %bb.0:
	s_load_b64 s[4:5], s[0:1], 0xac
	s_wait_kmcnt 0x0
	s_lshr_b32 s2, s4, 16
	s_and_b32 s3, s4, 0xffff
	s_and_b32 s4, s5, 0xffff
	s_mul_i32 s2, s2, s3
	s_delay_alu instid0(SALU_CYCLE_1) | instskip(NEXT) | instid1(SALU_CYCLE_1)
	s_mul_i32 s2, s2, s4
	s_cmp_lg_u32 s2, 0x100
	s_cbranch_scc1 .LBB151_34
; %bb.1:
	s_load_b32 s33, s[0:1], 0x98
	s_bfe_u32 s2, ttmp6, 0x40014
	s_lshr_b32 s4, ttmp7, 16
	s_add_co_i32 s2, s2, 1
	s_bfe_u32 s6, ttmp6, 0x40008
	s_mul_i32 s5, s4, s2
	s_getreg_b32 s2, hwreg(HW_REG_IB_STS2, 6, 4)
	s_add_co_i32 s6, s6, s5
	s_cmp_eq_u32 s2, 0
	s_mov_b32 s35, 0
	s_cselect_b32 s34, s4, s6
	s_wait_kmcnt 0x0
	s_cmp_ge_u32 s34, s33
	s_cbranch_scc1 .LBB151_34
; %bb.2:
	s_clause 0x4
	s_load_b128 s[28:31], s[0:1], 0x8
	s_load_b64 s[40:41], s[0:1], 0x0
	s_load_b128 s[36:39], s[0:1], 0x60
	s_load_b512 s[4:19], s[0:1], 0x20
	s_load_b256 s[20:27], s[0:1], 0x78
	s_wait_xcnt 0x0
	s_bfe_u32 s0, ttmp6, 0x4000c
	v_and_b32_e32 v1, 0x3ff, v0
	v_bfe_u32 v0, v0, 10, 10
	s_add_co_i32 s0, s0, 1
	s_and_b32 s1, ttmp6, 15
	s_mul_i32 s0, ttmp9, s0
	s_delay_alu instid0(VALU_DEP_1) | instskip(SKIP_2) | instid1(VALU_DEP_2)
	v_mad_u32_u24 v6, v0, s3, v1
	v_mov_b32_e32 v9, 0
	s_add_co_i32 s3, s1, s0
	v_lshrrev_b32_e32 v10, 6, v6
	s_wait_kmcnt 0x0
	v_cmp_neq_f64_e64 s42, s[28:29], 0
	v_cmp_neq_f64_e64 s43, s[30:31], 0
	s_lshl_b64 s[0:1], s[6:7], 4
	s_lshl_b64 s[14:15], s[14:15], 4
	;; [unrolled: 1-line block ×3, first 2 shown]
	v_cmp_neq_f64_e64 s48, s[38:39], 0
	v_cmp_neq_f64_e64 s46, s[36:37], 0
	s_add_nc_u64 s[12:13], s[12:13], s[14:15]
	s_add_nc_u64 s[14:15], s[20:21], s[22:23]
	s_add_nc_u64 s[6:7], s[4:5], s[0:1]
	s_or_b32 s42, s42, s43
	v_cmp_neq_f64_e64 s43, s[36:37], 1.0
	s_xor_b32 s44, s42, -1
	s_cmp_eq_u32 s2, 0
	s_cselect_b32 s2, ttmp9, s3
	s_ashr_i32 s20, s41, 31
	s_lshl_b32 s2, s2, 6
	s_delay_alu instid0(SALU_CYCLE_1) | instskip(SKIP_3) | instid1(VALU_DEP_3)
	v_dual_mov_b32 v11, v9 :: v_dual_bitop2_b32 v4, s2, v6 bitop3:0x54
	v_add_nc_u32_e32 v8, s2, v6
	v_and_or_b32 v14, v6, 63, s2
	s_lshr_b32 s20, s20, 30
	v_mul_u64_e32 v[0:1], s[8:9], v[10:11]
	v_mul_u64_e32 v[2:3], s[16:17], v[10:11]
	v_ashrrev_i32_e32 v5, 31, v4
	v_mul_u64_e32 v[12:13], s[24:25], v[8:9]
	v_ashrrev_i32_e32 v15, 31, v14
	s_add_co_i32 s20, s41, s20
	s_ashr_i32 s3, s40, 31
	v_mul_u64_e32 v[16:17], s[24:25], v[4:5]
	s_mov_b32 s2, s40
	s_and_b32 s45, s20, -4
	v_cmp_gt_i64_e32 vcc_lo, s[2:3], v[8:9]
	s_or_b32 s46, s46, s48
	v_cmp_gt_u32_e64 s2, 64, v6
	v_lshlrev_b32_e32 v11, 4, v6
	v_cmp_gt_i32_e64 s3, s40, v4
	v_lshl_add_u64 v[0:1], v[0:1], 4, s[0:1]
	v_lshl_add_u64 v[2:3], v[2:3], 4, s[12:13]
	s_sub_co_i32 s1, s41, s45
	v_cmp_gt_i32_e64 s0, s45, v10
	s_cmp_gt_i32 s1, 0
	v_lshl_add_u64 v[0:1], v[14:15], 4, v[0:1]
	v_add_nc_u64_e32 v[18:19], 8, v[2:3]
	v_cmp_gt_i32_e64 s1, s40, v14
	s_cselect_b32 s47, -1, 0
	s_or_b32 s20, s42, s43
	v_add_nc_u64_e32 v[0:1], s[4:5], v[0:1]
	s_and_b32 s40, s2, vcc_lo
	s_lshl_b64 s[4:5], s[18:19], 4
	s_or_b32 s48, s20, s48
	s_lshl_b64 s[20:21], s[16:17], 6
	s_lshl_b64 s[22:23], s[10:11], 4
	;; [unrolled: 1-line block ×3, first 2 shown]
	v_add_nc_u64_e32 v[20:21], 8, v[0:1]
	s_branch .LBB151_5
.LBB151_3:                              ;   in Loop: Header=BB151_5 Depth=1
	s_wait_xcnt 0x0
	s_or_b32 exec_lo, exec_lo, s50
.LBB151_4:                              ;   in Loop: Header=BB151_5 Depth=1
	s_add_co_i32 s34, s34, 0x10000
	s_delay_alu instid0(SALU_CYCLE_1)
	s_cmp_lt_u32 s34, s33
	s_cbranch_scc0 .LBB151_34
.LBB151_5:                              ; =>This Loop Header: Depth=1
                                        ;     Child Loop BB151_15 Depth 2
	s_and_not1_b32 vcc_lo, exec_lo, s48
	s_cbranch_vccnz .LBB151_4
; %bb.6:                                ;   in Loop: Header=BB151_5 Depth=1
	s_mul_u64 s[42:43], s[26:27], s[34:35]
	s_and_not1_b32 vcc_lo, exec_lo, s44
	s_lshl_b64 s[42:43], s[42:43], 4
	s_delay_alu instid0(SALU_CYCLE_1)
	s_add_nc_u64 s[42:43], s[14:15], s[42:43]
	s_cbranch_vccnz .LBB151_11
; %bb.7:                                ;   in Loop: Header=BB151_5 Depth=1
	s_mov_b32 s50, 0
	s_mov_b32 s49, 0
                                        ; implicit-def: $vgpr2_vgpr3
	s_and_saveexec_b32 s51, s40
	s_cbranch_execz .LBB151_17
; %bb.8:                                ;   in Loop: Header=BB151_5 Depth=1
	v_mov_b64_e32 v[2:3], 0
	v_mov_b64_e32 v[0:1], 0
	s_and_not1_b32 vcc_lo, exec_lo, s46
	s_cbranch_vccnz .LBB151_10
; %bb.9:                                ;   in Loop: Header=BB151_5 Depth=1
	v_lshl_add_u64 v[0:1], v[12:13], 4, s[42:43]
	global_load_b128 v[4:7], v[0:1], off
	s_wait_loadcnt 0x0
	s_wait_xcnt 0x0
	v_mul_f64_e32 v[0:1], s[38:39], v[6:7]
	v_mul_f64_e32 v[2:3], s[36:37], v[6:7]
	s_delay_alu instid0(VALU_DEP_2) | instskip(NEXT) | instid1(VALU_DEP_2)
	v_fma_f64 v[0:1], s[36:37], v[4:5], -v[0:1]
	v_fmac_f64_e32 v[2:3], s[38:39], v[4:5]
.LBB151_10:                             ;   in Loop: Header=BB151_5 Depth=1
	s_mov_b32 s49, exec_lo
	s_or_b32 exec_lo, exec_lo, s51
	s_delay_alu instid0(SALU_CYCLE_1)
	s_and_b32 vcc_lo, exec_lo, s50
	s_cbranch_vccnz .LBB151_12
	s_branch .LBB151_18
.LBB151_11:                             ;   in Loop: Header=BB151_5 Depth=1
	s_mov_b32 s49, 0
                                        ; implicit-def: $vgpr2_vgpr3
	s_cbranch_execz .LBB151_18
.LBB151_12:                             ;   in Loop: Header=BB151_5 Depth=1
	v_mov_b64_e32 v[2:3], 0
	v_mov_b64_e32 v[0:1], 0
	v_mov_b32_e32 v8, v10
	s_and_saveexec_b32 s50, s0
	s_cbranch_execz .LBB151_20
; %bb.13:                               ;   in Loop: Header=BB151_5 Depth=1
	v_mad_nc_u64_u32 v[4:5], s4, s34, v[18:19]
	v_mad_nc_u64_u32 v[6:7], s22, s34, v[20:21]
	v_mov_b64_e32 v[2:3], 0
	v_mov_b32_e32 v8, v10
	s_mov_b32 s51, 0
	s_delay_alu instid0(VALU_DEP_2)
	v_mov_b64_e32 v[0:1], v[2:3]
	v_mad_u32 v5, s5, s34, v5
	v_mad_u32 v7, s23, s34, v7
	s_branch .LBB151_15
.LBB151_14:                             ;   in Loop: Header=BB151_15 Depth=2
	s_wait_xcnt 0x0
	s_or_b32 exec_lo, exec_lo, s52
	v_add_nc_u32_e32 v8, 4, v8
	s_delay_alu instid0(VALU_DEP_3) | instskip(NEXT) | instid1(VALU_DEP_3)
	v_add_nc_u64_e32 v[4:5], s[20:21], v[4:5]
	v_add_nc_u64_e32 v[6:7], s[24:25], v[6:7]
	s_delay_alu instid0(VALU_DEP_3) | instskip(SKIP_1) | instid1(SALU_CYCLE_1)
	v_cmp_le_i32_e32 vcc_lo, s45, v8
	s_or_b32 s51, vcc_lo, s51
	s_and_not1_b32 exec_lo, exec_lo, s51
	s_cbranch_execz .LBB151_19
.LBB151_15:                             ;   Parent Loop BB151_5 Depth=1
                                        ; =>  This Inner Loop Header: Depth=2
	s_and_saveexec_b32 s52, s1
	s_cbranch_execz .LBB151_14
; %bb.16:                               ;   in Loop: Header=BB151_15 Depth=2
	global_load_b128 v[22:25], v[4:5], off offset:-8
	global_load_b128 v[26:29], v[6:7], off offset:-8
	s_wait_loadcnt 0x0
	v_mul_f64_e32 v[30:31], v[24:25], v[28:29]
	v_mul_f64_e32 v[28:29], v[22:23], v[28:29]
	s_delay_alu instid0(VALU_DEP_2) | instskip(NEXT) | instid1(VALU_DEP_2)
	v_fma_f64 v[22:23], v[22:23], v[26:27], -v[30:31]
	v_fmac_f64_e32 v[28:29], v[24:25], v[26:27]
	s_delay_alu instid0(VALU_DEP_2) | instskip(NEXT) | instid1(VALU_DEP_2)
	v_add_f64_e32 v[0:1], v[0:1], v[22:23]
	v_add_f64_e32 v[2:3], v[2:3], v[28:29]
	s_branch .LBB151_14
.LBB151_17:                             ;   in Loop: Header=BB151_5 Depth=1
	s_or_b32 exec_lo, exec_lo, s51
	s_delay_alu instid0(SALU_CYCLE_1)
	s_and_b32 vcc_lo, exec_lo, s50
	s_cbranch_vccnz .LBB151_12
.LBB151_18:                             ;   in Loop: Header=BB151_5 Depth=1
	v_mov_b64_e32 v[4:5], v[12:13]
	s_and_saveexec_b32 s50, s49
	s_cbranch_execz .LBB151_3
	s_branch .LBB151_33
.LBB151_19:                             ;   in Loop: Header=BB151_5 Depth=1
	s_or_b32 exec_lo, exec_lo, s51
.LBB151_20:                             ;   in Loop: Header=BB151_5 Depth=1
	s_delay_alu instid0(SALU_CYCLE_1) | instskip(NEXT) | instid1(SALU_CYCLE_1)
	s_or_b32 exec_lo, exec_lo, s50
	s_and_not1_b32 vcc_lo, exec_lo, s47
	s_cbranch_vccnz .LBB151_26
; %bb.21:                               ;   in Loop: Header=BB151_5 Depth=1
	v_mov_b64_e32 v[4:5], 0
	v_mov_b64_e32 v[6:7], 0
	v_cmp_gt_i32_e32 vcc_lo, s41, v8
	s_and_saveexec_b32 s50, vcc_lo
	s_cbranch_execz .LBB151_23
; %bb.22:                               ;   in Loop: Header=BB151_5 Depth=1
	v_mul_u64_e32 v[4:5], s[16:17], v[8:9]
	s_mul_u64 s[52:53], s[18:19], s[34:35]
	s_delay_alu instid0(SALU_CYCLE_1) | instskip(NEXT) | instid1(SALU_CYCLE_1)
	s_lshl_b64 s[52:53], s[52:53], 4
	s_add_nc_u64 s[52:53], s[12:13], s[52:53]
	s_delay_alu instid0(VALU_DEP_1) | instid1(SALU_CYCLE_1)
	v_lshl_add_u64 v[4:5], v[4:5], 4, s[52:53]
	global_load_b128 v[4:7], v[4:5], off
.LBB151_23:                             ;   in Loop: Header=BB151_5 Depth=1
	s_wait_xcnt 0x0
	s_or_b32 exec_lo, exec_lo, s50
	s_and_saveexec_b32 s50, s1
	s_cbranch_execz .LBB151_25
; %bb.24:                               ;   in Loop: Header=BB151_5 Depth=1
	v_mul_u64_e32 v[22:23], s[8:9], v[8:9]
	s_mul_u64 s[52:53], s[10:11], s[34:35]
	s_delay_alu instid0(SALU_CYCLE_1) | instskip(NEXT) | instid1(SALU_CYCLE_1)
	s_lshl_b64 s[52:53], s[52:53], 4
	s_add_nc_u64 s[52:53], s[6:7], s[52:53]
	s_delay_alu instid0(VALU_DEP_1) | instskip(NEXT) | instid1(VALU_DEP_1)
	v_dual_cndmask_b32 v23, 0, v23 :: v_dual_cndmask_b32 v22, 0, v22
	v_lshl_add_u64 v[22:23], v[22:23], 4, s[52:53]
	s_delay_alu instid0(VALU_DEP_1) | instskip(SKIP_4) | instid1(VALU_DEP_2)
	v_lshl_add_u64 v[22:23], v[14:15], 4, v[22:23]
	global_load_b128 v[22:25], v[22:23], off
	s_wait_loadcnt 0x0
	v_mul_f64_e32 v[26:27], v[6:7], v[24:25]
	v_mul_f64_e32 v[24:25], v[4:5], v[24:25]
	v_fma_f64 v[4:5], v[4:5], v[22:23], -v[26:27]
	s_delay_alu instid0(VALU_DEP_2) | instskip(NEXT) | instid1(VALU_DEP_2)
	v_fmac_f64_e32 v[24:25], v[6:7], v[22:23]
	v_add_f64_e32 v[0:1], v[0:1], v[4:5]
	s_delay_alu instid0(VALU_DEP_2)
	v_add_f64_e32 v[2:3], v[2:3], v[24:25]
.LBB151_25:                             ;   in Loop: Header=BB151_5 Depth=1
	s_wait_xcnt 0x0
	s_or_b32 exec_lo, exec_lo, s50
.LBB151_26:                             ;   in Loop: Header=BB151_5 Depth=1
	ds_store_b128 v11, v[0:3]
	s_wait_loadcnt_dscnt 0x0
	s_barrier_signal -1
	s_barrier_wait -1
                                        ; implicit-def: $vgpr2_vgpr3
	s_and_saveexec_b32 s50, s2
	s_cbranch_execz .LBB151_32
; %bb.27:                               ;   in Loop: Header=BB151_5 Depth=1
	ds_load_b128 v[0:3], v11
	ds_load_b128 v[4:7], v11 offset:1024
	s_mov_b32 s52, s49
	s_wait_dscnt 0x0
	v_add_f64_e32 v[22:23], v[0:1], v[4:5]
	v_add_f64_e32 v[24:25], v[2:3], v[6:7]
	ds_load_b128 v[0:3], v11 offset:2048
	ds_load_b128 v[4:7], v11 offset:3072
	s_wait_dscnt 0x1
	v_add_f64_e32 v[0:1], v[22:23], v[0:1]
	v_add_f64_e32 v[2:3], v[24:25], v[2:3]
	s_wait_dscnt 0x0
	s_delay_alu instid0(VALU_DEP_2) | instskip(NEXT) | instid1(VALU_DEP_2)
	v_add_f64_e32 v[4:5], v[0:1], v[4:5]
	v_add_f64_e32 v[6:7], v[2:3], v[6:7]
                                        ; implicit-def: $vgpr2_vgpr3
	ds_store_b128 v11, v[4:7]
	s_and_saveexec_b32 s51, s3
	s_cbranch_execz .LBB151_31
; %bb.28:                               ;   in Loop: Header=BB151_5 Depth=1
	v_mul_f64_e32 v[0:1], s[30:31], v[6:7]
	v_mul_f64_e32 v[2:3], s[28:29], v[6:7]
	s_and_not1_b32 vcc_lo, exec_lo, s46
	s_delay_alu instid0(VALU_DEP_2) | instskip(NEXT) | instid1(VALU_DEP_2)
	v_fma_f64 v[0:1], s[28:29], v[4:5], -v[0:1]
	v_fmac_f64_e32 v[2:3], s[30:31], v[4:5]
	s_cbranch_vccnz .LBB151_30
; %bb.29:                               ;   in Loop: Header=BB151_5 Depth=1
	v_lshl_add_u64 v[4:5], v[16:17], 4, s[42:43]
	global_load_b128 v[4:7], v[4:5], off
	s_wait_loadcnt 0x0
	v_mul_f64_e32 v[22:23], s[38:39], v[6:7]
	v_mul_f64_e32 v[6:7], s[36:37], v[6:7]
	s_delay_alu instid0(VALU_DEP_2) | instskip(NEXT) | instid1(VALU_DEP_2)
	v_fma_f64 v[22:23], s[36:37], v[4:5], -v[22:23]
	v_fmac_f64_e32 v[6:7], s[38:39], v[4:5]
	s_delay_alu instid0(VALU_DEP_2) | instskip(NEXT) | instid1(VALU_DEP_2)
	v_add_f64_e32 v[0:1], v[0:1], v[22:23]
	v_add_f64_e32 v[2:3], v[2:3], v[6:7]
.LBB151_30:                             ;   in Loop: Header=BB151_5 Depth=1
	s_or_b32 s52, s49, exec_lo
.LBB151_31:                             ;   in Loop: Header=BB151_5 Depth=1
	s_wait_xcnt 0x0
	s_or_b32 exec_lo, exec_lo, s51
	s_delay_alu instid0(SALU_CYCLE_1) | instskip(SKIP_1) | instid1(SALU_CYCLE_1)
	s_and_not1_b32 s49, s49, exec_lo
	s_and_b32 s51, s52, exec_lo
	s_or_b32 s49, s49, s51
.LBB151_32:                             ;   in Loop: Header=BB151_5 Depth=1
	s_or_b32 exec_lo, exec_lo, s50
	v_mov_b64_e32 v[4:5], v[16:17]
	s_and_saveexec_b32 s50, s49
	s_cbranch_execz .LBB151_3
.LBB151_33:                             ;   in Loop: Header=BB151_5 Depth=1
	s_delay_alu instid0(VALU_DEP_1)
	v_lshl_add_u64 v[4:5], v[4:5], 4, s[42:43]
	global_store_b128 v[4:5], v[0:3], off
	s_branch .LBB151_3
.LBB151_34:
	s_endpgm
	.section	.rodata,"a",@progbits
	.p2align	6, 0x0
	.amdhsa_kernel _ZL20rocblas_gemvn_kernelILi64ELi4El19rocblas_complex_numIdES1_S1_EviiT3_lPKT2_lT1_lS5_lS6_lS2_lPT4_lS6_li
		.amdhsa_group_segment_fixed_size 4096
		.amdhsa_private_segment_fixed_size 0
		.amdhsa_kernarg_size 416
		.amdhsa_user_sgpr_count 2
		.amdhsa_user_sgpr_dispatch_ptr 0
		.amdhsa_user_sgpr_queue_ptr 0
		.amdhsa_user_sgpr_kernarg_segment_ptr 1
		.amdhsa_user_sgpr_dispatch_id 0
		.amdhsa_user_sgpr_kernarg_preload_length 0
		.amdhsa_user_sgpr_kernarg_preload_offset 0
		.amdhsa_user_sgpr_private_segment_size 0
		.amdhsa_wavefront_size32 1
		.amdhsa_uses_dynamic_stack 0
		.amdhsa_enable_private_segment 0
		.amdhsa_system_sgpr_workgroup_id_x 1
		.amdhsa_system_sgpr_workgroup_id_y 0
		.amdhsa_system_sgpr_workgroup_id_z 1
		.amdhsa_system_sgpr_workgroup_info 0
		.amdhsa_system_vgpr_workitem_id 1
		.amdhsa_next_free_vgpr 32
		.amdhsa_next_free_sgpr 54
		.amdhsa_named_barrier_count 0
		.amdhsa_reserve_vcc 1
		.amdhsa_float_round_mode_32 0
		.amdhsa_float_round_mode_16_64 0
		.amdhsa_float_denorm_mode_32 3
		.amdhsa_float_denorm_mode_16_64 3
		.amdhsa_fp16_overflow 0
		.amdhsa_memory_ordered 1
		.amdhsa_forward_progress 1
		.amdhsa_inst_pref_size 12
		.amdhsa_round_robin_scheduling 0
		.amdhsa_exception_fp_ieee_invalid_op 0
		.amdhsa_exception_fp_denorm_src 0
		.amdhsa_exception_fp_ieee_div_zero 0
		.amdhsa_exception_fp_ieee_overflow 0
		.amdhsa_exception_fp_ieee_underflow 0
		.amdhsa_exception_fp_ieee_inexact 0
		.amdhsa_exception_int_div_zero 0
	.end_amdhsa_kernel
	.section	.text._ZL20rocblas_gemvn_kernelILi64ELi4El19rocblas_complex_numIdES1_S1_EviiT3_lPKT2_lT1_lS5_lS6_lS2_lPT4_lS6_li,"axG",@progbits,_ZL20rocblas_gemvn_kernelILi64ELi4El19rocblas_complex_numIdES1_S1_EviiT3_lPKT2_lT1_lS5_lS6_lS2_lPT4_lS6_li,comdat
.Lfunc_end151:
	.size	_ZL20rocblas_gemvn_kernelILi64ELi4El19rocblas_complex_numIdES1_S1_EviiT3_lPKT2_lT1_lS5_lS6_lS2_lPT4_lS6_li, .Lfunc_end151-_ZL20rocblas_gemvn_kernelILi64ELi4El19rocblas_complex_numIdES1_S1_EviiT3_lPKT2_lT1_lS5_lS6_lS2_lPT4_lS6_li
                                        ; -- End function
	.set _ZL20rocblas_gemvn_kernelILi64ELi4El19rocblas_complex_numIdES1_S1_EviiT3_lPKT2_lT1_lS5_lS6_lS2_lPT4_lS6_li.num_vgpr, 32
	.set _ZL20rocblas_gemvn_kernelILi64ELi4El19rocblas_complex_numIdES1_S1_EviiT3_lPKT2_lT1_lS5_lS6_lS2_lPT4_lS6_li.num_agpr, 0
	.set _ZL20rocblas_gemvn_kernelILi64ELi4El19rocblas_complex_numIdES1_S1_EviiT3_lPKT2_lT1_lS5_lS6_lS2_lPT4_lS6_li.numbered_sgpr, 54
	.set _ZL20rocblas_gemvn_kernelILi64ELi4El19rocblas_complex_numIdES1_S1_EviiT3_lPKT2_lT1_lS5_lS6_lS2_lPT4_lS6_li.num_named_barrier, 0
	.set _ZL20rocblas_gemvn_kernelILi64ELi4El19rocblas_complex_numIdES1_S1_EviiT3_lPKT2_lT1_lS5_lS6_lS2_lPT4_lS6_li.private_seg_size, 0
	.set _ZL20rocblas_gemvn_kernelILi64ELi4El19rocblas_complex_numIdES1_S1_EviiT3_lPKT2_lT1_lS5_lS6_lS2_lPT4_lS6_li.uses_vcc, 1
	.set _ZL20rocblas_gemvn_kernelILi64ELi4El19rocblas_complex_numIdES1_S1_EviiT3_lPKT2_lT1_lS5_lS6_lS2_lPT4_lS6_li.uses_flat_scratch, 0
	.set _ZL20rocblas_gemvn_kernelILi64ELi4El19rocblas_complex_numIdES1_S1_EviiT3_lPKT2_lT1_lS5_lS6_lS2_lPT4_lS6_li.has_dyn_sized_stack, 0
	.set _ZL20rocblas_gemvn_kernelILi64ELi4El19rocblas_complex_numIdES1_S1_EviiT3_lPKT2_lT1_lS5_lS6_lS2_lPT4_lS6_li.has_recursion, 0
	.set _ZL20rocblas_gemvn_kernelILi64ELi4El19rocblas_complex_numIdES1_S1_EviiT3_lPKT2_lT1_lS5_lS6_lS2_lPT4_lS6_li.has_indirect_call, 0
	.section	.AMDGPU.csdata,"",@progbits
; Kernel info:
; codeLenInByte = 1424
; TotalNumSgprs: 56
; NumVgprs: 32
; ScratchSize: 0
; MemoryBound: 0
; FloatMode: 240
; IeeeMode: 1
; LDSByteSize: 4096 bytes/workgroup (compile time only)
; SGPRBlocks: 0
; VGPRBlocks: 1
; NumSGPRsForWavesPerEU: 56
; NumVGPRsForWavesPerEU: 32
; NamedBarCnt: 0
; Occupancy: 16
; WaveLimiterHint : 1
; COMPUTE_PGM_RSRC2:SCRATCH_EN: 0
; COMPUTE_PGM_RSRC2:USER_SGPR: 2
; COMPUTE_PGM_RSRC2:TRAP_HANDLER: 0
; COMPUTE_PGM_RSRC2:TGID_X_EN: 1
; COMPUTE_PGM_RSRC2:TGID_Y_EN: 0
; COMPUTE_PGM_RSRC2:TGID_Z_EN: 1
; COMPUTE_PGM_RSRC2:TIDIG_COMP_CNT: 1
	.section	.text._ZL20rocblas_gemvn_kernelILi32ELi16Ei19rocblas_complex_numIdEPKS1_S1_EviiT3_lPKT2_lT1_lS7_lS8_lS4_lPT4_lS8_li,"axG",@progbits,_ZL20rocblas_gemvn_kernelILi32ELi16Ei19rocblas_complex_numIdEPKS1_S1_EviiT3_lPKT2_lT1_lS7_lS8_lS4_lPT4_lS8_li,comdat
	.globl	_ZL20rocblas_gemvn_kernelILi32ELi16Ei19rocblas_complex_numIdEPKS1_S1_EviiT3_lPKT2_lT1_lS7_lS8_lS4_lPT4_lS8_li ; -- Begin function _ZL20rocblas_gemvn_kernelILi32ELi16Ei19rocblas_complex_numIdEPKS1_S1_EviiT3_lPKT2_lT1_lS7_lS8_lS4_lPT4_lS8_li
	.p2align	8
	.type	_ZL20rocblas_gemvn_kernelILi32ELi16Ei19rocblas_complex_numIdEPKS1_S1_EviiT3_lPKT2_lT1_lS7_lS8_lS4_lPT4_lS8_li,@function
_ZL20rocblas_gemvn_kernelILi32ELi16Ei19rocblas_complex_numIdEPKS1_S1_EviiT3_lPKT2_lT1_lS7_lS8_lS4_lPT4_lS8_li: ; @_ZL20rocblas_gemvn_kernelILi32ELi16Ei19rocblas_complex_numIdEPKS1_S1_EviiT3_lPKT2_lT1_lS7_lS8_lS4_lPT4_lS8_li
; %bb.0:
	s_load_b64 s[2:3], s[0:1], 0x9c
	s_wait_kmcnt 0x0
	s_lshr_b32 s4, s2, 16
	s_and_b32 s2, s2, 0xffff
	s_and_b32 s3, s3, 0xffff
	s_mul_i32 s4, s4, s2
	s_delay_alu instid0(SALU_CYCLE_1) | instskip(NEXT) | instid1(SALU_CYCLE_1)
	s_mul_i32 s4, s4, s3
	s_cmp_lg_u32 s4, 0x200
	s_cbranch_scc1 .LBB152_36
; %bb.1:
	s_load_b32 s7, s[0:1], 0x88
	s_bfe_u32 s3, ttmp6, 0x40014
	s_lshr_b32 s4, ttmp7, 16
	s_add_co_i32 s3, s3, 1
	s_bfe_u32 s6, ttmp6, 0x40008
	s_mul_i32 s5, s4, s3
	s_getreg_b32 s3, hwreg(HW_REG_IB_STS2, 6, 4)
	s_add_co_i32 s6, s6, s5
	s_cmp_eq_u32 s3, 0
	s_mov_b32 s35, 0
	s_cselect_b32 s34, s4, s6
	s_wait_kmcnt 0x0
	s_cmp_ge_u32 s34, s7
	s_cbranch_scc1 .LBB152_36
; %bb.2:
	s_clause 0x6
	s_load_b256 s[8:15], s[0:1], 0x8
	s_load_b96 s[4:6], s[0:1], 0x40
	s_load_b96 s[28:30], s[0:1], 0x70
	s_load_b64 s[36:37], s[0:1], 0x0
	s_load_b128 s[24:27], s[0:1], 0x30
	s_load_b256 s[16:23], s[0:1], 0x50
	s_load_b64 s[38:39], s[0:1], 0x80
	s_bfe_u32 s31, ttmp6, 0x4000c
	v_and_b32_e32 v1, 0x3ff, v0
	s_add_co_i32 s31, s31, 1
	v_bfe_u32 v0, v0, 10, 10
	s_and_b32 s33, ttmp6, 15
	s_mul_i32 s31, ttmp9, s31
	v_mov_b32_e32 v17, 0
	s_add_co_i32 s33, s33, s31
	v_mad_u32_u24 v0, v0, s2, v1
	s_load_b32 s31, s[0:1], 0x28
	s_wait_kmcnt 0x0
	s_lshl_b64 s[14:15], s[14:15], 4
	s_lshl_b64 s[4:5], s[4:5], 4
	s_lshl_b64 s[28:29], s[28:29], 4
	s_ashr_i32 s41, s30, 31
	s_cmp_eq_u32 s3, 0
	s_mov_b32 s40, s30
	s_cselect_b32 s2, ttmp9, s33
	s_ashr_i32 s1, s36, 31
	s_lshl_b32 s42, s2, 5
	s_mov_b32 s0, s36
	v_dual_add_nc_u32 v16, s42, v0 :: v_dual_bitop2_b32 v1, 31, v0 bitop3:0x40
	v_dual_lshlrev_b32 v24, 4, v0 :: v_dual_bitop2_b32 v2, s42, v0 bitop3:0x54
	s_add_nc_u64 s[12:13], s[12:13], s[14:15]
	s_delay_alu instid0(VALU_DEP_2)
	v_mul_u64_e32 v[18:19], s[40:41], v[16:17]
	v_cmp_gt_i64_e32 vcc_lo, s[0:1], v[16:17]
	v_lshrrev_b32_e32 v16, 5, v0
	s_ashr_i32 s0, s37, 31
	v_mul_lo_u32 v20, v2, s30
	s_lshr_b32 s0, s0, 28
	v_or_b32_e32 v22, s42, v1
	v_mul_lo_u32 v3, s31, v16
	s_add_co_i32 s0, s37, s0
	v_mul_lo_u32 v23, s6, v16
	s_and_b32 s33, s0, -16
	v_cmp_gt_i32_e64 s3, s36, v2
	s_sub_co_i32 s2, s37, s33
	v_cmp_gt_i32_e64 s0, s33, v16
	s_cmp_gt_i32 s2, 0
	v_cmp_gt_u32_e64 s2, 32, v0
	v_ashrrev_i32_e32 v21, 31, v20
	v_cmp_gt_i32_e64 s1, s36, v22
	v_add3_u32 v25, v3, s42, v1
	s_add_nc_u64 s[14:15], s[26:27], s[4:5]
	s_add_nc_u64 s[22:23], s[22:23], s[28:29]
	s_cselect_b32 s30, -1, 0
	s_and_b32 s36, s2, vcc_lo
	s_lshl_b32 s40, s6, 4
	s_lshl_b32 s41, s31, 4
	s_branch .LBB152_5
.LBB152_3:                              ;   in Loop: Header=BB152_5 Depth=1
	s_wait_xcnt 0x0
	s_or_b32 exec_lo, exec_lo, s4
.LBB152_4:                              ;   in Loop: Header=BB152_5 Depth=1
	s_add_co_i32 s34, s34, 0x10000
	s_delay_alu instid0(SALU_CYCLE_1)
	s_cmp_lt_u32 s34, s7
	s_cbranch_scc0 .LBB152_36
.LBB152_5:                              ; =>This Loop Header: Depth=1
                                        ;     Child Loop BB152_17 Depth 2
	s_mul_u64 s[4:5], s[10:11], s[34:35]
	s_delay_alu instid0(SALU_CYCLE_1) | instskip(NEXT) | instid1(SALU_CYCLE_1)
	s_lshl_b64 s[4:5], s[4:5], 4
	s_add_nc_u64 s[4:5], s[8:9], s[4:5]
	global_load_b128 v[4:7], v17, s[4:5]
	s_wait_xcnt 0x0
	s_mul_u64 s[4:5], s[20:21], s[34:35]
	s_delay_alu instid0(SALU_CYCLE_1) | instskip(NEXT) | instid1(SALU_CYCLE_1)
	s_lshl_b64 s[4:5], s[4:5], 4
	s_add_nc_u64 s[4:5], s[18:19], s[4:5]
	s_wait_loadcnt 0x1
	global_load_b128 v[0:3], v17, s[4:5]
	s_wait_loadcnt 0x1
	v_cmp_neq_f64_e32 vcc_lo, 0, v[4:5]
	s_wait_xcnt 0x0
	v_cmp_neq_f64_e64 s4, 0, v[6:7]
	s_or_b32 s5, vcc_lo, s4
	s_mov_b32 s4, -1
	s_and_b32 vcc_lo, exec_lo, s5
	s_cbranch_vccz .LBB152_7
; %bb.6:                                ;   in Loop: Header=BB152_5 Depth=1
	s_and_not1_b32 vcc_lo, exec_lo, s4
	s_cbranch_vccnz .LBB152_4
	s_branch .LBB152_8
.LBB152_7:                              ;   in Loop: Header=BB152_5 Depth=1
	s_wait_loadcnt 0x0
	v_cmp_neq_f64_e32 vcc_lo, 1.0, v[0:1]
	v_cmp_neq_f64_e64 s4, 0, v[2:3]
	s_or_b32 s4, vcc_lo, s4
	s_delay_alu instid0(SALU_CYCLE_1)
	s_and_not1_b32 vcc_lo, exec_lo, s4
	s_cbranch_vccnz .LBB152_4
.LBB152_8:                              ;   in Loop: Header=BB152_5 Depth=1
	s_xor_b32 s26, s5, -1
	s_mul_u64 s[4:5], s[38:39], s[34:35]
	s_and_not1_b32 vcc_lo, exec_lo, s26
	s_lshl_b64 s[4:5], s[4:5], 4
	s_delay_alu instid0(SALU_CYCLE_1)
	s_add_nc_u64 s[26:27], s[22:23], s[4:5]
	s_cbranch_vccnz .LBB152_13
; %bb.9:                                ;   in Loop: Header=BB152_5 Depth=1
	s_mov_b32 s5, 0
	s_mov_b32 s42, 0
                                        ; implicit-def: $vgpr10_vgpr11
	s_and_saveexec_b32 s28, s36
	s_cbranch_execz .LBB152_19
; %bb.10:                               ;   in Loop: Header=BB152_5 Depth=1
	s_wait_loadcnt 0x0
	v_cmp_neq_f64_e32 vcc_lo, 0, v[0:1]
	v_cmp_neq_f64_e64 s4, 0, v[2:3]
	v_mov_b64_e32 v[10:11], 0
	v_mov_b64_e32 v[8:9], 0
	s_or_b32 s4, vcc_lo, s4
	s_delay_alu instid0(SALU_CYCLE_1)
	s_and_not1_b32 vcc_lo, exec_lo, s4
	s_cbranch_vccnz .LBB152_12
; %bb.11:                               ;   in Loop: Header=BB152_5 Depth=1
	v_lshl_add_u64 v[8:9], v[18:19], 4, s[26:27]
	global_load_b128 v[12:15], v[8:9], off
	s_wait_loadcnt 0x0
	s_wait_xcnt 0x0
	v_mul_f64_e32 v[8:9], v[2:3], v[14:15]
	v_mul_f64_e32 v[10:11], v[0:1], v[14:15]
	s_delay_alu instid0(VALU_DEP_2) | instskip(NEXT) | instid1(VALU_DEP_2)
	v_fma_f64 v[8:9], v[0:1], v[12:13], -v[8:9]
	v_fmac_f64_e32 v[10:11], v[2:3], v[12:13]
.LBB152_12:                             ;   in Loop: Header=BB152_5 Depth=1
	s_mov_b32 s42, exec_lo
	s_or_b32 exec_lo, exec_lo, s28
	s_delay_alu instid0(SALU_CYCLE_1)
	s_and_b32 vcc_lo, exec_lo, s5
	s_cbranch_vccnz .LBB152_14
	s_branch .LBB152_20
.LBB152_13:                             ;   in Loop: Header=BB152_5 Depth=1
	s_mov_b32 s42, 0
                                        ; implicit-def: $vgpr10_vgpr11
	s_cbranch_execz .LBB152_20
.LBB152_14:                             ;   in Loop: Header=BB152_5 Depth=1
	v_mov_b64_e32 v[10:11], 0
	v_mov_b64_e32 v[8:9], 0
	s_mul_u64 s[4:5], s[24:25], s[34:35]
	s_mul_u64 s[28:29], s[16:17], s[34:35]
	v_mov_b32_e32 v26, v16
	s_lshl_b64 s[4:5], s[4:5], 4
	s_lshl_b64 s[28:29], s[28:29], 4
	s_add_nc_u64 s[4:5], s[12:13], s[4:5]
	s_add_nc_u64 s[28:29], s[14:15], s[28:29]
	s_and_saveexec_b32 s43, s0
	s_cbranch_execz .LBB152_22
; %bb.15:                               ;   in Loop: Header=BB152_5 Depth=1
	v_mov_b64_e32 v[10:11], 0
	v_dual_mov_b32 v12, v25 :: v_dual_mov_b32 v13, v23
	v_mov_b32_e32 v26, v16
	s_mov_b32 s44, 0
	s_delay_alu instid0(VALU_DEP_3)
	v_mov_b64_e32 v[8:9], v[10:11]
	s_branch .LBB152_17
.LBB152_16:                             ;   in Loop: Header=BB152_17 Depth=2
	s_wait_xcnt 0x0
	s_or_b32 exec_lo, exec_lo, s45
	v_dual_add_nc_u32 v26, 16, v26 :: v_dual_add_nc_u32 v13, s40, v13
	v_add_nc_u32_e32 v12, s41, v12
	s_delay_alu instid0(VALU_DEP_2) | instskip(SKIP_1) | instid1(SALU_CYCLE_1)
	v_cmp_le_i32_e32 vcc_lo, s33, v26
	s_or_b32 s44, vcc_lo, s44
	s_and_not1_b32 exec_lo, exec_lo, s44
	s_cbranch_execz .LBB152_21
.LBB152_17:                             ;   Parent Loop BB152_5 Depth=1
                                        ; =>  This Inner Loop Header: Depth=2
	s_and_saveexec_b32 s45, s1
	s_cbranch_execz .LBB152_16
; %bb.18:                               ;   in Loop: Header=BB152_17 Depth=2
	global_load_b128 v[28:31], v13, s[28:29] scale_offset
	global_load_b128 v[32:35], v12, s[4:5] scale_offset
	s_wait_loadcnt 0x0
	v_mul_f64_e32 v[14:15], v[30:31], v[34:35]
	v_mul_f64_e32 v[34:35], v[28:29], v[34:35]
	s_delay_alu instid0(VALU_DEP_2) | instskip(NEXT) | instid1(VALU_DEP_2)
	v_fma_f64 v[14:15], v[28:29], v[32:33], -v[14:15]
	v_fmac_f64_e32 v[34:35], v[30:31], v[32:33]
	s_delay_alu instid0(VALU_DEP_2) | instskip(NEXT) | instid1(VALU_DEP_2)
	v_add_f64_e32 v[8:9], v[8:9], v[14:15]
	v_add_f64_e32 v[10:11], v[10:11], v[34:35]
	s_branch .LBB152_16
.LBB152_19:                             ;   in Loop: Header=BB152_5 Depth=1
	s_or_b32 exec_lo, exec_lo, s28
	s_delay_alu instid0(SALU_CYCLE_1)
	s_and_b32 vcc_lo, exec_lo, s5
	s_cbranch_vccnz .LBB152_14
.LBB152_20:                             ;   in Loop: Header=BB152_5 Depth=1
	s_wait_loadcnt 0x0
	v_mov_b64_e32 v[0:1], v[18:19]
	s_and_saveexec_b32 s4, s42
	s_cbranch_execz .LBB152_3
	s_branch .LBB152_35
.LBB152_21:                             ;   in Loop: Header=BB152_5 Depth=1
	s_or_b32 exec_lo, exec_lo, s44
.LBB152_22:                             ;   in Loop: Header=BB152_5 Depth=1
	s_delay_alu instid0(SALU_CYCLE_1) | instskip(NEXT) | instid1(SALU_CYCLE_1)
	s_or_b32 exec_lo, exec_lo, s43
	s_and_not1_b32 vcc_lo, exec_lo, s30
	s_cbranch_vccnz .LBB152_28
; %bb.23:                               ;   in Loop: Header=BB152_5 Depth=1
	v_mov_b64_e32 v[12:13], 0
	v_mov_b64_e32 v[14:15], 0
	v_cmp_gt_i32_e32 vcc_lo, s37, v26
	s_and_saveexec_b32 s43, vcc_lo
	s_cbranch_execz .LBB152_25
; %bb.24:                               ;   in Loop: Header=BB152_5 Depth=1
	v_mul_lo_u32 v12, v26, s6
	global_load_b128 v[12:15], v12, s[28:29] scale_offset
.LBB152_25:                             ;   in Loop: Header=BB152_5 Depth=1
	s_wait_xcnt 0x0
	s_or_b32 exec_lo, exec_lo, s43
	s_and_saveexec_b32 s28, s1
	s_cbranch_execz .LBB152_27
; %bb.26:                               ;   in Loop: Header=BB152_5 Depth=1
	v_mul_lo_u32 v26, v26, s31
	s_delay_alu instid0(VALU_DEP_1) | instskip(NEXT) | instid1(VALU_DEP_1)
	v_cndmask_b32_e32 v26, 0, v26, vcc_lo
	v_add_nc_u32_e32 v26, v26, v22
	global_load_b128 v[26:29], v26, s[4:5] scale_offset
	s_wait_loadcnt 0x0
	v_mul_f64_e32 v[30:31], v[14:15], v[28:29]
	v_mul_f64_e32 v[28:29], v[12:13], v[28:29]
	s_delay_alu instid0(VALU_DEP_2) | instskip(NEXT) | instid1(VALU_DEP_2)
	v_fma_f64 v[12:13], v[12:13], v[26:27], -v[30:31]
	v_fmac_f64_e32 v[28:29], v[14:15], v[26:27]
	s_delay_alu instid0(VALU_DEP_2) | instskip(NEXT) | instid1(VALU_DEP_2)
	v_add_f64_e32 v[8:9], v[8:9], v[12:13]
	v_add_f64_e32 v[10:11], v[10:11], v[28:29]
.LBB152_27:                             ;   in Loop: Header=BB152_5 Depth=1
	s_wait_xcnt 0x0
	s_or_b32 exec_lo, exec_lo, s28
.LBB152_28:                             ;   in Loop: Header=BB152_5 Depth=1
	ds_store_b128 v24, v[8:11]
	s_wait_loadcnt_dscnt 0x0
	s_barrier_signal -1
	s_barrier_wait -1
                                        ; implicit-def: $vgpr10_vgpr11
	s_and_saveexec_b32 s5, s2
	s_cbranch_execz .LBB152_34
; %bb.29:                               ;   in Loop: Header=BB152_5 Depth=1
	ds_load_b128 v[8:11], v24
	ds_load_b128 v[12:15], v24 offset:512
	s_mov_b32 s4, s42
	s_wait_dscnt 0x0
	v_add_f64_e32 v[26:27], v[8:9], v[12:13]
	v_add_f64_e32 v[28:29], v[10:11], v[14:15]
	ds_load_b128 v[8:11], v24 offset:1024
	ds_load_b128 v[12:15], v24 offset:1536
	s_wait_dscnt 0x1
	v_add_f64_e32 v[8:9], v[26:27], v[8:9]
	v_add_f64_e32 v[10:11], v[28:29], v[10:11]
	s_wait_dscnt 0x0
	s_delay_alu instid0(VALU_DEP_2) | instskip(NEXT) | instid1(VALU_DEP_2)
	v_add_f64_e32 v[26:27], v[8:9], v[12:13]
	v_add_f64_e32 v[28:29], v[10:11], v[14:15]
	ds_load_b128 v[8:11], v24 offset:2048
	ds_load_b128 v[12:15], v24 offset:2560
	s_wait_dscnt 0x1
	v_add_f64_e32 v[8:9], v[26:27], v[8:9]
	v_add_f64_e32 v[10:11], v[28:29], v[10:11]
	s_wait_dscnt 0x0
	s_delay_alu instid0(VALU_DEP_2) | instskip(NEXT) | instid1(VALU_DEP_2)
	;; [unrolled: 9-line block ×7, first 2 shown]
	v_add_f64_e32 v[12:13], v[8:9], v[12:13]
	v_add_f64_e32 v[14:15], v[10:11], v[14:15]
                                        ; implicit-def: $vgpr10_vgpr11
	ds_store_b128 v24, v[12:15]
	s_and_saveexec_b32 s28, s3
	s_cbranch_execz .LBB152_33
; %bb.30:                               ;   in Loop: Header=BB152_5 Depth=1
	v_mul_f64_e32 v[8:9], v[6:7], v[14:15]
	v_mul_f64_e32 v[10:11], v[4:5], v[14:15]
	v_cmp_neq_f64_e32 vcc_lo, 0, v[0:1]
	v_cmp_neq_f64_e64 s4, 0, v[2:3]
	s_delay_alu instid0(VALU_DEP_4) | instskip(NEXT) | instid1(VALU_DEP_4)
	v_fma_f64 v[8:9], v[4:5], v[12:13], -v[8:9]
	v_fmac_f64_e32 v[10:11], v[6:7], v[12:13]
	s_or_b32 s4, vcc_lo, s4
	s_delay_alu instid0(SALU_CYCLE_1)
	s_and_not1_b32 vcc_lo, exec_lo, s4
	s_cbranch_vccnz .LBB152_32
; %bb.31:                               ;   in Loop: Header=BB152_5 Depth=1
	v_lshl_add_u64 v[4:5], v[20:21], 4, s[26:27]
	global_load_b128 v[4:7], v[4:5], off
	s_wait_loadcnt 0x0
	v_mul_f64_e32 v[12:13], v[2:3], v[6:7]
	v_mul_f64_e32 v[6:7], v[0:1], v[6:7]
	s_delay_alu instid0(VALU_DEP_2) | instskip(NEXT) | instid1(VALU_DEP_2)
	v_fma_f64 v[0:1], v[0:1], v[4:5], -v[12:13]
	v_fmac_f64_e32 v[6:7], v[2:3], v[4:5]
	s_delay_alu instid0(VALU_DEP_2) | instskip(NEXT) | instid1(VALU_DEP_2)
	v_add_f64_e32 v[8:9], v[8:9], v[0:1]
	v_add_f64_e32 v[10:11], v[10:11], v[6:7]
.LBB152_32:                             ;   in Loop: Header=BB152_5 Depth=1
	s_or_b32 s4, s42, exec_lo
.LBB152_33:                             ;   in Loop: Header=BB152_5 Depth=1
	s_wait_xcnt 0x0
	s_or_b32 exec_lo, exec_lo, s28
	s_delay_alu instid0(SALU_CYCLE_1) | instskip(SKIP_1) | instid1(SALU_CYCLE_1)
	s_and_not1_b32 s28, s42, exec_lo
	s_and_b32 s4, s4, exec_lo
	s_or_b32 s42, s28, s4
.LBB152_34:                             ;   in Loop: Header=BB152_5 Depth=1
	s_or_b32 exec_lo, exec_lo, s5
	v_mov_b64_e32 v[0:1], v[20:21]
	s_and_saveexec_b32 s4, s42
	s_cbranch_execz .LBB152_3
.LBB152_35:                             ;   in Loop: Header=BB152_5 Depth=1
	s_delay_alu instid0(VALU_DEP_1)
	v_lshl_add_u64 v[0:1], v[0:1], 4, s[26:27]
	global_store_b128 v[0:1], v[8:11], off
	s_branch .LBB152_3
.LBB152_36:
	s_endpgm
	.section	.rodata,"a",@progbits
	.p2align	6, 0x0
	.amdhsa_kernel _ZL20rocblas_gemvn_kernelILi32ELi16Ei19rocblas_complex_numIdEPKS1_S1_EviiT3_lPKT2_lT1_lS7_lS8_lS4_lPT4_lS8_li
		.amdhsa_group_segment_fixed_size 8192
		.amdhsa_private_segment_fixed_size 0
		.amdhsa_kernarg_size 400
		.amdhsa_user_sgpr_count 2
		.amdhsa_user_sgpr_dispatch_ptr 0
		.amdhsa_user_sgpr_queue_ptr 0
		.amdhsa_user_sgpr_kernarg_segment_ptr 1
		.amdhsa_user_sgpr_dispatch_id 0
		.amdhsa_user_sgpr_kernarg_preload_length 0
		.amdhsa_user_sgpr_kernarg_preload_offset 0
		.amdhsa_user_sgpr_private_segment_size 0
		.amdhsa_wavefront_size32 1
		.amdhsa_uses_dynamic_stack 0
		.amdhsa_enable_private_segment 0
		.amdhsa_system_sgpr_workgroup_id_x 1
		.amdhsa_system_sgpr_workgroup_id_y 0
		.amdhsa_system_sgpr_workgroup_id_z 1
		.amdhsa_system_sgpr_workgroup_info 0
		.amdhsa_system_vgpr_workitem_id 1
		.amdhsa_next_free_vgpr 36
		.amdhsa_next_free_sgpr 46
		.amdhsa_named_barrier_count 0
		.amdhsa_reserve_vcc 1
		.amdhsa_float_round_mode_32 0
		.amdhsa_float_round_mode_16_64 0
		.amdhsa_float_denorm_mode_32 3
		.amdhsa_float_denorm_mode_16_64 3
		.amdhsa_fp16_overflow 0
		.amdhsa_memory_ordered 1
		.amdhsa_forward_progress 1
		.amdhsa_inst_pref_size 14
		.amdhsa_round_robin_scheduling 0
		.amdhsa_exception_fp_ieee_invalid_op 0
		.amdhsa_exception_fp_denorm_src 0
		.amdhsa_exception_fp_ieee_div_zero 0
		.amdhsa_exception_fp_ieee_overflow 0
		.amdhsa_exception_fp_ieee_underflow 0
		.amdhsa_exception_fp_ieee_inexact 0
		.amdhsa_exception_int_div_zero 0
	.end_amdhsa_kernel
	.section	.text._ZL20rocblas_gemvn_kernelILi32ELi16Ei19rocblas_complex_numIdEPKS1_S1_EviiT3_lPKT2_lT1_lS7_lS8_lS4_lPT4_lS8_li,"axG",@progbits,_ZL20rocblas_gemvn_kernelILi32ELi16Ei19rocblas_complex_numIdEPKS1_S1_EviiT3_lPKT2_lT1_lS7_lS8_lS4_lPT4_lS8_li,comdat
.Lfunc_end152:
	.size	_ZL20rocblas_gemvn_kernelILi32ELi16Ei19rocblas_complex_numIdEPKS1_S1_EviiT3_lPKT2_lT1_lS7_lS8_lS4_lPT4_lS8_li, .Lfunc_end152-_ZL20rocblas_gemvn_kernelILi32ELi16Ei19rocblas_complex_numIdEPKS1_S1_EviiT3_lPKT2_lT1_lS7_lS8_lS4_lPT4_lS8_li
                                        ; -- End function
	.set _ZL20rocblas_gemvn_kernelILi32ELi16Ei19rocblas_complex_numIdEPKS1_S1_EviiT3_lPKT2_lT1_lS7_lS8_lS4_lPT4_lS8_li.num_vgpr, 36
	.set _ZL20rocblas_gemvn_kernelILi32ELi16Ei19rocblas_complex_numIdEPKS1_S1_EviiT3_lPKT2_lT1_lS7_lS8_lS4_lPT4_lS8_li.num_agpr, 0
	.set _ZL20rocblas_gemvn_kernelILi32ELi16Ei19rocblas_complex_numIdEPKS1_S1_EviiT3_lPKT2_lT1_lS7_lS8_lS4_lPT4_lS8_li.numbered_sgpr, 46
	.set _ZL20rocblas_gemvn_kernelILi32ELi16Ei19rocblas_complex_numIdEPKS1_S1_EviiT3_lPKT2_lT1_lS7_lS8_lS4_lPT4_lS8_li.num_named_barrier, 0
	.set _ZL20rocblas_gemvn_kernelILi32ELi16Ei19rocblas_complex_numIdEPKS1_S1_EviiT3_lPKT2_lT1_lS7_lS8_lS4_lPT4_lS8_li.private_seg_size, 0
	.set _ZL20rocblas_gemvn_kernelILi32ELi16Ei19rocblas_complex_numIdEPKS1_S1_EviiT3_lPKT2_lT1_lS7_lS8_lS4_lPT4_lS8_li.uses_vcc, 1
	.set _ZL20rocblas_gemvn_kernelILi32ELi16Ei19rocblas_complex_numIdEPKS1_S1_EviiT3_lPKT2_lT1_lS7_lS8_lS4_lPT4_lS8_li.uses_flat_scratch, 0
	.set _ZL20rocblas_gemvn_kernelILi32ELi16Ei19rocblas_complex_numIdEPKS1_S1_EviiT3_lPKT2_lT1_lS7_lS8_lS4_lPT4_lS8_li.has_dyn_sized_stack, 0
	.set _ZL20rocblas_gemvn_kernelILi32ELi16Ei19rocblas_complex_numIdEPKS1_S1_EviiT3_lPKT2_lT1_lS7_lS8_lS4_lPT4_lS8_li.has_recursion, 0
	.set _ZL20rocblas_gemvn_kernelILi32ELi16Ei19rocblas_complex_numIdEPKS1_S1_EviiT3_lPKT2_lT1_lS7_lS8_lS4_lPT4_lS8_li.has_indirect_call, 0
	.section	.AMDGPU.csdata,"",@progbits
; Kernel info:
; codeLenInByte = 1756
; TotalNumSgprs: 48
; NumVgprs: 36
; ScratchSize: 0
; MemoryBound: 1
; FloatMode: 240
; IeeeMode: 1
; LDSByteSize: 8192 bytes/workgroup (compile time only)
; SGPRBlocks: 0
; VGPRBlocks: 2
; NumSGPRsForWavesPerEU: 48
; NumVGPRsForWavesPerEU: 36
; NamedBarCnt: 0
; Occupancy: 16
; WaveLimiterHint : 1
; COMPUTE_PGM_RSRC2:SCRATCH_EN: 0
; COMPUTE_PGM_RSRC2:USER_SGPR: 2
; COMPUTE_PGM_RSRC2:TRAP_HANDLER: 0
; COMPUTE_PGM_RSRC2:TGID_X_EN: 1
; COMPUTE_PGM_RSRC2:TGID_Y_EN: 0
; COMPUTE_PGM_RSRC2:TGID_Z_EN: 1
; COMPUTE_PGM_RSRC2:TIDIG_COMP_CNT: 1
	.section	.text._ZL20rocblas_gemvn_kernelILi32ELi16El19rocblas_complex_numIdEPKS1_S1_EviiT3_lPKT2_lT1_lS7_lS8_lS4_lPT4_lS8_li,"axG",@progbits,_ZL20rocblas_gemvn_kernelILi32ELi16El19rocblas_complex_numIdEPKS1_S1_EviiT3_lPKT2_lT1_lS7_lS8_lS4_lPT4_lS8_li,comdat
	.globl	_ZL20rocblas_gemvn_kernelILi32ELi16El19rocblas_complex_numIdEPKS1_S1_EviiT3_lPKT2_lT1_lS7_lS8_lS4_lPT4_lS8_li ; -- Begin function _ZL20rocblas_gemvn_kernelILi32ELi16El19rocblas_complex_numIdEPKS1_S1_EviiT3_lPKT2_lT1_lS7_lS8_lS4_lPT4_lS8_li
	.p2align	8
	.type	_ZL20rocblas_gemvn_kernelILi32ELi16El19rocblas_complex_numIdEPKS1_S1_EviiT3_lPKT2_lT1_lS7_lS8_lS4_lPT4_lS8_li,@function
_ZL20rocblas_gemvn_kernelILi32ELi16El19rocblas_complex_numIdEPKS1_S1_EviiT3_lPKT2_lT1_lS7_lS8_lS4_lPT4_lS8_li: ; @_ZL20rocblas_gemvn_kernelILi32ELi16El19rocblas_complex_numIdEPKS1_S1_EviiT3_lPKT2_lT1_lS7_lS8_lS4_lPT4_lS8_li
; %bb.0:
	s_load_b64 s[4:5], s[0:1], 0x9c
	s_wait_kmcnt 0x0
	s_lshr_b32 s2, s4, 16
	s_and_b32 s3, s4, 0xffff
	s_and_b32 s4, s5, 0xffff
	s_mul_i32 s2, s2, s3
	s_delay_alu instid0(SALU_CYCLE_1) | instskip(NEXT) | instid1(SALU_CYCLE_1)
	s_mul_i32 s2, s2, s4
	s_cmp_lg_u32 s2, 0x200
	s_cbranch_scc1 .LBB153_36
; %bb.1:
	s_load_b32 s33, s[0:1], 0x88
	s_bfe_u32 s2, ttmp6, 0x40014
	s_lshr_b32 s4, ttmp7, 16
	s_add_co_i32 s2, s2, 1
	s_bfe_u32 s6, ttmp6, 0x40008
	s_mul_i32 s5, s4, s2
	s_getreg_b32 s2, hwreg(HW_REG_IB_STS2, 6, 4)
	s_add_co_i32 s6, s6, s5
	s_cmp_eq_u32 s2, 0
	s_mov_b32 s7, 0
	s_cselect_b32 s6, s4, s6
	s_wait_kmcnt 0x0
	s_cmp_ge_u32 s6, s33
	s_cbranch_scc1 .LBB153_36
; %bb.2:
	s_clause 0x1
	s_load_b512 s[8:23], s[0:1], 0x8
	s_load_b512 s[36:51], s[0:1], 0x48
	v_and_b32_e32 v1, 0x3ff, v0
	v_bfe_u32 v0, v0, 10, 10
	s_load_b64 s[4:5], s[0:1], 0x0
	s_delay_alu instid0(VALU_DEP_1) | instskip(SKIP_3) | instid1(SALU_CYCLE_1)
	v_mad_u32_u24 v6, v0, s3, v1
	s_bfe_u32 s3, ttmp6, 0x4000c
	v_mov_b32_e32 v17, 0
	s_add_co_i32 s3, s3, 1
	s_mul_i32 s3, ttmp9, s3
	v_lshrrev_b32_e32 v18, 5, v6
	s_wait_kmcnt 0x0
	s_lshl_b64 s[0:1], s[14:15], 4
	s_and_b32 s14, ttmp6, 15
	s_lshl_b64 s[22:23], s[22:23], 4
	s_lshl_b64 s[24:25], s[46:47], 4
	s_add_co_i32 s14, s14, s3
	s_cmp_eq_u32 s2, 0
	s_add_nc_u64 s[20:21], s[20:21], s[22:23]
	s_cselect_b32 s2, ttmp9, s14
	s_add_nc_u64 s[22:23], s[44:45], s[24:25]
	s_lshl_b32 s2, s2, 5
	s_delay_alu instid0(SALU_CYCLE_1) | instskip(SKIP_3) | instid1(VALU_DEP_3)
	v_dual_mov_b32 v19, v17 :: v_dual_bitop2_b32 v4, s2, v6 bitop3:0x54
	v_add_nc_u32_e32 v16, s2, v6
	v_and_or_b32 v24, v6, 31, s2
	s_ashr_i32 s2, s5, 31
	v_mul_u64_e32 v[0:1], s[16:17], v[18:19]
	v_mul_u64_e32 v[2:3], s[36:37], v[18:19]
	v_ashrrev_i32_e32 v5, 31, v4
	v_mul_u64_e32 v[20:21], s[48:49], v[16:17]
	v_dual_ashrrev_i32 v25, 31, v24 :: v_dual_lshlrev_b32 v19, 4, v6
	s_lshr_b32 s24, s2, 28
	s_delay_alu instid0(VALU_DEP_3) | instskip(SKIP_3) | instid1(SALU_CYCLE_1)
	v_mul_u64_e32 v[22:23], s[48:49], v[4:5]
	s_add_nc_u64 s[14:15], s[12:13], s[0:1]
	s_ashr_i32 s3, s4, 31
	s_mov_b32 s2, s4
	v_cmp_gt_i64_e32 vcc_lo, s[2:3], v[16:17]
	v_cmp_gt_i32_e64 s3, s4, v4
	v_lshl_add_u64 v[0:1], v[0:1], 4, s[0:1]
	s_add_co_i32 s0, s5, s24
	v_lshl_add_u64 v[2:3], v[2:3], 4, s[20:21]
	s_and_b32 s34, s0, -16
	v_cmp_gt_i32_e64 s1, s4, v24
	v_lshl_add_u64 v[0:1], v[24:25], 4, v[0:1]
	s_sub_co_i32 s2, s5, s34
	v_add_nc_u64_e32 v[26:27], 8, v[2:3]
	s_cmp_gt_i32 s2, 0
	v_cmp_gt_u32_e64 s2, 32, v6
	v_add_nc_u64_e32 v[0:1], s[12:13], v[0:1]
	v_cmp_gt_i32_e64 s0, s34, v18
	s_cselect_b32 s35, -1, 0
	s_lshl_b64 s[12:13], s[38:39], 4
	s_and_b32 s44, s2, vcc_lo
	s_lshl_b64 s[24:25], s[36:37], 8
	s_lshl_b64 s[26:27], s[18:19], 4
	v_add_nc_u64_e32 v[28:29], 8, v[0:1]
	s_lshl_b64 s[28:29], s[16:17], 8
	s_branch .LBB153_5
.LBB153_3:                              ;   in Loop: Header=BB153_5 Depth=1
	s_wait_xcnt 0x0
	s_or_b32 exec_lo, exec_lo, s4
.LBB153_4:                              ;   in Loop: Header=BB153_5 Depth=1
	s_add_co_i32 s6, s6, 0x10000
	s_delay_alu instid0(SALU_CYCLE_1)
	s_cmp_lt_u32 s6, s33
	s_cbranch_scc0 .LBB153_36
.LBB153_5:                              ; =>This Loop Header: Depth=1
                                        ;     Child Loop BB153_17 Depth 2
	s_mul_u64 s[30:31], s[10:11], s[6:7]
	s_delay_alu instid0(SALU_CYCLE_1) | instskip(NEXT) | instid1(SALU_CYCLE_1)
	s_lshl_b64 s[30:31], s[30:31], 4
	s_add_nc_u64 s[30:31], s[8:9], s[30:31]
	global_load_b128 v[4:7], v17, s[30:31]
	s_wait_xcnt 0x0
	s_mul_u64 s[30:31], s[42:43], s[6:7]
	s_delay_alu instid0(SALU_CYCLE_1) | instskip(NEXT) | instid1(SALU_CYCLE_1)
	s_lshl_b64 s[30:31], s[30:31], 4
	s_add_nc_u64 s[30:31], s[40:41], s[30:31]
	s_wait_loadcnt 0x1
	global_load_b128 v[0:3], v17, s[30:31]
	s_wait_loadcnt 0x1
	v_cmp_neq_f64_e32 vcc_lo, 0, v[4:5]
	v_cmp_neq_f64_e64 s4, 0, v[6:7]
	s_wait_xcnt 0x0
	s_or_b32 s30, vcc_lo, s4
	s_mov_b32 s4, -1
	s_and_b32 vcc_lo, exec_lo, s30
	s_cbranch_vccz .LBB153_7
; %bb.6:                                ;   in Loop: Header=BB153_5 Depth=1
	s_and_not1_b32 vcc_lo, exec_lo, s4
	s_cbranch_vccnz .LBB153_4
	s_branch .LBB153_8
.LBB153_7:                              ;   in Loop: Header=BB153_5 Depth=1
	s_wait_loadcnt 0x0
	v_cmp_neq_f64_e32 vcc_lo, 1.0, v[0:1]
	v_cmp_neq_f64_e64 s4, 0, v[2:3]
	s_or_b32 s4, vcc_lo, s4
	s_delay_alu instid0(SALU_CYCLE_1)
	s_and_not1_b32 vcc_lo, exec_lo, s4
	s_cbranch_vccnz .LBB153_4
.LBB153_8:                              ;   in Loop: Header=BB153_5 Depth=1
	s_xor_b32 s4, s30, -1
	s_mul_u64 s[30:31], s[50:51], s[6:7]
	s_and_not1_b32 vcc_lo, exec_lo, s4
	s_lshl_b64 s[30:31], s[30:31], 4
	s_delay_alu instid0(SALU_CYCLE_1)
	s_add_nc_u64 s[30:31], s[22:23], s[30:31]
	s_cbranch_vccnz .LBB153_13
; %bb.9:                                ;   in Loop: Header=BB153_5 Depth=1
	s_mov_b32 s46, 0
	s_mov_b32 s45, 0
                                        ; implicit-def: $vgpr10_vgpr11
	s_and_saveexec_b32 s47, s44
	s_cbranch_execz .LBB153_19
; %bb.10:                               ;   in Loop: Header=BB153_5 Depth=1
	s_wait_loadcnt 0x0
	v_cmp_neq_f64_e32 vcc_lo, 0, v[0:1]
	v_cmp_neq_f64_e64 s4, 0, v[2:3]
	v_mov_b64_e32 v[10:11], 0
	v_mov_b64_e32 v[8:9], 0
	s_or_b32 s4, vcc_lo, s4
	s_delay_alu instid0(SALU_CYCLE_1)
	s_and_not1_b32 vcc_lo, exec_lo, s4
	s_cbranch_vccnz .LBB153_12
; %bb.11:                               ;   in Loop: Header=BB153_5 Depth=1
	v_lshl_add_u64 v[8:9], v[20:21], 4, s[30:31]
	global_load_b128 v[12:15], v[8:9], off
	s_wait_loadcnt 0x0
	s_wait_xcnt 0x0
	v_mul_f64_e32 v[8:9], v[2:3], v[14:15]
	v_mul_f64_e32 v[10:11], v[0:1], v[14:15]
	s_delay_alu instid0(VALU_DEP_2) | instskip(NEXT) | instid1(VALU_DEP_2)
	v_fma_f64 v[8:9], v[0:1], v[12:13], -v[8:9]
	v_fmac_f64_e32 v[10:11], v[2:3], v[12:13]
.LBB153_12:                             ;   in Loop: Header=BB153_5 Depth=1
	s_mov_b32 s45, exec_lo
	s_or_b32 exec_lo, exec_lo, s47
	s_delay_alu instid0(SALU_CYCLE_1)
	s_and_b32 vcc_lo, exec_lo, s46
	s_cbranch_vccnz .LBB153_14
	s_branch .LBB153_20
.LBB153_13:                             ;   in Loop: Header=BB153_5 Depth=1
	s_mov_b32 s45, 0
                                        ; implicit-def: $vgpr10_vgpr11
	s_cbranch_execz .LBB153_20
.LBB153_14:                             ;   in Loop: Header=BB153_5 Depth=1
	v_mov_b64_e32 v[10:11], 0
	v_mov_b64_e32 v[8:9], 0
	v_mov_b32_e32 v16, v18
	s_and_saveexec_b32 s4, s0
	s_cbranch_execz .LBB153_22
; %bb.15:                               ;   in Loop: Header=BB153_5 Depth=1
	v_mad_nc_u64_u32 v[12:13], s12, s6, v[26:27]
	v_mad_nc_u64_u32 v[14:15], s26, s6, v[28:29]
	v_mov_b64_e32 v[10:11], 0
	v_mov_b32_e32 v16, v18
	s_mov_b32 s46, 0
	s_delay_alu instid0(VALU_DEP_2)
	v_mov_b64_e32 v[8:9], v[10:11]
	v_mad_u32 v13, s13, s6, v13
	v_mad_u32 v15, s27, s6, v15
	s_branch .LBB153_17
.LBB153_16:                             ;   in Loop: Header=BB153_17 Depth=2
	s_wait_xcnt 0x0
	s_or_b32 exec_lo, exec_lo, s47
	v_add_nc_u32_e32 v16, 16, v16
	s_delay_alu instid0(VALU_DEP_3) | instskip(NEXT) | instid1(VALU_DEP_3)
	v_add_nc_u64_e32 v[12:13], s[24:25], v[12:13]
	v_add_nc_u64_e32 v[14:15], s[28:29], v[14:15]
	s_delay_alu instid0(VALU_DEP_3) | instskip(SKIP_1) | instid1(SALU_CYCLE_1)
	v_cmp_le_i32_e32 vcc_lo, s34, v16
	s_or_b32 s46, vcc_lo, s46
	s_and_not1_b32 exec_lo, exec_lo, s46
	s_cbranch_execz .LBB153_21
.LBB153_17:                             ;   Parent Loop BB153_5 Depth=1
                                        ; =>  This Inner Loop Header: Depth=2
	s_and_saveexec_b32 s47, s1
	s_cbranch_execz .LBB153_16
; %bb.18:                               ;   in Loop: Header=BB153_17 Depth=2
	global_load_b128 v[30:33], v[12:13], off offset:-8
	global_load_b128 v[34:37], v[14:15], off offset:-8
	s_wait_loadcnt 0x0
	v_mul_f64_e32 v[38:39], v[32:33], v[36:37]
	v_mul_f64_e32 v[36:37], v[30:31], v[36:37]
	s_delay_alu instid0(VALU_DEP_2) | instskip(NEXT) | instid1(VALU_DEP_2)
	v_fma_f64 v[30:31], v[30:31], v[34:35], -v[38:39]
	v_fmac_f64_e32 v[36:37], v[32:33], v[34:35]
	s_delay_alu instid0(VALU_DEP_2) | instskip(NEXT) | instid1(VALU_DEP_2)
	v_add_f64_e32 v[8:9], v[8:9], v[30:31]
	v_add_f64_e32 v[10:11], v[10:11], v[36:37]
	s_branch .LBB153_16
.LBB153_19:                             ;   in Loop: Header=BB153_5 Depth=1
	s_or_b32 exec_lo, exec_lo, s47
	s_delay_alu instid0(SALU_CYCLE_1)
	s_and_b32 vcc_lo, exec_lo, s46
	s_cbranch_vccnz .LBB153_14
.LBB153_20:                             ;   in Loop: Header=BB153_5 Depth=1
	s_wait_loadcnt 0x0
	v_mov_b64_e32 v[0:1], v[20:21]
	s_and_saveexec_b32 s4, s45
	s_cbranch_execz .LBB153_3
	s_branch .LBB153_35
.LBB153_21:                             ;   in Loop: Header=BB153_5 Depth=1
	s_or_b32 exec_lo, exec_lo, s46
.LBB153_22:                             ;   in Loop: Header=BB153_5 Depth=1
	s_delay_alu instid0(SALU_CYCLE_1) | instskip(NEXT) | instid1(SALU_CYCLE_1)
	s_or_b32 exec_lo, exec_lo, s4
	s_and_not1_b32 vcc_lo, exec_lo, s35
	s_cbranch_vccnz .LBB153_28
; %bb.23:                               ;   in Loop: Header=BB153_5 Depth=1
	v_mov_b64_e32 v[12:13], 0
	v_mov_b64_e32 v[14:15], 0
	v_cmp_gt_i32_e32 vcc_lo, s5, v16
	s_and_saveexec_b32 s4, vcc_lo
	s_cbranch_execz .LBB153_25
; %bb.24:                               ;   in Loop: Header=BB153_5 Depth=1
	v_mul_u64_e32 v[12:13], s[36:37], v[16:17]
	s_mul_u64 s[46:47], s[38:39], s[6:7]
	s_delay_alu instid0(SALU_CYCLE_1) | instskip(NEXT) | instid1(SALU_CYCLE_1)
	s_lshl_b64 s[46:47], s[46:47], 4
	s_add_nc_u64 s[46:47], s[20:21], s[46:47]
	s_delay_alu instid0(VALU_DEP_1) | instid1(SALU_CYCLE_1)
	v_lshl_add_u64 v[12:13], v[12:13], 4, s[46:47]
	global_load_b128 v[12:15], v[12:13], off
.LBB153_25:                             ;   in Loop: Header=BB153_5 Depth=1
	s_wait_xcnt 0x0
	s_or_b32 exec_lo, exec_lo, s4
	s_and_saveexec_b32 s4, s1
	s_cbranch_execz .LBB153_27
; %bb.26:                               ;   in Loop: Header=BB153_5 Depth=1
	v_mul_u64_e32 v[30:31], s[16:17], v[16:17]
	s_mul_u64 s[46:47], s[18:19], s[6:7]
	s_delay_alu instid0(SALU_CYCLE_1) | instskip(NEXT) | instid1(SALU_CYCLE_1)
	s_lshl_b64 s[46:47], s[46:47], 4
	s_add_nc_u64 s[46:47], s[14:15], s[46:47]
	s_delay_alu instid0(VALU_DEP_1) | instskip(NEXT) | instid1(VALU_DEP_1)
	v_dual_cndmask_b32 v31, 0, v31 :: v_dual_cndmask_b32 v30, 0, v30
	v_lshl_add_u64 v[30:31], v[30:31], 4, s[46:47]
	s_delay_alu instid0(VALU_DEP_1) | instskip(SKIP_4) | instid1(VALU_DEP_2)
	v_lshl_add_u64 v[30:31], v[24:25], 4, v[30:31]
	global_load_b128 v[30:33], v[30:31], off
	s_wait_loadcnt 0x0
	v_mul_f64_e32 v[34:35], v[14:15], v[32:33]
	v_mul_f64_e32 v[32:33], v[12:13], v[32:33]
	v_fma_f64 v[12:13], v[12:13], v[30:31], -v[34:35]
	s_delay_alu instid0(VALU_DEP_2) | instskip(NEXT) | instid1(VALU_DEP_2)
	v_fmac_f64_e32 v[32:33], v[14:15], v[30:31]
	v_add_f64_e32 v[8:9], v[8:9], v[12:13]
	s_delay_alu instid0(VALU_DEP_2)
	v_add_f64_e32 v[10:11], v[10:11], v[32:33]
.LBB153_27:                             ;   in Loop: Header=BB153_5 Depth=1
	s_wait_xcnt 0x0
	s_or_b32 exec_lo, exec_lo, s4
.LBB153_28:                             ;   in Loop: Header=BB153_5 Depth=1
	ds_store_b128 v19, v[8:11]
	s_wait_loadcnt_dscnt 0x0
	s_barrier_signal -1
	s_barrier_wait -1
                                        ; implicit-def: $vgpr10_vgpr11
	s_and_saveexec_b32 s46, s2
	s_cbranch_execz .LBB153_34
; %bb.29:                               ;   in Loop: Header=BB153_5 Depth=1
	ds_load_b128 v[8:11], v19
	ds_load_b128 v[12:15], v19 offset:512
	s_mov_b32 s4, s45
	s_wait_dscnt 0x0
	v_add_f64_e32 v[30:31], v[8:9], v[12:13]
	v_add_f64_e32 v[32:33], v[10:11], v[14:15]
	ds_load_b128 v[8:11], v19 offset:1024
	ds_load_b128 v[12:15], v19 offset:1536
	s_wait_dscnt 0x1
	v_add_f64_e32 v[8:9], v[30:31], v[8:9]
	v_add_f64_e32 v[10:11], v[32:33], v[10:11]
	s_wait_dscnt 0x0
	s_delay_alu instid0(VALU_DEP_2) | instskip(NEXT) | instid1(VALU_DEP_2)
	v_add_f64_e32 v[30:31], v[8:9], v[12:13]
	v_add_f64_e32 v[32:33], v[10:11], v[14:15]
	ds_load_b128 v[8:11], v19 offset:2048
	ds_load_b128 v[12:15], v19 offset:2560
	s_wait_dscnt 0x1
	v_add_f64_e32 v[8:9], v[30:31], v[8:9]
	v_add_f64_e32 v[10:11], v[32:33], v[10:11]
	s_wait_dscnt 0x0
	s_delay_alu instid0(VALU_DEP_2) | instskip(NEXT) | instid1(VALU_DEP_2)
	;; [unrolled: 9-line block ×7, first 2 shown]
	v_add_f64_e32 v[12:13], v[8:9], v[12:13]
	v_add_f64_e32 v[14:15], v[10:11], v[14:15]
                                        ; implicit-def: $vgpr10_vgpr11
	ds_store_b128 v19, v[12:15]
	s_and_saveexec_b32 s47, s3
	s_cbranch_execz .LBB153_33
; %bb.30:                               ;   in Loop: Header=BB153_5 Depth=1
	v_mul_f64_e32 v[8:9], v[6:7], v[14:15]
	v_mul_f64_e32 v[10:11], v[4:5], v[14:15]
	v_cmp_neq_f64_e32 vcc_lo, 0, v[0:1]
	v_cmp_neq_f64_e64 s4, 0, v[2:3]
	s_delay_alu instid0(VALU_DEP_4) | instskip(NEXT) | instid1(VALU_DEP_4)
	v_fma_f64 v[8:9], v[4:5], v[12:13], -v[8:9]
	v_fmac_f64_e32 v[10:11], v[6:7], v[12:13]
	s_or_b32 s4, vcc_lo, s4
	s_delay_alu instid0(SALU_CYCLE_1)
	s_and_not1_b32 vcc_lo, exec_lo, s4
	s_cbranch_vccnz .LBB153_32
; %bb.31:                               ;   in Loop: Header=BB153_5 Depth=1
	v_lshl_add_u64 v[4:5], v[22:23], 4, s[30:31]
	global_load_b128 v[4:7], v[4:5], off
	s_wait_loadcnt 0x0
	v_mul_f64_e32 v[12:13], v[2:3], v[6:7]
	v_mul_f64_e32 v[6:7], v[0:1], v[6:7]
	s_delay_alu instid0(VALU_DEP_2) | instskip(NEXT) | instid1(VALU_DEP_2)
	v_fma_f64 v[0:1], v[0:1], v[4:5], -v[12:13]
	v_fmac_f64_e32 v[6:7], v[2:3], v[4:5]
	s_delay_alu instid0(VALU_DEP_2) | instskip(NEXT) | instid1(VALU_DEP_2)
	v_add_f64_e32 v[8:9], v[8:9], v[0:1]
	v_add_f64_e32 v[10:11], v[10:11], v[6:7]
.LBB153_32:                             ;   in Loop: Header=BB153_5 Depth=1
	s_or_b32 s4, s45, exec_lo
.LBB153_33:                             ;   in Loop: Header=BB153_5 Depth=1
	s_wait_xcnt 0x0
	s_or_b32 exec_lo, exec_lo, s47
	s_delay_alu instid0(SALU_CYCLE_1) | instskip(SKIP_1) | instid1(SALU_CYCLE_1)
	s_and_not1_b32 s45, s45, exec_lo
	s_and_b32 s4, s4, exec_lo
	s_or_b32 s45, s45, s4
.LBB153_34:                             ;   in Loop: Header=BB153_5 Depth=1
	s_or_b32 exec_lo, exec_lo, s46
	v_mov_b64_e32 v[0:1], v[22:23]
	s_and_saveexec_b32 s4, s45
	s_cbranch_execz .LBB153_3
.LBB153_35:                             ;   in Loop: Header=BB153_5 Depth=1
	s_delay_alu instid0(VALU_DEP_1)
	v_lshl_add_u64 v[0:1], v[0:1], 4, s[30:31]
	global_store_b128 v[0:1], v[8:11], off
	s_branch .LBB153_3
.LBB153_36:
	s_endpgm
	.section	.rodata,"a",@progbits
	.p2align	6, 0x0
	.amdhsa_kernel _ZL20rocblas_gemvn_kernelILi32ELi16El19rocblas_complex_numIdEPKS1_S1_EviiT3_lPKT2_lT1_lS7_lS8_lS4_lPT4_lS8_li
		.amdhsa_group_segment_fixed_size 8192
		.amdhsa_private_segment_fixed_size 0
		.amdhsa_kernarg_size 400
		.amdhsa_user_sgpr_count 2
		.amdhsa_user_sgpr_dispatch_ptr 0
		.amdhsa_user_sgpr_queue_ptr 0
		.amdhsa_user_sgpr_kernarg_segment_ptr 1
		.amdhsa_user_sgpr_dispatch_id 0
		.amdhsa_user_sgpr_kernarg_preload_length 0
		.amdhsa_user_sgpr_kernarg_preload_offset 0
		.amdhsa_user_sgpr_private_segment_size 0
		.amdhsa_wavefront_size32 1
		.amdhsa_uses_dynamic_stack 0
		.amdhsa_enable_private_segment 0
		.amdhsa_system_sgpr_workgroup_id_x 1
		.amdhsa_system_sgpr_workgroup_id_y 0
		.amdhsa_system_sgpr_workgroup_id_z 1
		.amdhsa_system_sgpr_workgroup_info 0
		.amdhsa_system_vgpr_workitem_id 1
		.amdhsa_next_free_vgpr 40
		.amdhsa_next_free_sgpr 52
		.amdhsa_named_barrier_count 0
		.amdhsa_reserve_vcc 1
		.amdhsa_float_round_mode_32 0
		.amdhsa_float_round_mode_16_64 0
		.amdhsa_float_denorm_mode_32 3
		.amdhsa_float_denorm_mode_16_64 3
		.amdhsa_fp16_overflow 0
		.amdhsa_memory_ordered 1
		.amdhsa_forward_progress 1
		.amdhsa_inst_pref_size 15
		.amdhsa_round_robin_scheduling 0
		.amdhsa_exception_fp_ieee_invalid_op 0
		.amdhsa_exception_fp_denorm_src 0
		.amdhsa_exception_fp_ieee_div_zero 0
		.amdhsa_exception_fp_ieee_overflow 0
		.amdhsa_exception_fp_ieee_underflow 0
		.amdhsa_exception_fp_ieee_inexact 0
		.amdhsa_exception_int_div_zero 0
	.end_amdhsa_kernel
	.section	.text._ZL20rocblas_gemvn_kernelILi32ELi16El19rocblas_complex_numIdEPKS1_S1_EviiT3_lPKT2_lT1_lS7_lS8_lS4_lPT4_lS8_li,"axG",@progbits,_ZL20rocblas_gemvn_kernelILi32ELi16El19rocblas_complex_numIdEPKS1_S1_EviiT3_lPKT2_lT1_lS7_lS8_lS4_lPT4_lS8_li,comdat
.Lfunc_end153:
	.size	_ZL20rocblas_gemvn_kernelILi32ELi16El19rocblas_complex_numIdEPKS1_S1_EviiT3_lPKT2_lT1_lS7_lS8_lS4_lPT4_lS8_li, .Lfunc_end153-_ZL20rocblas_gemvn_kernelILi32ELi16El19rocblas_complex_numIdEPKS1_S1_EviiT3_lPKT2_lT1_lS7_lS8_lS4_lPT4_lS8_li
                                        ; -- End function
	.set _ZL20rocblas_gemvn_kernelILi32ELi16El19rocblas_complex_numIdEPKS1_S1_EviiT3_lPKT2_lT1_lS7_lS8_lS4_lPT4_lS8_li.num_vgpr, 40
	.set _ZL20rocblas_gemvn_kernelILi32ELi16El19rocblas_complex_numIdEPKS1_S1_EviiT3_lPKT2_lT1_lS7_lS8_lS4_lPT4_lS8_li.num_agpr, 0
	.set _ZL20rocblas_gemvn_kernelILi32ELi16El19rocblas_complex_numIdEPKS1_S1_EviiT3_lPKT2_lT1_lS7_lS8_lS4_lPT4_lS8_li.numbered_sgpr, 52
	.set _ZL20rocblas_gemvn_kernelILi32ELi16El19rocblas_complex_numIdEPKS1_S1_EviiT3_lPKT2_lT1_lS7_lS8_lS4_lPT4_lS8_li.num_named_barrier, 0
	.set _ZL20rocblas_gemvn_kernelILi32ELi16El19rocblas_complex_numIdEPKS1_S1_EviiT3_lPKT2_lT1_lS7_lS8_lS4_lPT4_lS8_li.private_seg_size, 0
	.set _ZL20rocblas_gemvn_kernelILi32ELi16El19rocblas_complex_numIdEPKS1_S1_EviiT3_lPKT2_lT1_lS7_lS8_lS4_lPT4_lS8_li.uses_vcc, 1
	.set _ZL20rocblas_gemvn_kernelILi32ELi16El19rocblas_complex_numIdEPKS1_S1_EviiT3_lPKT2_lT1_lS7_lS8_lS4_lPT4_lS8_li.uses_flat_scratch, 0
	.set _ZL20rocblas_gemvn_kernelILi32ELi16El19rocblas_complex_numIdEPKS1_S1_EviiT3_lPKT2_lT1_lS7_lS8_lS4_lPT4_lS8_li.has_dyn_sized_stack, 0
	.set _ZL20rocblas_gemvn_kernelILi32ELi16El19rocblas_complex_numIdEPKS1_S1_EviiT3_lPKT2_lT1_lS7_lS8_lS4_lPT4_lS8_li.has_recursion, 0
	.set _ZL20rocblas_gemvn_kernelILi32ELi16El19rocblas_complex_numIdEPKS1_S1_EviiT3_lPKT2_lT1_lS7_lS8_lS4_lPT4_lS8_li.has_indirect_call, 0
	.section	.AMDGPU.csdata,"",@progbits
; Kernel info:
; codeLenInByte = 1804
; TotalNumSgprs: 54
; NumVgprs: 40
; ScratchSize: 0
; MemoryBound: 0
; FloatMode: 240
; IeeeMode: 1
; LDSByteSize: 8192 bytes/workgroup (compile time only)
; SGPRBlocks: 0
; VGPRBlocks: 2
; NumSGPRsForWavesPerEU: 54
; NumVGPRsForWavesPerEU: 40
; NamedBarCnt: 0
; Occupancy: 16
; WaveLimiterHint : 1
; COMPUTE_PGM_RSRC2:SCRATCH_EN: 0
; COMPUTE_PGM_RSRC2:USER_SGPR: 2
; COMPUTE_PGM_RSRC2:TRAP_HANDLER: 0
; COMPUTE_PGM_RSRC2:TGID_X_EN: 1
; COMPUTE_PGM_RSRC2:TGID_Y_EN: 0
; COMPUTE_PGM_RSRC2:TGID_Z_EN: 1
; COMPUTE_PGM_RSRC2:TIDIG_COMP_CNT: 1
	.section	.text._ZL20rocblas_gemvn_kernelILi32ELi16Ei19rocblas_complex_numIdES1_S1_EviiT3_lPKT2_lT1_lS5_lS6_lS2_lPT4_lS6_li,"axG",@progbits,_ZL20rocblas_gemvn_kernelILi32ELi16Ei19rocblas_complex_numIdES1_S1_EviiT3_lPKT2_lT1_lS5_lS6_lS2_lPT4_lS6_li,comdat
	.globl	_ZL20rocblas_gemvn_kernelILi32ELi16Ei19rocblas_complex_numIdES1_S1_EviiT3_lPKT2_lT1_lS5_lS6_lS2_lPT4_lS6_li ; -- Begin function _ZL20rocblas_gemvn_kernelILi32ELi16Ei19rocblas_complex_numIdES1_S1_EviiT3_lPKT2_lT1_lS5_lS6_lS2_lPT4_lS6_li
	.p2align	8
	.type	_ZL20rocblas_gemvn_kernelILi32ELi16Ei19rocblas_complex_numIdES1_S1_EviiT3_lPKT2_lT1_lS5_lS6_lS2_lPT4_lS6_li,@function
_ZL20rocblas_gemvn_kernelILi32ELi16Ei19rocblas_complex_numIdES1_S1_EviiT3_lPKT2_lT1_lS5_lS6_lS2_lPT4_lS6_li: ; @_ZL20rocblas_gemvn_kernelILi32ELi16Ei19rocblas_complex_numIdES1_S1_EviiT3_lPKT2_lT1_lS5_lS6_lS2_lPT4_lS6_li
; %bb.0:
	s_load_b64 s[2:3], s[0:1], 0xac
	s_wait_kmcnt 0x0
	s_lshr_b32 s4, s2, 16
	s_and_b32 s2, s2, 0xffff
	s_and_b32 s3, s3, 0xffff
	s_mul_i32 s4, s4, s2
	s_delay_alu instid0(SALU_CYCLE_1) | instskip(NEXT) | instid1(SALU_CYCLE_1)
	s_mul_i32 s4, s4, s3
	s_cmp_lg_u32 s4, 0x200
	s_cbranch_scc1 .LBB154_34
; %bb.1:
	s_load_b32 s27, s[0:1], 0x98
	s_bfe_u32 s3, ttmp6, 0x40014
	s_lshr_b32 s4, ttmp7, 16
	s_add_co_i32 s3, s3, 1
	s_bfe_u32 s6, ttmp6, 0x40008
	s_mul_i32 s5, s4, s3
	s_getreg_b32 s3, hwreg(HW_REG_IB_STS2, 6, 4)
	s_add_co_i32 s6, s6, s5
	s_cmp_eq_u32 s3, 0
	s_mov_b32 s29, 0
	s_cselect_b32 s28, s4, s6
	s_wait_kmcnt 0x0
	s_cmp_ge_u32 s28, s27
	s_cbranch_scc1 .LBB154_34
; %bb.2:
	s_clause 0x7
	s_load_b128 s[4:7], s[0:1], 0x8
	s_load_b64 s[30:31], s[0:1], 0x68
	s_load_b128 s[8:11], s[0:1], 0x58
	s_load_b128 s[20:23], s[0:1], 0x20
	s_load_b96 s[24:26], s[0:1], 0x48
	s_load_b128 s[16:19], s[0:1], 0x78
	s_load_b32 s42, s[0:1], 0x88
	s_load_b64 s[34:35], s[0:1], 0x0
	s_bfe_u32 s41, ttmp6, 0x4000c
	v_and_b32_e32 v1, 0x3ff, v0
	v_bfe_u32 v0, v0, 10, 10
	s_add_co_i32 s41, s41, 1
	s_clause 0x2
	s_load_b128 s[12:15], s[0:1], 0x38
	s_load_b32 s33, s[0:1], 0x30
	s_load_b64 s[36:37], s[0:1], 0x90
	s_wait_xcnt 0x0
	s_and_b32 s0, ttmp6, 15
	s_mul_i32 s1, ttmp9, s41
	v_mad_u32_u24 v2, v0, s2, v1
	s_add_co_i32 s2, s0, s1
	s_delay_alu instid0(VALU_DEP_1)
	v_dual_lshrrev_b32 v12, 5, v2 :: v_dual_lshlrev_b32 v14, 4, v2
	s_wait_kmcnt 0x0
	s_lshl_b64 s[0:1], s[22:23], 4
	v_cmp_neq_f64_e64 s38, s[4:5], 0
	v_cmp_neq_f64_e64 s39, s[6:7], 0
	s_lshl_b64 s[22:23], s[24:25], 4
	s_lshl_b64 s[24:25], s[18:19], 4
	s_ashr_i32 s43, s42, 31
	v_cmp_neq_f64_e64 s44, s[30:31], 0
	v_cmp_neq_f64_e64 s40, s[10:11], 0
	v_cmp_neq_f64_e64 s46, s[10:11], 1.0
	s_add_nc_u64 s[18:19], s[20:21], s[0:1]
	s_add_nc_u64 s[14:15], s[14:15], s[22:23]
	;; [unrolled: 1-line block ×3, first 2 shown]
	v_mul_lo_u32 v3, s33, v12
	v_mul_lo_u32 v15, s26, v12
	s_or_b32 s45, s38, s39
	s_delay_alu instid0(SALU_CYCLE_1) | instskip(SKIP_4) | instid1(SALU_CYCLE_1)
	s_xor_b32 s38, s45, -1
	s_cmp_eq_u32 s3, 0
	s_cselect_b32 s2, ttmp9, s2
	s_ashr_i32 s3, s34, 31
	s_lshl_b32 s47, s2, 5
	v_dual_mov_b32 v1, 0 :: v_dual_add_nc_u32 v0, s47, v2
	s_mov_b32 s2, s34
	s_ashr_i32 s0, s35, 31
	s_or_b32 s39, s40, s44
	s_lshr_b32 s0, s0, 28
	v_mul_u64_e32 v[8:9], s[42:43], v[0:1]
	v_cmp_gt_i64_e32 vcc_lo, s[2:3], v[0:1]
	v_or_b32_e32 v0, s47, v2
	v_and_b32_e32 v1, 31, v2
	s_add_co_i32 s0, s35, s0
	v_cmp_gt_u32_e64 s2, 32, v2
	s_and_b32 s40, s0, -16
	v_mul_lo_u32 v10, v0, s42
	v_or_b32_e32 v13, s47, v1
	s_sub_co_i32 s1, s35, s40
	v_cmp_gt_i32_e64 s0, s40, v12
	s_cmp_gt_i32 s1, 0
	v_cmp_gt_i32_e64 s3, s34, v0
	s_cselect_b32 s41, -1, 0
	s_or_b32 s20, s45, s46
	v_add3_u32 v16, v3, s47, v1
	s_and_b32 s42, s2, vcc_lo
	s_lshl_b32 s43, s26, 4
	v_ashrrev_i32_e32 v11, 31, v10
	v_cmp_gt_i32_e64 s1, s34, v13
	s_or_b32 s34, s20, s44
	s_lshl_b32 s44, s33, 4
	s_branch .LBB154_5
.LBB154_3:                              ;   in Loop: Header=BB154_5 Depth=1
	s_wait_xcnt 0x0
	s_or_b32 exec_lo, exec_lo, s22
.LBB154_4:                              ;   in Loop: Header=BB154_5 Depth=1
	s_add_co_i32 s28, s28, 0x10000
	s_delay_alu instid0(SALU_CYCLE_1)
	s_cmp_lt_u32 s28, s27
	s_cbranch_scc0 .LBB154_34
.LBB154_5:                              ; =>This Loop Header: Depth=1
                                        ;     Child Loop BB154_15 Depth 2
	s_and_not1_b32 vcc_lo, exec_lo, s34
	s_cbranch_vccnz .LBB154_4
; %bb.6:                                ;   in Loop: Header=BB154_5 Depth=1
	s_mul_u64 s[20:21], s[36:37], s[28:29]
	s_and_not1_b32 vcc_lo, exec_lo, s38
	s_lshl_b64 s[20:21], s[20:21], 4
	s_delay_alu instid0(SALU_CYCLE_1)
	s_add_nc_u64 s[20:21], s[16:17], s[20:21]
	s_cbranch_vccnz .LBB154_11
; %bb.7:                                ;   in Loop: Header=BB154_5 Depth=1
	s_mov_b32 s22, 0
	s_mov_b32 s45, 0
                                        ; implicit-def: $vgpr2_vgpr3
	s_and_saveexec_b32 s23, s42
	s_cbranch_execz .LBB154_17
; %bb.8:                                ;   in Loop: Header=BB154_5 Depth=1
	v_mov_b64_e32 v[2:3], 0
	v_mov_b64_e32 v[0:1], 0
	s_and_not1_b32 vcc_lo, exec_lo, s39
	s_cbranch_vccnz .LBB154_10
; %bb.9:                                ;   in Loop: Header=BB154_5 Depth=1
	v_lshl_add_u64 v[0:1], v[8:9], 4, s[20:21]
	global_load_b128 v[4:7], v[0:1], off
	s_wait_loadcnt 0x0
	s_wait_xcnt 0x0
	v_mul_f64_e32 v[0:1], s[30:31], v[6:7]
	v_mul_f64_e32 v[2:3], s[10:11], v[6:7]
	s_delay_alu instid0(VALU_DEP_2) | instskip(NEXT) | instid1(VALU_DEP_2)
	v_fma_f64 v[0:1], s[10:11], v[4:5], -v[0:1]
	v_fmac_f64_e32 v[2:3], s[30:31], v[4:5]
.LBB154_10:                             ;   in Loop: Header=BB154_5 Depth=1
	s_mov_b32 s45, exec_lo
	s_or_b32 exec_lo, exec_lo, s23
	s_delay_alu instid0(SALU_CYCLE_1)
	s_and_b32 vcc_lo, exec_lo, s22
	s_cbranch_vccnz .LBB154_12
	s_branch .LBB154_18
.LBB154_11:                             ;   in Loop: Header=BB154_5 Depth=1
	s_mov_b32 s45, 0
                                        ; implicit-def: $vgpr2_vgpr3
	s_cbranch_execz .LBB154_18
.LBB154_12:                             ;   in Loop: Header=BB154_5 Depth=1
	v_mov_b64_e32 v[2:3], 0
	v_mov_b64_e32 v[0:1], 0
	s_mul_u64 s[22:23], s[12:13], s[28:29]
	s_mul_u64 s[24:25], s[8:9], s[28:29]
	v_mov_b32_e32 v17, v12
	s_lshl_b64 s[22:23], s[22:23], 4
	s_lshl_b64 s[24:25], s[24:25], 4
	s_add_nc_u64 s[22:23], s[18:19], s[22:23]
	s_add_nc_u64 s[24:25], s[14:15], s[24:25]
	s_and_saveexec_b32 s46, s0
	s_cbranch_execz .LBB154_20
; %bb.13:                               ;   in Loop: Header=BB154_5 Depth=1
	v_mov_b64_e32 v[2:3], 0
	v_dual_mov_b32 v4, v16 :: v_dual_mov_b32 v5, v15
	v_mov_b32_e32 v17, v12
	s_mov_b32 s47, 0
	s_delay_alu instid0(VALU_DEP_3)
	v_mov_b64_e32 v[0:1], v[2:3]
	s_branch .LBB154_15
.LBB154_14:                             ;   in Loop: Header=BB154_15 Depth=2
	s_wait_xcnt 0x0
	s_or_b32 exec_lo, exec_lo, s48
	v_dual_add_nc_u32 v17, 16, v17 :: v_dual_add_nc_u32 v4, s44, v4
	v_add_nc_u32_e32 v5, s43, v5
	s_delay_alu instid0(VALU_DEP_2) | instskip(SKIP_1) | instid1(SALU_CYCLE_1)
	v_cmp_le_i32_e32 vcc_lo, s40, v17
	s_or_b32 s47, vcc_lo, s47
	s_and_not1_b32 exec_lo, exec_lo, s47
	s_cbranch_execz .LBB154_19
.LBB154_15:                             ;   Parent Loop BB154_5 Depth=1
                                        ; =>  This Inner Loop Header: Depth=2
	s_and_saveexec_b32 s48, s1
	s_cbranch_execz .LBB154_14
; %bb.16:                               ;   in Loop: Header=BB154_15 Depth=2
	global_load_b128 v[18:21], v5, s[24:25] scale_offset
	global_load_b128 v[22:25], v4, s[22:23] scale_offset
	s_wait_loadcnt 0x0
	v_mul_f64_e32 v[6:7], v[20:21], v[24:25]
	v_mul_f64_e32 v[24:25], v[18:19], v[24:25]
	s_delay_alu instid0(VALU_DEP_2) | instskip(NEXT) | instid1(VALU_DEP_2)
	v_fma_f64 v[6:7], v[18:19], v[22:23], -v[6:7]
	v_fmac_f64_e32 v[24:25], v[20:21], v[22:23]
	s_delay_alu instid0(VALU_DEP_2) | instskip(NEXT) | instid1(VALU_DEP_2)
	v_add_f64_e32 v[0:1], v[0:1], v[6:7]
	v_add_f64_e32 v[2:3], v[2:3], v[24:25]
	s_branch .LBB154_14
.LBB154_17:                             ;   in Loop: Header=BB154_5 Depth=1
	s_or_b32 exec_lo, exec_lo, s23
	s_delay_alu instid0(SALU_CYCLE_1)
	s_and_b32 vcc_lo, exec_lo, s22
	s_cbranch_vccnz .LBB154_12
.LBB154_18:                             ;   in Loop: Header=BB154_5 Depth=1
	v_mov_b64_e32 v[4:5], v[8:9]
	s_and_saveexec_b32 s22, s45
	s_cbranch_execz .LBB154_3
	s_branch .LBB154_33
.LBB154_19:                             ;   in Loop: Header=BB154_5 Depth=1
	s_or_b32 exec_lo, exec_lo, s47
.LBB154_20:                             ;   in Loop: Header=BB154_5 Depth=1
	s_delay_alu instid0(SALU_CYCLE_1) | instskip(NEXT) | instid1(SALU_CYCLE_1)
	s_or_b32 exec_lo, exec_lo, s46
	s_and_not1_b32 vcc_lo, exec_lo, s41
	s_cbranch_vccnz .LBB154_26
; %bb.21:                               ;   in Loop: Header=BB154_5 Depth=1
	v_mov_b64_e32 v[4:5], 0
	v_mov_b64_e32 v[6:7], 0
	v_cmp_gt_i32_e32 vcc_lo, s35, v17
	s_and_saveexec_b32 s46, vcc_lo
	s_cbranch_execz .LBB154_23
; %bb.22:                               ;   in Loop: Header=BB154_5 Depth=1
	v_mul_lo_u32 v4, v17, s26
	global_load_b128 v[4:7], v4, s[24:25] scale_offset
.LBB154_23:                             ;   in Loop: Header=BB154_5 Depth=1
	s_wait_xcnt 0x0
	s_or_b32 exec_lo, exec_lo, s46
	s_and_saveexec_b32 s24, s1
	s_cbranch_execz .LBB154_25
; %bb.24:                               ;   in Loop: Header=BB154_5 Depth=1
	v_mul_lo_u32 v17, v17, s33
	s_delay_alu instid0(VALU_DEP_1) | instskip(NEXT) | instid1(VALU_DEP_1)
	v_cndmask_b32_e32 v17, 0, v17, vcc_lo
	v_add_nc_u32_e32 v17, v17, v13
	global_load_b128 v[18:21], v17, s[22:23] scale_offset
	s_wait_loadcnt 0x0
	v_mul_f64_e32 v[22:23], v[6:7], v[20:21]
	v_mul_f64_e32 v[20:21], v[4:5], v[20:21]
	s_delay_alu instid0(VALU_DEP_2) | instskip(NEXT) | instid1(VALU_DEP_2)
	v_fma_f64 v[4:5], v[4:5], v[18:19], -v[22:23]
	v_fmac_f64_e32 v[20:21], v[6:7], v[18:19]
	s_delay_alu instid0(VALU_DEP_2) | instskip(NEXT) | instid1(VALU_DEP_2)
	v_add_f64_e32 v[0:1], v[0:1], v[4:5]
	v_add_f64_e32 v[2:3], v[2:3], v[20:21]
.LBB154_25:                             ;   in Loop: Header=BB154_5 Depth=1
	s_wait_xcnt 0x0
	s_or_b32 exec_lo, exec_lo, s24
.LBB154_26:                             ;   in Loop: Header=BB154_5 Depth=1
	ds_store_b128 v14, v[0:3]
	s_wait_loadcnt_dscnt 0x0
	s_barrier_signal -1
	s_barrier_wait -1
                                        ; implicit-def: $vgpr2_vgpr3
	s_and_saveexec_b32 s22, s2
	s_cbranch_execz .LBB154_32
; %bb.27:                               ;   in Loop: Header=BB154_5 Depth=1
	ds_load_b128 v[0:3], v14
	ds_load_b128 v[4:7], v14 offset:512
	s_mov_b32 s24, s45
	s_wait_dscnt 0x0
	v_add_f64_e32 v[18:19], v[0:1], v[4:5]
	v_add_f64_e32 v[20:21], v[2:3], v[6:7]
	ds_load_b128 v[0:3], v14 offset:1024
	ds_load_b128 v[4:7], v14 offset:1536
	s_wait_dscnt 0x1
	v_add_f64_e32 v[0:1], v[18:19], v[0:1]
	v_add_f64_e32 v[2:3], v[20:21], v[2:3]
	s_wait_dscnt 0x0
	s_delay_alu instid0(VALU_DEP_2) | instskip(NEXT) | instid1(VALU_DEP_2)
	v_add_f64_e32 v[18:19], v[0:1], v[4:5]
	v_add_f64_e32 v[20:21], v[2:3], v[6:7]
	ds_load_b128 v[0:3], v14 offset:2048
	ds_load_b128 v[4:7], v14 offset:2560
	s_wait_dscnt 0x1
	v_add_f64_e32 v[0:1], v[18:19], v[0:1]
	v_add_f64_e32 v[2:3], v[20:21], v[2:3]
	s_wait_dscnt 0x0
	s_delay_alu instid0(VALU_DEP_2) | instskip(NEXT) | instid1(VALU_DEP_2)
	;; [unrolled: 9-line block ×7, first 2 shown]
	v_add_f64_e32 v[4:5], v[0:1], v[4:5]
	v_add_f64_e32 v[6:7], v[2:3], v[6:7]
                                        ; implicit-def: $vgpr2_vgpr3
	ds_store_b128 v14, v[4:7]
	s_and_saveexec_b32 s23, s3
	s_cbranch_execz .LBB154_31
; %bb.28:                               ;   in Loop: Header=BB154_5 Depth=1
	v_mul_f64_e32 v[0:1], s[6:7], v[6:7]
	v_mul_f64_e32 v[2:3], s[4:5], v[6:7]
	s_and_not1_b32 vcc_lo, exec_lo, s39
	s_delay_alu instid0(VALU_DEP_2) | instskip(NEXT) | instid1(VALU_DEP_2)
	v_fma_f64 v[0:1], s[4:5], v[4:5], -v[0:1]
	v_fmac_f64_e32 v[2:3], s[6:7], v[4:5]
	s_cbranch_vccnz .LBB154_30
; %bb.29:                               ;   in Loop: Header=BB154_5 Depth=1
	v_lshl_add_u64 v[4:5], v[10:11], 4, s[20:21]
	global_load_b128 v[4:7], v[4:5], off
	s_wait_loadcnt 0x0
	v_mul_f64_e32 v[18:19], s[30:31], v[6:7]
	v_mul_f64_e32 v[6:7], s[10:11], v[6:7]
	s_delay_alu instid0(VALU_DEP_2) | instskip(NEXT) | instid1(VALU_DEP_2)
	v_fma_f64 v[18:19], s[10:11], v[4:5], -v[18:19]
	v_fmac_f64_e32 v[6:7], s[30:31], v[4:5]
	s_delay_alu instid0(VALU_DEP_2) | instskip(NEXT) | instid1(VALU_DEP_2)
	v_add_f64_e32 v[0:1], v[0:1], v[18:19]
	v_add_f64_e32 v[2:3], v[2:3], v[6:7]
.LBB154_30:                             ;   in Loop: Header=BB154_5 Depth=1
	s_or_b32 s24, s45, exec_lo
.LBB154_31:                             ;   in Loop: Header=BB154_5 Depth=1
	s_wait_xcnt 0x0
	s_or_b32 exec_lo, exec_lo, s23
	s_delay_alu instid0(SALU_CYCLE_1) | instskip(SKIP_1) | instid1(SALU_CYCLE_1)
	s_and_not1_b32 s23, s45, exec_lo
	s_and_b32 s24, s24, exec_lo
	s_or_b32 s45, s23, s24
.LBB154_32:                             ;   in Loop: Header=BB154_5 Depth=1
	s_or_b32 exec_lo, exec_lo, s22
	v_mov_b64_e32 v[4:5], v[10:11]
	s_and_saveexec_b32 s22, s45
	s_cbranch_execz .LBB154_3
.LBB154_33:                             ;   in Loop: Header=BB154_5 Depth=1
	s_delay_alu instid0(VALU_DEP_1)
	v_lshl_add_u64 v[4:5], v[4:5], 4, s[20:21]
	global_store_b128 v[4:5], v[0:3], off
	s_branch .LBB154_3
.LBB154_34:
	s_endpgm
	.section	.rodata,"a",@progbits
	.p2align	6, 0x0
	.amdhsa_kernel _ZL20rocblas_gemvn_kernelILi32ELi16Ei19rocblas_complex_numIdES1_S1_EviiT3_lPKT2_lT1_lS5_lS6_lS2_lPT4_lS6_li
		.amdhsa_group_segment_fixed_size 8192
		.amdhsa_private_segment_fixed_size 0
		.amdhsa_kernarg_size 416
		.amdhsa_user_sgpr_count 2
		.amdhsa_user_sgpr_dispatch_ptr 0
		.amdhsa_user_sgpr_queue_ptr 0
		.amdhsa_user_sgpr_kernarg_segment_ptr 1
		.amdhsa_user_sgpr_dispatch_id 0
		.amdhsa_user_sgpr_kernarg_preload_length 0
		.amdhsa_user_sgpr_kernarg_preload_offset 0
		.amdhsa_user_sgpr_private_segment_size 0
		.amdhsa_wavefront_size32 1
		.amdhsa_uses_dynamic_stack 0
		.amdhsa_enable_private_segment 0
		.amdhsa_system_sgpr_workgroup_id_x 1
		.amdhsa_system_sgpr_workgroup_id_y 0
		.amdhsa_system_sgpr_workgroup_id_z 1
		.amdhsa_system_sgpr_workgroup_info 0
		.amdhsa_system_vgpr_workitem_id 1
		.amdhsa_next_free_vgpr 26
		.amdhsa_next_free_sgpr 49
		.amdhsa_named_barrier_count 0
		.amdhsa_reserve_vcc 1
		.amdhsa_float_round_mode_32 0
		.amdhsa_float_round_mode_16_64 0
		.amdhsa_float_denorm_mode_32 3
		.amdhsa_float_denorm_mode_16_64 3
		.amdhsa_fp16_overflow 0
		.amdhsa_memory_ordered 1
		.amdhsa_forward_progress 1
		.amdhsa_inst_pref_size 13
		.amdhsa_round_robin_scheduling 0
		.amdhsa_exception_fp_ieee_invalid_op 0
		.amdhsa_exception_fp_denorm_src 0
		.amdhsa_exception_fp_ieee_div_zero 0
		.amdhsa_exception_fp_ieee_overflow 0
		.amdhsa_exception_fp_ieee_underflow 0
		.amdhsa_exception_fp_ieee_inexact 0
		.amdhsa_exception_int_div_zero 0
	.end_amdhsa_kernel
	.section	.text._ZL20rocblas_gemvn_kernelILi32ELi16Ei19rocblas_complex_numIdES1_S1_EviiT3_lPKT2_lT1_lS5_lS6_lS2_lPT4_lS6_li,"axG",@progbits,_ZL20rocblas_gemvn_kernelILi32ELi16Ei19rocblas_complex_numIdES1_S1_EviiT3_lPKT2_lT1_lS5_lS6_lS2_lPT4_lS6_li,comdat
.Lfunc_end154:
	.size	_ZL20rocblas_gemvn_kernelILi32ELi16Ei19rocblas_complex_numIdES1_S1_EviiT3_lPKT2_lT1_lS5_lS6_lS2_lPT4_lS6_li, .Lfunc_end154-_ZL20rocblas_gemvn_kernelILi32ELi16Ei19rocblas_complex_numIdES1_S1_EviiT3_lPKT2_lT1_lS5_lS6_lS2_lPT4_lS6_li
                                        ; -- End function
	.set _ZL20rocblas_gemvn_kernelILi32ELi16Ei19rocblas_complex_numIdES1_S1_EviiT3_lPKT2_lT1_lS5_lS6_lS2_lPT4_lS6_li.num_vgpr, 26
	.set _ZL20rocblas_gemvn_kernelILi32ELi16Ei19rocblas_complex_numIdES1_S1_EviiT3_lPKT2_lT1_lS5_lS6_lS2_lPT4_lS6_li.num_agpr, 0
	.set _ZL20rocblas_gemvn_kernelILi32ELi16Ei19rocblas_complex_numIdES1_S1_EviiT3_lPKT2_lT1_lS5_lS6_lS2_lPT4_lS6_li.numbered_sgpr, 49
	.set _ZL20rocblas_gemvn_kernelILi32ELi16Ei19rocblas_complex_numIdES1_S1_EviiT3_lPKT2_lT1_lS5_lS6_lS2_lPT4_lS6_li.num_named_barrier, 0
	.set _ZL20rocblas_gemvn_kernelILi32ELi16Ei19rocblas_complex_numIdES1_S1_EviiT3_lPKT2_lT1_lS5_lS6_lS2_lPT4_lS6_li.private_seg_size, 0
	.set _ZL20rocblas_gemvn_kernelILi32ELi16Ei19rocblas_complex_numIdES1_S1_EviiT3_lPKT2_lT1_lS5_lS6_lS2_lPT4_lS6_li.uses_vcc, 1
	.set _ZL20rocblas_gemvn_kernelILi32ELi16Ei19rocblas_complex_numIdES1_S1_EviiT3_lPKT2_lT1_lS5_lS6_lS2_lPT4_lS6_li.uses_flat_scratch, 0
	.set _ZL20rocblas_gemvn_kernelILi32ELi16Ei19rocblas_complex_numIdES1_S1_EviiT3_lPKT2_lT1_lS5_lS6_lS2_lPT4_lS6_li.has_dyn_sized_stack, 0
	.set _ZL20rocblas_gemvn_kernelILi32ELi16Ei19rocblas_complex_numIdES1_S1_EviiT3_lPKT2_lT1_lS5_lS6_lS2_lPT4_lS6_li.has_recursion, 0
	.set _ZL20rocblas_gemvn_kernelILi32ELi16Ei19rocblas_complex_numIdES1_S1_EviiT3_lPKT2_lT1_lS5_lS6_lS2_lPT4_lS6_li.has_indirect_call, 0
	.section	.AMDGPU.csdata,"",@progbits
; Kernel info:
; codeLenInByte = 1656
; TotalNumSgprs: 51
; NumVgprs: 26
; ScratchSize: 0
; MemoryBound: 1
; FloatMode: 240
; IeeeMode: 1
; LDSByteSize: 8192 bytes/workgroup (compile time only)
; SGPRBlocks: 0
; VGPRBlocks: 1
; NumSGPRsForWavesPerEU: 51
; NumVGPRsForWavesPerEU: 26
; NamedBarCnt: 0
; Occupancy: 16
; WaveLimiterHint : 1
; COMPUTE_PGM_RSRC2:SCRATCH_EN: 0
; COMPUTE_PGM_RSRC2:USER_SGPR: 2
; COMPUTE_PGM_RSRC2:TRAP_HANDLER: 0
; COMPUTE_PGM_RSRC2:TGID_X_EN: 1
; COMPUTE_PGM_RSRC2:TGID_Y_EN: 0
; COMPUTE_PGM_RSRC2:TGID_Z_EN: 1
; COMPUTE_PGM_RSRC2:TIDIG_COMP_CNT: 1
	.section	.text._ZL20rocblas_gemvn_kernelILi32ELi16El19rocblas_complex_numIdES1_S1_EviiT3_lPKT2_lT1_lS5_lS6_lS2_lPT4_lS6_li,"axG",@progbits,_ZL20rocblas_gemvn_kernelILi32ELi16El19rocblas_complex_numIdES1_S1_EviiT3_lPKT2_lT1_lS5_lS6_lS2_lPT4_lS6_li,comdat
	.globl	_ZL20rocblas_gemvn_kernelILi32ELi16El19rocblas_complex_numIdES1_S1_EviiT3_lPKT2_lT1_lS5_lS6_lS2_lPT4_lS6_li ; -- Begin function _ZL20rocblas_gemvn_kernelILi32ELi16El19rocblas_complex_numIdES1_S1_EviiT3_lPKT2_lT1_lS5_lS6_lS2_lPT4_lS6_li
	.p2align	8
	.type	_ZL20rocblas_gemvn_kernelILi32ELi16El19rocblas_complex_numIdES1_S1_EviiT3_lPKT2_lT1_lS5_lS6_lS2_lPT4_lS6_li,@function
_ZL20rocblas_gemvn_kernelILi32ELi16El19rocblas_complex_numIdES1_S1_EviiT3_lPKT2_lT1_lS5_lS6_lS2_lPT4_lS6_li: ; @_ZL20rocblas_gemvn_kernelILi32ELi16El19rocblas_complex_numIdES1_S1_EviiT3_lPKT2_lT1_lS5_lS6_lS2_lPT4_lS6_li
; %bb.0:
	s_load_b64 s[4:5], s[0:1], 0xac
	s_wait_kmcnt 0x0
	s_lshr_b32 s2, s4, 16
	s_and_b32 s3, s4, 0xffff
	s_and_b32 s4, s5, 0xffff
	s_mul_i32 s2, s2, s3
	s_delay_alu instid0(SALU_CYCLE_1) | instskip(NEXT) | instid1(SALU_CYCLE_1)
	s_mul_i32 s2, s2, s4
	s_cmp_lg_u32 s2, 0x200
	s_cbranch_scc1 .LBB155_34
; %bb.1:
	s_load_b32 s33, s[0:1], 0x98
	s_bfe_u32 s2, ttmp6, 0x40014
	s_lshr_b32 s4, ttmp7, 16
	s_add_co_i32 s2, s2, 1
	s_bfe_u32 s6, ttmp6, 0x40008
	s_mul_i32 s5, s4, s2
	s_getreg_b32 s2, hwreg(HW_REG_IB_STS2, 6, 4)
	s_add_co_i32 s6, s6, s5
	s_cmp_eq_u32 s2, 0
	s_mov_b32 s35, 0
	s_cselect_b32 s34, s4, s6
	s_wait_kmcnt 0x0
	s_cmp_ge_u32 s34, s33
	s_cbranch_scc1 .LBB155_34
; %bb.2:
	s_clause 0x4
	s_load_b128 s[28:31], s[0:1], 0x8
	s_load_b64 s[40:41], s[0:1], 0x0
	s_load_b128 s[36:39], s[0:1], 0x60
	s_load_b512 s[4:19], s[0:1], 0x20
	s_load_b256 s[20:27], s[0:1], 0x78
	s_wait_xcnt 0x0
	s_bfe_u32 s0, ttmp6, 0x4000c
	v_and_b32_e32 v1, 0x3ff, v0
	v_bfe_u32 v0, v0, 10, 10
	s_add_co_i32 s0, s0, 1
	s_and_b32 s1, ttmp6, 15
	s_mul_i32 s0, ttmp9, s0
	s_delay_alu instid0(VALU_DEP_1) | instskip(SKIP_2) | instid1(VALU_DEP_2)
	v_mad_u32_u24 v6, v0, s3, v1
	v_mov_b32_e32 v9, 0
	s_add_co_i32 s3, s1, s0
	v_lshrrev_b32_e32 v10, 5, v6
	s_wait_kmcnt 0x0
	v_cmp_neq_f64_e64 s42, s[28:29], 0
	v_cmp_neq_f64_e64 s43, s[30:31], 0
	s_lshl_b64 s[0:1], s[6:7], 4
	s_lshl_b64 s[14:15], s[14:15], 4
	;; [unrolled: 1-line block ×3, first 2 shown]
	v_cmp_neq_f64_e64 s48, s[38:39], 0
	v_cmp_neq_f64_e64 s46, s[36:37], 0
	s_add_nc_u64 s[12:13], s[12:13], s[14:15]
	s_add_nc_u64 s[14:15], s[20:21], s[22:23]
	;; [unrolled: 1-line block ×3, first 2 shown]
	s_or_b32 s42, s42, s43
	v_cmp_neq_f64_e64 s43, s[36:37], 1.0
	s_xor_b32 s44, s42, -1
	s_cmp_eq_u32 s2, 0
	s_cselect_b32 s2, ttmp9, s3
	s_ashr_i32 s20, s41, 31
	s_lshl_b32 s2, s2, 5
	s_delay_alu instid0(SALU_CYCLE_1) | instskip(SKIP_3) | instid1(VALU_DEP_3)
	v_dual_mov_b32 v11, v9 :: v_dual_bitop2_b32 v4, s2, v6 bitop3:0x54
	v_add_nc_u32_e32 v8, s2, v6
	v_and_or_b32 v14, v6, 31, s2
	s_lshr_b32 s20, s20, 28
	v_mul_u64_e32 v[0:1], s[8:9], v[10:11]
	v_mul_u64_e32 v[2:3], s[16:17], v[10:11]
	v_ashrrev_i32_e32 v5, 31, v4
	v_mul_u64_e32 v[12:13], s[24:25], v[8:9]
	v_ashrrev_i32_e32 v15, 31, v14
	s_add_co_i32 s20, s41, s20
	s_ashr_i32 s3, s40, 31
	v_mul_u64_e32 v[16:17], s[24:25], v[4:5]
	s_mov_b32 s2, s40
	s_and_b32 s45, s20, -16
	v_cmp_gt_i64_e32 vcc_lo, s[2:3], v[8:9]
	s_or_b32 s46, s46, s48
	v_cmp_gt_u32_e64 s2, 32, v6
	v_lshlrev_b32_e32 v11, 4, v6
	v_cmp_gt_i32_e64 s3, s40, v4
	v_lshl_add_u64 v[0:1], v[0:1], 4, s[0:1]
	v_lshl_add_u64 v[2:3], v[2:3], 4, s[12:13]
	s_sub_co_i32 s1, s41, s45
	v_cmp_gt_i32_e64 s0, s45, v10
	s_cmp_gt_i32 s1, 0
	v_lshl_add_u64 v[0:1], v[14:15], 4, v[0:1]
	v_add_nc_u64_e32 v[18:19], 8, v[2:3]
	v_cmp_gt_i32_e64 s1, s40, v14
	s_cselect_b32 s47, -1, 0
	s_or_b32 s20, s42, s43
	v_add_nc_u64_e32 v[0:1], s[4:5], v[0:1]
	s_and_b32 s40, s2, vcc_lo
	s_lshl_b64 s[4:5], s[18:19], 4
	s_or_b32 s48, s20, s48
	s_lshl_b64 s[20:21], s[16:17], 8
	s_lshl_b64 s[22:23], s[10:11], 4
	;; [unrolled: 1-line block ×3, first 2 shown]
	v_add_nc_u64_e32 v[20:21], 8, v[0:1]
	s_branch .LBB155_5
.LBB155_3:                              ;   in Loop: Header=BB155_5 Depth=1
	s_wait_xcnt 0x0
	s_or_b32 exec_lo, exec_lo, s50
.LBB155_4:                              ;   in Loop: Header=BB155_5 Depth=1
	s_add_co_i32 s34, s34, 0x10000
	s_delay_alu instid0(SALU_CYCLE_1)
	s_cmp_lt_u32 s34, s33
	s_cbranch_scc0 .LBB155_34
.LBB155_5:                              ; =>This Loop Header: Depth=1
                                        ;     Child Loop BB155_15 Depth 2
	s_and_not1_b32 vcc_lo, exec_lo, s48
	s_cbranch_vccnz .LBB155_4
; %bb.6:                                ;   in Loop: Header=BB155_5 Depth=1
	s_mul_u64 s[42:43], s[26:27], s[34:35]
	s_and_not1_b32 vcc_lo, exec_lo, s44
	s_lshl_b64 s[42:43], s[42:43], 4
	s_delay_alu instid0(SALU_CYCLE_1)
	s_add_nc_u64 s[42:43], s[14:15], s[42:43]
	s_cbranch_vccnz .LBB155_11
; %bb.7:                                ;   in Loop: Header=BB155_5 Depth=1
	s_mov_b32 s50, 0
	s_mov_b32 s49, 0
                                        ; implicit-def: $vgpr2_vgpr3
	s_and_saveexec_b32 s51, s40
	s_cbranch_execz .LBB155_17
; %bb.8:                                ;   in Loop: Header=BB155_5 Depth=1
	v_mov_b64_e32 v[2:3], 0
	v_mov_b64_e32 v[0:1], 0
	s_and_not1_b32 vcc_lo, exec_lo, s46
	s_cbranch_vccnz .LBB155_10
; %bb.9:                                ;   in Loop: Header=BB155_5 Depth=1
	v_lshl_add_u64 v[0:1], v[12:13], 4, s[42:43]
	global_load_b128 v[4:7], v[0:1], off
	s_wait_loadcnt 0x0
	s_wait_xcnt 0x0
	v_mul_f64_e32 v[0:1], s[38:39], v[6:7]
	v_mul_f64_e32 v[2:3], s[36:37], v[6:7]
	s_delay_alu instid0(VALU_DEP_2) | instskip(NEXT) | instid1(VALU_DEP_2)
	v_fma_f64 v[0:1], s[36:37], v[4:5], -v[0:1]
	v_fmac_f64_e32 v[2:3], s[38:39], v[4:5]
.LBB155_10:                             ;   in Loop: Header=BB155_5 Depth=1
	s_mov_b32 s49, exec_lo
	s_or_b32 exec_lo, exec_lo, s51
	s_delay_alu instid0(SALU_CYCLE_1)
	s_and_b32 vcc_lo, exec_lo, s50
	s_cbranch_vccnz .LBB155_12
	s_branch .LBB155_18
.LBB155_11:                             ;   in Loop: Header=BB155_5 Depth=1
	s_mov_b32 s49, 0
                                        ; implicit-def: $vgpr2_vgpr3
	s_cbranch_execz .LBB155_18
.LBB155_12:                             ;   in Loop: Header=BB155_5 Depth=1
	v_mov_b64_e32 v[2:3], 0
	v_mov_b64_e32 v[0:1], 0
	v_mov_b32_e32 v8, v10
	s_and_saveexec_b32 s50, s0
	s_cbranch_execz .LBB155_20
; %bb.13:                               ;   in Loop: Header=BB155_5 Depth=1
	v_mad_nc_u64_u32 v[4:5], s4, s34, v[18:19]
	v_mad_nc_u64_u32 v[6:7], s22, s34, v[20:21]
	v_mov_b64_e32 v[2:3], 0
	v_mov_b32_e32 v8, v10
	s_mov_b32 s51, 0
	s_delay_alu instid0(VALU_DEP_2)
	v_mov_b64_e32 v[0:1], v[2:3]
	v_mad_u32 v5, s5, s34, v5
	v_mad_u32 v7, s23, s34, v7
	s_branch .LBB155_15
.LBB155_14:                             ;   in Loop: Header=BB155_15 Depth=2
	s_wait_xcnt 0x0
	s_or_b32 exec_lo, exec_lo, s52
	v_add_nc_u32_e32 v8, 16, v8
	s_delay_alu instid0(VALU_DEP_3) | instskip(NEXT) | instid1(VALU_DEP_3)
	v_add_nc_u64_e32 v[4:5], s[20:21], v[4:5]
	v_add_nc_u64_e32 v[6:7], s[24:25], v[6:7]
	s_delay_alu instid0(VALU_DEP_3) | instskip(SKIP_1) | instid1(SALU_CYCLE_1)
	v_cmp_le_i32_e32 vcc_lo, s45, v8
	s_or_b32 s51, vcc_lo, s51
	s_and_not1_b32 exec_lo, exec_lo, s51
	s_cbranch_execz .LBB155_19
.LBB155_15:                             ;   Parent Loop BB155_5 Depth=1
                                        ; =>  This Inner Loop Header: Depth=2
	s_and_saveexec_b32 s52, s1
	s_cbranch_execz .LBB155_14
; %bb.16:                               ;   in Loop: Header=BB155_15 Depth=2
	global_load_b128 v[22:25], v[4:5], off offset:-8
	global_load_b128 v[26:29], v[6:7], off offset:-8
	s_wait_loadcnt 0x0
	v_mul_f64_e32 v[30:31], v[24:25], v[28:29]
	v_mul_f64_e32 v[28:29], v[22:23], v[28:29]
	s_delay_alu instid0(VALU_DEP_2) | instskip(NEXT) | instid1(VALU_DEP_2)
	v_fma_f64 v[22:23], v[22:23], v[26:27], -v[30:31]
	v_fmac_f64_e32 v[28:29], v[24:25], v[26:27]
	s_delay_alu instid0(VALU_DEP_2) | instskip(NEXT) | instid1(VALU_DEP_2)
	v_add_f64_e32 v[0:1], v[0:1], v[22:23]
	v_add_f64_e32 v[2:3], v[2:3], v[28:29]
	s_branch .LBB155_14
.LBB155_17:                             ;   in Loop: Header=BB155_5 Depth=1
	s_or_b32 exec_lo, exec_lo, s51
	s_delay_alu instid0(SALU_CYCLE_1)
	s_and_b32 vcc_lo, exec_lo, s50
	s_cbranch_vccnz .LBB155_12
.LBB155_18:                             ;   in Loop: Header=BB155_5 Depth=1
	v_mov_b64_e32 v[4:5], v[12:13]
	s_and_saveexec_b32 s50, s49
	s_cbranch_execz .LBB155_3
	s_branch .LBB155_33
.LBB155_19:                             ;   in Loop: Header=BB155_5 Depth=1
	s_or_b32 exec_lo, exec_lo, s51
.LBB155_20:                             ;   in Loop: Header=BB155_5 Depth=1
	s_delay_alu instid0(SALU_CYCLE_1) | instskip(NEXT) | instid1(SALU_CYCLE_1)
	s_or_b32 exec_lo, exec_lo, s50
	s_and_not1_b32 vcc_lo, exec_lo, s47
	s_cbranch_vccnz .LBB155_26
; %bb.21:                               ;   in Loop: Header=BB155_5 Depth=1
	v_mov_b64_e32 v[4:5], 0
	v_mov_b64_e32 v[6:7], 0
	v_cmp_gt_i32_e32 vcc_lo, s41, v8
	s_and_saveexec_b32 s50, vcc_lo
	s_cbranch_execz .LBB155_23
; %bb.22:                               ;   in Loop: Header=BB155_5 Depth=1
	v_mul_u64_e32 v[4:5], s[16:17], v[8:9]
	s_mul_u64 s[52:53], s[18:19], s[34:35]
	s_delay_alu instid0(SALU_CYCLE_1) | instskip(NEXT) | instid1(SALU_CYCLE_1)
	s_lshl_b64 s[52:53], s[52:53], 4
	s_add_nc_u64 s[52:53], s[12:13], s[52:53]
	s_delay_alu instid0(VALU_DEP_1) | instid1(SALU_CYCLE_1)
	v_lshl_add_u64 v[4:5], v[4:5], 4, s[52:53]
	global_load_b128 v[4:7], v[4:5], off
.LBB155_23:                             ;   in Loop: Header=BB155_5 Depth=1
	s_wait_xcnt 0x0
	s_or_b32 exec_lo, exec_lo, s50
	s_and_saveexec_b32 s50, s1
	s_cbranch_execz .LBB155_25
; %bb.24:                               ;   in Loop: Header=BB155_5 Depth=1
	v_mul_u64_e32 v[22:23], s[8:9], v[8:9]
	s_mul_u64 s[52:53], s[10:11], s[34:35]
	s_delay_alu instid0(SALU_CYCLE_1) | instskip(NEXT) | instid1(SALU_CYCLE_1)
	s_lshl_b64 s[52:53], s[52:53], 4
	s_add_nc_u64 s[52:53], s[6:7], s[52:53]
	s_delay_alu instid0(VALU_DEP_1) | instskip(NEXT) | instid1(VALU_DEP_1)
	v_dual_cndmask_b32 v23, 0, v23 :: v_dual_cndmask_b32 v22, 0, v22
	v_lshl_add_u64 v[22:23], v[22:23], 4, s[52:53]
	s_delay_alu instid0(VALU_DEP_1) | instskip(SKIP_4) | instid1(VALU_DEP_2)
	v_lshl_add_u64 v[22:23], v[14:15], 4, v[22:23]
	global_load_b128 v[22:25], v[22:23], off
	s_wait_loadcnt 0x0
	v_mul_f64_e32 v[26:27], v[6:7], v[24:25]
	v_mul_f64_e32 v[24:25], v[4:5], v[24:25]
	v_fma_f64 v[4:5], v[4:5], v[22:23], -v[26:27]
	s_delay_alu instid0(VALU_DEP_2) | instskip(NEXT) | instid1(VALU_DEP_2)
	v_fmac_f64_e32 v[24:25], v[6:7], v[22:23]
	v_add_f64_e32 v[0:1], v[0:1], v[4:5]
	s_delay_alu instid0(VALU_DEP_2)
	v_add_f64_e32 v[2:3], v[2:3], v[24:25]
.LBB155_25:                             ;   in Loop: Header=BB155_5 Depth=1
	s_wait_xcnt 0x0
	s_or_b32 exec_lo, exec_lo, s50
.LBB155_26:                             ;   in Loop: Header=BB155_5 Depth=1
	ds_store_b128 v11, v[0:3]
	s_wait_loadcnt_dscnt 0x0
	s_barrier_signal -1
	s_barrier_wait -1
                                        ; implicit-def: $vgpr2_vgpr3
	s_and_saveexec_b32 s50, s2
	s_cbranch_execz .LBB155_32
; %bb.27:                               ;   in Loop: Header=BB155_5 Depth=1
	ds_load_b128 v[0:3], v11
	ds_load_b128 v[4:7], v11 offset:512
	s_mov_b32 s52, s49
	s_wait_dscnt 0x0
	v_add_f64_e32 v[22:23], v[0:1], v[4:5]
	v_add_f64_e32 v[24:25], v[2:3], v[6:7]
	ds_load_b128 v[0:3], v11 offset:1024
	ds_load_b128 v[4:7], v11 offset:1536
	s_wait_dscnt 0x1
	v_add_f64_e32 v[0:1], v[22:23], v[0:1]
	v_add_f64_e32 v[2:3], v[24:25], v[2:3]
	s_wait_dscnt 0x0
	s_delay_alu instid0(VALU_DEP_2) | instskip(NEXT) | instid1(VALU_DEP_2)
	v_add_f64_e32 v[22:23], v[0:1], v[4:5]
	v_add_f64_e32 v[24:25], v[2:3], v[6:7]
	ds_load_b128 v[0:3], v11 offset:2048
	ds_load_b128 v[4:7], v11 offset:2560
	s_wait_dscnt 0x1
	v_add_f64_e32 v[0:1], v[22:23], v[0:1]
	v_add_f64_e32 v[2:3], v[24:25], v[2:3]
	s_wait_dscnt 0x0
	s_delay_alu instid0(VALU_DEP_2) | instskip(NEXT) | instid1(VALU_DEP_2)
	;; [unrolled: 9-line block ×7, first 2 shown]
	v_add_f64_e32 v[4:5], v[0:1], v[4:5]
	v_add_f64_e32 v[6:7], v[2:3], v[6:7]
                                        ; implicit-def: $vgpr2_vgpr3
	ds_store_b128 v11, v[4:7]
	s_and_saveexec_b32 s51, s3
	s_cbranch_execz .LBB155_31
; %bb.28:                               ;   in Loop: Header=BB155_5 Depth=1
	v_mul_f64_e32 v[0:1], s[30:31], v[6:7]
	v_mul_f64_e32 v[2:3], s[28:29], v[6:7]
	s_and_not1_b32 vcc_lo, exec_lo, s46
	s_delay_alu instid0(VALU_DEP_2) | instskip(NEXT) | instid1(VALU_DEP_2)
	v_fma_f64 v[0:1], s[28:29], v[4:5], -v[0:1]
	v_fmac_f64_e32 v[2:3], s[30:31], v[4:5]
	s_cbranch_vccnz .LBB155_30
; %bb.29:                               ;   in Loop: Header=BB155_5 Depth=1
	v_lshl_add_u64 v[4:5], v[16:17], 4, s[42:43]
	global_load_b128 v[4:7], v[4:5], off
	s_wait_loadcnt 0x0
	v_mul_f64_e32 v[22:23], s[38:39], v[6:7]
	v_mul_f64_e32 v[6:7], s[36:37], v[6:7]
	s_delay_alu instid0(VALU_DEP_2) | instskip(NEXT) | instid1(VALU_DEP_2)
	v_fma_f64 v[22:23], s[36:37], v[4:5], -v[22:23]
	v_fmac_f64_e32 v[6:7], s[38:39], v[4:5]
	s_delay_alu instid0(VALU_DEP_2) | instskip(NEXT) | instid1(VALU_DEP_2)
	v_add_f64_e32 v[0:1], v[0:1], v[22:23]
	v_add_f64_e32 v[2:3], v[2:3], v[6:7]
.LBB155_30:                             ;   in Loop: Header=BB155_5 Depth=1
	s_or_b32 s52, s49, exec_lo
.LBB155_31:                             ;   in Loop: Header=BB155_5 Depth=1
	s_wait_xcnt 0x0
	s_or_b32 exec_lo, exec_lo, s51
	s_delay_alu instid0(SALU_CYCLE_1) | instskip(SKIP_1) | instid1(SALU_CYCLE_1)
	s_and_not1_b32 s49, s49, exec_lo
	s_and_b32 s51, s52, exec_lo
	s_or_b32 s49, s49, s51
.LBB155_32:                             ;   in Loop: Header=BB155_5 Depth=1
	s_or_b32 exec_lo, exec_lo, s50
	v_mov_b64_e32 v[4:5], v[16:17]
	s_and_saveexec_b32 s50, s49
	s_cbranch_execz .LBB155_3
.LBB155_33:                             ;   in Loop: Header=BB155_5 Depth=1
	s_delay_alu instid0(VALU_DEP_1)
	v_lshl_add_u64 v[4:5], v[4:5], 4, s[42:43]
	global_store_b128 v[4:5], v[0:3], off
	s_branch .LBB155_3
.LBB155_34:
	s_endpgm
	.section	.rodata,"a",@progbits
	.p2align	6, 0x0
	.amdhsa_kernel _ZL20rocblas_gemvn_kernelILi32ELi16El19rocblas_complex_numIdES1_S1_EviiT3_lPKT2_lT1_lS5_lS6_lS2_lPT4_lS6_li
		.amdhsa_group_segment_fixed_size 8192
		.amdhsa_private_segment_fixed_size 0
		.amdhsa_kernarg_size 416
		.amdhsa_user_sgpr_count 2
		.amdhsa_user_sgpr_dispatch_ptr 0
		.amdhsa_user_sgpr_queue_ptr 0
		.amdhsa_user_sgpr_kernarg_segment_ptr 1
		.amdhsa_user_sgpr_dispatch_id 0
		.amdhsa_user_sgpr_kernarg_preload_length 0
		.amdhsa_user_sgpr_kernarg_preload_offset 0
		.amdhsa_user_sgpr_private_segment_size 0
		.amdhsa_wavefront_size32 1
		.amdhsa_uses_dynamic_stack 0
		.amdhsa_enable_private_segment 0
		.amdhsa_system_sgpr_workgroup_id_x 1
		.amdhsa_system_sgpr_workgroup_id_y 0
		.amdhsa_system_sgpr_workgroup_id_z 1
		.amdhsa_system_sgpr_workgroup_info 0
		.amdhsa_system_vgpr_workitem_id 1
		.amdhsa_next_free_vgpr 32
		.amdhsa_next_free_sgpr 54
		.amdhsa_named_barrier_count 0
		.amdhsa_reserve_vcc 1
		.amdhsa_float_round_mode_32 0
		.amdhsa_float_round_mode_16_64 0
		.amdhsa_float_denorm_mode_32 3
		.amdhsa_float_denorm_mode_16_64 3
		.amdhsa_fp16_overflow 0
		.amdhsa_memory_ordered 1
		.amdhsa_forward_progress 1
		.amdhsa_inst_pref_size 14
		.amdhsa_round_robin_scheduling 0
		.amdhsa_exception_fp_ieee_invalid_op 0
		.amdhsa_exception_fp_denorm_src 0
		.amdhsa_exception_fp_ieee_div_zero 0
		.amdhsa_exception_fp_ieee_overflow 0
		.amdhsa_exception_fp_ieee_underflow 0
		.amdhsa_exception_fp_ieee_inexact 0
		.amdhsa_exception_int_div_zero 0
	.end_amdhsa_kernel
	.section	.text._ZL20rocblas_gemvn_kernelILi32ELi16El19rocblas_complex_numIdES1_S1_EviiT3_lPKT2_lT1_lS5_lS6_lS2_lPT4_lS6_li,"axG",@progbits,_ZL20rocblas_gemvn_kernelILi32ELi16El19rocblas_complex_numIdES1_S1_EviiT3_lPKT2_lT1_lS5_lS6_lS2_lPT4_lS6_li,comdat
.Lfunc_end155:
	.size	_ZL20rocblas_gemvn_kernelILi32ELi16El19rocblas_complex_numIdES1_S1_EviiT3_lPKT2_lT1_lS5_lS6_lS2_lPT4_lS6_li, .Lfunc_end155-_ZL20rocblas_gemvn_kernelILi32ELi16El19rocblas_complex_numIdES1_S1_EviiT3_lPKT2_lT1_lS5_lS6_lS2_lPT4_lS6_li
                                        ; -- End function
	.set _ZL20rocblas_gemvn_kernelILi32ELi16El19rocblas_complex_numIdES1_S1_EviiT3_lPKT2_lT1_lS5_lS6_lS2_lPT4_lS6_li.num_vgpr, 32
	.set _ZL20rocblas_gemvn_kernelILi32ELi16El19rocblas_complex_numIdES1_S1_EviiT3_lPKT2_lT1_lS5_lS6_lS2_lPT4_lS6_li.num_agpr, 0
	.set _ZL20rocblas_gemvn_kernelILi32ELi16El19rocblas_complex_numIdES1_S1_EviiT3_lPKT2_lT1_lS5_lS6_lS2_lPT4_lS6_li.numbered_sgpr, 54
	.set _ZL20rocblas_gemvn_kernelILi32ELi16El19rocblas_complex_numIdES1_S1_EviiT3_lPKT2_lT1_lS5_lS6_lS2_lPT4_lS6_li.num_named_barrier, 0
	.set _ZL20rocblas_gemvn_kernelILi32ELi16El19rocblas_complex_numIdES1_S1_EviiT3_lPKT2_lT1_lS5_lS6_lS2_lPT4_lS6_li.private_seg_size, 0
	.set _ZL20rocblas_gemvn_kernelILi32ELi16El19rocblas_complex_numIdES1_S1_EviiT3_lPKT2_lT1_lS5_lS6_lS2_lPT4_lS6_li.uses_vcc, 1
	.set _ZL20rocblas_gemvn_kernelILi32ELi16El19rocblas_complex_numIdES1_S1_EviiT3_lPKT2_lT1_lS5_lS6_lS2_lPT4_lS6_li.uses_flat_scratch, 0
	.set _ZL20rocblas_gemvn_kernelILi32ELi16El19rocblas_complex_numIdES1_S1_EviiT3_lPKT2_lT1_lS5_lS6_lS2_lPT4_lS6_li.has_dyn_sized_stack, 0
	.set _ZL20rocblas_gemvn_kernelILi32ELi16El19rocblas_complex_numIdES1_S1_EviiT3_lPKT2_lT1_lS5_lS6_lS2_lPT4_lS6_li.has_recursion, 0
	.set _ZL20rocblas_gemvn_kernelILi32ELi16El19rocblas_complex_numIdES1_S1_EviiT3_lPKT2_lT1_lS5_lS6_lS2_lPT4_lS6_li.has_indirect_call, 0
	.section	.AMDGPU.csdata,"",@progbits
; Kernel info:
; codeLenInByte = 1688
; TotalNumSgprs: 56
; NumVgprs: 32
; ScratchSize: 0
; MemoryBound: 0
; FloatMode: 240
; IeeeMode: 1
; LDSByteSize: 8192 bytes/workgroup (compile time only)
; SGPRBlocks: 0
; VGPRBlocks: 1
; NumSGPRsForWavesPerEU: 56
; NumVGPRsForWavesPerEU: 32
; NamedBarCnt: 0
; Occupancy: 16
; WaveLimiterHint : 1
; COMPUTE_PGM_RSRC2:SCRATCH_EN: 0
; COMPUTE_PGM_RSRC2:USER_SGPR: 2
; COMPUTE_PGM_RSRC2:TRAP_HANDLER: 0
; COMPUTE_PGM_RSRC2:TGID_X_EN: 1
; COMPUTE_PGM_RSRC2:TGID_Y_EN: 0
; COMPUTE_PGM_RSRC2:TGID_Z_EN: 1
; COMPUTE_PGM_RSRC2:TIDIG_COMP_CNT: 1
	.section	.text._ZL20rocblas_gemvn_kernelILi64ELi16Ei19rocblas_complex_numIdEPKS1_S1_EviiT3_lPKT2_lT1_lS7_lS8_lS4_lPT4_lS8_li,"axG",@progbits,_ZL20rocblas_gemvn_kernelILi64ELi16Ei19rocblas_complex_numIdEPKS1_S1_EviiT3_lPKT2_lT1_lS7_lS8_lS4_lPT4_lS8_li,comdat
	.globl	_ZL20rocblas_gemvn_kernelILi64ELi16Ei19rocblas_complex_numIdEPKS1_S1_EviiT3_lPKT2_lT1_lS7_lS8_lS4_lPT4_lS8_li ; -- Begin function _ZL20rocblas_gemvn_kernelILi64ELi16Ei19rocblas_complex_numIdEPKS1_S1_EviiT3_lPKT2_lT1_lS7_lS8_lS4_lPT4_lS8_li
	.p2align	8
	.type	_ZL20rocblas_gemvn_kernelILi64ELi16Ei19rocblas_complex_numIdEPKS1_S1_EviiT3_lPKT2_lT1_lS7_lS8_lS4_lPT4_lS8_li,@function
_ZL20rocblas_gemvn_kernelILi64ELi16Ei19rocblas_complex_numIdEPKS1_S1_EviiT3_lPKT2_lT1_lS7_lS8_lS4_lPT4_lS8_li: ; @_ZL20rocblas_gemvn_kernelILi64ELi16Ei19rocblas_complex_numIdEPKS1_S1_EviiT3_lPKT2_lT1_lS7_lS8_lS4_lPT4_lS8_li
; %bb.0:
	s_load_b64 s[2:3], s[0:1], 0x9c
	s_wait_kmcnt 0x0
	s_lshr_b32 s4, s2, 16
	s_and_b32 s2, s2, 0xffff
	s_and_b32 s3, s3, 0xffff
	s_mul_i32 s4, s4, s2
	s_delay_alu instid0(SALU_CYCLE_1) | instskip(NEXT) | instid1(SALU_CYCLE_1)
	s_mul_i32 s4, s4, s3
	s_cmp_lg_u32 s4, 0x400
	s_cbranch_scc1 .LBB156_36
; %bb.1:
	s_load_b32 s7, s[0:1], 0x88
	s_bfe_u32 s3, ttmp6, 0x40014
	s_lshr_b32 s4, ttmp7, 16
	s_add_co_i32 s3, s3, 1
	s_bfe_u32 s6, ttmp6, 0x40008
	s_mul_i32 s5, s4, s3
	s_getreg_b32 s3, hwreg(HW_REG_IB_STS2, 6, 4)
	s_add_co_i32 s6, s6, s5
	s_cmp_eq_u32 s3, 0
	s_mov_b32 s35, 0
	s_cselect_b32 s34, s4, s6
	s_wait_kmcnt 0x0
	s_cmp_ge_u32 s34, s7
	s_cbranch_scc1 .LBB156_36
; %bb.2:
	s_clause 0x6
	s_load_b256 s[8:15], s[0:1], 0x8
	s_load_b96 s[4:6], s[0:1], 0x40
	s_load_b96 s[28:30], s[0:1], 0x70
	s_load_b64 s[36:37], s[0:1], 0x0
	s_load_b128 s[24:27], s[0:1], 0x30
	s_load_b256 s[16:23], s[0:1], 0x50
	s_load_b64 s[38:39], s[0:1], 0x80
	s_bfe_u32 s31, ttmp6, 0x4000c
	v_and_b32_e32 v1, 0x3ff, v0
	s_add_co_i32 s31, s31, 1
	v_bfe_u32 v0, v0, 10, 10
	s_and_b32 s33, ttmp6, 15
	s_mul_i32 s31, ttmp9, s31
	v_mov_b32_e32 v17, 0
	s_add_co_i32 s33, s33, s31
	v_mad_u32_u24 v0, v0, s2, v1
	s_load_b32 s31, s[0:1], 0x28
	s_wait_kmcnt 0x0
	s_lshl_b64 s[14:15], s[14:15], 4
	s_lshl_b64 s[4:5], s[4:5], 4
	s_lshl_b64 s[28:29], s[28:29], 4
	s_ashr_i32 s41, s30, 31
	s_cmp_eq_u32 s3, 0
	s_mov_b32 s40, s30
	s_cselect_b32 s2, ttmp9, s33
	v_dual_lshrrev_b32 v22, 6, v0 :: v_dual_bitop2_b32 v1, 63, v0 bitop3:0x40
	s_lshl_b32 s42, s2, 6
	s_ashr_i32 s1, s36, 31
	v_dual_add_nc_u32 v16, s42, v0 :: v_dual_bitop2_b32 v2, s42, v0 bitop3:0x54
	s_mov_b32 s0, s36
	s_ashr_i32 s2, s37, 31
	v_mul_lo_u32 v24, s6, v22
	s_delay_alu instid0(VALU_DEP_2)
	v_mul_u64_e32 v[18:19], s[40:41], v[16:17]
	v_mul_lo_u32 v3, s31, v22
	v_cmp_gt_i64_e32 vcc_lo, s[0:1], v[16:17]
	v_lshlrev_b32_e32 v16, 4, v0
	v_mul_lo_u32 v20, v2, s30
	s_lshr_b32 s2, s2, 28
	v_or_b32_e32 v23, s42, v1
	s_add_co_i32 s2, s37, s2
	v_cmp_gt_i32_e64 s3, s36, v2
	s_and_b32 s33, s2, -16
	s_add_nc_u64 s[12:13], s[12:13], s[14:15]
	s_sub_co_i32 s2, s37, s33
	v_cmp_gt_i32_e64 s0, s33, v22
	s_cmp_gt_i32 s2, 0
	v_cmp_gt_u32_e64 s2, 64, v0
	v_ashrrev_i32_e32 v21, 31, v20
	v_cmp_gt_i32_e64 s1, s36, v23
	v_add3_u32 v25, v3, s42, v1
	s_add_nc_u64 s[14:15], s[26:27], s[4:5]
	s_add_nc_u64 s[22:23], s[22:23], s[28:29]
	s_cselect_b32 s30, -1, 0
	s_and_b32 s36, s2, vcc_lo
	s_lshl_b32 s40, s6, 4
	s_lshl_b32 s41, s31, 4
	s_branch .LBB156_5
.LBB156_3:                              ;   in Loop: Header=BB156_5 Depth=1
	s_wait_xcnt 0x0
	s_or_b32 exec_lo, exec_lo, s4
.LBB156_4:                              ;   in Loop: Header=BB156_5 Depth=1
	s_add_co_i32 s34, s34, 0x10000
	s_delay_alu instid0(SALU_CYCLE_1)
	s_cmp_lt_u32 s34, s7
	s_cbranch_scc0 .LBB156_36
.LBB156_5:                              ; =>This Loop Header: Depth=1
                                        ;     Child Loop BB156_17 Depth 2
	s_mul_u64 s[4:5], s[10:11], s[34:35]
	s_delay_alu instid0(SALU_CYCLE_1) | instskip(NEXT) | instid1(SALU_CYCLE_1)
	s_lshl_b64 s[4:5], s[4:5], 4
	s_add_nc_u64 s[4:5], s[8:9], s[4:5]
	global_load_b128 v[4:7], v17, s[4:5]
	s_wait_xcnt 0x0
	s_mul_u64 s[4:5], s[20:21], s[34:35]
	s_delay_alu instid0(SALU_CYCLE_1) | instskip(NEXT) | instid1(SALU_CYCLE_1)
	s_lshl_b64 s[4:5], s[4:5], 4
	s_add_nc_u64 s[4:5], s[18:19], s[4:5]
	s_wait_loadcnt 0x1
	global_load_b128 v[0:3], v17, s[4:5]
	s_wait_loadcnt 0x1
	v_cmp_neq_f64_e32 vcc_lo, 0, v[4:5]
	s_wait_xcnt 0x0
	v_cmp_neq_f64_e64 s4, 0, v[6:7]
	s_or_b32 s5, vcc_lo, s4
	s_mov_b32 s4, -1
	s_and_b32 vcc_lo, exec_lo, s5
	s_cbranch_vccz .LBB156_7
; %bb.6:                                ;   in Loop: Header=BB156_5 Depth=1
	s_and_not1_b32 vcc_lo, exec_lo, s4
	s_cbranch_vccnz .LBB156_4
	s_branch .LBB156_8
.LBB156_7:                              ;   in Loop: Header=BB156_5 Depth=1
	s_wait_loadcnt 0x0
	v_cmp_neq_f64_e32 vcc_lo, 1.0, v[0:1]
	v_cmp_neq_f64_e64 s4, 0, v[2:3]
	s_or_b32 s4, vcc_lo, s4
	s_delay_alu instid0(SALU_CYCLE_1)
	s_and_not1_b32 vcc_lo, exec_lo, s4
	s_cbranch_vccnz .LBB156_4
.LBB156_8:                              ;   in Loop: Header=BB156_5 Depth=1
	s_xor_b32 s26, s5, -1
	s_mul_u64 s[4:5], s[38:39], s[34:35]
	s_and_not1_b32 vcc_lo, exec_lo, s26
	s_lshl_b64 s[4:5], s[4:5], 4
	s_delay_alu instid0(SALU_CYCLE_1)
	s_add_nc_u64 s[26:27], s[22:23], s[4:5]
	s_cbranch_vccnz .LBB156_13
; %bb.9:                                ;   in Loop: Header=BB156_5 Depth=1
	s_mov_b32 s5, 0
	s_mov_b32 s42, 0
                                        ; implicit-def: $vgpr10_vgpr11
	s_and_saveexec_b32 s28, s36
	s_cbranch_execz .LBB156_19
; %bb.10:                               ;   in Loop: Header=BB156_5 Depth=1
	s_wait_loadcnt 0x0
	v_cmp_neq_f64_e32 vcc_lo, 0, v[0:1]
	v_cmp_neq_f64_e64 s4, 0, v[2:3]
	v_mov_b64_e32 v[10:11], 0
	v_mov_b64_e32 v[8:9], 0
	s_or_b32 s4, vcc_lo, s4
	s_delay_alu instid0(SALU_CYCLE_1)
	s_and_not1_b32 vcc_lo, exec_lo, s4
	s_cbranch_vccnz .LBB156_12
; %bb.11:                               ;   in Loop: Header=BB156_5 Depth=1
	v_lshl_add_u64 v[8:9], v[18:19], 4, s[26:27]
	global_load_b128 v[12:15], v[8:9], off
	s_wait_loadcnt 0x0
	s_wait_xcnt 0x0
	v_mul_f64_e32 v[8:9], v[2:3], v[14:15]
	v_mul_f64_e32 v[10:11], v[0:1], v[14:15]
	s_delay_alu instid0(VALU_DEP_2) | instskip(NEXT) | instid1(VALU_DEP_2)
	v_fma_f64 v[8:9], v[0:1], v[12:13], -v[8:9]
	v_fmac_f64_e32 v[10:11], v[2:3], v[12:13]
.LBB156_12:                             ;   in Loop: Header=BB156_5 Depth=1
	s_mov_b32 s42, exec_lo
	s_or_b32 exec_lo, exec_lo, s28
	s_delay_alu instid0(SALU_CYCLE_1)
	s_and_b32 vcc_lo, exec_lo, s5
	s_cbranch_vccnz .LBB156_14
	s_branch .LBB156_20
.LBB156_13:                             ;   in Loop: Header=BB156_5 Depth=1
	s_mov_b32 s42, 0
                                        ; implicit-def: $vgpr10_vgpr11
	s_cbranch_execz .LBB156_20
.LBB156_14:                             ;   in Loop: Header=BB156_5 Depth=1
	v_mov_b64_e32 v[10:11], 0
	v_mov_b64_e32 v[8:9], 0
	s_mul_u64 s[4:5], s[24:25], s[34:35]
	s_mul_u64 s[28:29], s[16:17], s[34:35]
	v_mov_b32_e32 v26, v22
	s_lshl_b64 s[4:5], s[4:5], 4
	s_lshl_b64 s[28:29], s[28:29], 4
	s_add_nc_u64 s[4:5], s[12:13], s[4:5]
	s_add_nc_u64 s[28:29], s[14:15], s[28:29]
	s_and_saveexec_b32 s43, s0
	s_cbranch_execz .LBB156_22
; %bb.15:                               ;   in Loop: Header=BB156_5 Depth=1
	v_mov_b64_e32 v[10:11], 0
	v_dual_mov_b32 v12, v25 :: v_dual_mov_b32 v13, v24
	v_mov_b32_e32 v26, v22
	s_mov_b32 s44, 0
	s_delay_alu instid0(VALU_DEP_3)
	v_mov_b64_e32 v[8:9], v[10:11]
	s_branch .LBB156_17
.LBB156_16:                             ;   in Loop: Header=BB156_17 Depth=2
	s_wait_xcnt 0x0
	s_or_b32 exec_lo, exec_lo, s45
	v_dual_add_nc_u32 v26, 16, v26 :: v_dual_add_nc_u32 v13, s40, v13
	v_add_nc_u32_e32 v12, s41, v12
	s_delay_alu instid0(VALU_DEP_2) | instskip(SKIP_1) | instid1(SALU_CYCLE_1)
	v_cmp_le_i32_e32 vcc_lo, s33, v26
	s_or_b32 s44, vcc_lo, s44
	s_and_not1_b32 exec_lo, exec_lo, s44
	s_cbranch_execz .LBB156_21
.LBB156_17:                             ;   Parent Loop BB156_5 Depth=1
                                        ; =>  This Inner Loop Header: Depth=2
	s_and_saveexec_b32 s45, s1
	s_cbranch_execz .LBB156_16
; %bb.18:                               ;   in Loop: Header=BB156_17 Depth=2
	global_load_b128 v[28:31], v13, s[28:29] scale_offset
	global_load_b128 v[32:35], v12, s[4:5] scale_offset
	s_wait_loadcnt 0x0
	v_mul_f64_e32 v[14:15], v[30:31], v[34:35]
	v_mul_f64_e32 v[34:35], v[28:29], v[34:35]
	s_delay_alu instid0(VALU_DEP_2) | instskip(NEXT) | instid1(VALU_DEP_2)
	v_fma_f64 v[14:15], v[28:29], v[32:33], -v[14:15]
	v_fmac_f64_e32 v[34:35], v[30:31], v[32:33]
	s_delay_alu instid0(VALU_DEP_2) | instskip(NEXT) | instid1(VALU_DEP_2)
	v_add_f64_e32 v[8:9], v[8:9], v[14:15]
	v_add_f64_e32 v[10:11], v[10:11], v[34:35]
	s_branch .LBB156_16
.LBB156_19:                             ;   in Loop: Header=BB156_5 Depth=1
	s_or_b32 exec_lo, exec_lo, s28
	s_delay_alu instid0(SALU_CYCLE_1)
	s_and_b32 vcc_lo, exec_lo, s5
	s_cbranch_vccnz .LBB156_14
.LBB156_20:                             ;   in Loop: Header=BB156_5 Depth=1
	s_wait_loadcnt 0x0
	v_mov_b64_e32 v[0:1], v[18:19]
	s_and_saveexec_b32 s4, s42
	s_cbranch_execz .LBB156_3
	s_branch .LBB156_35
.LBB156_21:                             ;   in Loop: Header=BB156_5 Depth=1
	s_or_b32 exec_lo, exec_lo, s44
.LBB156_22:                             ;   in Loop: Header=BB156_5 Depth=1
	s_delay_alu instid0(SALU_CYCLE_1) | instskip(NEXT) | instid1(SALU_CYCLE_1)
	s_or_b32 exec_lo, exec_lo, s43
	s_and_not1_b32 vcc_lo, exec_lo, s30
	s_cbranch_vccnz .LBB156_28
; %bb.23:                               ;   in Loop: Header=BB156_5 Depth=1
	v_mov_b64_e32 v[12:13], 0
	v_mov_b64_e32 v[14:15], 0
	v_cmp_gt_i32_e32 vcc_lo, s37, v26
	s_and_saveexec_b32 s43, vcc_lo
	s_cbranch_execz .LBB156_25
; %bb.24:                               ;   in Loop: Header=BB156_5 Depth=1
	v_mul_lo_u32 v12, v26, s6
	global_load_b128 v[12:15], v12, s[28:29] scale_offset
.LBB156_25:                             ;   in Loop: Header=BB156_5 Depth=1
	s_wait_xcnt 0x0
	s_or_b32 exec_lo, exec_lo, s43
	s_and_saveexec_b32 s28, s1
	s_cbranch_execz .LBB156_27
; %bb.26:                               ;   in Loop: Header=BB156_5 Depth=1
	v_mul_lo_u32 v26, v26, s31
	s_delay_alu instid0(VALU_DEP_1) | instskip(NEXT) | instid1(VALU_DEP_1)
	v_cndmask_b32_e32 v26, 0, v26, vcc_lo
	v_add_nc_u32_e32 v26, v26, v23
	global_load_b128 v[26:29], v26, s[4:5] scale_offset
	s_wait_loadcnt 0x0
	v_mul_f64_e32 v[30:31], v[14:15], v[28:29]
	v_mul_f64_e32 v[28:29], v[12:13], v[28:29]
	s_delay_alu instid0(VALU_DEP_2) | instskip(NEXT) | instid1(VALU_DEP_2)
	v_fma_f64 v[12:13], v[12:13], v[26:27], -v[30:31]
	v_fmac_f64_e32 v[28:29], v[14:15], v[26:27]
	s_delay_alu instid0(VALU_DEP_2) | instskip(NEXT) | instid1(VALU_DEP_2)
	v_add_f64_e32 v[8:9], v[8:9], v[12:13]
	v_add_f64_e32 v[10:11], v[10:11], v[28:29]
.LBB156_27:                             ;   in Loop: Header=BB156_5 Depth=1
	s_wait_xcnt 0x0
	s_or_b32 exec_lo, exec_lo, s28
.LBB156_28:                             ;   in Loop: Header=BB156_5 Depth=1
	ds_store_b128 v16, v[8:11]
	s_wait_loadcnt_dscnt 0x0
	s_barrier_signal -1
	s_barrier_wait -1
                                        ; implicit-def: $vgpr10_vgpr11
	s_and_saveexec_b32 s5, s2
	s_cbranch_execz .LBB156_34
; %bb.29:                               ;   in Loop: Header=BB156_5 Depth=1
	ds_load_b128 v[8:11], v16
	ds_load_b128 v[12:15], v16 offset:1024
	s_mov_b32 s4, s42
	s_wait_dscnt 0x0
	v_add_f64_e32 v[26:27], v[8:9], v[12:13]
	v_add_f64_e32 v[28:29], v[10:11], v[14:15]
	ds_load_b128 v[8:11], v16 offset:2048
	ds_load_b128 v[12:15], v16 offset:3072
	s_wait_dscnt 0x1
	v_add_f64_e32 v[8:9], v[26:27], v[8:9]
	v_add_f64_e32 v[10:11], v[28:29], v[10:11]
	s_wait_dscnt 0x0
	s_delay_alu instid0(VALU_DEP_2) | instskip(NEXT) | instid1(VALU_DEP_2)
	v_add_f64_e32 v[26:27], v[8:9], v[12:13]
	v_add_f64_e32 v[28:29], v[10:11], v[14:15]
	ds_load_b128 v[8:11], v16 offset:4096
	ds_load_b128 v[12:15], v16 offset:5120
	s_wait_dscnt 0x1
	v_add_f64_e32 v[8:9], v[26:27], v[8:9]
	v_add_f64_e32 v[10:11], v[28:29], v[10:11]
	s_wait_dscnt 0x0
	s_delay_alu instid0(VALU_DEP_2) | instskip(NEXT) | instid1(VALU_DEP_2)
	;; [unrolled: 9-line block ×7, first 2 shown]
	v_add_f64_e32 v[12:13], v[8:9], v[12:13]
	v_add_f64_e32 v[14:15], v[10:11], v[14:15]
                                        ; implicit-def: $vgpr10_vgpr11
	ds_store_b128 v16, v[12:15]
	s_and_saveexec_b32 s28, s3
	s_cbranch_execz .LBB156_33
; %bb.30:                               ;   in Loop: Header=BB156_5 Depth=1
	v_mul_f64_e32 v[8:9], v[6:7], v[14:15]
	v_mul_f64_e32 v[10:11], v[4:5], v[14:15]
	v_cmp_neq_f64_e32 vcc_lo, 0, v[0:1]
	v_cmp_neq_f64_e64 s4, 0, v[2:3]
	s_delay_alu instid0(VALU_DEP_4) | instskip(NEXT) | instid1(VALU_DEP_4)
	v_fma_f64 v[8:9], v[4:5], v[12:13], -v[8:9]
	v_fmac_f64_e32 v[10:11], v[6:7], v[12:13]
	s_or_b32 s4, vcc_lo, s4
	s_delay_alu instid0(SALU_CYCLE_1)
	s_and_not1_b32 vcc_lo, exec_lo, s4
	s_cbranch_vccnz .LBB156_32
; %bb.31:                               ;   in Loop: Header=BB156_5 Depth=1
	v_lshl_add_u64 v[4:5], v[20:21], 4, s[26:27]
	global_load_b128 v[4:7], v[4:5], off
	s_wait_loadcnt 0x0
	v_mul_f64_e32 v[12:13], v[2:3], v[6:7]
	v_mul_f64_e32 v[6:7], v[0:1], v[6:7]
	s_delay_alu instid0(VALU_DEP_2) | instskip(NEXT) | instid1(VALU_DEP_2)
	v_fma_f64 v[0:1], v[0:1], v[4:5], -v[12:13]
	v_fmac_f64_e32 v[6:7], v[2:3], v[4:5]
	s_delay_alu instid0(VALU_DEP_2) | instskip(NEXT) | instid1(VALU_DEP_2)
	v_add_f64_e32 v[8:9], v[8:9], v[0:1]
	v_add_f64_e32 v[10:11], v[10:11], v[6:7]
.LBB156_32:                             ;   in Loop: Header=BB156_5 Depth=1
	s_or_b32 s4, s42, exec_lo
.LBB156_33:                             ;   in Loop: Header=BB156_5 Depth=1
	s_wait_xcnt 0x0
	s_or_b32 exec_lo, exec_lo, s28
	s_delay_alu instid0(SALU_CYCLE_1) | instskip(SKIP_1) | instid1(SALU_CYCLE_1)
	s_and_not1_b32 s28, s42, exec_lo
	s_and_b32 s4, s4, exec_lo
	s_or_b32 s42, s28, s4
.LBB156_34:                             ;   in Loop: Header=BB156_5 Depth=1
	s_or_b32 exec_lo, exec_lo, s5
	v_mov_b64_e32 v[0:1], v[20:21]
	s_and_saveexec_b32 s4, s42
	s_cbranch_execz .LBB156_3
.LBB156_35:                             ;   in Loop: Header=BB156_5 Depth=1
	s_delay_alu instid0(VALU_DEP_1)
	v_lshl_add_u64 v[0:1], v[0:1], 4, s[26:27]
	global_store_b128 v[0:1], v[8:11], off
	s_branch .LBB156_3
.LBB156_36:
	s_endpgm
	.section	.rodata,"a",@progbits
	.p2align	6, 0x0
	.amdhsa_kernel _ZL20rocblas_gemvn_kernelILi64ELi16Ei19rocblas_complex_numIdEPKS1_S1_EviiT3_lPKT2_lT1_lS7_lS8_lS4_lPT4_lS8_li
		.amdhsa_group_segment_fixed_size 16384
		.amdhsa_private_segment_fixed_size 0
		.amdhsa_kernarg_size 400
		.amdhsa_user_sgpr_count 2
		.amdhsa_user_sgpr_dispatch_ptr 0
		.amdhsa_user_sgpr_queue_ptr 0
		.amdhsa_user_sgpr_kernarg_segment_ptr 1
		.amdhsa_user_sgpr_dispatch_id 0
		.amdhsa_user_sgpr_kernarg_preload_length 0
		.amdhsa_user_sgpr_kernarg_preload_offset 0
		.amdhsa_user_sgpr_private_segment_size 0
		.amdhsa_wavefront_size32 1
		.amdhsa_uses_dynamic_stack 0
		.amdhsa_enable_private_segment 0
		.amdhsa_system_sgpr_workgroup_id_x 1
		.amdhsa_system_sgpr_workgroup_id_y 0
		.amdhsa_system_sgpr_workgroup_id_z 1
		.amdhsa_system_sgpr_workgroup_info 0
		.amdhsa_system_vgpr_workitem_id 1
		.amdhsa_next_free_vgpr 36
		.amdhsa_next_free_sgpr 46
		.amdhsa_named_barrier_count 0
		.amdhsa_reserve_vcc 1
		.amdhsa_float_round_mode_32 0
		.amdhsa_float_round_mode_16_64 0
		.amdhsa_float_denorm_mode_32 3
		.amdhsa_float_denorm_mode_16_64 3
		.amdhsa_fp16_overflow 0
		.amdhsa_memory_ordered 1
		.amdhsa_forward_progress 1
		.amdhsa_inst_pref_size 14
		.amdhsa_round_robin_scheduling 0
		.amdhsa_exception_fp_ieee_invalid_op 0
		.amdhsa_exception_fp_denorm_src 0
		.amdhsa_exception_fp_ieee_div_zero 0
		.amdhsa_exception_fp_ieee_overflow 0
		.amdhsa_exception_fp_ieee_underflow 0
		.amdhsa_exception_fp_ieee_inexact 0
		.amdhsa_exception_int_div_zero 0
	.end_amdhsa_kernel
	.section	.text._ZL20rocblas_gemvn_kernelILi64ELi16Ei19rocblas_complex_numIdEPKS1_S1_EviiT3_lPKT2_lT1_lS7_lS8_lS4_lPT4_lS8_li,"axG",@progbits,_ZL20rocblas_gemvn_kernelILi64ELi16Ei19rocblas_complex_numIdEPKS1_S1_EviiT3_lPKT2_lT1_lS7_lS8_lS4_lPT4_lS8_li,comdat
.Lfunc_end156:
	.size	_ZL20rocblas_gemvn_kernelILi64ELi16Ei19rocblas_complex_numIdEPKS1_S1_EviiT3_lPKT2_lT1_lS7_lS8_lS4_lPT4_lS8_li, .Lfunc_end156-_ZL20rocblas_gemvn_kernelILi64ELi16Ei19rocblas_complex_numIdEPKS1_S1_EviiT3_lPKT2_lT1_lS7_lS8_lS4_lPT4_lS8_li
                                        ; -- End function
	.set _ZL20rocblas_gemvn_kernelILi64ELi16Ei19rocblas_complex_numIdEPKS1_S1_EviiT3_lPKT2_lT1_lS7_lS8_lS4_lPT4_lS8_li.num_vgpr, 36
	.set _ZL20rocblas_gemvn_kernelILi64ELi16Ei19rocblas_complex_numIdEPKS1_S1_EviiT3_lPKT2_lT1_lS7_lS8_lS4_lPT4_lS8_li.num_agpr, 0
	.set _ZL20rocblas_gemvn_kernelILi64ELi16Ei19rocblas_complex_numIdEPKS1_S1_EviiT3_lPKT2_lT1_lS7_lS8_lS4_lPT4_lS8_li.numbered_sgpr, 46
	.set _ZL20rocblas_gemvn_kernelILi64ELi16Ei19rocblas_complex_numIdEPKS1_S1_EviiT3_lPKT2_lT1_lS7_lS8_lS4_lPT4_lS8_li.num_named_barrier, 0
	.set _ZL20rocblas_gemvn_kernelILi64ELi16Ei19rocblas_complex_numIdEPKS1_S1_EviiT3_lPKT2_lT1_lS7_lS8_lS4_lPT4_lS8_li.private_seg_size, 0
	.set _ZL20rocblas_gemvn_kernelILi64ELi16Ei19rocblas_complex_numIdEPKS1_S1_EviiT3_lPKT2_lT1_lS7_lS8_lS4_lPT4_lS8_li.uses_vcc, 1
	.set _ZL20rocblas_gemvn_kernelILi64ELi16Ei19rocblas_complex_numIdEPKS1_S1_EviiT3_lPKT2_lT1_lS7_lS8_lS4_lPT4_lS8_li.uses_flat_scratch, 0
	.set _ZL20rocblas_gemvn_kernelILi64ELi16Ei19rocblas_complex_numIdEPKS1_S1_EviiT3_lPKT2_lT1_lS7_lS8_lS4_lPT4_lS8_li.has_dyn_sized_stack, 0
	.set _ZL20rocblas_gemvn_kernelILi64ELi16Ei19rocblas_complex_numIdEPKS1_S1_EviiT3_lPKT2_lT1_lS7_lS8_lS4_lPT4_lS8_li.has_recursion, 0
	.set _ZL20rocblas_gemvn_kernelILi64ELi16Ei19rocblas_complex_numIdEPKS1_S1_EviiT3_lPKT2_lT1_lS7_lS8_lS4_lPT4_lS8_li.has_indirect_call, 0
	.section	.AMDGPU.csdata,"",@progbits
; Kernel info:
; codeLenInByte = 1756
; TotalNumSgprs: 48
; NumVgprs: 36
; ScratchSize: 0
; MemoryBound: 1
; FloatMode: 240
; IeeeMode: 1
; LDSByteSize: 16384 bytes/workgroup (compile time only)
; SGPRBlocks: 0
; VGPRBlocks: 2
; NumSGPRsForWavesPerEU: 48
; NumVGPRsForWavesPerEU: 36
; NamedBarCnt: 0
; Occupancy: 16
; WaveLimiterHint : 1
; COMPUTE_PGM_RSRC2:SCRATCH_EN: 0
; COMPUTE_PGM_RSRC2:USER_SGPR: 2
; COMPUTE_PGM_RSRC2:TRAP_HANDLER: 0
; COMPUTE_PGM_RSRC2:TGID_X_EN: 1
; COMPUTE_PGM_RSRC2:TGID_Y_EN: 0
; COMPUTE_PGM_RSRC2:TGID_Z_EN: 1
; COMPUTE_PGM_RSRC2:TIDIG_COMP_CNT: 1
	.section	.text._ZL20rocblas_gemvn_kernelILi64ELi16El19rocblas_complex_numIdEPKS1_S1_EviiT3_lPKT2_lT1_lS7_lS8_lS4_lPT4_lS8_li,"axG",@progbits,_ZL20rocblas_gemvn_kernelILi64ELi16El19rocblas_complex_numIdEPKS1_S1_EviiT3_lPKT2_lT1_lS7_lS8_lS4_lPT4_lS8_li,comdat
	.globl	_ZL20rocblas_gemvn_kernelILi64ELi16El19rocblas_complex_numIdEPKS1_S1_EviiT3_lPKT2_lT1_lS7_lS8_lS4_lPT4_lS8_li ; -- Begin function _ZL20rocblas_gemvn_kernelILi64ELi16El19rocblas_complex_numIdEPKS1_S1_EviiT3_lPKT2_lT1_lS7_lS8_lS4_lPT4_lS8_li
	.p2align	8
	.type	_ZL20rocblas_gemvn_kernelILi64ELi16El19rocblas_complex_numIdEPKS1_S1_EviiT3_lPKT2_lT1_lS7_lS8_lS4_lPT4_lS8_li,@function
_ZL20rocblas_gemvn_kernelILi64ELi16El19rocblas_complex_numIdEPKS1_S1_EviiT3_lPKT2_lT1_lS7_lS8_lS4_lPT4_lS8_li: ; @_ZL20rocblas_gemvn_kernelILi64ELi16El19rocblas_complex_numIdEPKS1_S1_EviiT3_lPKT2_lT1_lS7_lS8_lS4_lPT4_lS8_li
; %bb.0:
	s_load_b64 s[4:5], s[0:1], 0x9c
	s_wait_kmcnt 0x0
	s_lshr_b32 s2, s4, 16
	s_and_b32 s3, s4, 0xffff
	s_and_b32 s4, s5, 0xffff
	s_mul_i32 s2, s2, s3
	s_delay_alu instid0(SALU_CYCLE_1) | instskip(NEXT) | instid1(SALU_CYCLE_1)
	s_mul_i32 s2, s2, s4
	s_cmp_lg_u32 s2, 0x400
	s_cbranch_scc1 .LBB157_36
; %bb.1:
	s_load_b32 s33, s[0:1], 0x88
	s_bfe_u32 s2, ttmp6, 0x40014
	s_lshr_b32 s4, ttmp7, 16
	s_add_co_i32 s2, s2, 1
	s_bfe_u32 s6, ttmp6, 0x40008
	s_mul_i32 s5, s4, s2
	s_getreg_b32 s2, hwreg(HW_REG_IB_STS2, 6, 4)
	s_add_co_i32 s6, s6, s5
	s_cmp_eq_u32 s2, 0
	s_mov_b32 s7, 0
	s_cselect_b32 s6, s4, s6
	s_wait_kmcnt 0x0
	s_cmp_ge_u32 s6, s33
	s_cbranch_scc1 .LBB157_36
; %bb.2:
	s_clause 0x1
	s_load_b512 s[8:23], s[0:1], 0x8
	s_load_b512 s[36:51], s[0:1], 0x48
	v_and_b32_e32 v1, 0x3ff, v0
	v_bfe_u32 v0, v0, 10, 10
	s_load_b64 s[4:5], s[0:1], 0x0
	s_delay_alu instid0(VALU_DEP_1) | instskip(SKIP_3) | instid1(SALU_CYCLE_1)
	v_mad_u32_u24 v6, v0, s3, v1
	s_bfe_u32 s3, ttmp6, 0x4000c
	v_mov_b32_e32 v17, 0
	s_add_co_i32 s3, s3, 1
	s_mul_i32 s3, ttmp9, s3
	v_lshrrev_b32_e32 v18, 6, v6
	s_wait_kmcnt 0x0
	s_lshl_b64 s[0:1], s[14:15], 4
	s_and_b32 s14, ttmp6, 15
	s_lshl_b64 s[22:23], s[22:23], 4
	s_lshl_b64 s[24:25], s[46:47], 4
	s_add_co_i32 s14, s14, s3
	s_cmp_eq_u32 s2, 0
	s_add_nc_u64 s[20:21], s[20:21], s[22:23]
	s_cselect_b32 s2, ttmp9, s14
	s_add_nc_u64 s[22:23], s[44:45], s[24:25]
	s_lshl_b32 s2, s2, 6
	s_delay_alu instid0(SALU_CYCLE_1) | instskip(SKIP_3) | instid1(VALU_DEP_3)
	v_dual_mov_b32 v19, v17 :: v_dual_bitop2_b32 v4, s2, v6 bitop3:0x54
	v_add_nc_u32_e32 v16, s2, v6
	v_and_or_b32 v24, v6, 63, s2
	s_ashr_i32 s2, s5, 31
	v_mul_u64_e32 v[0:1], s[16:17], v[18:19]
	v_mul_u64_e32 v[2:3], s[36:37], v[18:19]
	v_ashrrev_i32_e32 v5, 31, v4
	v_mul_u64_e32 v[20:21], s[48:49], v[16:17]
	v_dual_ashrrev_i32 v25, 31, v24 :: v_dual_lshlrev_b32 v19, 4, v6
	s_lshr_b32 s2, s2, 28
	s_delay_alu instid0(VALU_DEP_3)
	v_mul_u64_e32 v[22:23], s[48:49], v[4:5]
	s_add_co_i32 s24, s5, s2
	s_ashr_i32 s3, s4, 31
	s_mov_b32 s2, s4
	s_and_b32 s34, s24, -16
	v_cmp_gt_i64_e32 vcc_lo, s[2:3], v[16:17]
	s_sub_co_i32 s2, s5, s34
	s_add_nc_u64 s[14:15], s[12:13], s[0:1]
	s_cmp_gt_i32 s2, 0
	v_cmp_gt_u32_e64 s2, 64, v6
	v_cmp_gt_i32_e64 s3, s4, v4
	s_cselect_b32 s35, -1, 0
	s_lshl_b64 s[24:25], s[36:37], 8
	s_lshl_b64 s[26:27], s[18:19], 4
	s_and_b32 s44, s2, vcc_lo
	s_lshl_b64 s[28:29], s[16:17], 8
	v_lshl_add_u64 v[0:1], v[0:1], 4, s[0:1]
	v_lshl_add_u64 v[2:3], v[2:3], 4, s[20:21]
	v_cmp_gt_i32_e64 s0, s34, v18
	v_cmp_gt_i32_e64 s1, s4, v24
	s_delay_alu instid0(VALU_DEP_4) | instskip(NEXT) | instid1(VALU_DEP_4)
	v_lshl_add_u64 v[0:1], v[24:25], 4, v[0:1]
	v_add_nc_u64_e32 v[26:27], 8, v[2:3]
	s_delay_alu instid0(VALU_DEP_2) | instskip(SKIP_1) | instid1(VALU_DEP_1)
	v_add_nc_u64_e32 v[0:1], s[12:13], v[0:1]
	s_lshl_b64 s[12:13], s[38:39], 4
	v_add_nc_u64_e32 v[28:29], 8, v[0:1]
	s_branch .LBB157_5
.LBB157_3:                              ;   in Loop: Header=BB157_5 Depth=1
	s_wait_xcnt 0x0
	s_or_b32 exec_lo, exec_lo, s4
.LBB157_4:                              ;   in Loop: Header=BB157_5 Depth=1
	s_add_co_i32 s6, s6, 0x10000
	s_delay_alu instid0(SALU_CYCLE_1)
	s_cmp_lt_u32 s6, s33
	s_cbranch_scc0 .LBB157_36
.LBB157_5:                              ; =>This Loop Header: Depth=1
                                        ;     Child Loop BB157_17 Depth 2
	s_mul_u64 s[30:31], s[10:11], s[6:7]
	s_delay_alu instid0(SALU_CYCLE_1) | instskip(NEXT) | instid1(SALU_CYCLE_1)
	s_lshl_b64 s[30:31], s[30:31], 4
	s_add_nc_u64 s[30:31], s[8:9], s[30:31]
	global_load_b128 v[4:7], v17, s[30:31]
	s_wait_xcnt 0x0
	s_mul_u64 s[30:31], s[42:43], s[6:7]
	s_delay_alu instid0(SALU_CYCLE_1) | instskip(NEXT) | instid1(SALU_CYCLE_1)
	s_lshl_b64 s[30:31], s[30:31], 4
	s_add_nc_u64 s[30:31], s[40:41], s[30:31]
	s_wait_loadcnt 0x1
	global_load_b128 v[0:3], v17, s[30:31]
	s_wait_loadcnt 0x1
	v_cmp_neq_f64_e32 vcc_lo, 0, v[4:5]
	v_cmp_neq_f64_e64 s4, 0, v[6:7]
	s_wait_xcnt 0x0
	s_or_b32 s30, vcc_lo, s4
	s_mov_b32 s4, -1
	s_and_b32 vcc_lo, exec_lo, s30
	s_cbranch_vccz .LBB157_7
; %bb.6:                                ;   in Loop: Header=BB157_5 Depth=1
	s_and_not1_b32 vcc_lo, exec_lo, s4
	s_cbranch_vccnz .LBB157_4
	s_branch .LBB157_8
.LBB157_7:                              ;   in Loop: Header=BB157_5 Depth=1
	s_wait_loadcnt 0x0
	v_cmp_neq_f64_e32 vcc_lo, 1.0, v[0:1]
	v_cmp_neq_f64_e64 s4, 0, v[2:3]
	s_or_b32 s4, vcc_lo, s4
	s_delay_alu instid0(SALU_CYCLE_1)
	s_and_not1_b32 vcc_lo, exec_lo, s4
	s_cbranch_vccnz .LBB157_4
.LBB157_8:                              ;   in Loop: Header=BB157_5 Depth=1
	s_xor_b32 s4, s30, -1
	s_mul_u64 s[30:31], s[50:51], s[6:7]
	s_and_not1_b32 vcc_lo, exec_lo, s4
	s_lshl_b64 s[30:31], s[30:31], 4
	s_delay_alu instid0(SALU_CYCLE_1)
	s_add_nc_u64 s[30:31], s[22:23], s[30:31]
	s_cbranch_vccnz .LBB157_13
; %bb.9:                                ;   in Loop: Header=BB157_5 Depth=1
	s_mov_b32 s46, 0
	s_mov_b32 s45, 0
                                        ; implicit-def: $vgpr10_vgpr11
	s_and_saveexec_b32 s47, s44
	s_cbranch_execz .LBB157_19
; %bb.10:                               ;   in Loop: Header=BB157_5 Depth=1
	s_wait_loadcnt 0x0
	v_cmp_neq_f64_e32 vcc_lo, 0, v[0:1]
	v_cmp_neq_f64_e64 s4, 0, v[2:3]
	v_mov_b64_e32 v[10:11], 0
	v_mov_b64_e32 v[8:9], 0
	s_or_b32 s4, vcc_lo, s4
	s_delay_alu instid0(SALU_CYCLE_1)
	s_and_not1_b32 vcc_lo, exec_lo, s4
	s_cbranch_vccnz .LBB157_12
; %bb.11:                               ;   in Loop: Header=BB157_5 Depth=1
	v_lshl_add_u64 v[8:9], v[20:21], 4, s[30:31]
	global_load_b128 v[12:15], v[8:9], off
	s_wait_loadcnt 0x0
	s_wait_xcnt 0x0
	v_mul_f64_e32 v[8:9], v[2:3], v[14:15]
	v_mul_f64_e32 v[10:11], v[0:1], v[14:15]
	s_delay_alu instid0(VALU_DEP_2) | instskip(NEXT) | instid1(VALU_DEP_2)
	v_fma_f64 v[8:9], v[0:1], v[12:13], -v[8:9]
	v_fmac_f64_e32 v[10:11], v[2:3], v[12:13]
.LBB157_12:                             ;   in Loop: Header=BB157_5 Depth=1
	s_mov_b32 s45, exec_lo
	s_or_b32 exec_lo, exec_lo, s47
	s_delay_alu instid0(SALU_CYCLE_1)
	s_and_b32 vcc_lo, exec_lo, s46
	s_cbranch_vccnz .LBB157_14
	s_branch .LBB157_20
.LBB157_13:                             ;   in Loop: Header=BB157_5 Depth=1
	s_mov_b32 s45, 0
                                        ; implicit-def: $vgpr10_vgpr11
	s_cbranch_execz .LBB157_20
.LBB157_14:                             ;   in Loop: Header=BB157_5 Depth=1
	v_mov_b64_e32 v[10:11], 0
	v_mov_b64_e32 v[8:9], 0
	v_mov_b32_e32 v16, v18
	s_and_saveexec_b32 s4, s0
	s_cbranch_execz .LBB157_22
; %bb.15:                               ;   in Loop: Header=BB157_5 Depth=1
	v_mad_nc_u64_u32 v[12:13], s12, s6, v[26:27]
	v_mad_nc_u64_u32 v[14:15], s26, s6, v[28:29]
	v_mov_b64_e32 v[10:11], 0
	v_mov_b32_e32 v16, v18
	s_mov_b32 s46, 0
	s_delay_alu instid0(VALU_DEP_2)
	v_mov_b64_e32 v[8:9], v[10:11]
	v_mad_u32 v13, s13, s6, v13
	v_mad_u32 v15, s27, s6, v15
	s_branch .LBB157_17
.LBB157_16:                             ;   in Loop: Header=BB157_17 Depth=2
	s_wait_xcnt 0x0
	s_or_b32 exec_lo, exec_lo, s47
	v_add_nc_u32_e32 v16, 16, v16
	s_delay_alu instid0(VALU_DEP_3) | instskip(NEXT) | instid1(VALU_DEP_3)
	v_add_nc_u64_e32 v[12:13], s[24:25], v[12:13]
	v_add_nc_u64_e32 v[14:15], s[28:29], v[14:15]
	s_delay_alu instid0(VALU_DEP_3) | instskip(SKIP_1) | instid1(SALU_CYCLE_1)
	v_cmp_le_i32_e32 vcc_lo, s34, v16
	s_or_b32 s46, vcc_lo, s46
	s_and_not1_b32 exec_lo, exec_lo, s46
	s_cbranch_execz .LBB157_21
.LBB157_17:                             ;   Parent Loop BB157_5 Depth=1
                                        ; =>  This Inner Loop Header: Depth=2
	s_and_saveexec_b32 s47, s1
	s_cbranch_execz .LBB157_16
; %bb.18:                               ;   in Loop: Header=BB157_17 Depth=2
	global_load_b128 v[30:33], v[12:13], off offset:-8
	global_load_b128 v[34:37], v[14:15], off offset:-8
	s_wait_loadcnt 0x0
	v_mul_f64_e32 v[38:39], v[32:33], v[36:37]
	v_mul_f64_e32 v[36:37], v[30:31], v[36:37]
	s_delay_alu instid0(VALU_DEP_2) | instskip(NEXT) | instid1(VALU_DEP_2)
	v_fma_f64 v[30:31], v[30:31], v[34:35], -v[38:39]
	v_fmac_f64_e32 v[36:37], v[32:33], v[34:35]
	s_delay_alu instid0(VALU_DEP_2) | instskip(NEXT) | instid1(VALU_DEP_2)
	v_add_f64_e32 v[8:9], v[8:9], v[30:31]
	v_add_f64_e32 v[10:11], v[10:11], v[36:37]
	s_branch .LBB157_16
.LBB157_19:                             ;   in Loop: Header=BB157_5 Depth=1
	s_or_b32 exec_lo, exec_lo, s47
	s_delay_alu instid0(SALU_CYCLE_1)
	s_and_b32 vcc_lo, exec_lo, s46
	s_cbranch_vccnz .LBB157_14
.LBB157_20:                             ;   in Loop: Header=BB157_5 Depth=1
	s_wait_loadcnt 0x0
	v_mov_b64_e32 v[0:1], v[20:21]
	s_and_saveexec_b32 s4, s45
	s_cbranch_execz .LBB157_3
	s_branch .LBB157_35
.LBB157_21:                             ;   in Loop: Header=BB157_5 Depth=1
	s_or_b32 exec_lo, exec_lo, s46
.LBB157_22:                             ;   in Loop: Header=BB157_5 Depth=1
	s_delay_alu instid0(SALU_CYCLE_1) | instskip(NEXT) | instid1(SALU_CYCLE_1)
	s_or_b32 exec_lo, exec_lo, s4
	s_and_not1_b32 vcc_lo, exec_lo, s35
	s_cbranch_vccnz .LBB157_28
; %bb.23:                               ;   in Loop: Header=BB157_5 Depth=1
	v_mov_b64_e32 v[12:13], 0
	v_mov_b64_e32 v[14:15], 0
	v_cmp_gt_i32_e32 vcc_lo, s5, v16
	s_and_saveexec_b32 s4, vcc_lo
	s_cbranch_execz .LBB157_25
; %bb.24:                               ;   in Loop: Header=BB157_5 Depth=1
	v_mul_u64_e32 v[12:13], s[36:37], v[16:17]
	s_mul_u64 s[46:47], s[38:39], s[6:7]
	s_delay_alu instid0(SALU_CYCLE_1) | instskip(NEXT) | instid1(SALU_CYCLE_1)
	s_lshl_b64 s[46:47], s[46:47], 4
	s_add_nc_u64 s[46:47], s[20:21], s[46:47]
	s_delay_alu instid0(VALU_DEP_1) | instid1(SALU_CYCLE_1)
	v_lshl_add_u64 v[12:13], v[12:13], 4, s[46:47]
	global_load_b128 v[12:15], v[12:13], off
.LBB157_25:                             ;   in Loop: Header=BB157_5 Depth=1
	s_wait_xcnt 0x0
	s_or_b32 exec_lo, exec_lo, s4
	s_and_saveexec_b32 s4, s1
	s_cbranch_execz .LBB157_27
; %bb.26:                               ;   in Loop: Header=BB157_5 Depth=1
	v_mul_u64_e32 v[30:31], s[16:17], v[16:17]
	s_mul_u64 s[46:47], s[18:19], s[6:7]
	s_delay_alu instid0(SALU_CYCLE_1) | instskip(NEXT) | instid1(SALU_CYCLE_1)
	s_lshl_b64 s[46:47], s[46:47], 4
	s_add_nc_u64 s[46:47], s[14:15], s[46:47]
	s_delay_alu instid0(VALU_DEP_1) | instskip(NEXT) | instid1(VALU_DEP_1)
	v_dual_cndmask_b32 v31, 0, v31 :: v_dual_cndmask_b32 v30, 0, v30
	v_lshl_add_u64 v[30:31], v[30:31], 4, s[46:47]
	s_delay_alu instid0(VALU_DEP_1) | instskip(SKIP_4) | instid1(VALU_DEP_2)
	v_lshl_add_u64 v[30:31], v[24:25], 4, v[30:31]
	global_load_b128 v[30:33], v[30:31], off
	s_wait_loadcnt 0x0
	v_mul_f64_e32 v[34:35], v[14:15], v[32:33]
	v_mul_f64_e32 v[32:33], v[12:13], v[32:33]
	v_fma_f64 v[12:13], v[12:13], v[30:31], -v[34:35]
	s_delay_alu instid0(VALU_DEP_2) | instskip(NEXT) | instid1(VALU_DEP_2)
	v_fmac_f64_e32 v[32:33], v[14:15], v[30:31]
	v_add_f64_e32 v[8:9], v[8:9], v[12:13]
	s_delay_alu instid0(VALU_DEP_2)
	v_add_f64_e32 v[10:11], v[10:11], v[32:33]
.LBB157_27:                             ;   in Loop: Header=BB157_5 Depth=1
	s_wait_xcnt 0x0
	s_or_b32 exec_lo, exec_lo, s4
.LBB157_28:                             ;   in Loop: Header=BB157_5 Depth=1
	ds_store_b128 v19, v[8:11]
	s_wait_loadcnt_dscnt 0x0
	s_barrier_signal -1
	s_barrier_wait -1
                                        ; implicit-def: $vgpr10_vgpr11
	s_and_saveexec_b32 s46, s2
	s_cbranch_execz .LBB157_34
; %bb.29:                               ;   in Loop: Header=BB157_5 Depth=1
	ds_load_b128 v[8:11], v19
	ds_load_b128 v[12:15], v19 offset:1024
	s_mov_b32 s4, s45
	s_wait_dscnt 0x0
	v_add_f64_e32 v[30:31], v[8:9], v[12:13]
	v_add_f64_e32 v[32:33], v[10:11], v[14:15]
	ds_load_b128 v[8:11], v19 offset:2048
	ds_load_b128 v[12:15], v19 offset:3072
	s_wait_dscnt 0x1
	v_add_f64_e32 v[8:9], v[30:31], v[8:9]
	v_add_f64_e32 v[10:11], v[32:33], v[10:11]
	s_wait_dscnt 0x0
	s_delay_alu instid0(VALU_DEP_2) | instskip(NEXT) | instid1(VALU_DEP_2)
	v_add_f64_e32 v[30:31], v[8:9], v[12:13]
	v_add_f64_e32 v[32:33], v[10:11], v[14:15]
	ds_load_b128 v[8:11], v19 offset:4096
	ds_load_b128 v[12:15], v19 offset:5120
	s_wait_dscnt 0x1
	v_add_f64_e32 v[8:9], v[30:31], v[8:9]
	v_add_f64_e32 v[10:11], v[32:33], v[10:11]
	s_wait_dscnt 0x0
	s_delay_alu instid0(VALU_DEP_2) | instskip(NEXT) | instid1(VALU_DEP_2)
	;; [unrolled: 9-line block ×7, first 2 shown]
	v_add_f64_e32 v[12:13], v[8:9], v[12:13]
	v_add_f64_e32 v[14:15], v[10:11], v[14:15]
                                        ; implicit-def: $vgpr10_vgpr11
	ds_store_b128 v19, v[12:15]
	s_and_saveexec_b32 s47, s3
	s_cbranch_execz .LBB157_33
; %bb.30:                               ;   in Loop: Header=BB157_5 Depth=1
	v_mul_f64_e32 v[8:9], v[6:7], v[14:15]
	v_mul_f64_e32 v[10:11], v[4:5], v[14:15]
	v_cmp_neq_f64_e32 vcc_lo, 0, v[0:1]
	v_cmp_neq_f64_e64 s4, 0, v[2:3]
	s_delay_alu instid0(VALU_DEP_4) | instskip(NEXT) | instid1(VALU_DEP_4)
	v_fma_f64 v[8:9], v[4:5], v[12:13], -v[8:9]
	v_fmac_f64_e32 v[10:11], v[6:7], v[12:13]
	s_or_b32 s4, vcc_lo, s4
	s_delay_alu instid0(SALU_CYCLE_1)
	s_and_not1_b32 vcc_lo, exec_lo, s4
	s_cbranch_vccnz .LBB157_32
; %bb.31:                               ;   in Loop: Header=BB157_5 Depth=1
	v_lshl_add_u64 v[4:5], v[22:23], 4, s[30:31]
	global_load_b128 v[4:7], v[4:5], off
	s_wait_loadcnt 0x0
	v_mul_f64_e32 v[12:13], v[2:3], v[6:7]
	v_mul_f64_e32 v[6:7], v[0:1], v[6:7]
	s_delay_alu instid0(VALU_DEP_2) | instskip(NEXT) | instid1(VALU_DEP_2)
	v_fma_f64 v[0:1], v[0:1], v[4:5], -v[12:13]
	v_fmac_f64_e32 v[6:7], v[2:3], v[4:5]
	s_delay_alu instid0(VALU_DEP_2) | instskip(NEXT) | instid1(VALU_DEP_2)
	v_add_f64_e32 v[8:9], v[8:9], v[0:1]
	v_add_f64_e32 v[10:11], v[10:11], v[6:7]
.LBB157_32:                             ;   in Loop: Header=BB157_5 Depth=1
	s_or_b32 s4, s45, exec_lo
.LBB157_33:                             ;   in Loop: Header=BB157_5 Depth=1
	s_wait_xcnt 0x0
	s_or_b32 exec_lo, exec_lo, s47
	s_delay_alu instid0(SALU_CYCLE_1) | instskip(SKIP_1) | instid1(SALU_CYCLE_1)
	s_and_not1_b32 s45, s45, exec_lo
	s_and_b32 s4, s4, exec_lo
	s_or_b32 s45, s45, s4
.LBB157_34:                             ;   in Loop: Header=BB157_5 Depth=1
	s_or_b32 exec_lo, exec_lo, s46
	v_mov_b64_e32 v[0:1], v[22:23]
	s_and_saveexec_b32 s4, s45
	s_cbranch_execz .LBB157_3
.LBB157_35:                             ;   in Loop: Header=BB157_5 Depth=1
	s_delay_alu instid0(VALU_DEP_1)
	v_lshl_add_u64 v[0:1], v[0:1], 4, s[30:31]
	global_store_b128 v[0:1], v[8:11], off
	s_branch .LBB157_3
.LBB157_36:
	s_endpgm
	.section	.rodata,"a",@progbits
	.p2align	6, 0x0
	.amdhsa_kernel _ZL20rocblas_gemvn_kernelILi64ELi16El19rocblas_complex_numIdEPKS1_S1_EviiT3_lPKT2_lT1_lS7_lS8_lS4_lPT4_lS8_li
		.amdhsa_group_segment_fixed_size 16384
		.amdhsa_private_segment_fixed_size 0
		.amdhsa_kernarg_size 400
		.amdhsa_user_sgpr_count 2
		.amdhsa_user_sgpr_dispatch_ptr 0
		.amdhsa_user_sgpr_queue_ptr 0
		.amdhsa_user_sgpr_kernarg_segment_ptr 1
		.amdhsa_user_sgpr_dispatch_id 0
		.amdhsa_user_sgpr_kernarg_preload_length 0
		.amdhsa_user_sgpr_kernarg_preload_offset 0
		.amdhsa_user_sgpr_private_segment_size 0
		.amdhsa_wavefront_size32 1
		.amdhsa_uses_dynamic_stack 0
		.amdhsa_enable_private_segment 0
		.amdhsa_system_sgpr_workgroup_id_x 1
		.amdhsa_system_sgpr_workgroup_id_y 0
		.amdhsa_system_sgpr_workgroup_id_z 1
		.amdhsa_system_sgpr_workgroup_info 0
		.amdhsa_system_vgpr_workitem_id 1
		.amdhsa_next_free_vgpr 40
		.amdhsa_next_free_sgpr 52
		.amdhsa_named_barrier_count 0
		.amdhsa_reserve_vcc 1
		.amdhsa_float_round_mode_32 0
		.amdhsa_float_round_mode_16_64 0
		.amdhsa_float_denorm_mode_32 3
		.amdhsa_float_denorm_mode_16_64 3
		.amdhsa_fp16_overflow 0
		.amdhsa_memory_ordered 1
		.amdhsa_forward_progress 1
		.amdhsa_inst_pref_size 15
		.amdhsa_round_robin_scheduling 0
		.amdhsa_exception_fp_ieee_invalid_op 0
		.amdhsa_exception_fp_denorm_src 0
		.amdhsa_exception_fp_ieee_div_zero 0
		.amdhsa_exception_fp_ieee_overflow 0
		.amdhsa_exception_fp_ieee_underflow 0
		.amdhsa_exception_fp_ieee_inexact 0
		.amdhsa_exception_int_div_zero 0
	.end_amdhsa_kernel
	.section	.text._ZL20rocblas_gemvn_kernelILi64ELi16El19rocblas_complex_numIdEPKS1_S1_EviiT3_lPKT2_lT1_lS7_lS8_lS4_lPT4_lS8_li,"axG",@progbits,_ZL20rocblas_gemvn_kernelILi64ELi16El19rocblas_complex_numIdEPKS1_S1_EviiT3_lPKT2_lT1_lS7_lS8_lS4_lPT4_lS8_li,comdat
.Lfunc_end157:
	.size	_ZL20rocblas_gemvn_kernelILi64ELi16El19rocblas_complex_numIdEPKS1_S1_EviiT3_lPKT2_lT1_lS7_lS8_lS4_lPT4_lS8_li, .Lfunc_end157-_ZL20rocblas_gemvn_kernelILi64ELi16El19rocblas_complex_numIdEPKS1_S1_EviiT3_lPKT2_lT1_lS7_lS8_lS4_lPT4_lS8_li
                                        ; -- End function
	.set _ZL20rocblas_gemvn_kernelILi64ELi16El19rocblas_complex_numIdEPKS1_S1_EviiT3_lPKT2_lT1_lS7_lS8_lS4_lPT4_lS8_li.num_vgpr, 40
	.set _ZL20rocblas_gemvn_kernelILi64ELi16El19rocblas_complex_numIdEPKS1_S1_EviiT3_lPKT2_lT1_lS7_lS8_lS4_lPT4_lS8_li.num_agpr, 0
	.set _ZL20rocblas_gemvn_kernelILi64ELi16El19rocblas_complex_numIdEPKS1_S1_EviiT3_lPKT2_lT1_lS7_lS8_lS4_lPT4_lS8_li.numbered_sgpr, 52
	.set _ZL20rocblas_gemvn_kernelILi64ELi16El19rocblas_complex_numIdEPKS1_S1_EviiT3_lPKT2_lT1_lS7_lS8_lS4_lPT4_lS8_li.num_named_barrier, 0
	.set _ZL20rocblas_gemvn_kernelILi64ELi16El19rocblas_complex_numIdEPKS1_S1_EviiT3_lPKT2_lT1_lS7_lS8_lS4_lPT4_lS8_li.private_seg_size, 0
	.set _ZL20rocblas_gemvn_kernelILi64ELi16El19rocblas_complex_numIdEPKS1_S1_EviiT3_lPKT2_lT1_lS7_lS8_lS4_lPT4_lS8_li.uses_vcc, 1
	.set _ZL20rocblas_gemvn_kernelILi64ELi16El19rocblas_complex_numIdEPKS1_S1_EviiT3_lPKT2_lT1_lS7_lS8_lS4_lPT4_lS8_li.uses_flat_scratch, 0
	.set _ZL20rocblas_gemvn_kernelILi64ELi16El19rocblas_complex_numIdEPKS1_S1_EviiT3_lPKT2_lT1_lS7_lS8_lS4_lPT4_lS8_li.has_dyn_sized_stack, 0
	.set _ZL20rocblas_gemvn_kernelILi64ELi16El19rocblas_complex_numIdEPKS1_S1_EviiT3_lPKT2_lT1_lS7_lS8_lS4_lPT4_lS8_li.has_recursion, 0
	.set _ZL20rocblas_gemvn_kernelILi64ELi16El19rocblas_complex_numIdEPKS1_S1_EviiT3_lPKT2_lT1_lS7_lS8_lS4_lPT4_lS8_li.has_indirect_call, 0
	.section	.AMDGPU.csdata,"",@progbits
; Kernel info:
; codeLenInByte = 1812
; TotalNumSgprs: 54
; NumVgprs: 40
; ScratchSize: 0
; MemoryBound: 0
; FloatMode: 240
; IeeeMode: 1
; LDSByteSize: 16384 bytes/workgroup (compile time only)
; SGPRBlocks: 0
; VGPRBlocks: 2
; NumSGPRsForWavesPerEU: 54
; NumVGPRsForWavesPerEU: 40
; NamedBarCnt: 0
; Occupancy: 16
; WaveLimiterHint : 1
; COMPUTE_PGM_RSRC2:SCRATCH_EN: 0
; COMPUTE_PGM_RSRC2:USER_SGPR: 2
; COMPUTE_PGM_RSRC2:TRAP_HANDLER: 0
; COMPUTE_PGM_RSRC2:TGID_X_EN: 1
; COMPUTE_PGM_RSRC2:TGID_Y_EN: 0
; COMPUTE_PGM_RSRC2:TGID_Z_EN: 1
; COMPUTE_PGM_RSRC2:TIDIG_COMP_CNT: 1
	.section	.text._ZL20rocblas_gemvn_kernelILi64ELi16Ei19rocblas_complex_numIdES1_S1_EviiT3_lPKT2_lT1_lS5_lS6_lS2_lPT4_lS6_li,"axG",@progbits,_ZL20rocblas_gemvn_kernelILi64ELi16Ei19rocblas_complex_numIdES1_S1_EviiT3_lPKT2_lT1_lS5_lS6_lS2_lPT4_lS6_li,comdat
	.globl	_ZL20rocblas_gemvn_kernelILi64ELi16Ei19rocblas_complex_numIdES1_S1_EviiT3_lPKT2_lT1_lS5_lS6_lS2_lPT4_lS6_li ; -- Begin function _ZL20rocblas_gemvn_kernelILi64ELi16Ei19rocblas_complex_numIdES1_S1_EviiT3_lPKT2_lT1_lS5_lS6_lS2_lPT4_lS6_li
	.p2align	8
	.type	_ZL20rocblas_gemvn_kernelILi64ELi16Ei19rocblas_complex_numIdES1_S1_EviiT3_lPKT2_lT1_lS5_lS6_lS2_lPT4_lS6_li,@function
_ZL20rocblas_gemvn_kernelILi64ELi16Ei19rocblas_complex_numIdES1_S1_EviiT3_lPKT2_lT1_lS5_lS6_lS2_lPT4_lS6_li: ; @_ZL20rocblas_gemvn_kernelILi64ELi16Ei19rocblas_complex_numIdES1_S1_EviiT3_lPKT2_lT1_lS5_lS6_lS2_lPT4_lS6_li
; %bb.0:
	s_load_b64 s[2:3], s[0:1], 0xac
	s_wait_kmcnt 0x0
	s_lshr_b32 s4, s2, 16
	s_and_b32 s2, s2, 0xffff
	s_and_b32 s3, s3, 0xffff
	s_mul_i32 s4, s4, s2
	s_delay_alu instid0(SALU_CYCLE_1) | instskip(NEXT) | instid1(SALU_CYCLE_1)
	s_mul_i32 s4, s4, s3
	s_cmp_lg_u32 s4, 0x400
	s_cbranch_scc1 .LBB158_34
; %bb.1:
	s_load_b32 s27, s[0:1], 0x98
	s_bfe_u32 s3, ttmp6, 0x40014
	s_lshr_b32 s4, ttmp7, 16
	s_add_co_i32 s3, s3, 1
	s_bfe_u32 s6, ttmp6, 0x40008
	s_mul_i32 s5, s4, s3
	s_getreg_b32 s3, hwreg(HW_REG_IB_STS2, 6, 4)
	s_add_co_i32 s6, s6, s5
	s_cmp_eq_u32 s3, 0
	s_mov_b32 s29, 0
	s_cselect_b32 s28, s4, s6
	s_wait_kmcnt 0x0
	s_cmp_ge_u32 s28, s27
	s_cbranch_scc1 .LBB158_34
; %bb.2:
	s_clause 0x7
	s_load_b128 s[4:7], s[0:1], 0x8
	s_load_b64 s[30:31], s[0:1], 0x68
	s_load_b128 s[8:11], s[0:1], 0x58
	s_load_b128 s[20:23], s[0:1], 0x20
	s_load_b96 s[24:26], s[0:1], 0x48
	s_load_b128 s[16:19], s[0:1], 0x78
	s_load_b32 s42, s[0:1], 0x88
	s_load_b64 s[34:35], s[0:1], 0x0
	s_bfe_u32 s41, ttmp6, 0x4000c
	v_and_b32_e32 v1, 0x3ff, v0
	v_bfe_u32 v0, v0, 10, 10
	s_add_co_i32 s41, s41, 1
	s_clause 0x2
	s_load_b128 s[12:15], s[0:1], 0x38
	s_load_b32 s33, s[0:1], 0x30
	s_load_b64 s[36:37], s[0:1], 0x90
	s_wait_xcnt 0x0
	s_and_b32 s0, ttmp6, 15
	s_mul_i32 s1, ttmp9, s41
	v_mad_u32_u24 v2, v0, s2, v1
	s_add_co_i32 s2, s0, s1
	s_delay_alu instid0(VALU_DEP_1)
	v_dual_lshrrev_b32 v12, 6, v2 :: v_dual_lshlrev_b32 v14, 4, v2
	s_wait_kmcnt 0x0
	s_lshl_b64 s[0:1], s[22:23], 4
	v_cmp_neq_f64_e64 s38, s[4:5], 0
	v_cmp_neq_f64_e64 s39, s[6:7], 0
	s_lshl_b64 s[22:23], s[24:25], 4
	s_lshl_b64 s[24:25], s[18:19], 4
	s_ashr_i32 s43, s42, 31
	v_cmp_neq_f64_e64 s44, s[30:31], 0
	v_cmp_neq_f64_e64 s40, s[10:11], 0
	v_cmp_neq_f64_e64 s46, s[10:11], 1.0
	s_add_nc_u64 s[18:19], s[20:21], s[0:1]
	s_add_nc_u64 s[14:15], s[14:15], s[22:23]
	;; [unrolled: 1-line block ×3, first 2 shown]
	v_mul_lo_u32 v3, s33, v12
	v_mul_lo_u32 v15, s26, v12
	s_or_b32 s45, s38, s39
	s_delay_alu instid0(SALU_CYCLE_1) | instskip(SKIP_4) | instid1(SALU_CYCLE_1)
	s_xor_b32 s38, s45, -1
	s_cmp_eq_u32 s3, 0
	s_cselect_b32 s2, ttmp9, s2
	s_ashr_i32 s3, s34, 31
	s_lshl_b32 s47, s2, 6
	v_dual_mov_b32 v1, 0 :: v_dual_add_nc_u32 v0, s47, v2
	s_mov_b32 s2, s34
	s_ashr_i32 s0, s35, 31
	s_or_b32 s39, s40, s44
	s_lshr_b32 s0, s0, 28
	v_mul_u64_e32 v[8:9], s[42:43], v[0:1]
	v_cmp_gt_i64_e32 vcc_lo, s[2:3], v[0:1]
	v_or_b32_e32 v0, s47, v2
	v_and_b32_e32 v1, 63, v2
	s_add_co_i32 s0, s35, s0
	v_cmp_gt_u32_e64 s2, 64, v2
	s_and_b32 s40, s0, -16
	v_mul_lo_u32 v10, v0, s42
	v_or_b32_e32 v13, s47, v1
	s_sub_co_i32 s1, s35, s40
	v_cmp_gt_i32_e64 s0, s40, v12
	s_cmp_gt_i32 s1, 0
	v_cmp_gt_i32_e64 s3, s34, v0
	s_cselect_b32 s41, -1, 0
	s_or_b32 s20, s45, s46
	v_add3_u32 v16, v3, s47, v1
	s_and_b32 s42, s2, vcc_lo
	s_lshl_b32 s43, s26, 4
	v_ashrrev_i32_e32 v11, 31, v10
	v_cmp_gt_i32_e64 s1, s34, v13
	s_or_b32 s34, s20, s44
	s_lshl_b32 s44, s33, 4
	s_branch .LBB158_5
.LBB158_3:                              ;   in Loop: Header=BB158_5 Depth=1
	s_wait_xcnt 0x0
	s_or_b32 exec_lo, exec_lo, s22
.LBB158_4:                              ;   in Loop: Header=BB158_5 Depth=1
	s_add_co_i32 s28, s28, 0x10000
	s_delay_alu instid0(SALU_CYCLE_1)
	s_cmp_lt_u32 s28, s27
	s_cbranch_scc0 .LBB158_34
.LBB158_5:                              ; =>This Loop Header: Depth=1
                                        ;     Child Loop BB158_15 Depth 2
	s_and_not1_b32 vcc_lo, exec_lo, s34
	s_cbranch_vccnz .LBB158_4
; %bb.6:                                ;   in Loop: Header=BB158_5 Depth=1
	s_mul_u64 s[20:21], s[36:37], s[28:29]
	s_and_not1_b32 vcc_lo, exec_lo, s38
	s_lshl_b64 s[20:21], s[20:21], 4
	s_delay_alu instid0(SALU_CYCLE_1)
	s_add_nc_u64 s[20:21], s[16:17], s[20:21]
	s_cbranch_vccnz .LBB158_11
; %bb.7:                                ;   in Loop: Header=BB158_5 Depth=1
	s_mov_b32 s22, 0
	s_mov_b32 s45, 0
                                        ; implicit-def: $vgpr2_vgpr3
	s_and_saveexec_b32 s23, s42
	s_cbranch_execz .LBB158_17
; %bb.8:                                ;   in Loop: Header=BB158_5 Depth=1
	v_mov_b64_e32 v[2:3], 0
	v_mov_b64_e32 v[0:1], 0
	s_and_not1_b32 vcc_lo, exec_lo, s39
	s_cbranch_vccnz .LBB158_10
; %bb.9:                                ;   in Loop: Header=BB158_5 Depth=1
	v_lshl_add_u64 v[0:1], v[8:9], 4, s[20:21]
	global_load_b128 v[4:7], v[0:1], off
	s_wait_loadcnt 0x0
	s_wait_xcnt 0x0
	v_mul_f64_e32 v[0:1], s[30:31], v[6:7]
	v_mul_f64_e32 v[2:3], s[10:11], v[6:7]
	s_delay_alu instid0(VALU_DEP_2) | instskip(NEXT) | instid1(VALU_DEP_2)
	v_fma_f64 v[0:1], s[10:11], v[4:5], -v[0:1]
	v_fmac_f64_e32 v[2:3], s[30:31], v[4:5]
.LBB158_10:                             ;   in Loop: Header=BB158_5 Depth=1
	s_mov_b32 s45, exec_lo
	s_or_b32 exec_lo, exec_lo, s23
	s_delay_alu instid0(SALU_CYCLE_1)
	s_and_b32 vcc_lo, exec_lo, s22
	s_cbranch_vccnz .LBB158_12
	s_branch .LBB158_18
.LBB158_11:                             ;   in Loop: Header=BB158_5 Depth=1
	s_mov_b32 s45, 0
                                        ; implicit-def: $vgpr2_vgpr3
	s_cbranch_execz .LBB158_18
.LBB158_12:                             ;   in Loop: Header=BB158_5 Depth=1
	v_mov_b64_e32 v[2:3], 0
	v_mov_b64_e32 v[0:1], 0
	s_mul_u64 s[22:23], s[12:13], s[28:29]
	s_mul_u64 s[24:25], s[8:9], s[28:29]
	v_mov_b32_e32 v17, v12
	s_lshl_b64 s[22:23], s[22:23], 4
	s_lshl_b64 s[24:25], s[24:25], 4
	s_add_nc_u64 s[22:23], s[18:19], s[22:23]
	s_add_nc_u64 s[24:25], s[14:15], s[24:25]
	s_and_saveexec_b32 s46, s0
	s_cbranch_execz .LBB158_20
; %bb.13:                               ;   in Loop: Header=BB158_5 Depth=1
	v_mov_b64_e32 v[2:3], 0
	v_dual_mov_b32 v4, v16 :: v_dual_mov_b32 v5, v15
	v_mov_b32_e32 v17, v12
	s_mov_b32 s47, 0
	s_delay_alu instid0(VALU_DEP_3)
	v_mov_b64_e32 v[0:1], v[2:3]
	s_branch .LBB158_15
.LBB158_14:                             ;   in Loop: Header=BB158_15 Depth=2
	s_wait_xcnt 0x0
	s_or_b32 exec_lo, exec_lo, s48
	v_dual_add_nc_u32 v17, 16, v17 :: v_dual_add_nc_u32 v4, s44, v4
	v_add_nc_u32_e32 v5, s43, v5
	s_delay_alu instid0(VALU_DEP_2) | instskip(SKIP_1) | instid1(SALU_CYCLE_1)
	v_cmp_le_i32_e32 vcc_lo, s40, v17
	s_or_b32 s47, vcc_lo, s47
	s_and_not1_b32 exec_lo, exec_lo, s47
	s_cbranch_execz .LBB158_19
.LBB158_15:                             ;   Parent Loop BB158_5 Depth=1
                                        ; =>  This Inner Loop Header: Depth=2
	s_and_saveexec_b32 s48, s1
	s_cbranch_execz .LBB158_14
; %bb.16:                               ;   in Loop: Header=BB158_15 Depth=2
	global_load_b128 v[18:21], v5, s[24:25] scale_offset
	global_load_b128 v[22:25], v4, s[22:23] scale_offset
	s_wait_loadcnt 0x0
	v_mul_f64_e32 v[6:7], v[20:21], v[24:25]
	v_mul_f64_e32 v[24:25], v[18:19], v[24:25]
	s_delay_alu instid0(VALU_DEP_2) | instskip(NEXT) | instid1(VALU_DEP_2)
	v_fma_f64 v[6:7], v[18:19], v[22:23], -v[6:7]
	v_fmac_f64_e32 v[24:25], v[20:21], v[22:23]
	s_delay_alu instid0(VALU_DEP_2) | instskip(NEXT) | instid1(VALU_DEP_2)
	v_add_f64_e32 v[0:1], v[0:1], v[6:7]
	v_add_f64_e32 v[2:3], v[2:3], v[24:25]
	s_branch .LBB158_14
.LBB158_17:                             ;   in Loop: Header=BB158_5 Depth=1
	s_or_b32 exec_lo, exec_lo, s23
	s_delay_alu instid0(SALU_CYCLE_1)
	s_and_b32 vcc_lo, exec_lo, s22
	s_cbranch_vccnz .LBB158_12
.LBB158_18:                             ;   in Loop: Header=BB158_5 Depth=1
	v_mov_b64_e32 v[4:5], v[8:9]
	s_and_saveexec_b32 s22, s45
	s_cbranch_execz .LBB158_3
	s_branch .LBB158_33
.LBB158_19:                             ;   in Loop: Header=BB158_5 Depth=1
	s_or_b32 exec_lo, exec_lo, s47
.LBB158_20:                             ;   in Loop: Header=BB158_5 Depth=1
	s_delay_alu instid0(SALU_CYCLE_1) | instskip(NEXT) | instid1(SALU_CYCLE_1)
	s_or_b32 exec_lo, exec_lo, s46
	s_and_not1_b32 vcc_lo, exec_lo, s41
	s_cbranch_vccnz .LBB158_26
; %bb.21:                               ;   in Loop: Header=BB158_5 Depth=1
	v_mov_b64_e32 v[4:5], 0
	v_mov_b64_e32 v[6:7], 0
	v_cmp_gt_i32_e32 vcc_lo, s35, v17
	s_and_saveexec_b32 s46, vcc_lo
	s_cbranch_execz .LBB158_23
; %bb.22:                               ;   in Loop: Header=BB158_5 Depth=1
	v_mul_lo_u32 v4, v17, s26
	global_load_b128 v[4:7], v4, s[24:25] scale_offset
.LBB158_23:                             ;   in Loop: Header=BB158_5 Depth=1
	s_wait_xcnt 0x0
	s_or_b32 exec_lo, exec_lo, s46
	s_and_saveexec_b32 s24, s1
	s_cbranch_execz .LBB158_25
; %bb.24:                               ;   in Loop: Header=BB158_5 Depth=1
	v_mul_lo_u32 v17, v17, s33
	s_delay_alu instid0(VALU_DEP_1) | instskip(NEXT) | instid1(VALU_DEP_1)
	v_cndmask_b32_e32 v17, 0, v17, vcc_lo
	v_add_nc_u32_e32 v17, v17, v13
	global_load_b128 v[18:21], v17, s[22:23] scale_offset
	s_wait_loadcnt 0x0
	v_mul_f64_e32 v[22:23], v[6:7], v[20:21]
	v_mul_f64_e32 v[20:21], v[4:5], v[20:21]
	s_delay_alu instid0(VALU_DEP_2) | instskip(NEXT) | instid1(VALU_DEP_2)
	v_fma_f64 v[4:5], v[4:5], v[18:19], -v[22:23]
	v_fmac_f64_e32 v[20:21], v[6:7], v[18:19]
	s_delay_alu instid0(VALU_DEP_2) | instskip(NEXT) | instid1(VALU_DEP_2)
	v_add_f64_e32 v[0:1], v[0:1], v[4:5]
	v_add_f64_e32 v[2:3], v[2:3], v[20:21]
.LBB158_25:                             ;   in Loop: Header=BB158_5 Depth=1
	s_wait_xcnt 0x0
	s_or_b32 exec_lo, exec_lo, s24
.LBB158_26:                             ;   in Loop: Header=BB158_5 Depth=1
	ds_store_b128 v14, v[0:3]
	s_wait_loadcnt_dscnt 0x0
	s_barrier_signal -1
	s_barrier_wait -1
                                        ; implicit-def: $vgpr2_vgpr3
	s_and_saveexec_b32 s22, s2
	s_cbranch_execz .LBB158_32
; %bb.27:                               ;   in Loop: Header=BB158_5 Depth=1
	ds_load_b128 v[0:3], v14
	ds_load_b128 v[4:7], v14 offset:1024
	s_mov_b32 s24, s45
	s_wait_dscnt 0x0
	v_add_f64_e32 v[18:19], v[0:1], v[4:5]
	v_add_f64_e32 v[20:21], v[2:3], v[6:7]
	ds_load_b128 v[0:3], v14 offset:2048
	ds_load_b128 v[4:7], v14 offset:3072
	s_wait_dscnt 0x1
	v_add_f64_e32 v[0:1], v[18:19], v[0:1]
	v_add_f64_e32 v[2:3], v[20:21], v[2:3]
	s_wait_dscnt 0x0
	s_delay_alu instid0(VALU_DEP_2) | instskip(NEXT) | instid1(VALU_DEP_2)
	v_add_f64_e32 v[18:19], v[0:1], v[4:5]
	v_add_f64_e32 v[20:21], v[2:3], v[6:7]
	ds_load_b128 v[0:3], v14 offset:4096
	ds_load_b128 v[4:7], v14 offset:5120
	s_wait_dscnt 0x1
	v_add_f64_e32 v[0:1], v[18:19], v[0:1]
	v_add_f64_e32 v[2:3], v[20:21], v[2:3]
	s_wait_dscnt 0x0
	s_delay_alu instid0(VALU_DEP_2) | instskip(NEXT) | instid1(VALU_DEP_2)
	;; [unrolled: 9-line block ×7, first 2 shown]
	v_add_f64_e32 v[4:5], v[0:1], v[4:5]
	v_add_f64_e32 v[6:7], v[2:3], v[6:7]
                                        ; implicit-def: $vgpr2_vgpr3
	ds_store_b128 v14, v[4:7]
	s_and_saveexec_b32 s23, s3
	s_cbranch_execz .LBB158_31
; %bb.28:                               ;   in Loop: Header=BB158_5 Depth=1
	v_mul_f64_e32 v[0:1], s[6:7], v[6:7]
	v_mul_f64_e32 v[2:3], s[4:5], v[6:7]
	s_and_not1_b32 vcc_lo, exec_lo, s39
	s_delay_alu instid0(VALU_DEP_2) | instskip(NEXT) | instid1(VALU_DEP_2)
	v_fma_f64 v[0:1], s[4:5], v[4:5], -v[0:1]
	v_fmac_f64_e32 v[2:3], s[6:7], v[4:5]
	s_cbranch_vccnz .LBB158_30
; %bb.29:                               ;   in Loop: Header=BB158_5 Depth=1
	v_lshl_add_u64 v[4:5], v[10:11], 4, s[20:21]
	global_load_b128 v[4:7], v[4:5], off
	s_wait_loadcnt 0x0
	v_mul_f64_e32 v[18:19], s[30:31], v[6:7]
	v_mul_f64_e32 v[6:7], s[10:11], v[6:7]
	s_delay_alu instid0(VALU_DEP_2) | instskip(NEXT) | instid1(VALU_DEP_2)
	v_fma_f64 v[18:19], s[10:11], v[4:5], -v[18:19]
	v_fmac_f64_e32 v[6:7], s[30:31], v[4:5]
	s_delay_alu instid0(VALU_DEP_2) | instskip(NEXT) | instid1(VALU_DEP_2)
	v_add_f64_e32 v[0:1], v[0:1], v[18:19]
	v_add_f64_e32 v[2:3], v[2:3], v[6:7]
.LBB158_30:                             ;   in Loop: Header=BB158_5 Depth=1
	s_or_b32 s24, s45, exec_lo
.LBB158_31:                             ;   in Loop: Header=BB158_5 Depth=1
	s_wait_xcnt 0x0
	s_or_b32 exec_lo, exec_lo, s23
	s_delay_alu instid0(SALU_CYCLE_1) | instskip(SKIP_1) | instid1(SALU_CYCLE_1)
	s_and_not1_b32 s23, s45, exec_lo
	s_and_b32 s24, s24, exec_lo
	s_or_b32 s45, s23, s24
.LBB158_32:                             ;   in Loop: Header=BB158_5 Depth=1
	s_or_b32 exec_lo, exec_lo, s22
	v_mov_b64_e32 v[4:5], v[10:11]
	s_and_saveexec_b32 s22, s45
	s_cbranch_execz .LBB158_3
.LBB158_33:                             ;   in Loop: Header=BB158_5 Depth=1
	s_delay_alu instid0(VALU_DEP_1)
	v_lshl_add_u64 v[4:5], v[4:5], 4, s[20:21]
	global_store_b128 v[4:5], v[0:3], off
	s_branch .LBB158_3
.LBB158_34:
	s_endpgm
	.section	.rodata,"a",@progbits
	.p2align	6, 0x0
	.amdhsa_kernel _ZL20rocblas_gemvn_kernelILi64ELi16Ei19rocblas_complex_numIdES1_S1_EviiT3_lPKT2_lT1_lS5_lS6_lS2_lPT4_lS6_li
		.amdhsa_group_segment_fixed_size 16384
		.amdhsa_private_segment_fixed_size 0
		.amdhsa_kernarg_size 416
		.amdhsa_user_sgpr_count 2
		.amdhsa_user_sgpr_dispatch_ptr 0
		.amdhsa_user_sgpr_queue_ptr 0
		.amdhsa_user_sgpr_kernarg_segment_ptr 1
		.amdhsa_user_sgpr_dispatch_id 0
		.amdhsa_user_sgpr_kernarg_preload_length 0
		.amdhsa_user_sgpr_kernarg_preload_offset 0
		.amdhsa_user_sgpr_private_segment_size 0
		.amdhsa_wavefront_size32 1
		.amdhsa_uses_dynamic_stack 0
		.amdhsa_enable_private_segment 0
		.amdhsa_system_sgpr_workgroup_id_x 1
		.amdhsa_system_sgpr_workgroup_id_y 0
		.amdhsa_system_sgpr_workgroup_id_z 1
		.amdhsa_system_sgpr_workgroup_info 0
		.amdhsa_system_vgpr_workitem_id 1
		.amdhsa_next_free_vgpr 26
		.amdhsa_next_free_sgpr 49
		.amdhsa_named_barrier_count 0
		.amdhsa_reserve_vcc 1
		.amdhsa_float_round_mode_32 0
		.amdhsa_float_round_mode_16_64 0
		.amdhsa_float_denorm_mode_32 3
		.amdhsa_float_denorm_mode_16_64 3
		.amdhsa_fp16_overflow 0
		.amdhsa_memory_ordered 1
		.amdhsa_forward_progress 1
		.amdhsa_inst_pref_size 13
		.amdhsa_round_robin_scheduling 0
		.amdhsa_exception_fp_ieee_invalid_op 0
		.amdhsa_exception_fp_denorm_src 0
		.amdhsa_exception_fp_ieee_div_zero 0
		.amdhsa_exception_fp_ieee_overflow 0
		.amdhsa_exception_fp_ieee_underflow 0
		.amdhsa_exception_fp_ieee_inexact 0
		.amdhsa_exception_int_div_zero 0
	.end_amdhsa_kernel
	.section	.text._ZL20rocblas_gemvn_kernelILi64ELi16Ei19rocblas_complex_numIdES1_S1_EviiT3_lPKT2_lT1_lS5_lS6_lS2_lPT4_lS6_li,"axG",@progbits,_ZL20rocblas_gemvn_kernelILi64ELi16Ei19rocblas_complex_numIdES1_S1_EviiT3_lPKT2_lT1_lS5_lS6_lS2_lPT4_lS6_li,comdat
.Lfunc_end158:
	.size	_ZL20rocblas_gemvn_kernelILi64ELi16Ei19rocblas_complex_numIdES1_S1_EviiT3_lPKT2_lT1_lS5_lS6_lS2_lPT4_lS6_li, .Lfunc_end158-_ZL20rocblas_gemvn_kernelILi64ELi16Ei19rocblas_complex_numIdES1_S1_EviiT3_lPKT2_lT1_lS5_lS6_lS2_lPT4_lS6_li
                                        ; -- End function
	.set _ZL20rocblas_gemvn_kernelILi64ELi16Ei19rocblas_complex_numIdES1_S1_EviiT3_lPKT2_lT1_lS5_lS6_lS2_lPT4_lS6_li.num_vgpr, 26
	.set _ZL20rocblas_gemvn_kernelILi64ELi16Ei19rocblas_complex_numIdES1_S1_EviiT3_lPKT2_lT1_lS5_lS6_lS2_lPT4_lS6_li.num_agpr, 0
	.set _ZL20rocblas_gemvn_kernelILi64ELi16Ei19rocblas_complex_numIdES1_S1_EviiT3_lPKT2_lT1_lS5_lS6_lS2_lPT4_lS6_li.numbered_sgpr, 49
	.set _ZL20rocblas_gemvn_kernelILi64ELi16Ei19rocblas_complex_numIdES1_S1_EviiT3_lPKT2_lT1_lS5_lS6_lS2_lPT4_lS6_li.num_named_barrier, 0
	.set _ZL20rocblas_gemvn_kernelILi64ELi16Ei19rocblas_complex_numIdES1_S1_EviiT3_lPKT2_lT1_lS5_lS6_lS2_lPT4_lS6_li.private_seg_size, 0
	.set _ZL20rocblas_gemvn_kernelILi64ELi16Ei19rocblas_complex_numIdES1_S1_EviiT3_lPKT2_lT1_lS5_lS6_lS2_lPT4_lS6_li.uses_vcc, 1
	.set _ZL20rocblas_gemvn_kernelILi64ELi16Ei19rocblas_complex_numIdES1_S1_EviiT3_lPKT2_lT1_lS5_lS6_lS2_lPT4_lS6_li.uses_flat_scratch, 0
	.set _ZL20rocblas_gemvn_kernelILi64ELi16Ei19rocblas_complex_numIdES1_S1_EviiT3_lPKT2_lT1_lS5_lS6_lS2_lPT4_lS6_li.has_dyn_sized_stack, 0
	.set _ZL20rocblas_gemvn_kernelILi64ELi16Ei19rocblas_complex_numIdES1_S1_EviiT3_lPKT2_lT1_lS5_lS6_lS2_lPT4_lS6_li.has_recursion, 0
	.set _ZL20rocblas_gemvn_kernelILi64ELi16Ei19rocblas_complex_numIdES1_S1_EviiT3_lPKT2_lT1_lS5_lS6_lS2_lPT4_lS6_li.has_indirect_call, 0
	.section	.AMDGPU.csdata,"",@progbits
; Kernel info:
; codeLenInByte = 1656
; TotalNumSgprs: 51
; NumVgprs: 26
; ScratchSize: 0
; MemoryBound: 1
; FloatMode: 240
; IeeeMode: 1
; LDSByteSize: 16384 bytes/workgroup (compile time only)
; SGPRBlocks: 0
; VGPRBlocks: 1
; NumSGPRsForWavesPerEU: 51
; NumVGPRsForWavesPerEU: 26
; NamedBarCnt: 0
; Occupancy: 16
; WaveLimiterHint : 1
; COMPUTE_PGM_RSRC2:SCRATCH_EN: 0
; COMPUTE_PGM_RSRC2:USER_SGPR: 2
; COMPUTE_PGM_RSRC2:TRAP_HANDLER: 0
; COMPUTE_PGM_RSRC2:TGID_X_EN: 1
; COMPUTE_PGM_RSRC2:TGID_Y_EN: 0
; COMPUTE_PGM_RSRC2:TGID_Z_EN: 1
; COMPUTE_PGM_RSRC2:TIDIG_COMP_CNT: 1
	.section	.text._ZL20rocblas_gemvn_kernelILi64ELi16El19rocblas_complex_numIdES1_S1_EviiT3_lPKT2_lT1_lS5_lS6_lS2_lPT4_lS6_li,"axG",@progbits,_ZL20rocblas_gemvn_kernelILi64ELi16El19rocblas_complex_numIdES1_S1_EviiT3_lPKT2_lT1_lS5_lS6_lS2_lPT4_lS6_li,comdat
	.globl	_ZL20rocblas_gemvn_kernelILi64ELi16El19rocblas_complex_numIdES1_S1_EviiT3_lPKT2_lT1_lS5_lS6_lS2_lPT4_lS6_li ; -- Begin function _ZL20rocblas_gemvn_kernelILi64ELi16El19rocblas_complex_numIdES1_S1_EviiT3_lPKT2_lT1_lS5_lS6_lS2_lPT4_lS6_li
	.p2align	8
	.type	_ZL20rocblas_gemvn_kernelILi64ELi16El19rocblas_complex_numIdES1_S1_EviiT3_lPKT2_lT1_lS5_lS6_lS2_lPT4_lS6_li,@function
_ZL20rocblas_gemvn_kernelILi64ELi16El19rocblas_complex_numIdES1_S1_EviiT3_lPKT2_lT1_lS5_lS6_lS2_lPT4_lS6_li: ; @_ZL20rocblas_gemvn_kernelILi64ELi16El19rocblas_complex_numIdES1_S1_EviiT3_lPKT2_lT1_lS5_lS6_lS2_lPT4_lS6_li
; %bb.0:
	s_load_b64 s[4:5], s[0:1], 0xac
	s_wait_kmcnt 0x0
	s_lshr_b32 s2, s4, 16
	s_and_b32 s3, s4, 0xffff
	s_and_b32 s4, s5, 0xffff
	s_mul_i32 s2, s2, s3
	s_delay_alu instid0(SALU_CYCLE_1) | instskip(NEXT) | instid1(SALU_CYCLE_1)
	s_mul_i32 s2, s2, s4
	s_cmp_lg_u32 s2, 0x400
	s_cbranch_scc1 .LBB159_34
; %bb.1:
	s_load_b32 s33, s[0:1], 0x98
	s_bfe_u32 s2, ttmp6, 0x40014
	s_lshr_b32 s4, ttmp7, 16
	s_add_co_i32 s2, s2, 1
	s_bfe_u32 s6, ttmp6, 0x40008
	s_mul_i32 s5, s4, s2
	s_getreg_b32 s2, hwreg(HW_REG_IB_STS2, 6, 4)
	s_add_co_i32 s6, s6, s5
	s_cmp_eq_u32 s2, 0
	s_mov_b32 s35, 0
	s_cselect_b32 s34, s4, s6
	s_wait_kmcnt 0x0
	s_cmp_ge_u32 s34, s33
	s_cbranch_scc1 .LBB159_34
; %bb.2:
	s_clause 0x4
	s_load_b128 s[28:31], s[0:1], 0x8
	s_load_b64 s[40:41], s[0:1], 0x0
	s_load_b128 s[36:39], s[0:1], 0x60
	s_load_b512 s[4:19], s[0:1], 0x20
	s_load_b256 s[20:27], s[0:1], 0x78
	v_and_b32_e32 v1, 0x3ff, v0
	v_bfe_u32 v0, v0, 10, 10
	s_and_b32 s45, ttmp6, 15
	s_delay_alu instid0(VALU_DEP_1) | instskip(SKIP_3) | instid1(SALU_CYCLE_1)
	v_mad_u32_u24 v6, v0, s3, v1
	s_bfe_u32 s3, ttmp6, 0x4000c
	v_mov_b32_e32 v9, 0
	s_add_co_i32 s3, s3, 1
	s_mul_i32 s3, ttmp9, s3
	v_lshrrev_b32_e32 v10, 6, v6
	s_add_co_i32 s45, s45, s3
	s_wait_kmcnt 0x0
	v_cmp_neq_f64_e64 s42, s[28:29], 0
	v_cmp_neq_f64_e64 s43, s[30:31], 0
	s_lshl_b64 s[0:1], s[6:7], 4
	s_lshl_b64 s[14:15], s[14:15], 4
	;; [unrolled: 1-line block ×3, first 2 shown]
	v_cmp_neq_f64_e64 s48, s[38:39], 0
	v_cmp_neq_f64_e64 s46, s[36:37], 0
	s_add_nc_u64 s[12:13], s[12:13], s[14:15]
	s_add_nc_u64 s[14:15], s[20:21], s[22:23]
	;; [unrolled: 1-line block ×3, first 2 shown]
	s_or_b32 s42, s42, s43
	v_cmp_neq_f64_e64 s43, s[36:37], 1.0
	s_xor_b32 s44, s42, -1
	s_cmp_eq_u32 s2, 0
	s_cselect_b32 s2, ttmp9, s45
	s_ashr_i32 s20, s41, 31
	s_lshl_b32 s45, s2, 6
	s_delay_alu instid0(SALU_CYCLE_1) | instskip(SKIP_3) | instid1(VALU_DEP_3)
	v_dual_mov_b32 v11, v9 :: v_dual_bitop2_b32 v4, s45, v6 bitop3:0x54
	v_add_nc_u32_e32 v8, s45, v6
	v_and_or_b32 v14, v6, 63, s45
	s_lshr_b32 s20, s20, 28
	v_mul_u64_e32 v[0:1], s[8:9], v[10:11]
	v_mul_u64_e32 v[2:3], s[16:17], v[10:11]
	v_ashrrev_i32_e32 v5, 31, v4
	v_mul_u64_e32 v[12:13], s[24:25], v[8:9]
	v_ashrrev_i32_e32 v15, 31, v14
	s_add_co_i32 s20, s41, s20
	s_ashr_i32 s3, s40, 31
	v_mul_u64_e32 v[16:17], s[24:25], v[4:5]
	s_mov_b32 s2, s40
	s_and_b32 s45, s20, -16
	v_cmp_gt_i64_e32 vcc_lo, s[2:3], v[8:9]
	s_or_b32 s46, s46, s48
	v_cmp_gt_u32_e64 s2, 64, v6
	v_lshlrev_b32_e32 v11, 4, v6
	v_cmp_gt_i32_e64 s3, s40, v4
	v_lshl_add_u64 v[0:1], v[0:1], 4, s[0:1]
	v_lshl_add_u64 v[2:3], v[2:3], 4, s[12:13]
	s_sub_co_i32 s1, s41, s45
	v_cmp_gt_i32_e64 s0, s45, v10
	s_cmp_gt_i32 s1, 0
	v_lshl_add_u64 v[0:1], v[14:15], 4, v[0:1]
	v_add_nc_u64_e32 v[18:19], 8, v[2:3]
	v_cmp_gt_i32_e64 s1, s40, v14
	s_cselect_b32 s47, -1, 0
	s_or_b32 s20, s42, s43
	v_add_nc_u64_e32 v[0:1], s[4:5], v[0:1]
	s_and_b32 s40, s2, vcc_lo
	s_lshl_b64 s[4:5], s[18:19], 4
	s_or_b32 s48, s20, s48
	s_lshl_b64 s[20:21], s[16:17], 8
	s_lshl_b64 s[22:23], s[10:11], 4
	;; [unrolled: 1-line block ×3, first 2 shown]
	v_add_nc_u64_e32 v[20:21], 8, v[0:1]
	s_branch .LBB159_5
.LBB159_3:                              ;   in Loop: Header=BB159_5 Depth=1
	s_wait_xcnt 0x0
	s_or_b32 exec_lo, exec_lo, s50
.LBB159_4:                              ;   in Loop: Header=BB159_5 Depth=1
	s_add_co_i32 s34, s34, 0x10000
	s_delay_alu instid0(SALU_CYCLE_1)
	s_cmp_lt_u32 s34, s33
	s_cbranch_scc0 .LBB159_34
.LBB159_5:                              ; =>This Loop Header: Depth=1
                                        ;     Child Loop BB159_15 Depth 2
	s_and_not1_b32 vcc_lo, exec_lo, s48
	s_cbranch_vccnz .LBB159_4
; %bb.6:                                ;   in Loop: Header=BB159_5 Depth=1
	s_mul_u64 s[42:43], s[26:27], s[34:35]
	s_and_not1_b32 vcc_lo, exec_lo, s44
	s_lshl_b64 s[42:43], s[42:43], 4
	s_delay_alu instid0(SALU_CYCLE_1)
	s_add_nc_u64 s[42:43], s[14:15], s[42:43]
	s_cbranch_vccnz .LBB159_11
; %bb.7:                                ;   in Loop: Header=BB159_5 Depth=1
	s_mov_b32 s50, 0
	s_mov_b32 s49, 0
                                        ; implicit-def: $vgpr2_vgpr3
	s_and_saveexec_b32 s51, s40
	s_cbranch_execz .LBB159_17
; %bb.8:                                ;   in Loop: Header=BB159_5 Depth=1
	v_mov_b64_e32 v[2:3], 0
	v_mov_b64_e32 v[0:1], 0
	s_and_not1_b32 vcc_lo, exec_lo, s46
	s_cbranch_vccnz .LBB159_10
; %bb.9:                                ;   in Loop: Header=BB159_5 Depth=1
	v_lshl_add_u64 v[0:1], v[12:13], 4, s[42:43]
	global_load_b128 v[4:7], v[0:1], off
	s_wait_loadcnt 0x0
	s_wait_xcnt 0x0
	v_mul_f64_e32 v[0:1], s[38:39], v[6:7]
	v_mul_f64_e32 v[2:3], s[36:37], v[6:7]
	s_delay_alu instid0(VALU_DEP_2) | instskip(NEXT) | instid1(VALU_DEP_2)
	v_fma_f64 v[0:1], s[36:37], v[4:5], -v[0:1]
	v_fmac_f64_e32 v[2:3], s[38:39], v[4:5]
.LBB159_10:                             ;   in Loop: Header=BB159_5 Depth=1
	s_mov_b32 s49, exec_lo
	s_or_b32 exec_lo, exec_lo, s51
	s_delay_alu instid0(SALU_CYCLE_1)
	s_and_b32 vcc_lo, exec_lo, s50
	s_cbranch_vccnz .LBB159_12
	s_branch .LBB159_18
.LBB159_11:                             ;   in Loop: Header=BB159_5 Depth=1
	s_mov_b32 s49, 0
                                        ; implicit-def: $vgpr2_vgpr3
	s_cbranch_execz .LBB159_18
.LBB159_12:                             ;   in Loop: Header=BB159_5 Depth=1
	v_mov_b64_e32 v[2:3], 0
	v_mov_b64_e32 v[0:1], 0
	v_mov_b32_e32 v8, v10
	s_and_saveexec_b32 s50, s0
	s_cbranch_execz .LBB159_20
; %bb.13:                               ;   in Loop: Header=BB159_5 Depth=1
	v_mad_nc_u64_u32 v[4:5], s4, s34, v[18:19]
	v_mad_nc_u64_u32 v[6:7], s22, s34, v[20:21]
	v_mov_b64_e32 v[2:3], 0
	v_mov_b32_e32 v8, v10
	s_mov_b32 s51, 0
	s_delay_alu instid0(VALU_DEP_2)
	v_mov_b64_e32 v[0:1], v[2:3]
	v_mad_u32 v5, s5, s34, v5
	v_mad_u32 v7, s23, s34, v7
	s_branch .LBB159_15
.LBB159_14:                             ;   in Loop: Header=BB159_15 Depth=2
	s_wait_xcnt 0x0
	s_or_b32 exec_lo, exec_lo, s52
	v_add_nc_u32_e32 v8, 16, v8
	s_delay_alu instid0(VALU_DEP_3) | instskip(NEXT) | instid1(VALU_DEP_3)
	v_add_nc_u64_e32 v[4:5], s[20:21], v[4:5]
	v_add_nc_u64_e32 v[6:7], s[24:25], v[6:7]
	s_delay_alu instid0(VALU_DEP_3) | instskip(SKIP_1) | instid1(SALU_CYCLE_1)
	v_cmp_le_i32_e32 vcc_lo, s45, v8
	s_or_b32 s51, vcc_lo, s51
	s_and_not1_b32 exec_lo, exec_lo, s51
	s_cbranch_execz .LBB159_19
.LBB159_15:                             ;   Parent Loop BB159_5 Depth=1
                                        ; =>  This Inner Loop Header: Depth=2
	s_and_saveexec_b32 s52, s1
	s_cbranch_execz .LBB159_14
; %bb.16:                               ;   in Loop: Header=BB159_15 Depth=2
	global_load_b128 v[22:25], v[4:5], off offset:-8
	global_load_b128 v[26:29], v[6:7], off offset:-8
	s_wait_loadcnt 0x0
	v_mul_f64_e32 v[30:31], v[24:25], v[28:29]
	v_mul_f64_e32 v[28:29], v[22:23], v[28:29]
	s_delay_alu instid0(VALU_DEP_2) | instskip(NEXT) | instid1(VALU_DEP_2)
	v_fma_f64 v[22:23], v[22:23], v[26:27], -v[30:31]
	v_fmac_f64_e32 v[28:29], v[24:25], v[26:27]
	s_delay_alu instid0(VALU_DEP_2) | instskip(NEXT) | instid1(VALU_DEP_2)
	v_add_f64_e32 v[0:1], v[0:1], v[22:23]
	v_add_f64_e32 v[2:3], v[2:3], v[28:29]
	s_branch .LBB159_14
.LBB159_17:                             ;   in Loop: Header=BB159_5 Depth=1
	s_or_b32 exec_lo, exec_lo, s51
	s_delay_alu instid0(SALU_CYCLE_1)
	s_and_b32 vcc_lo, exec_lo, s50
	s_cbranch_vccnz .LBB159_12
.LBB159_18:                             ;   in Loop: Header=BB159_5 Depth=1
	v_mov_b64_e32 v[4:5], v[12:13]
	s_and_saveexec_b32 s50, s49
	s_cbranch_execz .LBB159_3
	s_branch .LBB159_33
.LBB159_19:                             ;   in Loop: Header=BB159_5 Depth=1
	s_or_b32 exec_lo, exec_lo, s51
.LBB159_20:                             ;   in Loop: Header=BB159_5 Depth=1
	s_delay_alu instid0(SALU_CYCLE_1) | instskip(NEXT) | instid1(SALU_CYCLE_1)
	s_or_b32 exec_lo, exec_lo, s50
	s_and_not1_b32 vcc_lo, exec_lo, s47
	s_cbranch_vccnz .LBB159_26
; %bb.21:                               ;   in Loop: Header=BB159_5 Depth=1
	v_mov_b64_e32 v[4:5], 0
	v_mov_b64_e32 v[6:7], 0
	v_cmp_gt_i32_e32 vcc_lo, s41, v8
	s_and_saveexec_b32 s50, vcc_lo
	s_cbranch_execz .LBB159_23
; %bb.22:                               ;   in Loop: Header=BB159_5 Depth=1
	v_mul_u64_e32 v[4:5], s[16:17], v[8:9]
	s_mul_u64 s[52:53], s[18:19], s[34:35]
	s_delay_alu instid0(SALU_CYCLE_1) | instskip(NEXT) | instid1(SALU_CYCLE_1)
	s_lshl_b64 s[52:53], s[52:53], 4
	s_add_nc_u64 s[52:53], s[12:13], s[52:53]
	s_delay_alu instid0(VALU_DEP_1) | instid1(SALU_CYCLE_1)
	v_lshl_add_u64 v[4:5], v[4:5], 4, s[52:53]
	global_load_b128 v[4:7], v[4:5], off
.LBB159_23:                             ;   in Loop: Header=BB159_5 Depth=1
	s_wait_xcnt 0x0
	s_or_b32 exec_lo, exec_lo, s50
	s_and_saveexec_b32 s50, s1
	s_cbranch_execz .LBB159_25
; %bb.24:                               ;   in Loop: Header=BB159_5 Depth=1
	v_mul_u64_e32 v[22:23], s[8:9], v[8:9]
	s_mul_u64 s[52:53], s[10:11], s[34:35]
	s_delay_alu instid0(SALU_CYCLE_1) | instskip(NEXT) | instid1(SALU_CYCLE_1)
	s_lshl_b64 s[52:53], s[52:53], 4
	s_add_nc_u64 s[52:53], s[6:7], s[52:53]
	s_delay_alu instid0(VALU_DEP_1) | instskip(NEXT) | instid1(VALU_DEP_1)
	v_dual_cndmask_b32 v23, 0, v23 :: v_dual_cndmask_b32 v22, 0, v22
	v_lshl_add_u64 v[22:23], v[22:23], 4, s[52:53]
	s_delay_alu instid0(VALU_DEP_1) | instskip(SKIP_4) | instid1(VALU_DEP_2)
	v_lshl_add_u64 v[22:23], v[14:15], 4, v[22:23]
	global_load_b128 v[22:25], v[22:23], off
	s_wait_loadcnt 0x0
	v_mul_f64_e32 v[26:27], v[6:7], v[24:25]
	v_mul_f64_e32 v[24:25], v[4:5], v[24:25]
	v_fma_f64 v[4:5], v[4:5], v[22:23], -v[26:27]
	s_delay_alu instid0(VALU_DEP_2) | instskip(NEXT) | instid1(VALU_DEP_2)
	v_fmac_f64_e32 v[24:25], v[6:7], v[22:23]
	v_add_f64_e32 v[0:1], v[0:1], v[4:5]
	s_delay_alu instid0(VALU_DEP_2)
	v_add_f64_e32 v[2:3], v[2:3], v[24:25]
.LBB159_25:                             ;   in Loop: Header=BB159_5 Depth=1
	s_wait_xcnt 0x0
	s_or_b32 exec_lo, exec_lo, s50
.LBB159_26:                             ;   in Loop: Header=BB159_5 Depth=1
	ds_store_b128 v11, v[0:3]
	s_wait_loadcnt_dscnt 0x0
	s_barrier_signal -1
	s_barrier_wait -1
                                        ; implicit-def: $vgpr2_vgpr3
	s_and_saveexec_b32 s50, s2
	s_cbranch_execz .LBB159_32
; %bb.27:                               ;   in Loop: Header=BB159_5 Depth=1
	ds_load_b128 v[0:3], v11
	ds_load_b128 v[4:7], v11 offset:1024
	s_mov_b32 s52, s49
	s_wait_dscnt 0x0
	v_add_f64_e32 v[22:23], v[0:1], v[4:5]
	v_add_f64_e32 v[24:25], v[2:3], v[6:7]
	ds_load_b128 v[0:3], v11 offset:2048
	ds_load_b128 v[4:7], v11 offset:3072
	s_wait_dscnt 0x1
	v_add_f64_e32 v[0:1], v[22:23], v[0:1]
	v_add_f64_e32 v[2:3], v[24:25], v[2:3]
	s_wait_dscnt 0x0
	s_delay_alu instid0(VALU_DEP_2) | instskip(NEXT) | instid1(VALU_DEP_2)
	v_add_f64_e32 v[22:23], v[0:1], v[4:5]
	v_add_f64_e32 v[24:25], v[2:3], v[6:7]
	ds_load_b128 v[0:3], v11 offset:4096
	ds_load_b128 v[4:7], v11 offset:5120
	s_wait_dscnt 0x1
	v_add_f64_e32 v[0:1], v[22:23], v[0:1]
	v_add_f64_e32 v[2:3], v[24:25], v[2:3]
	s_wait_dscnt 0x0
	s_delay_alu instid0(VALU_DEP_2) | instskip(NEXT) | instid1(VALU_DEP_2)
	;; [unrolled: 9-line block ×7, first 2 shown]
	v_add_f64_e32 v[4:5], v[0:1], v[4:5]
	v_add_f64_e32 v[6:7], v[2:3], v[6:7]
                                        ; implicit-def: $vgpr2_vgpr3
	ds_store_b128 v11, v[4:7]
	s_and_saveexec_b32 s51, s3
	s_cbranch_execz .LBB159_31
; %bb.28:                               ;   in Loop: Header=BB159_5 Depth=1
	v_mul_f64_e32 v[0:1], s[30:31], v[6:7]
	v_mul_f64_e32 v[2:3], s[28:29], v[6:7]
	s_and_not1_b32 vcc_lo, exec_lo, s46
	s_delay_alu instid0(VALU_DEP_2) | instskip(NEXT) | instid1(VALU_DEP_2)
	v_fma_f64 v[0:1], s[28:29], v[4:5], -v[0:1]
	v_fmac_f64_e32 v[2:3], s[30:31], v[4:5]
	s_cbranch_vccnz .LBB159_30
; %bb.29:                               ;   in Loop: Header=BB159_5 Depth=1
	v_lshl_add_u64 v[4:5], v[16:17], 4, s[42:43]
	global_load_b128 v[4:7], v[4:5], off
	s_wait_loadcnt 0x0
	v_mul_f64_e32 v[22:23], s[38:39], v[6:7]
	v_mul_f64_e32 v[6:7], s[36:37], v[6:7]
	s_delay_alu instid0(VALU_DEP_2) | instskip(NEXT) | instid1(VALU_DEP_2)
	v_fma_f64 v[22:23], s[36:37], v[4:5], -v[22:23]
	v_fmac_f64_e32 v[6:7], s[38:39], v[4:5]
	s_delay_alu instid0(VALU_DEP_2) | instskip(NEXT) | instid1(VALU_DEP_2)
	v_add_f64_e32 v[0:1], v[0:1], v[22:23]
	v_add_f64_e32 v[2:3], v[2:3], v[6:7]
.LBB159_30:                             ;   in Loop: Header=BB159_5 Depth=1
	s_or_b32 s52, s49, exec_lo
.LBB159_31:                             ;   in Loop: Header=BB159_5 Depth=1
	s_wait_xcnt 0x0
	s_or_b32 exec_lo, exec_lo, s51
	s_delay_alu instid0(SALU_CYCLE_1) | instskip(SKIP_1) | instid1(SALU_CYCLE_1)
	s_and_not1_b32 s49, s49, exec_lo
	s_and_b32 s51, s52, exec_lo
	s_or_b32 s49, s49, s51
.LBB159_32:                             ;   in Loop: Header=BB159_5 Depth=1
	s_or_b32 exec_lo, exec_lo, s50
	v_mov_b64_e32 v[4:5], v[16:17]
	s_and_saveexec_b32 s50, s49
	s_cbranch_execz .LBB159_3
.LBB159_33:                             ;   in Loop: Header=BB159_5 Depth=1
	s_delay_alu instid0(VALU_DEP_1)
	v_lshl_add_u64 v[4:5], v[4:5], 4, s[42:43]
	global_store_b128 v[4:5], v[0:3], off
	s_branch .LBB159_3
.LBB159_34:
	s_endpgm
	.section	.rodata,"a",@progbits
	.p2align	6, 0x0
	.amdhsa_kernel _ZL20rocblas_gemvn_kernelILi64ELi16El19rocblas_complex_numIdES1_S1_EviiT3_lPKT2_lT1_lS5_lS6_lS2_lPT4_lS6_li
		.amdhsa_group_segment_fixed_size 16384
		.amdhsa_private_segment_fixed_size 0
		.amdhsa_kernarg_size 416
		.amdhsa_user_sgpr_count 2
		.amdhsa_user_sgpr_dispatch_ptr 0
		.amdhsa_user_sgpr_queue_ptr 0
		.amdhsa_user_sgpr_kernarg_segment_ptr 1
		.amdhsa_user_sgpr_dispatch_id 0
		.amdhsa_user_sgpr_kernarg_preload_length 0
		.amdhsa_user_sgpr_kernarg_preload_offset 0
		.amdhsa_user_sgpr_private_segment_size 0
		.amdhsa_wavefront_size32 1
		.amdhsa_uses_dynamic_stack 0
		.amdhsa_enable_private_segment 0
		.amdhsa_system_sgpr_workgroup_id_x 1
		.amdhsa_system_sgpr_workgroup_id_y 0
		.amdhsa_system_sgpr_workgroup_id_z 1
		.amdhsa_system_sgpr_workgroup_info 0
		.amdhsa_system_vgpr_workitem_id 1
		.amdhsa_next_free_vgpr 32
		.amdhsa_next_free_sgpr 54
		.amdhsa_named_barrier_count 0
		.amdhsa_reserve_vcc 1
		.amdhsa_float_round_mode_32 0
		.amdhsa_float_round_mode_16_64 0
		.amdhsa_float_denorm_mode_32 3
		.amdhsa_float_denorm_mode_16_64 3
		.amdhsa_fp16_overflow 0
		.amdhsa_memory_ordered 1
		.amdhsa_forward_progress 1
		.amdhsa_inst_pref_size 14
		.amdhsa_round_robin_scheduling 0
		.amdhsa_exception_fp_ieee_invalid_op 0
		.amdhsa_exception_fp_denorm_src 0
		.amdhsa_exception_fp_ieee_div_zero 0
		.amdhsa_exception_fp_ieee_overflow 0
		.amdhsa_exception_fp_ieee_underflow 0
		.amdhsa_exception_fp_ieee_inexact 0
		.amdhsa_exception_int_div_zero 0
	.end_amdhsa_kernel
	.section	.text._ZL20rocblas_gemvn_kernelILi64ELi16El19rocblas_complex_numIdES1_S1_EviiT3_lPKT2_lT1_lS5_lS6_lS2_lPT4_lS6_li,"axG",@progbits,_ZL20rocblas_gemvn_kernelILi64ELi16El19rocblas_complex_numIdES1_S1_EviiT3_lPKT2_lT1_lS5_lS6_lS2_lPT4_lS6_li,comdat
.Lfunc_end159:
	.size	_ZL20rocblas_gemvn_kernelILi64ELi16El19rocblas_complex_numIdES1_S1_EviiT3_lPKT2_lT1_lS5_lS6_lS2_lPT4_lS6_li, .Lfunc_end159-_ZL20rocblas_gemvn_kernelILi64ELi16El19rocblas_complex_numIdES1_S1_EviiT3_lPKT2_lT1_lS5_lS6_lS2_lPT4_lS6_li
                                        ; -- End function
	.set _ZL20rocblas_gemvn_kernelILi64ELi16El19rocblas_complex_numIdES1_S1_EviiT3_lPKT2_lT1_lS5_lS6_lS2_lPT4_lS6_li.num_vgpr, 32
	.set _ZL20rocblas_gemvn_kernelILi64ELi16El19rocblas_complex_numIdES1_S1_EviiT3_lPKT2_lT1_lS5_lS6_lS2_lPT4_lS6_li.num_agpr, 0
	.set _ZL20rocblas_gemvn_kernelILi64ELi16El19rocblas_complex_numIdES1_S1_EviiT3_lPKT2_lT1_lS5_lS6_lS2_lPT4_lS6_li.numbered_sgpr, 54
	.set _ZL20rocblas_gemvn_kernelILi64ELi16El19rocblas_complex_numIdES1_S1_EviiT3_lPKT2_lT1_lS5_lS6_lS2_lPT4_lS6_li.num_named_barrier, 0
	.set _ZL20rocblas_gemvn_kernelILi64ELi16El19rocblas_complex_numIdES1_S1_EviiT3_lPKT2_lT1_lS5_lS6_lS2_lPT4_lS6_li.private_seg_size, 0
	.set _ZL20rocblas_gemvn_kernelILi64ELi16El19rocblas_complex_numIdES1_S1_EviiT3_lPKT2_lT1_lS5_lS6_lS2_lPT4_lS6_li.uses_vcc, 1
	.set _ZL20rocblas_gemvn_kernelILi64ELi16El19rocblas_complex_numIdES1_S1_EviiT3_lPKT2_lT1_lS5_lS6_lS2_lPT4_lS6_li.uses_flat_scratch, 0
	.set _ZL20rocblas_gemvn_kernelILi64ELi16El19rocblas_complex_numIdES1_S1_EviiT3_lPKT2_lT1_lS5_lS6_lS2_lPT4_lS6_li.has_dyn_sized_stack, 0
	.set _ZL20rocblas_gemvn_kernelILi64ELi16El19rocblas_complex_numIdES1_S1_EviiT3_lPKT2_lT1_lS5_lS6_lS2_lPT4_lS6_li.has_recursion, 0
	.set _ZL20rocblas_gemvn_kernelILi64ELi16El19rocblas_complex_numIdES1_S1_EviiT3_lPKT2_lT1_lS5_lS6_lS2_lPT4_lS6_li.has_indirect_call, 0
	.section	.AMDGPU.csdata,"",@progbits
; Kernel info:
; codeLenInByte = 1684
; TotalNumSgprs: 56
; NumVgprs: 32
; ScratchSize: 0
; MemoryBound: 0
; FloatMode: 240
; IeeeMode: 1
; LDSByteSize: 16384 bytes/workgroup (compile time only)
; SGPRBlocks: 0
; VGPRBlocks: 1
; NumSGPRsForWavesPerEU: 56
; NumVGPRsForWavesPerEU: 32
; NamedBarCnt: 0
; Occupancy: 16
; WaveLimiterHint : 1
; COMPUTE_PGM_RSRC2:SCRATCH_EN: 0
; COMPUTE_PGM_RSRC2:USER_SGPR: 2
; COMPUTE_PGM_RSRC2:TRAP_HANDLER: 0
; COMPUTE_PGM_RSRC2:TGID_X_EN: 1
; COMPUTE_PGM_RSRC2:TGID_Y_EN: 0
; COMPUTE_PGM_RSRC2:TGID_Z_EN: 1
; COMPUTE_PGM_RSRC2:TIDIG_COMP_CNT: 1
	.section	.text._ZL22rocblas_gemvtsm_kernelILb0ELi256E19rocblas_complex_numIdEPKS1_S1_EviiT2_lPKT1_lilS7_lilS4_lPT3_lil,"axG",@progbits,_ZL22rocblas_gemvtsm_kernelILb0ELi256E19rocblas_complex_numIdEPKS1_S1_EviiT2_lPKT1_lilS7_lilS4_lPT3_lil,comdat
	.globl	_ZL22rocblas_gemvtsm_kernelILb0ELi256E19rocblas_complex_numIdEPKS1_S1_EviiT2_lPKT1_lilS7_lilS4_lPT3_lil ; -- Begin function _ZL22rocblas_gemvtsm_kernelILb0ELi256E19rocblas_complex_numIdEPKS1_S1_EviiT2_lPKT1_lilS7_lilS4_lPT3_lil
	.p2align	8
	.type	_ZL22rocblas_gemvtsm_kernelILb0ELi256E19rocblas_complex_numIdEPKS1_S1_EviiT2_lPKT1_lilS7_lilS4_lPT3_lil,@function
_ZL22rocblas_gemvtsm_kernelILb0ELi256E19rocblas_complex_numIdEPKS1_S1_EviiT2_lPKT1_lilS7_lilS4_lPT3_lil: ; @_ZL22rocblas_gemvtsm_kernelILb0ELi256E19rocblas_complex_numIdEPKS1_S1_EviiT2_lPKT1_lilS7_lilS4_lPT3_lil
; %bb.0:
	s_load_b256 s[4:11], s[0:1], 0x8
	s_bfe_u32 s2, ttmp6, 0x4000c
	s_and_b32 s3, ttmp6, 15
	s_add_co_i32 s2, s2, 1
	s_getreg_b32 s12, hwreg(HW_REG_IB_STS2, 6, 4)
	s_mul_i32 s2, ttmp9, s2
	s_mov_b32 s35, 0
	s_add_co_i32 s3, s3, s2
	s_cmp_eq_u32 s12, 0
	s_cselect_b32 s34, ttmp9, s3
	s_wait_kmcnt 0x0
	s_mul_u64 s[2:3], s[6:7], s[34:35]
	s_delay_alu instid0(SALU_CYCLE_1) | instskip(NEXT) | instid1(SALU_CYCLE_1)
	s_lshl_b64 s[2:3], s[2:3], 4
	s_add_nc_u64 s[2:3], s[4:5], s[2:3]
	s_load_b128 s[20:23], s[2:3], 0x0
	s_load_b256 s[12:19], s[0:1], 0x50
	s_wait_kmcnt 0x0
	v_cmp_neq_f64_e64 s24, s[20:21], 0
	v_cmp_neq_f64_e64 s25, s[22:23], 0
	s_mul_u64 s[2:3], s[16:17], s[34:35]
	s_delay_alu instid0(SALU_CYCLE_1) | instskip(NEXT) | instid1(SALU_CYCLE_1)
	s_lshl_b64 s[2:3], s[2:3], 4
	s_add_nc_u64 s[2:3], s[14:15], s[2:3]
	s_load_b128 s[4:7], s[2:3], 0x0
	s_wait_xcnt 0x0
	s_mov_b32 s2, -1
	s_or_b32 s14, s24, s25
	s_delay_alu instid0(SALU_CYCLE_1)
	s_and_b32 vcc_lo, exec_lo, s14
	s_cbranch_vccnz .LBB160_2
; %bb.1:
	s_wait_kmcnt 0x0
	v_cmp_neq_f64_e64 s2, s[4:5], 1.0
	v_cmp_neq_f64_e64 s3, s[6:7], 0
	s_or_b32 s2, s2, s3
.LBB160_2:
	s_delay_alu instid0(SALU_CYCLE_1)
	s_and_not1_b32 vcc_lo, exec_lo, s2
	s_cbranch_vccnz .LBB160_36
; %bb.3:
	s_clause 0x2
	s_load_b64 s[16:17], s[0:1], 0x80
	s_load_b96 s[28:30], s[0:1], 0x70
	s_load_b64 s[2:3], s[0:1], 0x0
	s_xor_b32 s14, s14, -1
	s_delay_alu instid0(SALU_CYCLE_1)
	s_and_not1_b32 vcc_lo, exec_lo, s14
	s_wait_kmcnt 0x0
	s_mul_u64 s[14:15], s[16:17], s[34:35]
	s_mov_b32 s16, -1
	s_cbranch_vccnz .LBB160_18
; %bb.4:
	v_cmp_neq_f64_e64 s16, s[4:5], 0
	v_cmp_neq_f64_e64 s17, s[6:7], 0
	s_or_b32 s16, s16, s17
	s_cmp_gt_i32 s3, 0
	s_cselect_b32 s24, -1, 0
	s_and_b32 vcc_lo, exec_lo, s16
	s_mov_b32 s16, -1
	s_cbranch_vccnz .LBB160_11
; %bb.5:
	s_and_not1_b32 vcc_lo, exec_lo, s24
	s_cbranch_vccnz .LBB160_10
; %bb.6:
	v_mov_b32_e32 v2, 0
	s_ashr_i32 s17, s30, 31
	s_mov_b32 s16, s30
	s_lshl_b64 s[26:27], s[28:29], 4
	s_lshl_b64 s[36:37], s[14:15], 4
	v_mov_b32_e32 v1, v2
	s_add_nc_u64 s[26:27], s[18:19], s[26:27]
	s_mov_b32 s25, 0
	s_add_nc_u64 s[26:27], s[26:27], s[36:37]
	s_delay_alu instid0(VALU_DEP_1) | instskip(SKIP_1) | instid1(VALU_DEP_1)
	v_mul_u64_e32 v[4:5], s[16:17], v[0:1]
	s_lshl_b64 s[16:17], s[16:17], 12
	v_lshl_add_u64 v[4:5], v[4:5], 4, s[26:27]
	s_delay_alu instid0(VALU_DEP_1)
	v_add_nc_u64_e32 v[6:7], 8, v[4:5]
	s_branch .LBB160_8
.LBB160_7:                              ;   in Loop: Header=BB160_8 Depth=1
	s_wait_xcnt 0x0
	s_or_b32 exec_lo, exec_lo, s26
	v_add_nc_u64_e32 v[6:7], s[16:17], v[6:7]
	s_addk_co_i32 s25, 0x100
	s_delay_alu instid0(SALU_CYCLE_1)
	s_cmp_ge_i32 s25, s3
	s_cbranch_scc1 .LBB160_10
.LBB160_8:                              ; =>This Inner Loop Header: Depth=1
	v_add_nc_u32_e32 v1, s25, v0
	s_mov_b32 s26, exec_lo
	s_delay_alu instid0(VALU_DEP_1)
	v_cmpx_gt_i32_e64 s3, v1
	s_cbranch_execz .LBB160_7
; %bb.9:                                ;   in Loop: Header=BB160_8 Depth=1
	v_dual_mov_b32 v3, v2 :: v_dual_mov_b32 v4, v2
	v_mov_b32_e32 v5, v2
	global_store_b128 v[6:7], v[2:5], off offset:-8
	s_branch .LBB160_7
.LBB160_10:
	s_mov_b32 s16, 0
.LBB160_11:
	s_delay_alu instid0(SALU_CYCLE_1)
	s_and_not1_b32 vcc_lo, exec_lo, s16
	s_cbranch_vccnz .LBB160_17
; %bb.12:
	s_and_not1_b32 vcc_lo, exec_lo, s24
	s_cbranch_vccnz .LBB160_17
; %bb.13:
	v_mov_b32_e32 v1, 0
	s_ashr_i32 s17, s30, 31
	s_mov_b32 s16, s30
	s_lshl_b64 s[24:25], s[28:29], 4
	s_lshl_b64 s[26:27], s[14:15], 4
	v_mul_u64_e32 v[2:3], s[16:17], v[0:1]
	s_add_nc_u64 s[24:25], s[18:19], s[24:25]
	s_lshl_b64 s[16:17], s[16:17], 12
	s_add_nc_u64 s[24:25], s[24:25], s[26:27]
	s_delay_alu instid0(VALU_DEP_1) | instid1(SALU_CYCLE_1)
	v_lshl_add_u64 v[2:3], v[2:3], 4, s[24:25]
	s_mov_b32 s24, 0
	s_delay_alu instid0(VALU_DEP_1)
	v_add_nc_u64_e32 v[2:3], 8, v[2:3]
	s_branch .LBB160_15
.LBB160_14:                             ;   in Loop: Header=BB160_15 Depth=1
	s_wait_xcnt 0x0
	s_or_b32 exec_lo, exec_lo, s25
	v_add_nc_u64_e32 v[2:3], s[16:17], v[2:3]
	s_addk_co_i32 s24, 0x100
	s_delay_alu instid0(SALU_CYCLE_1)
	s_cmp_ge_i32 s24, s3
	s_cbranch_scc1 .LBB160_17
.LBB160_15:                             ; =>This Inner Loop Header: Depth=1
	v_add_nc_u32_e32 v1, s24, v0
	s_mov_b32 s25, exec_lo
	s_delay_alu instid0(VALU_DEP_1)
	v_cmpx_gt_i32_e64 s3, v1
	s_cbranch_execz .LBB160_14
; %bb.16:                               ;   in Loop: Header=BB160_15 Depth=1
	global_load_b128 v[4:7], v[2:3], off offset:-8
	s_wait_loadcnt 0x0
	v_mul_f64_e32 v[10:11], s[6:7], v[6:7]
	v_mul_f64_e32 v[8:9], s[4:5], v[6:7]
	s_delay_alu instid0(VALU_DEP_2) | instskip(NEXT) | instid1(VALU_DEP_2)
	v_fma_f64 v[6:7], s[4:5], v[4:5], -v[10:11]
	v_fmac_f64_e32 v[8:9], s[6:7], v[4:5]
	global_store_b128 v[2:3], v[6:9], off offset:-8
	s_branch .LBB160_14
.LBB160_17:
	s_mov_b32 s16, 0
.LBB160_18:
	s_delay_alu instid0(SALU_CYCLE_1)
	s_and_not1_b32 vcc_lo, exec_lo, s16
	s_cbranch_vccnz .LBB160_36
; %bb.19:
	s_clause 0x1
	s_load_b128 s[24:27], s[0:1], 0x30
	s_load_b64 s[16:17], s[0:1], 0x40
	s_mov_b32 s31, exec_lo
	v_cmpx_gt_i32_e64 s2, v0
	s_cbranch_execz .LBB160_21
; %bb.20:
	s_load_b32 s36, s[0:1], 0x48
	v_mov_b32_e32 v1, 0
	s_mul_u64 s[12:13], s[12:13], s[34:35]
	s_wait_kmcnt 0x0
	s_lshl_b64 s[16:17], s[16:17], 4
	s_lshl_b64 s[12:13], s[12:13], 4
	s_delay_alu instid0(SALU_CYCLE_1) | instskip(NEXT) | instid1(SALU_CYCLE_1)
	s_add_nc_u64 s[12:13], s[26:27], s[12:13]
	s_add_nc_u64 s[12:13], s[12:13], s[16:17]
	s_ashr_i32 s37, s36, 31
	s_delay_alu instid0(SALU_CYCLE_1) | instskip(SKIP_1) | instid1(VALU_DEP_2)
	v_mul_u64_e32 v[2:3], s[36:37], v[0:1]
	v_lshlrev_b32_e32 v1, 4, v0
	v_lshl_add_u64 v[2:3], v[2:3], 4, s[12:13]
	global_load_b128 v[2:5], v[2:3], off
	s_wait_loadcnt 0x0
	v_mul_f64_e32 v[8:9], s[22:23], v[4:5]
	v_mul_f64_e32 v[6:7], s[20:21], v[4:5]
	s_delay_alu instid0(VALU_DEP_2) | instskip(NEXT) | instid1(VALU_DEP_2)
	v_fma_f64 v[4:5], s[20:21], v[2:3], -v[8:9]
	v_fmac_f64_e32 v[6:7], s[22:23], v[2:3]
	ds_store_b128 v1, v[4:7]
.LBB160_21:
	s_wait_xcnt 0x0
	s_or_b32 exec_lo, exec_lo, s31
	s_cmp_lt_i32 s3, 1
	s_wait_storecnt_dscnt 0x0
	s_barrier_signal -1
	s_barrier_wait -1
	s_cbranch_scc1 .LBB160_36
; %bb.22:
	s_load_b32 s12, s[0:1], 0x28
	s_wait_xcnt 0x0
	v_cmp_neq_f64_e64 s0, s[4:5], 0
	s_wait_kmcnt 0x0
	v_cmp_neq_f64_e64 s16, s[6:7], 0
	v_mov_b32_e32 v7, 0
	s_lshl_b64 s[22:23], s[14:15], 4
	s_lshl_b64 s[26:27], s[28:29], 4
	s_ashr_i32 s1, s30, 31
	s_mul_u64 s[24:25], s[24:25], s[34:35]
	v_mov_b32_e32 v1, v7
	s_ashr_i32 s13, s12, 31
	s_delay_alu instid0(VALU_DEP_1) | instid1(SALU_CYCLE_1)
	v_mul_u64_e32 v[2:3], s[12:13], v[0:1]
	s_or_b32 s14, s0, s16
	s_cmp_gt_i32 s2, 0
	s_mov_b32 s0, s30
	s_cselect_b32 s15, -1, 0
	s_and_b32 s16, s2, 7
	s_cmp_gt_u32 s2, 7
	s_cselect_b32 s17, -1, 0
	s_and_b32 s2, s2, 0x7ffffff8
	s_cmp_lg_u32 s16, 0
	s_cselect_b32 s20, -1, 0
	s_lshl_b64 s[10:11], s[10:11], 4
	s_lshl_b64 s[24:25], s[24:25], 4
	s_add_nc_u64 s[8:9], s[8:9], s[10:11]
	s_mov_b32 s11, 0
	s_add_nc_u64 s[8:9], s[8:9], s[24:25]
	s_lshl_b64 s[12:13], s[12:13], 12
	s_delay_alu instid0(VALU_DEP_1) | instskip(SKIP_3) | instid1(VALU_DEP_1)
	v_lshl_add_u64 v[8:9], v[2:3], 4, s[8:9]
	s_add_nc_u64 s[8:9], s[18:19], s[22:23]
	s_mov_b32 s18, 0
	s_add_nc_u64 s[8:9], s[8:9], s[26:27]
	v_add_nc_u64_e32 v[10:11], 0x78, v[8:9]
	s_branch .LBB160_25
.LBB160_23:                             ;   in Loop: Header=BB160_25 Depth=1
	global_store_b128 v[12:13], v[2:5], off
.LBB160_24:                             ;   in Loop: Header=BB160_25 Depth=1
	s_wait_xcnt 0x0
	s_or_b32 exec_lo, exec_lo, s19
	v_add_nc_u64_e32 v[10:11], s[12:13], v[10:11]
	v_add_nc_u64_e32 v[8:9], s[12:13], v[8:9]
	s_addk_co_i32 s18, 0x100
	s_delay_alu instid0(SALU_CYCLE_1)
	s_cmp_ge_i32 s18, s3
	s_cbranch_scc1 .LBB160_36
.LBB160_25:                             ; =>This Loop Header: Depth=1
                                        ;     Child Loop BB160_31 Depth 2
                                        ;     Child Loop BB160_35 Depth 2
	v_add_nc_u32_e32 v6, s18, v0
	s_mov_b32 s19, exec_lo
	s_delay_alu instid0(VALU_DEP_1)
	v_cmpx_gt_i32_e64 s3, v6
	s_cbranch_execz .LBB160_24
; %bb.26:                               ;   in Loop: Header=BB160_25 Depth=1
	v_mul_u64_e32 v[12:13], s[0:1], v[6:7]
	v_mov_b64_e32 v[2:3], 0
	v_mov_b64_e32 v[4:5], 0
	s_and_not1_b32 vcc_lo, exec_lo, s14
	s_delay_alu instid0(VALU_DEP_3)
	v_lshl_add_u64 v[12:13], v[12:13], 4, s[8:9]
	s_cbranch_vccnz .LBB160_28
; %bb.27:                               ;   in Loop: Header=BB160_25 Depth=1
	global_load_b128 v[14:17], v[12:13], off
	s_wait_loadcnt 0x0
	v_mul_f64_e32 v[2:3], s[6:7], v[16:17]
	v_mul_f64_e32 v[4:5], s[4:5], v[16:17]
	s_delay_alu instid0(VALU_DEP_2) | instskip(NEXT) | instid1(VALU_DEP_2)
	v_fma_f64 v[2:3], s[4:5], v[14:15], -v[2:3]
	v_fmac_f64_e32 v[4:5], s[6:7], v[14:15]
.LBB160_28:                             ;   in Loop: Header=BB160_25 Depth=1
	s_and_not1_b32 vcc_lo, exec_lo, s15
	s_cbranch_vccnz .LBB160_23
; %bb.29:                               ;   in Loop: Header=BB160_25 Depth=1
	s_and_not1_b32 vcc_lo, exec_lo, s17
	s_mov_b32 s10, 0
	s_cbranch_vccnz .LBB160_33
; %bb.30:                               ;   in Loop: Header=BB160_25 Depth=1
	v_mov_b64_e32 v[14:15], v[10:11]
	s_mov_b32 s21, 0
.LBB160_31:                             ;   Parent Loop BB160_25 Depth=1
                                        ; =>  This Inner Loop Header: Depth=2
	s_clause 0x7
	global_load_b128 v[16:19], v[14:15], off offset:-120
	global_load_b128 v[20:23], v[14:15], off offset:-104
	;; [unrolled: 1-line block ×8, first 2 shown]
	v_mov_b32_e32 v1, s10
	s_wait_xcnt 0x0
	v_add_nc_u64_e32 v[14:15], 0x80, v[14:15]
	s_add_co_i32 s21, s21, 8
	s_addk_co_i32 s10, 0x80
	ds_load_b128 v[48:51], v1
	ds_load_b128 v[52:55], v1 offset:16
	s_cmp_eq_u32 s2, s21
	s_wait_loadcnt_dscnt 0x701
	v_mul_f64_e32 v[56:57], v[18:19], v[50:51]
	v_mul_f64_e32 v[58:59], v[16:17], v[50:51]
	s_wait_loadcnt_dscnt 0x600
	v_mul_f64_e32 v[60:61], v[22:23], v[54:55]
	v_mul_f64_e32 v[54:55], v[20:21], v[54:55]
	s_delay_alu instid0(VALU_DEP_4) | instskip(NEXT) | instid1(VALU_DEP_4)
	v_fma_f64 v[56:57], v[16:17], v[48:49], -v[56:57]
	v_fmac_f64_e32 v[58:59], v[18:19], v[48:49]
	ds_load_b128 v[16:19], v1 offset:32
	ds_load_b128 v[48:51], v1 offset:48
	v_fmac_f64_e32 v[54:55], v[22:23], v[52:53]
	s_wait_loadcnt_dscnt 0x501
	v_mul_f64_e32 v[62:63], v[26:27], v[18:19]
	v_mul_f64_e32 v[64:65], v[24:25], v[18:19]
	v_fma_f64 v[18:19], v[20:21], v[52:53], -v[60:61]
	s_wait_loadcnt_dscnt 0x400
	v_mul_f64_e32 v[20:21], v[30:31], v[50:51]
	v_mul_f64_e32 v[22:23], v[28:29], v[50:51]
	v_add_f64_e32 v[2:3], v[2:3], v[56:57]
	v_add_f64_e32 v[4:5], v[4:5], v[58:59]
	v_fma_f64 v[24:25], v[24:25], v[16:17], -v[62:63]
	v_fmac_f64_e32 v[64:65], v[26:27], v[16:17]
	v_fmac_f64_e32 v[22:23], v[30:31], v[48:49]
	v_add_f64_e32 v[26:27], v[2:3], v[18:19]
	v_add_f64_e32 v[50:51], v[4:5], v[54:55]
	ds_load_b128 v[2:5], v1 offset:64
	ds_load_b128 v[16:19], v1 offset:80
	s_wait_loadcnt_dscnt 0x301
	v_mul_f64_e32 v[52:53], v[34:35], v[4:5]
	v_mul_f64_e32 v[54:55], v[32:33], v[4:5]
	v_fma_f64 v[4:5], v[28:29], v[48:49], -v[20:21]
	s_wait_loadcnt_dscnt 0x200
	v_mul_f64_e32 v[28:29], v[36:37], v[18:19]
	v_add_f64_e32 v[20:21], v[26:27], v[24:25]
	v_add_f64_e32 v[24:25], v[50:51], v[64:65]
	v_mul_f64_e32 v[26:27], v[38:39], v[18:19]
	v_fma_f64 v[30:31], v[32:33], v[2:3], -v[52:53]
	v_fmac_f64_e32 v[54:55], v[34:35], v[2:3]
	v_fmac_f64_e32 v[28:29], v[38:39], v[16:17]
	v_add_f64_e32 v[32:33], v[20:21], v[4:5]
	v_add_f64_e32 v[22:23], v[24:25], v[22:23]
	ds_load_b128 v[2:5], v1 offset:96
	ds_load_b128 v[18:21], v1 offset:112
	v_fma_f64 v[26:27], v[36:37], v[16:17], -v[26:27]
	s_wait_loadcnt_dscnt 0x101
	v_mul_f64_e32 v[24:25], v[42:43], v[4:5]
	v_mul_f64_e32 v[4:5], v[40:41], v[4:5]
	v_add_f64_e32 v[16:17], v[32:33], v[30:31]
	v_add_f64_e32 v[22:23], v[22:23], v[54:55]
	s_wait_loadcnt_dscnt 0x0
	v_mul_f64_e32 v[30:31], v[46:47], v[20:21]
	v_mul_f64_e32 v[20:21], v[44:45], v[20:21]
	v_fma_f64 v[24:25], v[40:41], v[2:3], -v[24:25]
	v_fmac_f64_e32 v[4:5], v[42:43], v[2:3]
	v_add_f64_e32 v[2:3], v[16:17], v[26:27]
	v_add_f64_e32 v[16:17], v[22:23], v[28:29]
	v_fma_f64 v[22:23], v[44:45], v[18:19], -v[30:31]
	v_fmac_f64_e32 v[20:21], v[46:47], v[18:19]
	s_delay_alu instid0(VALU_DEP_4) | instskip(NEXT) | instid1(VALU_DEP_4)
	v_add_f64_e32 v[2:3], v[2:3], v[24:25]
	v_add_f64_e32 v[4:5], v[16:17], v[4:5]
	s_delay_alu instid0(VALU_DEP_2) | instskip(NEXT) | instid1(VALU_DEP_2)
	v_add_f64_e32 v[2:3], v[2:3], v[22:23]
	v_add_f64_e32 v[4:5], v[4:5], v[20:21]
	s_cbranch_scc0 .LBB160_31
; %bb.32:                               ;   in Loop: Header=BB160_25 Depth=1
	s_mov_b32 s10, s2
.LBB160_33:                             ;   in Loop: Header=BB160_25 Depth=1
	s_and_not1_b32 vcc_lo, exec_lo, s20
	s_cbranch_vccnz .LBB160_23
; %bb.34:                               ;   in Loop: Header=BB160_25 Depth=1
	v_lshl_add_u64 v[14:15], s[10:11], 4, v[8:9]
	s_lshl_b32 s10, s10, 4
	s_mov_b32 s21, s16
.LBB160_35:                             ;   Parent Loop BB160_25 Depth=1
                                        ; =>  This Inner Loop Header: Depth=2
	global_load_b128 v[16:19], v[14:15], off
	v_mov_b32_e32 v1, s10
	s_wait_xcnt 0x0
	v_add_nc_u64_e32 v[14:15], 16, v[14:15]
	s_add_co_i32 s21, s21, -1
	s_add_co_i32 s10, s10, 16
	s_cmp_lg_u32 s21, 0
	ds_load_b128 v[20:23], v1
	s_wait_loadcnt_dscnt 0x0
	v_mul_f64_e32 v[24:25], v[18:19], v[22:23]
	v_mul_f64_e32 v[22:23], v[16:17], v[22:23]
	s_delay_alu instid0(VALU_DEP_2) | instskip(NEXT) | instid1(VALU_DEP_2)
	v_fma_f64 v[16:17], v[16:17], v[20:21], -v[24:25]
	v_fmac_f64_e32 v[22:23], v[18:19], v[20:21]
	s_delay_alu instid0(VALU_DEP_2) | instskip(NEXT) | instid1(VALU_DEP_2)
	v_add_f64_e32 v[2:3], v[2:3], v[16:17]
	v_add_f64_e32 v[4:5], v[4:5], v[22:23]
	s_cbranch_scc1 .LBB160_35
	s_branch .LBB160_23
.LBB160_36:
	s_sendmsg sendmsg(MSG_DEALLOC_VGPRS)
	s_endpgm
	.section	.rodata,"a",@progbits
	.p2align	6, 0x0
	.amdhsa_kernel _ZL22rocblas_gemvtsm_kernelILb0ELi256E19rocblas_complex_numIdEPKS1_S1_EviiT2_lPKT1_lilS7_lilS4_lPT3_lil
		.amdhsa_group_segment_fixed_size 1024
		.amdhsa_private_segment_fixed_size 0
		.amdhsa_kernarg_size 136
		.amdhsa_user_sgpr_count 2
		.amdhsa_user_sgpr_dispatch_ptr 0
		.amdhsa_user_sgpr_queue_ptr 0
		.amdhsa_user_sgpr_kernarg_segment_ptr 1
		.amdhsa_user_sgpr_dispatch_id 0
		.amdhsa_user_sgpr_kernarg_preload_length 0
		.amdhsa_user_sgpr_kernarg_preload_offset 0
		.amdhsa_user_sgpr_private_segment_size 0
		.amdhsa_wavefront_size32 1
		.amdhsa_uses_dynamic_stack 0
		.amdhsa_enable_private_segment 0
		.amdhsa_system_sgpr_workgroup_id_x 1
		.amdhsa_system_sgpr_workgroup_id_y 0
		.amdhsa_system_sgpr_workgroup_id_z 0
		.amdhsa_system_sgpr_workgroup_info 0
		.amdhsa_system_vgpr_workitem_id 0
		.amdhsa_next_free_vgpr 66
		.amdhsa_next_free_sgpr 38
		.amdhsa_named_barrier_count 0
		.amdhsa_reserve_vcc 1
		.amdhsa_float_round_mode_32 0
		.amdhsa_float_round_mode_16_64 0
		.amdhsa_float_denorm_mode_32 3
		.amdhsa_float_denorm_mode_16_64 3
		.amdhsa_fp16_overflow 0
		.amdhsa_memory_ordered 1
		.amdhsa_forward_progress 1
		.amdhsa_inst_pref_size 14
		.amdhsa_round_robin_scheduling 0
		.amdhsa_exception_fp_ieee_invalid_op 0
		.amdhsa_exception_fp_denorm_src 0
		.amdhsa_exception_fp_ieee_div_zero 0
		.amdhsa_exception_fp_ieee_overflow 0
		.amdhsa_exception_fp_ieee_underflow 0
		.amdhsa_exception_fp_ieee_inexact 0
		.amdhsa_exception_int_div_zero 0
	.end_amdhsa_kernel
	.section	.text._ZL22rocblas_gemvtsm_kernelILb0ELi256E19rocblas_complex_numIdEPKS1_S1_EviiT2_lPKT1_lilS7_lilS4_lPT3_lil,"axG",@progbits,_ZL22rocblas_gemvtsm_kernelILb0ELi256E19rocblas_complex_numIdEPKS1_S1_EviiT2_lPKT1_lilS7_lilS4_lPT3_lil,comdat
.Lfunc_end160:
	.size	_ZL22rocblas_gemvtsm_kernelILb0ELi256E19rocblas_complex_numIdEPKS1_S1_EviiT2_lPKT1_lilS7_lilS4_lPT3_lil, .Lfunc_end160-_ZL22rocblas_gemvtsm_kernelILb0ELi256E19rocblas_complex_numIdEPKS1_S1_EviiT2_lPKT1_lilS7_lilS4_lPT3_lil
                                        ; -- End function
	.set _ZL22rocblas_gemvtsm_kernelILb0ELi256E19rocblas_complex_numIdEPKS1_S1_EviiT2_lPKT1_lilS7_lilS4_lPT3_lil.num_vgpr, 66
	.set _ZL22rocblas_gemvtsm_kernelILb0ELi256E19rocblas_complex_numIdEPKS1_S1_EviiT2_lPKT1_lilS7_lilS4_lPT3_lil.num_agpr, 0
	.set _ZL22rocblas_gemvtsm_kernelILb0ELi256E19rocblas_complex_numIdEPKS1_S1_EviiT2_lPKT1_lilS7_lilS4_lPT3_lil.numbered_sgpr, 38
	.set _ZL22rocblas_gemvtsm_kernelILb0ELi256E19rocblas_complex_numIdEPKS1_S1_EviiT2_lPKT1_lilS7_lilS4_lPT3_lil.num_named_barrier, 0
	.set _ZL22rocblas_gemvtsm_kernelILb0ELi256E19rocblas_complex_numIdEPKS1_S1_EviiT2_lPKT1_lilS7_lilS4_lPT3_lil.private_seg_size, 0
	.set _ZL22rocblas_gemvtsm_kernelILb0ELi256E19rocblas_complex_numIdEPKS1_S1_EviiT2_lPKT1_lilS7_lilS4_lPT3_lil.uses_vcc, 1
	.set _ZL22rocblas_gemvtsm_kernelILb0ELi256E19rocblas_complex_numIdEPKS1_S1_EviiT2_lPKT1_lilS7_lilS4_lPT3_lil.uses_flat_scratch, 0
	.set _ZL22rocblas_gemvtsm_kernelILb0ELi256E19rocblas_complex_numIdEPKS1_S1_EviiT2_lPKT1_lilS7_lilS4_lPT3_lil.has_dyn_sized_stack, 0
	.set _ZL22rocblas_gemvtsm_kernelILb0ELi256E19rocblas_complex_numIdEPKS1_S1_EviiT2_lPKT1_lilS7_lilS4_lPT3_lil.has_recursion, 0
	.set _ZL22rocblas_gemvtsm_kernelILb0ELi256E19rocblas_complex_numIdEPKS1_S1_EviiT2_lPKT1_lilS7_lilS4_lPT3_lil.has_indirect_call, 0
	.section	.AMDGPU.csdata,"",@progbits
; Kernel info:
; codeLenInByte = 1760
; TotalNumSgprs: 40
; NumVgprs: 66
; ScratchSize: 0
; MemoryBound: 0
; FloatMode: 240
; IeeeMode: 1
; LDSByteSize: 1024 bytes/workgroup (compile time only)
; SGPRBlocks: 0
; VGPRBlocks: 4
; NumSGPRsForWavesPerEU: 40
; NumVGPRsForWavesPerEU: 66
; NamedBarCnt: 0
; Occupancy: 12
; WaveLimiterHint : 1
; COMPUTE_PGM_RSRC2:SCRATCH_EN: 0
; COMPUTE_PGM_RSRC2:USER_SGPR: 2
; COMPUTE_PGM_RSRC2:TRAP_HANDLER: 0
; COMPUTE_PGM_RSRC2:TGID_X_EN: 1
; COMPUTE_PGM_RSRC2:TGID_Y_EN: 0
; COMPUTE_PGM_RSRC2:TGID_Z_EN: 0
; COMPUTE_PGM_RSRC2:TIDIG_COMP_CNT: 0
	.section	.text._ZL22rocblas_gemvtsm_kernelILb0ELi256E19rocblas_complex_numIdES1_S1_EviiT2_lPKT1_lilS5_lilS2_lPT3_lil,"axG",@progbits,_ZL22rocblas_gemvtsm_kernelILb0ELi256E19rocblas_complex_numIdES1_S1_EviiT2_lPKT1_lilS5_lilS2_lPT3_lil,comdat
	.globl	_ZL22rocblas_gemvtsm_kernelILb0ELi256E19rocblas_complex_numIdES1_S1_EviiT2_lPKT1_lilS5_lilS2_lPT3_lil ; -- Begin function _ZL22rocblas_gemvtsm_kernelILb0ELi256E19rocblas_complex_numIdES1_S1_EviiT2_lPKT1_lilS5_lilS2_lPT3_lil
	.p2align	8
	.type	_ZL22rocblas_gemvtsm_kernelILb0ELi256E19rocblas_complex_numIdES1_S1_EviiT2_lPKT1_lilS5_lilS2_lPT3_lil,@function
_ZL22rocblas_gemvtsm_kernelILb0ELi256E19rocblas_complex_numIdES1_S1_EviiT2_lPKT1_lilS5_lilS2_lPT3_lil: ; @_ZL22rocblas_gemvtsm_kernelILb0ELi256E19rocblas_complex_numIdES1_S1_EviiT2_lPKT1_lilS5_lilS2_lPT3_lil
; %bb.0:
	s_clause 0x2
	s_load_b128 s[12:15], s[0:1], 0x8
	s_load_b128 s[4:7], s[0:1], 0x58
	s_load_b64 s[2:3], s[0:1], 0x68
	s_wait_kmcnt 0x0
	v_cmp_neq_f64_e64 s8, s[12:13], 0
	v_cmp_neq_f64_e64 s9, s[14:15], 0
	s_or_b32 s16, s8, s9
	s_mov_b32 s8, -1
	s_and_b32 vcc_lo, exec_lo, s16
	s_cbranch_vccnz .LBB161_2
; %bb.1:
	v_cmp_neq_f64_e64 s8, s[6:7], 1.0
	v_cmp_neq_f64_e64 s9, s[2:3], 0
	s_or_b32 s8, s8, s9
.LBB161_2:
	s_delay_alu instid0(SALU_CYCLE_1)
	s_and_not1_b32 vcc_lo, exec_lo, s8
	s_cbranch_vccnz .LBB161_36
; %bb.3:
	s_clause 0x3
	s_load_b64 s[18:19], s[0:1], 0x90
	s_load_b32 s20, s[0:1], 0x88
	s_load_b64 s[22:23], s[0:1], 0x0
	s_load_b128 s[8:11], s[0:1], 0x78
	s_bfe_u32 s17, ttmp6, 0x4000c
	s_and_b32 s21, ttmp6, 15
	s_add_co_i32 s17, s17, 1
	s_getreg_b32 s24, hwreg(HW_REG_IB_STS2, 6, 4)
	s_mul_i32 s17, ttmp9, s17
	s_xor_b32 s16, s16, -1
	s_add_co_i32 s21, s21, s17
	s_cmp_eq_u32 s24, 0
	s_mov_b32 s25, 0
	s_cselect_b32 s24, ttmp9, s21
	s_and_not1_b32 vcc_lo, exec_lo, s16
	s_mov_b32 s16, -1
	s_wait_kmcnt 0x0
	s_mul_u64 s[26:27], s[18:19], s[24:25]
	s_cbranch_vccnz .LBB161_18
; %bb.4:
	v_cmp_neq_f64_e64 s16, s[6:7], 0
	v_cmp_neq_f64_e64 s17, s[2:3], 0
	s_or_b32 s16, s16, s17
	s_cmp_gt_i32 s23, 0
	s_cselect_b32 s18, -1, 0
	s_and_b32 vcc_lo, exec_lo, s16
	s_mov_b32 s16, -1
	s_cbranch_vccnz .LBB161_11
; %bb.5:
	s_and_not1_b32 vcc_lo, exec_lo, s18
	s_cbranch_vccnz .LBB161_10
; %bb.6:
	v_mov_b32_e32 v2, 0
	s_ashr_i32 s21, s20, 31
	s_lshl_b64 s[16:17], s[10:11], 4
	s_lshl_b64 s[28:29], s[26:27], 4
	s_add_nc_u64 s[16:17], s[8:9], s[16:17]
	v_mov_b32_e32 v1, v2
	s_add_nc_u64 s[16:17], s[16:17], s[28:29]
	s_mov_b32 s19, 0
	s_delay_alu instid0(VALU_DEP_1) | instskip(NEXT) | instid1(VALU_DEP_1)
	v_mul_u64_e32 v[4:5], s[20:21], v[0:1]
	v_lshl_add_u64 v[4:5], v[4:5], 4, s[16:17]
	s_lshl_b64 s[16:17], s[20:21], 12
	s_delay_alu instid0(VALU_DEP_1)
	v_add_nc_u64_e32 v[6:7], 8, v[4:5]
	s_branch .LBB161_8
.LBB161_7:                              ;   in Loop: Header=BB161_8 Depth=1
	s_wait_xcnt 0x0
	s_or_b32 exec_lo, exec_lo, s21
	v_add_nc_u64_e32 v[6:7], s[16:17], v[6:7]
	s_addk_co_i32 s19, 0x100
	s_delay_alu instid0(SALU_CYCLE_1)
	s_cmp_ge_i32 s19, s23
	s_cbranch_scc1 .LBB161_10
.LBB161_8:                              ; =>This Inner Loop Header: Depth=1
	v_add_nc_u32_e32 v1, s19, v0
	s_mov_b32 s21, exec_lo
	s_delay_alu instid0(VALU_DEP_1)
	v_cmpx_gt_i32_e64 s23, v1
	s_cbranch_execz .LBB161_7
; %bb.9:                                ;   in Loop: Header=BB161_8 Depth=1
	v_dual_mov_b32 v3, v2 :: v_dual_mov_b32 v4, v2
	v_mov_b32_e32 v5, v2
	global_store_b128 v[6:7], v[2:5], off offset:-8
	s_branch .LBB161_7
.LBB161_10:
	s_mov_b32 s16, 0
.LBB161_11:
	s_delay_alu instid0(SALU_CYCLE_1)
	s_and_not1_b32 vcc_lo, exec_lo, s16
	s_cbranch_vccnz .LBB161_17
; %bb.12:
	s_and_not1_b32 vcc_lo, exec_lo, s18
	s_cbranch_vccnz .LBB161_17
; %bb.13:
	v_mov_b32_e32 v1, 0
	s_ashr_i32 s21, s20, 31
	s_lshl_b64 s[16:17], s[10:11], 4
	s_lshl_b64 s[18:19], s[26:27], 4
	s_add_nc_u64 s[16:17], s[8:9], s[16:17]
	v_mul_u64_e32 v[2:3], s[20:21], v[0:1]
	s_add_nc_u64 s[16:17], s[16:17], s[18:19]
	s_mov_b32 s18, 0
	s_delay_alu instid0(VALU_DEP_1) | instskip(SKIP_1) | instid1(VALU_DEP_1)
	v_lshl_add_u64 v[2:3], v[2:3], 4, s[16:17]
	s_lshl_b64 s[16:17], s[20:21], 12
	v_add_nc_u64_e32 v[2:3], 8, v[2:3]
	s_branch .LBB161_15
.LBB161_14:                             ;   in Loop: Header=BB161_15 Depth=1
	s_wait_xcnt 0x0
	s_or_b32 exec_lo, exec_lo, s19
	v_add_nc_u64_e32 v[2:3], s[16:17], v[2:3]
	s_addk_co_i32 s18, 0x100
	s_delay_alu instid0(SALU_CYCLE_1)
	s_cmp_ge_i32 s18, s23
	s_cbranch_scc1 .LBB161_17
.LBB161_15:                             ; =>This Inner Loop Header: Depth=1
	v_add_nc_u32_e32 v1, s18, v0
	s_mov_b32 s19, exec_lo
	s_delay_alu instid0(VALU_DEP_1)
	v_cmpx_gt_i32_e64 s23, v1
	s_cbranch_execz .LBB161_14
; %bb.16:                               ;   in Loop: Header=BB161_15 Depth=1
	global_load_b128 v[4:7], v[2:3], off offset:-8
	s_wait_loadcnt 0x0
	v_mul_f64_e32 v[10:11], s[2:3], v[6:7]
	v_mul_f64_e32 v[8:9], s[6:7], v[6:7]
	s_delay_alu instid0(VALU_DEP_2) | instskip(NEXT) | instid1(VALU_DEP_2)
	v_fma_f64 v[6:7], s[6:7], v[4:5], -v[10:11]
	v_fmac_f64_e32 v[8:9], s[2:3], v[4:5]
	global_store_b128 v[2:3], v[6:9], off offset:-8
	s_branch .LBB161_14
.LBB161_17:
	s_mov_b32 s16, 0
.LBB161_18:
	s_delay_alu instid0(SALU_CYCLE_1)
	s_and_not1_b32 vcc_lo, exec_lo, s16
	s_cbranch_vccnz .LBB161_36
; %bb.19:
	s_clause 0x1
	s_load_b128 s[16:19], s[0:1], 0x38
	s_load_b64 s[28:29], s[0:1], 0x48
	s_mov_b32 s21, exec_lo
	v_cmpx_gt_i32_e64 s22, v0
	s_cbranch_execz .LBB161_21
; %bb.20:
	s_load_b32 s30, s[0:1], 0x50
	v_mov_b32_e32 v1, 0
	s_mul_u64 s[4:5], s[4:5], s[24:25]
	s_wait_kmcnt 0x0
	s_lshl_b64 s[28:29], s[28:29], 4
	s_lshl_b64 s[4:5], s[4:5], 4
	s_delay_alu instid0(SALU_CYCLE_1) | instskip(NEXT) | instid1(SALU_CYCLE_1)
	s_add_nc_u64 s[4:5], s[18:19], s[4:5]
	s_add_nc_u64 s[4:5], s[4:5], s[28:29]
	s_ashr_i32 s31, s30, 31
	s_delay_alu instid0(SALU_CYCLE_1) | instskip(SKIP_1) | instid1(VALU_DEP_2)
	v_mul_u64_e32 v[2:3], s[30:31], v[0:1]
	v_lshlrev_b32_e32 v1, 4, v0
	v_lshl_add_u64 v[2:3], v[2:3], 4, s[4:5]
	global_load_b128 v[2:5], v[2:3], off
	s_wait_loadcnt 0x0
	v_mul_f64_e32 v[8:9], s[14:15], v[4:5]
	v_mul_f64_e32 v[6:7], s[12:13], v[4:5]
	s_delay_alu instid0(VALU_DEP_2) | instskip(NEXT) | instid1(VALU_DEP_2)
	v_fma_f64 v[4:5], s[12:13], v[2:3], -v[8:9]
	v_fmac_f64_e32 v[6:7], s[14:15], v[2:3]
	ds_store_b128 v1, v[4:7]
.LBB161_21:
	s_wait_xcnt 0x0
	s_or_b32 exec_lo, exec_lo, s21
	s_cmp_lt_i32 s23, 1
	s_wait_storecnt_dscnt 0x0
	s_barrier_signal -1
	s_barrier_wait -1
	s_cbranch_scc1 .LBB161_36
; %bb.22:
	s_wait_kmcnt 0x0
	s_clause 0x1
	s_load_b32 s18, s[0:1], 0x30
	s_load_b128 s[28:31], s[0:1], 0x20
	v_cmp_neq_f64_e64 s12, s[6:7], 0
	v_cmp_neq_f64_e64 s13, s[2:3], 0
	v_mov_b32_e32 v7, 0
	s_wait_xcnt 0x0
	s_lshl_b64 s[0:1], s[26:27], 4
	s_lshl_b64 s[4:5], s[10:11], 4
	s_ashr_i32 s21, s20, 31
	s_mul_u64 s[16:17], s[16:17], s[24:25]
	v_mov_b32_e32 v1, v7
	s_add_nc_u64 s[0:1], s[8:9], s[0:1]
	s_delay_alu instid0(SALU_CYCLE_1) | instskip(SKIP_3) | instid1(SALU_CYCLE_1)
	s_add_nc_u64 s[0:1], s[0:1], s[4:5]
	s_mov_b32 s5, 0
	s_wait_kmcnt 0x0
	s_ashr_i32 s19, s18, 31
	v_mul_u64_e32 v[2:3], s[18:19], v[0:1]
	s_or_b32 s10, s12, s13
	s_cmp_gt_i32 s22, 0
	s_cselect_b32 s11, -1, 0
	s_and_b32 s12, s22, 7
	s_cmp_gt_u32 s22, 7
	s_cselect_b32 s13, -1, 0
	s_and_b32 s14, s22, 0x7ffffff8
	s_cmp_lg_u32 s12, 0
	s_cselect_b32 s15, -1, 0
	s_lshl_b64 s[24:25], s[30:31], 4
	s_lshl_b64 s[16:17], s[16:17], 4
	s_add_nc_u64 s[24:25], s[28:29], s[24:25]
	s_lshl_b64 s[8:9], s[18:19], 12
	s_add_nc_u64 s[16:17], s[24:25], s[16:17]
	s_delay_alu instid0(VALU_DEP_1) | instid1(SALU_CYCLE_1)
	v_lshl_add_u64 v[8:9], v[2:3], 4, s[16:17]
	s_mov_b32 s16, 0
	s_delay_alu instid0(VALU_DEP_1)
	v_add_nc_u64_e32 v[10:11], 0x78, v[8:9]
	s_branch .LBB161_25
.LBB161_23:                             ;   in Loop: Header=BB161_25 Depth=1
	global_store_b128 v[12:13], v[2:5], off
.LBB161_24:                             ;   in Loop: Header=BB161_25 Depth=1
	s_wait_xcnt 0x0
	s_or_b32 exec_lo, exec_lo, s17
	v_add_nc_u64_e32 v[10:11], s[8:9], v[10:11]
	v_add_nc_u64_e32 v[8:9], s[8:9], v[8:9]
	s_addk_co_i32 s16, 0x100
	s_delay_alu instid0(SALU_CYCLE_1)
	s_cmp_ge_i32 s16, s23
	s_cbranch_scc1 .LBB161_36
.LBB161_25:                             ; =>This Loop Header: Depth=1
                                        ;     Child Loop BB161_31 Depth 2
                                        ;     Child Loop BB161_35 Depth 2
	v_add_nc_u32_e32 v6, s16, v0
	s_mov_b32 s17, exec_lo
	s_delay_alu instid0(VALU_DEP_1)
	v_cmpx_gt_i32_e64 s23, v6
	s_cbranch_execz .LBB161_24
; %bb.26:                               ;   in Loop: Header=BB161_25 Depth=1
	v_mul_u64_e32 v[12:13], s[20:21], v[6:7]
	v_mov_b64_e32 v[2:3], 0
	v_mov_b64_e32 v[4:5], 0
	s_and_not1_b32 vcc_lo, exec_lo, s10
	s_delay_alu instid0(VALU_DEP_3)
	v_lshl_add_u64 v[12:13], v[12:13], 4, s[0:1]
	s_cbranch_vccnz .LBB161_28
; %bb.27:                               ;   in Loop: Header=BB161_25 Depth=1
	global_load_b128 v[14:17], v[12:13], off
	s_wait_loadcnt 0x0
	v_mul_f64_e32 v[2:3], s[2:3], v[16:17]
	v_mul_f64_e32 v[4:5], s[6:7], v[16:17]
	s_delay_alu instid0(VALU_DEP_2) | instskip(NEXT) | instid1(VALU_DEP_2)
	v_fma_f64 v[2:3], s[6:7], v[14:15], -v[2:3]
	v_fmac_f64_e32 v[4:5], s[2:3], v[14:15]
.LBB161_28:                             ;   in Loop: Header=BB161_25 Depth=1
	s_and_not1_b32 vcc_lo, exec_lo, s11
	s_cbranch_vccnz .LBB161_23
; %bb.29:                               ;   in Loop: Header=BB161_25 Depth=1
	s_and_not1_b32 vcc_lo, exec_lo, s13
	s_mov_b32 s4, 0
	s_cbranch_vccnz .LBB161_33
; %bb.30:                               ;   in Loop: Header=BB161_25 Depth=1
	v_mov_b64_e32 v[14:15], v[10:11]
	s_mov_b32 s18, 0
.LBB161_31:                             ;   Parent Loop BB161_25 Depth=1
                                        ; =>  This Inner Loop Header: Depth=2
	s_clause 0x7
	global_load_b128 v[16:19], v[14:15], off offset:-120
	global_load_b128 v[20:23], v[14:15], off offset:-104
	global_load_b128 v[24:27], v[14:15], off offset:-88
	global_load_b128 v[28:31], v[14:15], off offset:-72
	global_load_b128 v[32:35], v[14:15], off offset:-56
	global_load_b128 v[36:39], v[14:15], off offset:-40
	global_load_b128 v[40:43], v[14:15], off offset:-24
	global_load_b128 v[44:47], v[14:15], off offset:-8
	v_mov_b32_e32 v1, s4
	s_wait_xcnt 0x0
	v_add_nc_u64_e32 v[14:15], 0x80, v[14:15]
	s_add_co_i32 s18, s18, 8
	s_addk_co_i32 s4, 0x80
	ds_load_b128 v[48:51], v1
	ds_load_b128 v[52:55], v1 offset:16
	s_cmp_eq_u32 s14, s18
	s_wait_loadcnt_dscnt 0x701
	v_mul_f64_e32 v[56:57], v[18:19], v[50:51]
	v_mul_f64_e32 v[58:59], v[16:17], v[50:51]
	s_wait_loadcnt_dscnt 0x600
	v_mul_f64_e32 v[60:61], v[22:23], v[54:55]
	v_mul_f64_e32 v[54:55], v[20:21], v[54:55]
	s_delay_alu instid0(VALU_DEP_4) | instskip(NEXT) | instid1(VALU_DEP_4)
	v_fma_f64 v[56:57], v[16:17], v[48:49], -v[56:57]
	v_fmac_f64_e32 v[58:59], v[18:19], v[48:49]
	ds_load_b128 v[16:19], v1 offset:32
	ds_load_b128 v[48:51], v1 offset:48
	v_fmac_f64_e32 v[54:55], v[22:23], v[52:53]
	s_wait_loadcnt_dscnt 0x501
	v_mul_f64_e32 v[62:63], v[26:27], v[18:19]
	v_mul_f64_e32 v[64:65], v[24:25], v[18:19]
	v_fma_f64 v[18:19], v[20:21], v[52:53], -v[60:61]
	s_wait_loadcnt_dscnt 0x400
	v_mul_f64_e32 v[20:21], v[30:31], v[50:51]
	v_mul_f64_e32 v[22:23], v[28:29], v[50:51]
	v_add_f64_e32 v[2:3], v[2:3], v[56:57]
	v_add_f64_e32 v[4:5], v[4:5], v[58:59]
	v_fma_f64 v[24:25], v[24:25], v[16:17], -v[62:63]
	v_fmac_f64_e32 v[64:65], v[26:27], v[16:17]
	v_fmac_f64_e32 v[22:23], v[30:31], v[48:49]
	v_add_f64_e32 v[26:27], v[2:3], v[18:19]
	v_add_f64_e32 v[50:51], v[4:5], v[54:55]
	ds_load_b128 v[2:5], v1 offset:64
	ds_load_b128 v[16:19], v1 offset:80
	s_wait_loadcnt_dscnt 0x301
	v_mul_f64_e32 v[52:53], v[34:35], v[4:5]
	v_mul_f64_e32 v[54:55], v[32:33], v[4:5]
	v_fma_f64 v[4:5], v[28:29], v[48:49], -v[20:21]
	s_wait_loadcnt_dscnt 0x200
	v_mul_f64_e32 v[28:29], v[36:37], v[18:19]
	v_add_f64_e32 v[20:21], v[26:27], v[24:25]
	v_add_f64_e32 v[24:25], v[50:51], v[64:65]
	v_mul_f64_e32 v[26:27], v[38:39], v[18:19]
	v_fma_f64 v[30:31], v[32:33], v[2:3], -v[52:53]
	v_fmac_f64_e32 v[54:55], v[34:35], v[2:3]
	v_fmac_f64_e32 v[28:29], v[38:39], v[16:17]
	v_add_f64_e32 v[32:33], v[20:21], v[4:5]
	v_add_f64_e32 v[22:23], v[24:25], v[22:23]
	ds_load_b128 v[2:5], v1 offset:96
	ds_load_b128 v[18:21], v1 offset:112
	v_fma_f64 v[26:27], v[36:37], v[16:17], -v[26:27]
	s_wait_loadcnt_dscnt 0x101
	v_mul_f64_e32 v[24:25], v[42:43], v[4:5]
	v_mul_f64_e32 v[4:5], v[40:41], v[4:5]
	v_add_f64_e32 v[16:17], v[32:33], v[30:31]
	v_add_f64_e32 v[22:23], v[22:23], v[54:55]
	s_wait_loadcnt_dscnt 0x0
	v_mul_f64_e32 v[30:31], v[46:47], v[20:21]
	v_mul_f64_e32 v[20:21], v[44:45], v[20:21]
	v_fma_f64 v[24:25], v[40:41], v[2:3], -v[24:25]
	v_fmac_f64_e32 v[4:5], v[42:43], v[2:3]
	v_add_f64_e32 v[2:3], v[16:17], v[26:27]
	v_add_f64_e32 v[16:17], v[22:23], v[28:29]
	v_fma_f64 v[22:23], v[44:45], v[18:19], -v[30:31]
	v_fmac_f64_e32 v[20:21], v[46:47], v[18:19]
	s_delay_alu instid0(VALU_DEP_4) | instskip(NEXT) | instid1(VALU_DEP_4)
	v_add_f64_e32 v[2:3], v[2:3], v[24:25]
	v_add_f64_e32 v[4:5], v[16:17], v[4:5]
	s_delay_alu instid0(VALU_DEP_2) | instskip(NEXT) | instid1(VALU_DEP_2)
	v_add_f64_e32 v[2:3], v[2:3], v[22:23]
	v_add_f64_e32 v[4:5], v[4:5], v[20:21]
	s_cbranch_scc0 .LBB161_31
; %bb.32:                               ;   in Loop: Header=BB161_25 Depth=1
	s_mov_b32 s4, s14
.LBB161_33:                             ;   in Loop: Header=BB161_25 Depth=1
	s_and_not1_b32 vcc_lo, exec_lo, s15
	s_cbranch_vccnz .LBB161_23
; %bb.34:                               ;   in Loop: Header=BB161_25 Depth=1
	v_lshl_add_u64 v[14:15], s[4:5], 4, v[8:9]
	s_lshl_b32 s4, s4, 4
	s_mov_b32 s18, s12
.LBB161_35:                             ;   Parent Loop BB161_25 Depth=1
                                        ; =>  This Inner Loop Header: Depth=2
	global_load_b128 v[16:19], v[14:15], off
	v_mov_b32_e32 v1, s4
	s_wait_xcnt 0x0
	v_add_nc_u64_e32 v[14:15], 16, v[14:15]
	s_add_co_i32 s18, s18, -1
	s_add_co_i32 s4, s4, 16
	s_cmp_lg_u32 s18, 0
	ds_load_b128 v[20:23], v1
	s_wait_loadcnt_dscnt 0x0
	v_mul_f64_e32 v[24:25], v[18:19], v[22:23]
	v_mul_f64_e32 v[22:23], v[16:17], v[22:23]
	s_delay_alu instid0(VALU_DEP_2) | instskip(NEXT) | instid1(VALU_DEP_2)
	v_fma_f64 v[16:17], v[16:17], v[20:21], -v[24:25]
	v_fmac_f64_e32 v[22:23], v[18:19], v[20:21]
	s_delay_alu instid0(VALU_DEP_2) | instskip(NEXT) | instid1(VALU_DEP_2)
	v_add_f64_e32 v[2:3], v[2:3], v[16:17]
	v_add_f64_e32 v[4:5], v[4:5], v[22:23]
	s_cbranch_scc1 .LBB161_35
	s_branch .LBB161_23
.LBB161_36:
	s_sendmsg sendmsg(MSG_DEALLOC_VGPRS)
	s_endpgm
	.section	.rodata,"a",@progbits
	.p2align	6, 0x0
	.amdhsa_kernel _ZL22rocblas_gemvtsm_kernelILb0ELi256E19rocblas_complex_numIdES1_S1_EviiT2_lPKT1_lilS5_lilS2_lPT3_lil
		.amdhsa_group_segment_fixed_size 1024
		.amdhsa_private_segment_fixed_size 0
		.amdhsa_kernarg_size 152
		.amdhsa_user_sgpr_count 2
		.amdhsa_user_sgpr_dispatch_ptr 0
		.amdhsa_user_sgpr_queue_ptr 0
		.amdhsa_user_sgpr_kernarg_segment_ptr 1
		.amdhsa_user_sgpr_dispatch_id 0
		.amdhsa_user_sgpr_kernarg_preload_length 0
		.amdhsa_user_sgpr_kernarg_preload_offset 0
		.amdhsa_user_sgpr_private_segment_size 0
		.amdhsa_wavefront_size32 1
		.amdhsa_uses_dynamic_stack 0
		.amdhsa_enable_private_segment 0
		.amdhsa_system_sgpr_workgroup_id_x 1
		.amdhsa_system_sgpr_workgroup_id_y 0
		.amdhsa_system_sgpr_workgroup_id_z 0
		.amdhsa_system_sgpr_workgroup_info 0
		.amdhsa_system_vgpr_workitem_id 0
		.amdhsa_next_free_vgpr 66
		.amdhsa_next_free_sgpr 32
		.amdhsa_named_barrier_count 0
		.amdhsa_reserve_vcc 1
		.amdhsa_float_round_mode_32 0
		.amdhsa_float_round_mode_16_64 0
		.amdhsa_float_denorm_mode_32 3
		.amdhsa_float_denorm_mode_16_64 3
		.amdhsa_fp16_overflow 0
		.amdhsa_memory_ordered 1
		.amdhsa_forward_progress 1
		.amdhsa_inst_pref_size 14
		.amdhsa_round_robin_scheduling 0
		.amdhsa_exception_fp_ieee_invalid_op 0
		.amdhsa_exception_fp_denorm_src 0
		.amdhsa_exception_fp_ieee_div_zero 0
		.amdhsa_exception_fp_ieee_overflow 0
		.amdhsa_exception_fp_ieee_underflow 0
		.amdhsa_exception_fp_ieee_inexact 0
		.amdhsa_exception_int_div_zero 0
	.end_amdhsa_kernel
	.section	.text._ZL22rocblas_gemvtsm_kernelILb0ELi256E19rocblas_complex_numIdES1_S1_EviiT2_lPKT1_lilS5_lilS2_lPT3_lil,"axG",@progbits,_ZL22rocblas_gemvtsm_kernelILb0ELi256E19rocblas_complex_numIdES1_S1_EviiT2_lPKT1_lilS5_lilS2_lPT3_lil,comdat
.Lfunc_end161:
	.size	_ZL22rocblas_gemvtsm_kernelILb0ELi256E19rocblas_complex_numIdES1_S1_EviiT2_lPKT1_lilS5_lilS2_lPT3_lil, .Lfunc_end161-_ZL22rocblas_gemvtsm_kernelILb0ELi256E19rocblas_complex_numIdES1_S1_EviiT2_lPKT1_lilS5_lilS2_lPT3_lil
                                        ; -- End function
	.set _ZL22rocblas_gemvtsm_kernelILb0ELi256E19rocblas_complex_numIdES1_S1_EviiT2_lPKT1_lilS5_lilS2_lPT3_lil.num_vgpr, 66
	.set _ZL22rocblas_gemvtsm_kernelILb0ELi256E19rocblas_complex_numIdES1_S1_EviiT2_lPKT1_lilS5_lilS2_lPT3_lil.num_agpr, 0
	.set _ZL22rocblas_gemvtsm_kernelILb0ELi256E19rocblas_complex_numIdES1_S1_EviiT2_lPKT1_lilS5_lilS2_lPT3_lil.numbered_sgpr, 32
	.set _ZL22rocblas_gemvtsm_kernelILb0ELi256E19rocblas_complex_numIdES1_S1_EviiT2_lPKT1_lilS5_lilS2_lPT3_lil.num_named_barrier, 0
	.set _ZL22rocblas_gemvtsm_kernelILb0ELi256E19rocblas_complex_numIdES1_S1_EviiT2_lPKT1_lilS5_lilS2_lPT3_lil.private_seg_size, 0
	.set _ZL22rocblas_gemvtsm_kernelILb0ELi256E19rocblas_complex_numIdES1_S1_EviiT2_lPKT1_lilS5_lilS2_lPT3_lil.uses_vcc, 1
	.set _ZL22rocblas_gemvtsm_kernelILb0ELi256E19rocblas_complex_numIdES1_S1_EviiT2_lPKT1_lilS5_lilS2_lPT3_lil.uses_flat_scratch, 0
	.set _ZL22rocblas_gemvtsm_kernelILb0ELi256E19rocblas_complex_numIdES1_S1_EviiT2_lPKT1_lilS5_lilS2_lPT3_lil.has_dyn_sized_stack, 0
	.set _ZL22rocblas_gemvtsm_kernelILb0ELi256E19rocblas_complex_numIdES1_S1_EviiT2_lPKT1_lilS5_lilS2_lPT3_lil.has_recursion, 0
	.set _ZL22rocblas_gemvtsm_kernelILb0ELi256E19rocblas_complex_numIdES1_S1_EviiT2_lPKT1_lilS5_lilS2_lPT3_lil.has_indirect_call, 0
	.section	.AMDGPU.csdata,"",@progbits
; Kernel info:
; codeLenInByte = 1716
; TotalNumSgprs: 34
; NumVgprs: 66
; ScratchSize: 0
; MemoryBound: 0
; FloatMode: 240
; IeeeMode: 1
; LDSByteSize: 1024 bytes/workgroup (compile time only)
; SGPRBlocks: 0
; VGPRBlocks: 4
; NumSGPRsForWavesPerEU: 34
; NumVGPRsForWavesPerEU: 66
; NamedBarCnt: 0
; Occupancy: 12
; WaveLimiterHint : 1
; COMPUTE_PGM_RSRC2:SCRATCH_EN: 0
; COMPUTE_PGM_RSRC2:USER_SGPR: 2
; COMPUTE_PGM_RSRC2:TRAP_HANDLER: 0
; COMPUTE_PGM_RSRC2:TGID_X_EN: 1
; COMPUTE_PGM_RSRC2:TGID_Y_EN: 0
; COMPUTE_PGM_RSRC2:TGID_Z_EN: 0
; COMPUTE_PGM_RSRC2:TIDIG_COMP_CNT: 0
	.section	.text._ZL23rocblas_gemvt_sn_kernelILb0ELi256ELi4Ei19rocblas_complex_numIdEPKS1_S1_EviiT4_lPKT3_lilS7_lilPT5_i,"axG",@progbits,_ZL23rocblas_gemvt_sn_kernelILb0ELi256ELi4Ei19rocblas_complex_numIdEPKS1_S1_EviiT4_lPKT3_lilS7_lilPT5_i,comdat
	.globl	_ZL23rocblas_gemvt_sn_kernelILb0ELi256ELi4Ei19rocblas_complex_numIdEPKS1_S1_EviiT4_lPKT3_lilS7_lilPT5_i ; -- Begin function _ZL23rocblas_gemvt_sn_kernelILb0ELi256ELi4Ei19rocblas_complex_numIdEPKS1_S1_EviiT4_lPKT3_lilS7_lilPT5_i
	.p2align	8
	.type	_ZL23rocblas_gemvt_sn_kernelILb0ELi256ELi4Ei19rocblas_complex_numIdEPKS1_S1_EviiT4_lPKT3_lilS7_lilPT5_i,@function
_ZL23rocblas_gemvt_sn_kernelILb0ELi256ELi4Ei19rocblas_complex_numIdEPKS1_S1_EviiT4_lPKT3_lilS7_lilPT5_i: ; @_ZL23rocblas_gemvt_sn_kernelILb0ELi256ELi4Ei19rocblas_complex_numIdEPKS1_S1_EviiT4_lPKT3_lilS7_lilPT5_i
; %bb.0:
	s_load_b32 s11, s[0:1], 0x60
	s_bfe_u32 s2, ttmp6, 0x40014
	s_lshr_b32 s3, ttmp7, 16
	s_add_co_i32 s2, s2, 1
	s_bfe_u32 s5, ttmp6, 0x40008
	s_mul_i32 s2, s3, s2
	s_getreg_b32 s4, hwreg(HW_REG_IB_STS2, 6, 4)
	s_add_co_i32 s5, s5, s2
	s_cmp_eq_u32 s4, 0
	s_mov_b32 s31, 0
	s_cselect_b32 s28, s3, s5
	s_wait_kmcnt 0x0
	s_cmp_ge_u32 s28, s11
	s_cbranch_scc1 .LBB162_80
; %bb.1:
	s_clause 0x6
	s_load_b96 s[8:10], s[0:1], 0x40
	s_load_b256 s[12:19], s[0:1], 0x8
	s_load_b64 s[34:35], s[0:1], 0x0
	s_load_b32 s33, s[0:1], 0x28
	s_load_b128 s[20:23], s[0:1], 0x30
	s_load_b128 s[24:27], s[0:1], 0x50
	s_load_b32 s36, s[0:1], 0x68
	s_wait_xcnt 0x0
	v_cmp_eq_u32_e64 s0, 0, v0
	v_dual_lshrrev_b32 v2, 1, v0 :: v_dual_bitop2_b32 v1, 31, v0 bitop3:0x40
	v_cmp_gt_u32_e64 s1, 32, v0
	v_cmp_gt_u32_e64 s2, 8, v0
	v_mbcnt_lo_u32_b32 v52, -1, 0
	s_delay_alu instid0(VALU_DEP_4)
	v_cmp_eq_u32_e64 s3, 0, v1
	v_and_b32_e32 v51, 0x70, v2
	s_mov_b32 s39, s31
	s_mov_b32 s37, s31
	v_lshl_or_b32 v53, v52, 2, 64
	s_mov_b32 s61, 16
	s_mov_b32 s62, 32
	s_wait_kmcnt 0x0
	s_lshl_b64 s[6:7], s[8:9], 4
	s_lshl_b64 s[8:9], s[18:19], 4
	s_ashr_i32 s41, s35, 31
	s_cmp_gt_i32 s35, 0
	s_add_nc_u64 s[18:19], s[22:23], s[6:7]
	s_cselect_b32 s5, -1, 0
	s_bfe_u32 s29, ttmp6, 0x4000c
	s_and_b32 s6, ttmp6, 15
	s_add_co_i32 s29, s29, 1
	s_and_b32 s56, s0, s5
	s_mul_i32 s7, ttmp9, s29
	s_mov_b32 s40, s35
	s_add_co_i32 s6, s6, s7
	s_cmp_eq_u32 s4, 0
	s_add_nc_u64 s[4:5], s[16:17], s[8:9]
	s_cselect_b32 s38, ttmp9, s6
	s_ashr_i32 s7, s34, 31
	s_lshl_b32 s6, s38, 10
	s_lshr_b32 s7, s7, 30
	v_lshl_or_b32 v0, v0, 2, s6
	s_add_co_i32 s7, s34, s7
	v_lshlrev_b32_e32 v50, 4, v1
	s_lshr_b32 s6, s41, 30
	s_and_b32 s7, s7, -4
	v_mul_lo_u32 v24, s10, v0
	v_ashrrev_i32_e32 v1, 31, v0
	s_add_co_i32 s6, s35, s6
	s_sub_co_i32 s58, s34, s7
	s_and_b32 s57, s6, -4
	v_dual_add_nc_u32 v2, 4, v0 :: v_dual_add_nc_u32 v3, s58, v0
	v_lshl_add_u64 v[30:31], v[0:1], 4, s[4:5]
	s_cmp_gt_i32 s57, 0
	s_mul_u64 s[16:17], s[40:41], s[36:37]
	s_cselect_b32 s59, -1, 0
	s_delay_alu instid0(VALU_DEP_4) | instskip(SKIP_3) | instid1(VALU_DEP_3)
	v_dual_add_nc_u32 v26, s10, v24 :: v_dual_ashrrev_i32 v25, 31, v24
	s_cmp_gt_i32 s58, 0
	v_cmp_ge_i32_e64 s5, s34, v3
	v_add_nc_u64_e32 v[34:35], 8, v[30:31]
	v_dual_add_nc_u32 v28, s10, v26 :: v_dual_ashrrev_i32 v27, 31, v26
	s_cselect_b32 s60, -1, 0
	s_lshl_b64 s[22:23], s[38:39], 4
	v_cmp_ge_i32_e64 s4, s34, v2
	s_delay_alu instid0(VALU_DEP_2) | instskip(SKIP_2) | instid1(VALU_DEP_1)
	v_dual_add_nc_u32 v32, s10, v28 :: v_dual_ashrrev_i32 v29, 31, v28
	s_add_nc_u64 s[6:7], s[26:27], s[22:23]
	s_mov_b32 s63, 48
	v_dual_mov_b32 v0, 0 :: v_dual_ashrrev_i32 v33, 31, v32
	s_or_b32 s64, 0, 8
	s_and_b32 s34, s60, s5
	s_add_nc_u64 s[40:41], s[6:7], 8
	s_lshl_b64 s[42:43], s[16:17], 4
	s_lshl_b64 s[44:45], s[36:37], 4
	s_lshl_b32 s39, s33, 2
	s_lshl_b32 s65, s33, 1
	s_mul_i32 s66, s33, 3
	s_lshl_b64 s[46:47], s[20:21], 4
	s_branch .LBB162_3
.LBB162_2:                              ;   in Loop: Header=BB162_3 Depth=1
	s_add_co_i32 s28, s28, 0x10000
	s_delay_alu instid0(SALU_CYCLE_1)
	s_cmp_lt_u32 s28, s11
	s_cbranch_scc0 .LBB162_80
.LBB162_3:                              ; =>This Loop Header: Depth=1
                                        ;     Child Loop BB162_6 Depth 2
                                        ;     Child Loop BB162_12 Depth 2
                                        ;       Child Loop BB162_43 Depth 3
                                        ;       Child Loop BB162_45 Depth 3
                                        ;     Child Loop BB162_61 Depth 2
                                        ;       Child Loop BB162_73 Depth 3
                                        ;       Child Loop BB162_75 Depth 3
	s_mov_b32 s29, s31
	s_delay_alu instid0(SALU_CYCLE_1) | instskip(NEXT) | instid1(SALU_CYCLE_1)
	s_mul_u64 s[6:7], s[14:15], s[28:29]
	s_lshl_b64 s[6:7], s[6:7], 4
	s_delay_alu instid0(SALU_CYCLE_1)
	s_add_nc_u64 s[6:7], s[12:13], s[6:7]
	global_load_b128 v[4:7], v0, s[6:7]
	s_wait_loadcnt 0x0
	v_cmp_neq_f64_e32 vcc_lo, 0, v[4:5]
	s_wait_xcnt 0x0
	v_cmp_neq_f64_e64 s6, 0, v[6:7]
	s_or_b32 s6, vcc_lo, s6
	s_delay_alu instid0(SALU_CYCLE_1)
	s_and_b32 vcc_lo, exec_lo, s6
	s_mov_b32 s6, -1
	s_cbranch_vccnz .LBB162_8
; %bb.4:                                ;   in Loop: Header=BB162_3 Depth=1
	s_and_saveexec_b32 s8, s56
	s_cbranch_execz .LBB162_7
; %bb.5:                                ;   in Loop: Header=BB162_3 Depth=1
	s_mul_u64 s[6:7], s[42:43], s[28:29]
	s_mov_b32 s9, s35
	s_add_nc_u64 s[6:7], s[40:41], s[6:7]
.LBB162_6:                              ;   Parent Loop BB162_3 Depth=1
                                        ; =>  This Inner Loop Header: Depth=2
	v_dual_mov_b32 v1, v0 :: v_dual_mov_b32 v2, v0
	v_mov_b32_e32 v3, v0
	s_add_co_i32 s9, s9, -1
	s_delay_alu instid0(SALU_CYCLE_1)
	s_cmp_eq_u32 s9, 0
	global_store_b128 v0, v[0:3], s[6:7] offset:-8
	s_wait_xcnt 0x0
	s_add_nc_u64 s[6:7], s[6:7], s[44:45]
	s_cbranch_scc0 .LBB162_6
.LBB162_7:                              ;   in Loop: Header=BB162_3 Depth=1
	s_or_b32 exec_lo, exec_lo, s8
	s_mov_b32 s6, 0
.LBB162_8:                              ;   in Loop: Header=BB162_3 Depth=1
	s_delay_alu instid0(SALU_CYCLE_1)
	s_and_not1_b32 vcc_lo, exec_lo, s6
	s_cbranch_vccnz .LBB162_2
; %bb.9:                                ;   in Loop: Header=BB162_3 Depth=1
	s_mul_u64 s[6:7], s[24:25], s[28:29]
	s_mul_u64 s[8:9], s[46:47], s[28:29]
	s_lshl_b64 s[6:7], s[6:7], 4
	s_mul_u64 s[50:51], s[20:21], s[28:29]
	s_add_nc_u64 s[48:49], s[18:19], s[6:7]
	v_add_nc_u64_e32 v[46:47], s[8:9], v[34:35]
	s_mul_u64 s[52:53], s[16:17], s[28:29]
	v_lshl_add_u64 v[36:37], s[50:51], 4, v[30:31]
	v_lshl_add_u64 v[38:39], v[24:25], 4, s[48:49]
	;; [unrolled: 1-line block ×5, first 2 shown]
	v_cmp_gt_u32_e64 s9, 24, v52
	v_cmp_gt_u32_e64 s8, 28, v52
	;; [unrolled: 1-line block ×3, first 2 shown]
	v_cmp_ne_u32_e64 s6, 31, v52
	s_lshl_b64 s[50:51], s[52:53], 4
	s_and_not1_b32 vcc_lo, exec_lo, s59
	s_add_nc_u64 s[50:51], s[26:27], s[50:51]
	s_cbranch_vccnz .LBB162_57
; %bb.10:                               ;   in Loop: Header=BB162_3 Depth=1
	v_cndmask_b32_e64 v1, 0, 8, s9
	v_cndmask_b32_e64 v2, 0, 4, s8
	;; [unrolled: 1-line block ×3, first 2 shown]
	s_wait_dscnt 0x0
	v_add_co_ci_u32_e64 v8, null, 0, v52, s6
	v_add_lshl_u32 v54, v1, v52, 2
	v_add_lshl_u32 v55, v2, v52, 2
	;; [unrolled: 1-line block ×3, first 2 shown]
	s_delay_alu instid0(VALU_DEP_4)
	v_lshlrev_b32_e32 v57, 2, v8
	s_mov_b32 s6, 0
	s_mov_b32 s29, s66
	;; [unrolled: 1-line block ×5, first 2 shown]
	s_branch .LBB162_12
.LBB162_11:                             ;   in Loop: Header=BB162_12 Depth=2
	s_wait_xcnt 0x0
	s_or_b32 exec_lo, exec_lo, s7
	s_add_co_i32 s30, s30, 4
	s_add_co_i32 s68, s68, s39
	;; [unrolled: 1-line block ×5, first 2 shown]
	s_cmp_ge_i32 s30, s57
	s_cbranch_scc1 .LBB162_58
.LBB162_12:                             ;   Parent Loop BB162_3 Depth=1
                                        ; =>  This Loop Header: Depth=2
                                        ;       Child Loop BB162_43 Depth 3
                                        ;       Child Loop BB162_45 Depth 3
                                        ; implicit-def: $vgpr20_vgpr21
                                        ; implicit-def: $vgpr22_vgpr23
                                        ; implicit-def: $vgpr16_vgpr17
                                        ; implicit-def: $vgpr18_vgpr19
                                        ; implicit-def: $vgpr12_vgpr13
                                        ; implicit-def: $vgpr14_vgpr15
                                        ; implicit-def: $vgpr10_vgpr11
                                        ; implicit-def: $vgpr8_vgpr9
	s_and_saveexec_b32 s7, s4
	s_delay_alu instid0(SALU_CYCLE_1)
	s_xor_b32 s7, exec_lo, s7
	s_cbranch_execnz .LBB162_39
; %bb.13:                               ;   in Loop: Header=BB162_12 Depth=2
	s_and_not1_saveexec_b32 s69, s7
	s_cbranch_execnz .LBB162_40
.LBB162_14:                             ;   in Loop: Header=BB162_12 Depth=2
	s_or_b32 exec_lo, exec_lo, s69
	s_and_saveexec_b32 s7, s1
.LBB162_15:                             ;   in Loop: Header=BB162_12 Depth=2
	v_dual_mov_b32 v1, v0 :: v_dual_mov_b32 v2, v0
	v_mov_b32_e32 v3, v0
	ds_store_b128 v50, v[0:3]
.LBB162_16:                             ;   in Loop: Header=BB162_12 Depth=2
	s_or_b32 exec_lo, exec_lo, s7
	ds_bpermute_b32 v2, v53, v10
	ds_bpermute_b32 v3, v53, v11
	;; [unrolled: 1-line block ×4, first 2 shown]
	s_wait_storecnt_dscnt 0x0
	s_barrier_signal -1
	s_barrier_wait -1
	v_add_f64_e32 v[2:3], v[10:11], v[2:3]
	v_add_f64_e32 v[8:9], v[8:9], v[48:49]
	ds_bpermute_b32 v10, v54, v2
	ds_bpermute_b32 v11, v54, v3
	ds_bpermute_b32 v48, v54, v8
	ds_bpermute_b32 v49, v54, v9
	s_wait_dscnt 0x2
	v_add_f64_e32 v[2:3], v[2:3], v[10:11]
	s_wait_dscnt 0x0
	v_add_f64_e32 v[8:9], v[8:9], v[48:49]
	ds_bpermute_b32 v10, v55, v2
	ds_bpermute_b32 v11, v55, v3
	ds_bpermute_b32 v48, v55, v8
	ds_bpermute_b32 v49, v55, v9
	s_wait_dscnt 0x2
	v_add_f64_e32 v[2:3], v[2:3], v[10:11]
	s_wait_dscnt 0x0
	;; [unrolled: 8-line block ×3, first 2 shown]
	v_add_f64_e32 v[10:11], v[8:9], v[48:49]
	ds_bpermute_b32 v8, v57, v2
	ds_bpermute_b32 v9, v57, v3
	;; [unrolled: 1-line block ×4, first 2 shown]
	s_and_saveexec_b32 s7, s3
	s_cbranch_execz .LBB162_18
; %bb.17:                               ;   in Loop: Header=BB162_12 Depth=2
	s_wait_dscnt 0x0
	v_add_f64_e32 v[10:11], v[10:11], v[48:49]
	v_add_f64_e32 v[8:9], v[2:3], v[8:9]
	ds_store_b128 v51, v[8:11]
.LBB162_18:                             ;   in Loop: Header=BB162_12 Depth=2
	s_or_b32 exec_lo, exec_lo, s7
	v_mov_b64_e32 v[10:11], 0
	s_wait_dscnt 0x2
	v_mov_b64_e32 v[8:9], 0
	s_wait_dscnt 0x0
	s_barrier_signal -1
	s_barrier_wait -1
	s_and_saveexec_b32 s7, s2
	s_cbranch_execnz .LBB162_46
; %bb.19:                               ;   in Loop: Header=BB162_12 Depth=2
	s_or_b32 exec_lo, exec_lo, s7
	s_and_saveexec_b32 s7, s1
	s_cbranch_execnz .LBB162_47
.LBB162_20:                             ;   in Loop: Header=BB162_12 Depth=2
	s_or_b32 exec_lo, exec_lo, s7
	s_and_saveexec_b32 s7, s1
.LBB162_21:                             ;   in Loop: Header=BB162_12 Depth=2
	v_dual_mov_b32 v1, v0 :: v_dual_mov_b32 v2, v0
	v_mov_b32_e32 v3, v0
	ds_store_b128 v50, v[0:3]
.LBB162_22:                             ;   in Loop: Header=BB162_12 Depth=2
	s_or_b32 exec_lo, exec_lo, s7
	ds_bpermute_b32 v2, v53, v12
	ds_bpermute_b32 v3, v53, v13
	;; [unrolled: 1-line block ×4, first 2 shown]
	s_wait_dscnt 0x0
	s_barrier_signal -1
	s_barrier_wait -1
	v_add_f64_e32 v[2:3], v[12:13], v[2:3]
	v_add_f64_e32 v[12:13], v[14:15], v[48:49]
	ds_bpermute_b32 v14, v54, v2
	ds_bpermute_b32 v15, v54, v3
	ds_bpermute_b32 v48, v54, v12
	ds_bpermute_b32 v49, v54, v13
	s_wait_dscnt 0x2
	v_add_f64_e32 v[2:3], v[2:3], v[14:15]
	s_wait_dscnt 0x0
	v_add_f64_e32 v[12:13], v[12:13], v[48:49]
	ds_bpermute_b32 v14, v55, v2
	ds_bpermute_b32 v15, v55, v3
	ds_bpermute_b32 v48, v55, v12
	ds_bpermute_b32 v49, v55, v13
	s_wait_dscnt 0x2
	v_add_f64_e32 v[2:3], v[2:3], v[14:15]
	s_wait_dscnt 0x0
	;; [unrolled: 8-line block ×3, first 2 shown]
	v_add_f64_e32 v[14:15], v[12:13], v[48:49]
	ds_bpermute_b32 v12, v57, v2
	ds_bpermute_b32 v13, v57, v3
	;; [unrolled: 1-line block ×4, first 2 shown]
	s_and_saveexec_b32 s7, s3
	s_cbranch_execz .LBB162_24
; %bb.23:                               ;   in Loop: Header=BB162_12 Depth=2
	s_wait_dscnt 0x0
	v_add_f64_e32 v[14:15], v[14:15], v[48:49]
	v_add_f64_e32 v[12:13], v[2:3], v[12:13]
	ds_store_b128 v51, v[12:15]
.LBB162_24:                             ;   in Loop: Header=BB162_12 Depth=2
	s_or_b32 exec_lo, exec_lo, s7
	v_mov_b64_e32 v[14:15], 0
	s_wait_dscnt 0x2
	v_mov_b64_e32 v[12:13], 0
	s_wait_dscnt 0x0
	s_barrier_signal -1
	s_barrier_wait -1
	s_and_saveexec_b32 s7, s2
	s_cbranch_execnz .LBB162_48
; %bb.25:                               ;   in Loop: Header=BB162_12 Depth=2
	s_or_b32 exec_lo, exec_lo, s7
	s_and_saveexec_b32 s7, s1
	s_cbranch_execnz .LBB162_49
.LBB162_26:                             ;   in Loop: Header=BB162_12 Depth=2
	s_or_b32 exec_lo, exec_lo, s7
	s_and_saveexec_b32 s7, s1
.LBB162_27:                             ;   in Loop: Header=BB162_12 Depth=2
	v_dual_mov_b32 v1, v0 :: v_dual_mov_b32 v2, v0
	v_mov_b32_e32 v3, v0
	ds_store_b128 v50, v[0:3]
.LBB162_28:                             ;   in Loop: Header=BB162_12 Depth=2
	s_or_b32 exec_lo, exec_lo, s7
	ds_bpermute_b32 v2, v53, v16
	ds_bpermute_b32 v3, v53, v17
	;; [unrolled: 1-line block ×4, first 2 shown]
	s_wait_dscnt 0x0
	s_barrier_signal -1
	s_barrier_wait -1
	v_add_f64_e32 v[2:3], v[16:17], v[2:3]
	v_add_f64_e32 v[16:17], v[18:19], v[48:49]
	ds_bpermute_b32 v18, v54, v2
	ds_bpermute_b32 v19, v54, v3
	ds_bpermute_b32 v48, v54, v16
	ds_bpermute_b32 v49, v54, v17
	s_wait_dscnt 0x2
	v_add_f64_e32 v[2:3], v[2:3], v[18:19]
	s_wait_dscnt 0x0
	v_add_f64_e32 v[16:17], v[16:17], v[48:49]
	ds_bpermute_b32 v18, v55, v2
	ds_bpermute_b32 v19, v55, v3
	ds_bpermute_b32 v48, v55, v16
	ds_bpermute_b32 v49, v55, v17
	s_wait_dscnt 0x2
	v_add_f64_e32 v[2:3], v[2:3], v[18:19]
	s_wait_dscnt 0x0
	;; [unrolled: 8-line block ×3, first 2 shown]
	v_add_f64_e32 v[18:19], v[16:17], v[48:49]
	ds_bpermute_b32 v16, v57, v2
	ds_bpermute_b32 v17, v57, v3
	;; [unrolled: 1-line block ×4, first 2 shown]
	s_and_saveexec_b32 s7, s3
	s_cbranch_execz .LBB162_30
; %bb.29:                               ;   in Loop: Header=BB162_12 Depth=2
	s_wait_dscnt 0x0
	v_add_f64_e32 v[18:19], v[18:19], v[48:49]
	v_add_f64_e32 v[16:17], v[2:3], v[16:17]
	ds_store_b128 v51, v[16:19]
.LBB162_30:                             ;   in Loop: Header=BB162_12 Depth=2
	s_or_b32 exec_lo, exec_lo, s7
	v_mov_b64_e32 v[18:19], 0
	s_wait_dscnt 0x2
	v_mov_b64_e32 v[16:17], 0
	s_wait_dscnt 0x0
	s_barrier_signal -1
	s_barrier_wait -1
	s_and_saveexec_b32 s7, s2
	s_cbranch_execnz .LBB162_50
; %bb.31:                               ;   in Loop: Header=BB162_12 Depth=2
	s_or_b32 exec_lo, exec_lo, s7
	s_and_saveexec_b32 s7, s1
	s_cbranch_execnz .LBB162_51
.LBB162_32:                             ;   in Loop: Header=BB162_12 Depth=2
	s_or_b32 exec_lo, exec_lo, s7
	s_and_saveexec_b32 s7, s1
.LBB162_33:                             ;   in Loop: Header=BB162_12 Depth=2
	v_dual_mov_b32 v1, v0 :: v_dual_mov_b32 v2, v0
	v_mov_b32_e32 v3, v0
	ds_store_b128 v50, v[0:3]
.LBB162_34:                             ;   in Loop: Header=BB162_12 Depth=2
	s_or_b32 exec_lo, exec_lo, s7
	ds_bpermute_b32 v2, v53, v20
	ds_bpermute_b32 v3, v53, v21
	;; [unrolled: 1-line block ×4, first 2 shown]
	s_wait_dscnt 0x0
	s_barrier_signal -1
	s_barrier_wait -1
	v_add_f64_e32 v[2:3], v[20:21], v[2:3]
	v_add_f64_e32 v[20:21], v[22:23], v[48:49]
	ds_bpermute_b32 v22, v54, v2
	ds_bpermute_b32 v23, v54, v3
	ds_bpermute_b32 v48, v54, v20
	ds_bpermute_b32 v49, v54, v21
	s_wait_dscnt 0x2
	v_add_f64_e32 v[2:3], v[2:3], v[22:23]
	s_wait_dscnt 0x0
	v_add_f64_e32 v[20:21], v[20:21], v[48:49]
	ds_bpermute_b32 v22, v55, v2
	ds_bpermute_b32 v23, v55, v3
	ds_bpermute_b32 v48, v55, v20
	ds_bpermute_b32 v49, v55, v21
	s_wait_dscnt 0x2
	v_add_f64_e32 v[2:3], v[2:3], v[22:23]
	s_wait_dscnt 0x0
	;; [unrolled: 8-line block ×3, first 2 shown]
	v_add_f64_e32 v[22:23], v[20:21], v[48:49]
	ds_bpermute_b32 v20, v57, v2
	ds_bpermute_b32 v21, v57, v3
	;; [unrolled: 1-line block ×4, first 2 shown]
	s_and_saveexec_b32 s7, s3
	s_cbranch_execz .LBB162_36
; %bb.35:                               ;   in Loop: Header=BB162_12 Depth=2
	s_wait_dscnt 0x0
	v_add_f64_e32 v[22:23], v[22:23], v[48:49]
	v_add_f64_e32 v[20:21], v[2:3], v[20:21]
	ds_store_b128 v51, v[20:23]
.LBB162_36:                             ;   in Loop: Header=BB162_12 Depth=2
	s_or_b32 exec_lo, exec_lo, s7
	v_mov_b64_e32 v[22:23], 0
	s_wait_dscnt 0x2
	v_mov_b64_e32 v[20:21], 0
	s_wait_dscnt 0x0
	s_barrier_signal -1
	s_barrier_wait -1
	s_and_saveexec_b32 s7, s2
	s_cbranch_execnz .LBB162_52
; %bb.37:                               ;   in Loop: Header=BB162_12 Depth=2
	s_or_b32 exec_lo, exec_lo, s7
	s_and_saveexec_b32 s7, s1
	s_cbranch_execnz .LBB162_53
.LBB162_38:                             ;   in Loop: Header=BB162_12 Depth=2
	s_or_b32 exec_lo, exec_lo, s7
	s_and_saveexec_b32 s7, s0
	s_cbranch_execz .LBB162_11
	s_branch .LBB162_54
.LBB162_39:                             ;   in Loop: Header=BB162_12 Depth=2
	global_load_b128 v[8:11], v[40:41], off
	s_mul_i32 s8, s30, s33
	s_delay_alu instid0(SALU_CYCLE_1) | instskip(NEXT) | instid1(SALU_CYCLE_1)
	s_ashr_i32 s9, s8, 31
	v_lshl_add_u64 v[2:3], s[8:9], 4, v[36:37]
	s_add_co_i32 s8, s8, s33
	s_clause 0x1
	global_load_b128 v[12:15], v[42:43], off
	global_load_b128 v[16:19], v[44:45], off
	s_wait_dscnt 0x0
	global_load_b128 v[20:23], v[2:3], off offset:16
	s_add_co_i32 s52, s8, s33
	s_ashr_i32 s9, s8, 31
	s_ashr_i32 s53, s52, 31
	v_lshl_add_u64 v[48:49], s[8:9], 4, v[36:37]
	v_lshl_add_u64 v[78:79], s[52:53], 4, v[36:37]
	s_add_co_i32 s8, s52, s33
	s_delay_alu instid0(SALU_CYCLE_1)
	s_ashr_i32 s9, s8, 31
	s_wait_loadcnt 0x3
	scratch_store_b128 off, v[8:11], s61
	scratch_load_b128 v[8:11], off, off offset:16
	s_clause 0x4
	global_load_b128 v[58:61], v[48:49], off offset:16
	global_load_b128 v[62:65], v[78:79], off offset:16
	global_load_b128 v[66:69], v[2:3], off
	global_load_b128 v[70:73], v[48:49], off
	;; [unrolled: 1-line block ×3, first 2 shown]
	s_wait_loadcnt 0x8
	scratch_store_b128 off, v[12:15], s62
	scratch_load_b128 v[12:15], off, off offset:32
	s_wait_loadcnt 0x6
	v_mul_f64_e32 v[80:81], v[10:11], v[22:23]
	v_mul_f64_e32 v[82:83], v[8:9], v[22:23]
	s_wait_loadcnt 0x5
	v_mul_f64_e32 v[22:23], v[10:11], v[60:61]
	v_mul_f64_e32 v[84:85], v[8:9], v[60:61]
	s_wait_loadcnt 0x4
	v_mul_f64_e32 v[86:87], v[8:9], v[64:65]
	v_fma_f64 v[80:81], v[8:9], v[20:21], -v[80:81]
	v_fmac_f64_e32 v[82:83], v[10:11], v[20:21]
	v_mul_f64_e32 v[20:21], v[10:11], v[64:65]
	v_lshl_add_u64 v[64:65], s[8:9], 4, v[36:37]
	v_fma_f64 v[88:89], v[8:9], v[58:59], -v[22:23]
	v_fmac_f64_e32 v[84:85], v[10:11], v[58:59]
	v_fmac_f64_e32 v[86:87], v[10:11], v[62:63]
	v_fma_f64 v[90:91], v[8:9], v[62:63], -v[20:21]
	s_clause 0x1
	global_load_b128 v[20:23], v[64:65], off offset:16
	global_load_b128 v[58:61], v[64:65], off
	scratch_store_b128 off, v[16:19], s63
	s_wait_loadcnt 0x1
	v_mul_f64_e32 v[62:63], v[10:11], v[22:23]
	v_mul_f64_e32 v[22:23], v[8:9], v[22:23]
	s_delay_alu instid0(VALU_DEP_2) | instskip(NEXT) | instid1(VALU_DEP_2)
	v_fma_f64 v[92:93], v[8:9], v[20:21], -v[62:63]
	v_fmac_f64_e32 v[22:23], v[10:11], v[20:21]
	global_load_b128 v[8:11], v[2:3], off offset:32
	s_wait_loadcnt 0x0
	v_mul_f64_e32 v[20:21], v[14:15], v[10:11]
	v_mul_f64_e32 v[94:95], v[12:13], v[10:11]
	s_delay_alu instid0(VALU_DEP_2) | instskip(NEXT) | instid1(VALU_DEP_2)
	v_fma_f64 v[20:21], v[12:13], v[8:9], -v[20:21]
	v_fmac_f64_e32 v[94:95], v[14:15], v[8:9]
	global_load_b128 v[8:11], v[48:49], off offset:32
	;; [unrolled: 7-line block ×5, first 2 shown]
	scratch_load_b128 v[12:15], off, off offset:48
	s_wait_loadcnt 0x0
	s_wait_xcnt 0x1
	v_mul_f64_e32 v[2:3], v[14:15], v[10:11]
	v_mul_f64_e32 v[16:17], v[12:13], v[10:11]
	s_delay_alu instid0(VALU_DEP_2) | instskip(NEXT) | instid1(VALU_DEP_2)
	v_fma_f64 v[2:3], v[12:13], v[8:9], -v[2:3]
	v_fmac_f64_e32 v[16:17], v[14:15], v[8:9]
	global_load_b128 v[8:11], v[48:49], off offset:48
	s_wait_loadcnt 0x0
	v_mul_f64_e32 v[18:19], v[14:15], v[10:11]
	s_wait_xcnt 0x0
	v_mul_f64_e32 v[48:49], v[12:13], v[10:11]
	s_delay_alu instid0(VALU_DEP_2) | instskip(NEXT) | instid1(VALU_DEP_2)
	v_fma_f64 v[18:19], v[12:13], v[8:9], -v[18:19]
	v_fmac_f64_e32 v[48:49], v[14:15], v[8:9]
	global_load_b128 v[8:11], v[78:79], off offset:48
	s_wait_loadcnt 0x0
	v_mul_f64_e32 v[62:63], v[14:15], v[10:11]
	v_mul_f64_e32 v[108:109], v[12:13], v[10:11]
	s_wait_xcnt 0x0
	s_delay_alu instid0(VALU_DEP_2) | instskip(NEXT) | instid1(VALU_DEP_2)
	v_fma_f64 v[78:79], v[12:13], v[8:9], -v[62:63]
	v_fmac_f64_e32 v[108:109], v[14:15], v[8:9]
	global_load_b128 v[8:11], v[64:65], off offset:48
	s_wait_loadcnt 0x0
	v_mul_f64_e32 v[62:63], v[14:15], v[10:11]
	v_mul_f64_e32 v[112:113], v[12:13], v[10:11]
	s_delay_alu instid0(VALU_DEP_2)
	v_fma_f64 v[110:111], v[12:13], v[8:9], -v[62:63]
	global_load_b128 v[62:65], v[38:39], off
	v_fmac_f64_e32 v[112:113], v[14:15], v[8:9]
	s_wait_loadcnt 0x0
	v_mul_f64_e32 v[8:9], v[64:65], v[68:69]
	v_mul_f64_e32 v[10:11], v[62:63], v[68:69]
	;; [unrolled: 1-line block ×5, first 2 shown]
	scratch_store_b128 off, v[62:65], off
	v_fma_f64 v[8:9], v[62:63], v[66:67], -v[8:9]
	v_fmac_f64_e32 v[10:11], v[64:65], v[66:67]
	v_fma_f64 v[12:13], v[62:63], v[70:71], -v[12:13]
	v_fmac_f64_e32 v[14:15], v[64:65], v[70:71]
	v_mul_f64_e32 v[66:67], v[64:65], v[76:77]
	v_mul_f64_e32 v[70:71], v[64:65], v[60:61]
	;; [unrolled: 1-line block ×3, first 2 shown]
	v_fmac_f64_e32 v[68:69], v[64:65], v[74:75]
	v_add_f64_e32 v[8:9], 0, v[8:9]
	v_add_f64_e32 v[10:11], 0, v[10:11]
	;; [unrolled: 1-line block ×4, first 2 shown]
	v_fma_f64 v[66:67], v[62:63], v[74:75], -v[66:67]
	v_fma_f64 v[70:71], v[62:63], v[58:59], -v[70:71]
	v_fmac_f64_e32 v[60:61], v[64:65], v[58:59]
	v_add_f64_e32 v[8:9], v[8:9], v[80:81]
	v_add_f64_e32 v[10:11], v[10:11], v[82:83]
	;; [unrolled: 1-line block ×24, first 2 shown]
	s_delay_alu instid0(VALU_DEP_4) | instskip(NEXT) | instid1(VALU_DEP_4)
	v_add_f64_e32 v[16:17], v[58:59], v[78:79]
	v_add_f64_e32 v[18:19], v[60:61], v[108:109]
	s_delay_alu instid0(VALU_DEP_4) | instskip(NEXT) | instid1(VALU_DEP_4)
	v_add_f64_e32 v[20:21], v[66:67], v[110:111]
	v_add_f64_e32 v[22:23], v[22:23], v[112:113]
	s_wait_xcnt 0x0
	s_and_not1_saveexec_b32 s69, s7
	s_cbranch_execz .LBB162_14
.LBB162_40:                             ;   in Loop: Header=BB162_12 Depth=2
	s_wait_dscnt 0x0
	v_mov_b64_e32 v[20:21], 0
	v_mov_b64_e32 v[22:23], 0
	v_mov_b64_e32 v[16:17], 0
	v_mov_b64_e32 v[18:19], 0
	v_mov_b64_e32 v[12:13], 0
	v_mov_b64_e32 v[14:15], 0
	v_mov_b64_e32 v[10:11], 0
	v_mov_b64_e32 v[8:9], 0
	s_and_saveexec_b32 s70, s5
	s_cbranch_execz .LBB162_56
; %bb.41:                               ;   in Loop: Header=BB162_12 Depth=2
	s_and_not1_b32 vcc_lo, exec_lo, s60
	s_cbranch_vccnz .LBB162_55
; %bb.42:                               ;   in Loop: Header=BB162_12 Depth=2
	v_mov_b32_e32 v1, v24
	s_mov_b32 s7, 0
	s_mov_b32 s8, s58
.LBB162_43:                             ;   Parent Loop BB162_3 Depth=1
                                        ;     Parent Loop BB162_12 Depth=2
                                        ; =>    This Inner Loop Header: Depth=3
	global_load_b128 v[8:11], v1, s[48:49] scale_offset
	s_wait_xcnt 0x0
	v_add_nc_u32_e32 v1, s10, v1
	s_add_co_i32 s8, s8, -1
	s_wait_loadcnt 0x0
	scratch_store_b128 off, v[8:11], s7
	s_wait_xcnt 0x0
	s_add_co_i32 s7, s7, 16
	s_cmp_eq_u32 s8, 0
	s_cbranch_scc0 .LBB162_43
; %bb.44:                               ;   in Loop: Header=BB162_12 Depth=2
	s_ashr_i32 s7, s6, 31
	v_mov_b64_e32 v[8:9], 0
	v_mov_b64_e32 v[10:11], 0
	;; [unrolled: 1-line block ×8, first 2 shown]
	v_lshl_add_u64 v[2:3], s[6:7], 4, v[46:47]
	s_mov_b32 s7, s64
	s_mov_b32 s8, s29
	;; [unrolled: 1-line block ×5, first 2 shown]
.LBB162_45:                             ;   Parent Loop BB162_3 Depth=1
                                        ;     Parent Loop BB162_12 Depth=2
                                        ; =>    This Inner Loop Header: Depth=3
	s_ashr_i32 s55, s54, 31
	s_ashr_i32 s53, s52, 31
	;; [unrolled: 1-line block ×3, first 2 shown]
	v_lshl_add_u64 v[48:49], s[54:55], 4, v[36:37]
	s_wait_xcnt 0x1
	v_lshl_add_u64 v[70:71], s[52:53], 4, v[36:37]
	s_wait_xcnt 0x0
	v_lshl_add_u64 v[74:75], s[8:9], 4, v[36:37]
	scratch_load_b128 v[58:61], off, s7 offset:-8
	global_load_b128 v[62:65], v[2:3], off offset:-8
	s_clause 0x2
	global_load_b128 v[66:69], v[48:49], off
	global_load_b128 v[70:73], v[70:71], off
	;; [unrolled: 1-line block ×3, first 2 shown]
	s_wait_xcnt 0x3
	v_add_nc_u64_e32 v[2:3], 16, v[2:3]
	s_add_co_i32 s71, s71, -1
	s_add_co_i32 s7, s7, 16
	s_add_co_i32 s54, s54, 1
	;; [unrolled: 1-line block ×4, first 2 shown]
	s_cmp_lg_u32 s71, 0
	s_wait_loadcnt 0x3
	s_wait_xcnt 0x2
	v_mul_f64_e32 v[48:49], v[60:61], v[64:65]
	v_mul_f64_e32 v[64:65], v[58:59], v[64:65]
	s_wait_loadcnt 0x2
	v_mul_f64_e32 v[78:79], v[60:61], v[68:69]
	v_mul_f64_e32 v[68:69], v[58:59], v[68:69]
	s_wait_loadcnt 0x1
	;; [unrolled: 3-line block ×3, first 2 shown]
	v_mul_f64_e32 v[82:83], v[60:61], v[76:77]
	v_mul_f64_e32 v[76:77], v[58:59], v[76:77]
	v_fma_f64 v[48:49], v[58:59], v[62:63], -v[48:49]
	v_fmac_f64_e32 v[64:65], v[60:61], v[62:63]
	v_fma_f64 v[62:63], v[58:59], v[66:67], -v[78:79]
	v_fmac_f64_e32 v[68:69], v[60:61], v[66:67]
	;; [unrolled: 2-line block ×4, first 2 shown]
	v_add_f64_e32 v[10:11], v[10:11], v[48:49]
	v_add_f64_e32 v[8:9], v[8:9], v[64:65]
	;; [unrolled: 1-line block ×8, first 2 shown]
	s_cbranch_scc1 .LBB162_45
	s_branch .LBB162_56
.LBB162_46:                             ;   in Loop: Header=BB162_12 Depth=2
	ds_load_b128 v[8:11], v50
	s_or_b32 exec_lo, exec_lo, s7
	s_and_saveexec_b32 s7, s1
	s_cbranch_execz .LBB162_20
.LBB162_47:                             ;   in Loop: Header=BB162_12 Depth=2
	s_wait_dscnt 0x0
	ds_bpermute_b32 v2, v55, v8
	ds_bpermute_b32 v3, v55, v9
	ds_bpermute_b32 v48, v55, v10
	ds_bpermute_b32 v49, v55, v11
	s_wait_dscnt 0x2
	v_add_f64_e32 v[2:3], v[8:9], v[2:3]
	s_wait_dscnt 0x0
	v_add_f64_e32 v[8:9], v[10:11], v[48:49]
	ds_bpermute_b32 v10, v56, v2
	ds_bpermute_b32 v11, v56, v3
	ds_bpermute_b32 v48, v56, v8
	ds_bpermute_b32 v49, v56, v9
	s_wait_dscnt 0x2
	v_add_f64_e32 v[2:3], v[2:3], v[10:11]
	s_wait_dscnt 0x0
	v_add_f64_e32 v[10:11], v[8:9], v[48:49]
	;; [unrolled: 8-line block ×3, first 2 shown]
	s_or_b32 exec_lo, exec_lo, s7
	s_and_saveexec_b32 s7, s1
	s_cbranch_execnz .LBB162_21
	s_branch .LBB162_22
.LBB162_48:                             ;   in Loop: Header=BB162_12 Depth=2
	ds_load_b128 v[12:15], v50
	s_or_b32 exec_lo, exec_lo, s7
	s_and_saveexec_b32 s7, s1
	s_cbranch_execz .LBB162_26
.LBB162_49:                             ;   in Loop: Header=BB162_12 Depth=2
	s_wait_dscnt 0x0
	ds_bpermute_b32 v2, v55, v12
	ds_bpermute_b32 v3, v55, v13
	ds_bpermute_b32 v48, v55, v14
	ds_bpermute_b32 v49, v55, v15
	s_wait_dscnt 0x2
	v_add_f64_e32 v[2:3], v[12:13], v[2:3]
	s_wait_dscnt 0x0
	v_add_f64_e32 v[12:13], v[14:15], v[48:49]
	ds_bpermute_b32 v14, v56, v2
	ds_bpermute_b32 v15, v56, v3
	ds_bpermute_b32 v48, v56, v12
	ds_bpermute_b32 v49, v56, v13
	s_wait_dscnt 0x2
	v_add_f64_e32 v[2:3], v[2:3], v[14:15]
	s_wait_dscnt 0x0
	v_add_f64_e32 v[14:15], v[12:13], v[48:49]
	;; [unrolled: 8-line block ×3, first 2 shown]
	s_or_b32 exec_lo, exec_lo, s7
	s_and_saveexec_b32 s7, s1
	s_cbranch_execnz .LBB162_27
	s_branch .LBB162_28
.LBB162_50:                             ;   in Loop: Header=BB162_12 Depth=2
	ds_load_b128 v[16:19], v50
	s_or_b32 exec_lo, exec_lo, s7
	s_and_saveexec_b32 s7, s1
	s_cbranch_execz .LBB162_32
.LBB162_51:                             ;   in Loop: Header=BB162_12 Depth=2
	s_wait_dscnt 0x0
	ds_bpermute_b32 v2, v55, v16
	ds_bpermute_b32 v3, v55, v17
	ds_bpermute_b32 v48, v55, v18
	ds_bpermute_b32 v49, v55, v19
	s_wait_dscnt 0x2
	v_add_f64_e32 v[2:3], v[16:17], v[2:3]
	s_wait_dscnt 0x0
	v_add_f64_e32 v[16:17], v[18:19], v[48:49]
	ds_bpermute_b32 v18, v56, v2
	ds_bpermute_b32 v19, v56, v3
	ds_bpermute_b32 v48, v56, v16
	ds_bpermute_b32 v49, v56, v17
	s_wait_dscnt 0x2
	v_add_f64_e32 v[2:3], v[2:3], v[18:19]
	s_wait_dscnt 0x0
	v_add_f64_e32 v[18:19], v[16:17], v[48:49]
	;; [unrolled: 8-line block ×3, first 2 shown]
	s_or_b32 exec_lo, exec_lo, s7
	s_and_saveexec_b32 s7, s1
	s_cbranch_execnz .LBB162_33
	s_branch .LBB162_34
.LBB162_52:                             ;   in Loop: Header=BB162_12 Depth=2
	ds_load_b128 v[20:23], v50
	s_or_b32 exec_lo, exec_lo, s7
	s_and_saveexec_b32 s7, s1
	s_cbranch_execz .LBB162_38
.LBB162_53:                             ;   in Loop: Header=BB162_12 Depth=2
	s_wait_dscnt 0x0
	ds_bpermute_b32 v2, v55, v20
	ds_bpermute_b32 v3, v55, v21
	ds_bpermute_b32 v48, v55, v22
	ds_bpermute_b32 v49, v55, v23
	s_wait_dscnt 0x2
	v_add_f64_e32 v[2:3], v[20:21], v[2:3]
	s_wait_dscnt 0x0
	v_add_f64_e32 v[20:21], v[22:23], v[48:49]
	ds_bpermute_b32 v22, v56, v2
	ds_bpermute_b32 v23, v56, v3
	ds_bpermute_b32 v48, v56, v20
	ds_bpermute_b32 v49, v56, v21
	s_wait_dscnt 0x2
	v_add_f64_e32 v[2:3], v[2:3], v[22:23]
	s_wait_dscnt 0x0
	v_add_f64_e32 v[22:23], v[20:21], v[48:49]
	;; [unrolled: 8-line block ×3, first 2 shown]
	s_or_b32 exec_lo, exec_lo, s7
	s_and_saveexec_b32 s7, s0
	s_cbranch_execz .LBB162_11
.LBB162_54:                             ;   in Loop: Header=BB162_12 Depth=2
	s_mul_i32 s8, s30, s36
	v_mul_f64_e32 v[62:63], v[6:7], v[18:19]
	s_add_co_i32 s8, s8, s38
	s_delay_alu instid0(SALU_CYCLE_1)
	v_dual_mul_f64 v[2:3], v[6:7], v[10:11] :: v_dual_mov_b32 v1, s8
	s_add_co_i32 s9, s8, s36
	v_mul_f64_e32 v[60:61], v[4:5], v[10:11]
	s_add_co_i32 s8, s9, s36
	v_mul_f64_e32 v[48:49], v[6:7], v[14:15]
	s_wait_dscnt 0x0
	v_mul_f64_e32 v[64:65], v[6:7], v[22:23]
	s_delay_alu instid0(VALU_DEP_4)
	v_dual_fma_f64 v[58:59], v[4:5], v[8:9], -v[2:3] :: v_dual_mov_b32 v2, s9
	s_add_co_i32 s9, s8, s36
	v_mul_f64_e32 v[10:11], v[4:5], v[14:15]
	v_mul_f64_e32 v[14:15], v[4:5], v[18:19]
	;; [unrolled: 1-line block ×3, first 2 shown]
	v_fmac_f64_e32 v[60:61], v[6:7], v[8:9]
	v_dual_fma_f64 v[8:9], v[4:5], v[12:13], -v[48:49] :: v_dual_mov_b32 v3, s8
	v_fmac_f64_e32 v[10:11], v[6:7], v[12:13]
	v_fma_f64 v[12:13], v[4:5], v[16:17], -v[62:63]
	v_fmac_f64_e32 v[14:15], v[6:7], v[16:17]
	v_fma_f64 v[16:17], v[4:5], v[20:21], -v[64:65]
	v_fmac_f64_e32 v[18:19], v[6:7], v[20:21]
	v_mov_b32_e32 v20, s9
	s_clause 0x3
	global_store_b128 v1, v[58:61], s[50:51] scale_offset
	global_store_b128 v2, v[8:11], s[50:51] scale_offset
	;; [unrolled: 1-line block ×4, first 2 shown]
	s_branch .LBB162_11
.LBB162_55:                             ;   in Loop: Header=BB162_12 Depth=2
	v_mov_b64_e32 v[20:21], 0
	v_mov_b64_e32 v[22:23], 0
	;; [unrolled: 1-line block ×8, first 2 shown]
.LBB162_56:                             ;   in Loop: Header=BB162_12 Depth=2
	s_wait_xcnt 0x0
	s_or_b32 exec_lo, exec_lo, s70
	s_delay_alu instid0(SALU_CYCLE_1)
	s_or_b32 exec_lo, exec_lo, s69
	s_and_saveexec_b32 s7, s1
	s_cbranch_execnz .LBB162_15
	s_branch .LBB162_16
.LBB162_57:                             ;   in Loop: Header=BB162_3 Depth=1
	s_mov_b32 s30, 0
.LBB162_58:                             ;   in Loop: Header=BB162_3 Depth=1
	s_delay_alu instid0(SALU_CYCLE_1)
	s_cmp_ge_i32 s30, s35
	s_cbranch_scc1 .LBB162_2
; %bb.59:                               ;   in Loop: Header=BB162_3 Depth=1
	v_cmp_gt_u32_e32 vcc_lo, 24, v52
	s_add_nc_u64 s[6:7], s[50:51], s[22:23]
	s_mul_i32 s8, s33, s30
	v_cndmask_b32_e64 v1, 0, 8, vcc_lo
	v_cmp_gt_u32_e32 vcc_lo, 28, v52
	s_delay_alu instid0(VALU_DEP_2) | instskip(SKIP_2) | instid1(VALU_DEP_2)
	v_add_lshl_u32 v14, v1, v52, 2
	v_cndmask_b32_e64 v2, 0, 4, vcc_lo
	v_cmp_gt_u32_e32 vcc_lo, 30, v52
	v_add_lshl_u32 v15, v2, v52, 2
	v_cndmask_b32_e64 v3, 0, 2, vcc_lo
	v_cmp_ne_u32_e32 vcc_lo, 31, v52
	s_delay_alu instid0(VALU_DEP_2) | instskip(SKIP_2) | instid1(VALU_DEP_1)
	v_add_lshl_u32 v16, v3, v52, 2
	s_wait_dscnt 0x0
	v_add_co_ci_u32_e64 v8, null, 0, v52, vcc_lo
	v_lshlrev_b32_e32 v17, 2, v8
	s_branch .LBB162_61
.LBB162_60:                             ;   in Loop: Header=BB162_61 Depth=2
	s_wait_xcnt 0x0
	s_or_b32 exec_lo, exec_lo, s9
	s_add_co_i32 s30, s30, 1
	s_add_co_i32 s8, s8, s33
	s_cmp_lt_i32 s30, s35
	s_cbranch_scc0 .LBB162_2
.LBB162_61:                             ;   Parent Loop BB162_3 Depth=1
                                        ; =>  This Loop Header: Depth=2
                                        ;       Child Loop BB162_73 Depth 3
                                        ;       Child Loop BB162_75 Depth 3
                                        ; implicit-def: $vgpr8_vgpr9
                                        ; implicit-def: $vgpr10_vgpr11
	s_and_saveexec_b32 s9, s4
	s_delay_alu instid0(SALU_CYCLE_1)
	s_xor_b32 s9, exec_lo, s9
	s_cbranch_execnz .LBB162_70
; %bb.62:                               ;   in Loop: Header=BB162_61 Depth=2
	s_and_not1_saveexec_b32 s29, s9
	s_cbranch_execnz .LBB162_71
.LBB162_63:                             ;   in Loop: Header=BB162_61 Depth=2
	s_or_b32 exec_lo, exec_lo, s29
	s_and_saveexec_b32 s9, s1
.LBB162_64:                             ;   in Loop: Header=BB162_61 Depth=2
	v_dual_mov_b32 v1, v0 :: v_dual_mov_b32 v2, v0
	v_mov_b32_e32 v3, v0
	ds_store_b128 v50, v[0:3]
.LBB162_65:                             ;   in Loop: Header=BB162_61 Depth=2
	s_or_b32 exec_lo, exec_lo, s9
	s_wait_dscnt 0x0
	ds_bpermute_b32 v2, v53, v8
	ds_bpermute_b32 v3, v53, v9
	;; [unrolled: 1-line block ×4, first 2 shown]
	s_wait_storecnt_dscnt 0x0
	s_barrier_signal -1
	s_barrier_wait -1
	v_add_f64_e32 v[2:3], v[8:9], v[2:3]
	v_add_f64_e32 v[8:9], v[10:11], v[12:13]
	ds_bpermute_b32 v10, v14, v2
	ds_bpermute_b32 v11, v14, v3
	ds_bpermute_b32 v12, v14, v8
	ds_bpermute_b32 v13, v14, v9
	s_wait_dscnt 0x2
	v_add_f64_e32 v[2:3], v[2:3], v[10:11]
	s_wait_dscnt 0x0
	v_add_f64_e32 v[8:9], v[8:9], v[12:13]
	ds_bpermute_b32 v10, v15, v2
	ds_bpermute_b32 v11, v15, v3
	ds_bpermute_b32 v12, v15, v8
	ds_bpermute_b32 v13, v15, v9
	s_wait_dscnt 0x2
	v_add_f64_e32 v[2:3], v[2:3], v[10:11]
	s_wait_dscnt 0x0
	v_add_f64_e32 v[8:9], v[8:9], v[12:13]
	ds_bpermute_b32 v10, v16, v2
	ds_bpermute_b32 v11, v16, v3
	ds_bpermute_b32 v12, v16, v8
	ds_bpermute_b32 v13, v16, v9
	s_wait_dscnt 0x2
	v_add_f64_e32 v[2:3], v[2:3], v[10:11]
	s_wait_dscnt 0x0
	v_add_f64_e32 v[10:11], v[8:9], v[12:13]
	ds_bpermute_b32 v8, v17, v2
	ds_bpermute_b32 v9, v17, v3
	;; [unrolled: 1-line block ×4, first 2 shown]
	s_and_saveexec_b32 s9, s3
	s_cbranch_execz .LBB162_67
; %bb.66:                               ;   in Loop: Header=BB162_61 Depth=2
	s_wait_dscnt 0x0
	v_add_f64_e32 v[10:11], v[10:11], v[12:13]
	v_add_f64_e32 v[8:9], v[2:3], v[8:9]
	ds_store_b128 v51, v[8:11]
.LBB162_67:                             ;   in Loop: Header=BB162_61 Depth=2
	s_or_b32 exec_lo, exec_lo, s9
	v_mov_b64_e32 v[10:11], 0
	s_wait_dscnt 0x2
	v_mov_b64_e32 v[8:9], 0
	s_wait_dscnt 0x0
	s_barrier_signal -1
	s_barrier_wait -1
	s_and_saveexec_b32 s9, s2
	s_cbranch_execnz .LBB162_77
; %bb.68:                               ;   in Loop: Header=BB162_61 Depth=2
	s_or_b32 exec_lo, exec_lo, s9
	s_and_saveexec_b32 s9, s1
	s_cbranch_execnz .LBB162_78
.LBB162_69:                             ;   in Loop: Header=BB162_61 Depth=2
	s_or_b32 exec_lo, exec_lo, s9
	s_and_saveexec_b32 s9, s0
	s_cbranch_execz .LBB162_60
	s_branch .LBB162_79
.LBB162_70:                             ;   in Loop: Header=BB162_61 Depth=2
	s_wait_dscnt 0x0
	global_load_b128 v[8:11], v[40:41], off
	s_wait_dscnt 0x0
	s_clause 0x1
	global_load_b128 v[18:21], v[42:43], off
	global_load_b128 v[54:57], v[44:45], off
	s_mul_i32 s50, s30, s33
	s_delay_alu instid0(SALU_CYCLE_1) | instskip(NEXT) | instid1(SALU_CYCLE_1)
	s_ashr_i32 s51, s50, 31
	v_lshl_add_u64 v[2:3], s[50:51], 4, v[36:37]
	global_load_b128 v[58:61], v[38:39], off
	s_clause 0x1
	global_load_b128 v[62:65], v[2:3], off
	global_load_b128 v[66:69], v[2:3], off offset:16
	s_wait_loadcnt 0x5
	scratch_store_b128 off, v[8:11], s61
	s_wait_loadcnt 0x4
	scratch_store_b128 off, v[18:21], s62
	s_clause 0x1
	scratch_load_b128 v[8:11], off, off offset:16
	scratch_load_b128 v[18:21], off, off offset:32
	s_clause 0x1
	global_load_b128 v[70:73], v[2:3], off offset:32
	global_load_b128 v[74:77], v[2:3], off offset:48
	s_wait_loadcnt 0x7
	scratch_store_b128 off, v[54:57], s63
	scratch_load_b128 v[54:57], off, off offset:48
	s_wait_loadcnt 0x7
	scratch_store_b128 off, v[58:61], off
	s_wait_loadcnt 0x6
	v_mul_f64_e32 v[2:3], v[64:65], v[60:61]
	v_mul_f64_e32 v[12:13], v[62:63], v[60:61]
	s_delay_alu instid0(VALU_DEP_2) | instskip(NEXT) | instid1(VALU_DEP_2)
	v_fma_f64 v[2:3], v[62:63], v[58:59], -v[2:3]
	v_fmac_f64_e32 v[12:13], v[64:65], v[58:59]
	s_delay_alu instid0(VALU_DEP_2) | instskip(NEXT) | instid1(VALU_DEP_2)
	v_add_f64_e32 v[2:3], 0, v[2:3]
	v_add_f64_e32 v[12:13], 0, v[12:13]
	s_wait_loadcnt 0x4
	v_mul_f64_e32 v[22:23], v[68:69], v[10:11]
	v_mul_f64_e32 v[10:11], v[66:67], v[10:11]
	s_wait_loadcnt 0x2
	v_mul_f64_e32 v[48:49], v[72:73], v[20:21]
	v_mul_f64_e32 v[20:21], v[70:71], v[20:21]
	s_delay_alu instid0(VALU_DEP_4) | instskip(NEXT) | instid1(VALU_DEP_4)
	v_fma_f64 v[22:23], v[66:67], v[8:9], -v[22:23]
	v_fmac_f64_e32 v[10:11], v[68:69], v[8:9]
	s_wait_loadcnt 0x0
	v_mul_f64_e32 v[8:9], v[76:77], v[56:57]
	v_mul_f64_e32 v[56:57], v[74:75], v[56:57]
	v_fma_f64 v[48:49], v[70:71], v[18:19], -v[48:49]
	v_fmac_f64_e32 v[20:21], v[72:73], v[18:19]
	v_add_f64_e32 v[2:3], v[2:3], v[22:23]
	v_add_f64_e32 v[10:11], v[12:13], v[10:11]
	v_fma_f64 v[8:9], v[74:75], v[54:55], -v[8:9]
	v_fmac_f64_e32 v[56:57], v[76:77], v[54:55]
	s_delay_alu instid0(VALU_DEP_4) | instskip(NEXT) | instid1(VALU_DEP_4)
	v_add_f64_e32 v[2:3], v[2:3], v[48:49]
	v_add_f64_e32 v[10:11], v[10:11], v[20:21]
	s_delay_alu instid0(VALU_DEP_2) | instskip(NEXT) | instid1(VALU_DEP_2)
	v_add_f64_e32 v[8:9], v[2:3], v[8:9]
	v_add_f64_e32 v[10:11], v[10:11], v[56:57]
	s_wait_xcnt 0x0
	s_and_not1_saveexec_b32 s29, s9
	s_cbranch_execz .LBB162_63
.LBB162_71:                             ;   in Loop: Header=BB162_61 Depth=2
	s_wait_dscnt 0x0
	v_mov_b64_e32 v[8:9], 0
	v_mov_b64_e32 v[10:11], 0
	s_and_saveexec_b32 s50, s34
	s_cbranch_execz .LBB162_76
; %bb.72:                               ;   in Loop: Header=BB162_61 Depth=2
	v_mov_b32_e32 v1, v24
	s_mov_b32 s9, 0
	s_mov_b32 s51, s58
.LBB162_73:                             ;   Parent Loop BB162_3 Depth=1
                                        ;     Parent Loop BB162_61 Depth=2
                                        ; =>    This Inner Loop Header: Depth=3
	global_load_b128 v[8:11], v1, s[48:49] scale_offset
	s_wait_xcnt 0x0
	v_add_nc_u32_e32 v1, s10, v1
	s_add_co_i32 s51, s51, -1
	s_wait_loadcnt 0x0
	scratch_store_b128 off, v[8:11], s9
	s_wait_xcnt 0x0
	s_add_co_i32 s9, s9, 16
	s_cmp_eq_u32 s51, 0
	s_cbranch_scc0 .LBB162_73
; %bb.74:                               ;   in Loop: Header=BB162_61 Depth=2
	s_ashr_i32 s9, s8, 31
	v_mov_b64_e32 v[8:9], 0
	v_mov_b64_e32 v[10:11], 0
	v_lshl_add_u64 v[2:3], s[8:9], 4, v[46:47]
	s_mov_b32 s9, s64
	s_mov_b32 s51, s58
.LBB162_75:                             ;   Parent Loop BB162_3 Depth=1
                                        ;     Parent Loop BB162_61 Depth=2
                                        ; =>    This Inner Loop Header: Depth=3
	s_wait_dscnt 0x0
	global_load_b128 v[18:21], v[2:3], off offset:-8
	scratch_load_b128 v[54:57], off, s9 offset:-8
	s_wait_xcnt 0x1
	v_add_nc_u64_e32 v[2:3], 16, v[2:3]
	s_add_co_i32 s51, s51, -1
	s_wait_xcnt 0x0
	s_add_co_i32 s9, s9, 16
	s_cmp_lg_u32 s51, 0
	s_wait_loadcnt 0x0
	v_mul_f64_e32 v[12:13], v[20:21], v[56:57]
	v_mul_f64_e32 v[22:23], v[18:19], v[56:57]
	s_delay_alu instid0(VALU_DEP_2) | instskip(NEXT) | instid1(VALU_DEP_2)
	v_fma_f64 v[12:13], v[18:19], v[54:55], -v[12:13]
	v_fmac_f64_e32 v[22:23], v[20:21], v[54:55]
	s_delay_alu instid0(VALU_DEP_2) | instskip(NEXT) | instid1(VALU_DEP_2)
	v_add_f64_e32 v[8:9], v[8:9], v[12:13]
	v_add_f64_e32 v[10:11], v[10:11], v[22:23]
	s_cbranch_scc1 .LBB162_75
.LBB162_76:                             ;   in Loop: Header=BB162_61 Depth=2
	s_or_b32 exec_lo, exec_lo, s50
	s_delay_alu instid0(SALU_CYCLE_1)
	s_or_b32 exec_lo, exec_lo, s29
	s_and_saveexec_b32 s9, s1
	s_cbranch_execnz .LBB162_64
	s_branch .LBB162_65
.LBB162_77:                             ;   in Loop: Header=BB162_61 Depth=2
	ds_load_b128 v[8:11], v50
	s_or_b32 exec_lo, exec_lo, s9
	s_and_saveexec_b32 s9, s1
	s_cbranch_execz .LBB162_69
.LBB162_78:                             ;   in Loop: Header=BB162_61 Depth=2
	s_wait_dscnt 0x0
	ds_bpermute_b32 v2, v15, v8
	ds_bpermute_b32 v3, v15, v9
	ds_bpermute_b32 v12, v15, v10
	ds_bpermute_b32 v13, v15, v11
	s_wait_dscnt 0x2
	v_add_f64_e32 v[2:3], v[8:9], v[2:3]
	s_wait_dscnt 0x0
	v_add_f64_e32 v[8:9], v[10:11], v[12:13]
	ds_bpermute_b32 v10, v16, v2
	ds_bpermute_b32 v11, v16, v3
	ds_bpermute_b32 v12, v16, v8
	ds_bpermute_b32 v13, v16, v9
	s_wait_dscnt 0x2
	v_add_f64_e32 v[2:3], v[2:3], v[10:11]
	s_wait_dscnt 0x0
	v_add_f64_e32 v[10:11], v[8:9], v[12:13]
	;; [unrolled: 8-line block ×3, first 2 shown]
	s_or_b32 exec_lo, exec_lo, s9
	s_and_saveexec_b32 s9, s0
	s_cbranch_execz .LBB162_60
.LBB162_79:                             ;   in Loop: Header=BB162_61 Depth=2
	s_wait_dscnt 0x0
	s_delay_alu instid0(VALU_DEP_1) | instskip(SKIP_2) | instid1(SALU_CYCLE_1)
	v_mul_f64_e32 v[2:3], v[6:7], v[10:11]
	v_mul_f64_e32 v[12:13], v[4:5], v[10:11]
	s_mul_u64 s[50:51], s[30:31], s[36:37]
	s_lshl_b64 s[50:51], s[50:51], 4
	s_delay_alu instid0(SALU_CYCLE_1) | instskip(NEXT) | instid1(VALU_DEP_2)
	s_add_nc_u64 s[50:51], s[6:7], s[50:51]
	v_fma_f64 v[10:11], v[4:5], v[8:9], -v[2:3]
	s_delay_alu instid0(VALU_DEP_2)
	v_fmac_f64_e32 v[12:13], v[6:7], v[8:9]
	global_store_b128 v0, v[10:13], s[50:51]
	s_branch .LBB162_60
.LBB162_80:
	s_sendmsg sendmsg(MSG_DEALLOC_VGPRS)
	s_endpgm
	.section	.rodata,"a",@progbits
	.p2align	6, 0x0
	.amdhsa_kernel _ZL23rocblas_gemvt_sn_kernelILb0ELi256ELi4Ei19rocblas_complex_numIdEPKS1_S1_EviiT4_lPKT3_lilS7_lilPT5_i
		.amdhsa_group_segment_fixed_size 512
		.amdhsa_private_segment_fixed_size 80
		.amdhsa_kernarg_size 360
		.amdhsa_user_sgpr_count 2
		.amdhsa_user_sgpr_dispatch_ptr 0
		.amdhsa_user_sgpr_queue_ptr 0
		.amdhsa_user_sgpr_kernarg_segment_ptr 1
		.amdhsa_user_sgpr_dispatch_id 0
		.amdhsa_user_sgpr_kernarg_preload_length 0
		.amdhsa_user_sgpr_kernarg_preload_offset 0
		.amdhsa_user_sgpr_private_segment_size 0
		.amdhsa_wavefront_size32 1
		.amdhsa_uses_dynamic_stack 0
		.amdhsa_enable_private_segment 1
		.amdhsa_system_sgpr_workgroup_id_x 1
		.amdhsa_system_sgpr_workgroup_id_y 0
		.amdhsa_system_sgpr_workgroup_id_z 1
		.amdhsa_system_sgpr_workgroup_info 0
		.amdhsa_system_vgpr_workitem_id 0
		.amdhsa_next_free_vgpr 114
		.amdhsa_next_free_sgpr 72
		.amdhsa_named_barrier_count 0
		.amdhsa_reserve_vcc 1
		.amdhsa_float_round_mode_32 0
		.amdhsa_float_round_mode_16_64 0
		.amdhsa_float_denorm_mode_32 3
		.amdhsa_float_denorm_mode_16_64 3
		.amdhsa_fp16_overflow 0
		.amdhsa_memory_ordered 1
		.amdhsa_forward_progress 1
		.amdhsa_inst_pref_size 49
		.amdhsa_round_robin_scheduling 0
		.amdhsa_exception_fp_ieee_invalid_op 0
		.amdhsa_exception_fp_denorm_src 0
		.amdhsa_exception_fp_ieee_div_zero 0
		.amdhsa_exception_fp_ieee_overflow 0
		.amdhsa_exception_fp_ieee_underflow 0
		.amdhsa_exception_fp_ieee_inexact 0
		.amdhsa_exception_int_div_zero 0
	.end_amdhsa_kernel
	.section	.text._ZL23rocblas_gemvt_sn_kernelILb0ELi256ELi4Ei19rocblas_complex_numIdEPKS1_S1_EviiT4_lPKT3_lilS7_lilPT5_i,"axG",@progbits,_ZL23rocblas_gemvt_sn_kernelILb0ELi256ELi4Ei19rocblas_complex_numIdEPKS1_S1_EviiT4_lPKT3_lilS7_lilPT5_i,comdat
.Lfunc_end162:
	.size	_ZL23rocblas_gemvt_sn_kernelILb0ELi256ELi4Ei19rocblas_complex_numIdEPKS1_S1_EviiT4_lPKT3_lilS7_lilPT5_i, .Lfunc_end162-_ZL23rocblas_gemvt_sn_kernelILb0ELi256ELi4Ei19rocblas_complex_numIdEPKS1_S1_EviiT4_lPKT3_lilS7_lilPT5_i
                                        ; -- End function
	.set _ZL23rocblas_gemvt_sn_kernelILb0ELi256ELi4Ei19rocblas_complex_numIdEPKS1_S1_EviiT4_lPKT3_lilS7_lilPT5_i.num_vgpr, 114
	.set _ZL23rocblas_gemvt_sn_kernelILb0ELi256ELi4Ei19rocblas_complex_numIdEPKS1_S1_EviiT4_lPKT3_lilS7_lilPT5_i.num_agpr, 0
	.set _ZL23rocblas_gemvt_sn_kernelILb0ELi256ELi4Ei19rocblas_complex_numIdEPKS1_S1_EviiT4_lPKT3_lilS7_lilPT5_i.numbered_sgpr, 72
	.set _ZL23rocblas_gemvt_sn_kernelILb0ELi256ELi4Ei19rocblas_complex_numIdEPKS1_S1_EviiT4_lPKT3_lilS7_lilPT5_i.num_named_barrier, 0
	.set _ZL23rocblas_gemvt_sn_kernelILb0ELi256ELi4Ei19rocblas_complex_numIdEPKS1_S1_EviiT4_lPKT3_lilS7_lilPT5_i.private_seg_size, 80
	.set _ZL23rocblas_gemvt_sn_kernelILb0ELi256ELi4Ei19rocblas_complex_numIdEPKS1_S1_EviiT4_lPKT3_lilS7_lilPT5_i.uses_vcc, 1
	.set _ZL23rocblas_gemvt_sn_kernelILb0ELi256ELi4Ei19rocblas_complex_numIdEPKS1_S1_EviiT4_lPKT3_lilS7_lilPT5_i.uses_flat_scratch, 1
	.set _ZL23rocblas_gemvt_sn_kernelILb0ELi256ELi4Ei19rocblas_complex_numIdEPKS1_S1_EviiT4_lPKT3_lilS7_lilPT5_i.has_dyn_sized_stack, 0
	.set _ZL23rocblas_gemvt_sn_kernelILb0ELi256ELi4Ei19rocblas_complex_numIdEPKS1_S1_EviiT4_lPKT3_lilS7_lilPT5_i.has_recursion, 0
	.set _ZL23rocblas_gemvt_sn_kernelILb0ELi256ELi4Ei19rocblas_complex_numIdEPKS1_S1_EviiT4_lPKT3_lilS7_lilPT5_i.has_indirect_call, 0
	.section	.AMDGPU.csdata,"",@progbits
; Kernel info:
; codeLenInByte = 6168
; TotalNumSgprs: 74
; NumVgprs: 114
; ScratchSize: 80
; MemoryBound: 0
; FloatMode: 240
; IeeeMode: 1
; LDSByteSize: 512 bytes/workgroup (compile time only)
; SGPRBlocks: 0
; VGPRBlocks: 7
; NumSGPRsForWavesPerEU: 74
; NumVGPRsForWavesPerEU: 114
; NamedBarCnt: 0
; Occupancy: 8
; WaveLimiterHint : 0
; COMPUTE_PGM_RSRC2:SCRATCH_EN: 1
; COMPUTE_PGM_RSRC2:USER_SGPR: 2
; COMPUTE_PGM_RSRC2:TRAP_HANDLER: 0
; COMPUTE_PGM_RSRC2:TGID_X_EN: 1
; COMPUTE_PGM_RSRC2:TGID_Y_EN: 0
; COMPUTE_PGM_RSRC2:TGID_Z_EN: 1
; COMPUTE_PGM_RSRC2:TIDIG_COMP_CNT: 0
	.section	.text._ZL23rocblas_gemvt_sn_kernelILb0ELi256ELi4El19rocblas_complex_numIdEPKS1_S1_EviiT4_lPKT3_lilS7_lilPT5_i,"axG",@progbits,_ZL23rocblas_gemvt_sn_kernelILb0ELi256ELi4El19rocblas_complex_numIdEPKS1_S1_EviiT4_lPKT3_lilS7_lilPT5_i,comdat
	.globl	_ZL23rocblas_gemvt_sn_kernelILb0ELi256ELi4El19rocblas_complex_numIdEPKS1_S1_EviiT4_lPKT3_lilS7_lilPT5_i ; -- Begin function _ZL23rocblas_gemvt_sn_kernelILb0ELi256ELi4El19rocblas_complex_numIdEPKS1_S1_EviiT4_lPKT3_lilS7_lilPT5_i
	.p2align	8
	.type	_ZL23rocblas_gemvt_sn_kernelILb0ELi256ELi4El19rocblas_complex_numIdEPKS1_S1_EviiT4_lPKT3_lilS7_lilPT5_i,@function
_ZL23rocblas_gemvt_sn_kernelILb0ELi256ELi4El19rocblas_complex_numIdEPKS1_S1_EviiT4_lPKT3_lilS7_lilPT5_i: ; @_ZL23rocblas_gemvt_sn_kernelILb0ELi256ELi4El19rocblas_complex_numIdEPKS1_S1_EviiT4_lPKT3_lilS7_lilPT5_i
; %bb.0:
	s_load_b32 s33, s[0:1], 0x60
	s_bfe_u32 s2, ttmp6, 0x40014
	s_lshr_b32 s3, ttmp7, 16
	s_add_co_i32 s2, s2, 1
	s_bfe_u32 s4, ttmp6, 0x40008
	s_mul_i32 s2, s3, s2
	s_getreg_b32 s7, hwreg(HW_REG_IB_STS2, 6, 4)
	s_add_co_i32 s4, s4, s2
	s_cmp_eq_u32 s7, 0
	s_mov_b32 s29, 0
	s_cselect_b32 s10, s3, s4
	s_wait_kmcnt 0x0
	s_cmp_ge_u32 s10, s33
	s_cbranch_scc1 .LBB163_80
; %bb.1:
	s_clause 0x6
	s_load_b32 s30, s[0:1], 0x28
	s_load_b96 s[4:6], s[0:1], 0x40
	s_load_b256 s[12:19], s[0:1], 0x8
	s_load_b64 s[34:35], s[0:1], 0x0
	s_load_b128 s[20:23], s[0:1], 0x30
	s_load_b128 s[24:27], s[0:1], 0x50
	s_load_b32 s36, s[0:1], 0x68
	s_wait_xcnt 0x0
	v_cmp_eq_u32_e64 s0, 0, v0
	v_dual_lshrrev_b32 v2, 1, v0 :: v_dual_bitop2_b32 v1, 31, v0 bitop3:0x40
	v_cmp_gt_u32_e64 s1, 32, v0
	v_cmp_gt_u32_e64 s2, 8, v0
	v_mbcnt_lo_u32_b32 v96, -1, 0
	s_delay_alu instid0(VALU_DEP_4)
	v_cmp_eq_u32_e64 s3, 0, v1
	v_and_b32_e32 v98, 0x70, v2
	s_mov_b32 s37, s29
	s_mov_b32 s63, 16
	v_lshl_or_b32 v99, v96, 2, 64
	s_mov_b32 s64, 32
	s_mov_b32 s65, 48
	s_wait_kmcnt 0x0
	s_ashr_i32 s31, s30, 31
	s_ashr_i32 s9, s6, 31
	s_lshl_b64 s[4:5], s[4:5], 4
	s_lshl_b64 s[38:39], s[18:19], 4
	s_ashr_i32 s41, s35, 31
	s_cmp_gt_i32 s35, 0
	s_mov_b32 s40, s35
	s_cselect_b32 s8, -1, 0
	s_bfe_u32 s11, ttmp6, 0x4000c
	s_and_b32 s18, ttmp6, 15
	s_add_co_i32 s11, s11, 1
	s_and_b32 s58, s0, s8
	s_mul_i32 s11, ttmp9, s11
	s_mov_b32 s8, s6
	s_add_co_i32 s18, s18, s11
	s_cmp_eq_u32 s7, 0
	s_cselect_b32 s28, ttmp9, s18
	s_add_nc_u64 s[18:19], s[22:23], s[4:5]
	s_lshl_b32 s6, s28, 10
	s_ashr_i32 s5, s34, 31
	v_lshl_or_b32 v0, v0, 2, s6
	v_lshlrev_b32_e32 v97, 4, v1
	s_lshr_b32 s5, s5, 30
	s_add_nc_u64 s[6:7], s[16:17], s[38:39]
	s_add_co_i32 s5, s34, s5
	v_dual_ashrrev_i32 v1, 31, v0 :: v_dual_bitop2_b32 v6, 3, v0 bitop3:0x54
	v_or_b32_e32 v2, 1, v0
	s_and_b32 s5, s5, -4
	s_lshr_b32 s4, s41, 30
	s_delay_alu instid0(VALU_DEP_2) | instskip(NEXT) | instid1(VALU_DEP_2)
	v_dual_ashrrev_i32 v7, 31, v6 :: v_dual_bitop2_b32 v4, 2, v0 bitop3:0x54
	v_ashrrev_i32_e32 v3, 31, v2
	v_mul_u64_e32 v[24:25], s[8:9], v[0:1]
	s_sub_co_i32 s60, s34, s5
	v_lshl_add_u64 v[32:33], v[0:1], 4, s[6:7]
	v_ashrrev_i32_e32 v5, 31, v4
	v_mul_u64_e32 v[26:27], s[8:9], v[2:3]
	v_add_nc_u32_e32 v2, 4, v0
	v_mul_u64_e32 v[30:31], s[8:9], v[6:7]
	v_dual_mov_b32 v0, 0 :: v_dual_add_nc_u32 v3, s60, v0
	v_mul_u64_e32 v[28:29], s[8:9], v[4:5]
	s_add_co_i32 s4, s35, s4
	v_cmp_ge_i32_e64 s5, s34, v2
	s_and_b32 s59, s4, -4
	v_cmp_ge_i32_e64 s4, s34, v3
	s_cmp_gt_i32 s59, 0
	s_mul_u64 s[16:17], s[40:41], s[36:37]
	s_cselect_b32 s61, -1, 0
	s_cmp_gt_i32 s60, 0
	s_cselect_b32 s62, -1, 0
	s_lshl_b64 s[22:23], s[28:29], 4
	s_or_b32 s66, 0, 8
	s_add_nc_u64 s[6:7], s[26:27], s[22:23]
	s_lshl_b64 s[38:39], s[16:17], 4
	s_lshl_b64 s[40:41], s[36:37], 4
	;; [unrolled: 1-line block ×3, first 2 shown]
	s_add_nc_u64 s[44:45], s[6:7], 8
	s_and_b32 s34, s62, s4
	s_lshl_b64 s[46:47], s[8:9], 4
	s_lshl_b64 s[48:49], s[20:21], 4
	s_lshl_b64 s[50:51], s[30:31], 6
	s_lshl_b64 s[52:53], s[30:31], 4
	v_lshl_add_u64 v[34:35], v[24:25], 4, s[18:19]
	s_branch .LBB163_3
.LBB163_2:                              ;   in Loop: Header=BB163_3 Depth=1
	s_add_co_i32 s10, s10, 0x10000
	s_delay_alu instid0(SALU_CYCLE_1)
	s_cmp_lt_u32 s10, s33
	s_cbranch_scc0 .LBB163_80
.LBB163_3:                              ; =>This Loop Header: Depth=1
                                        ;     Child Loop BB163_6 Depth 2
                                        ;     Child Loop BB163_12 Depth 2
                                        ;       Child Loop BB163_43 Depth 3
                                        ;       Child Loop BB163_45 Depth 3
                                        ;     Child Loop BB163_61 Depth 2
                                        ;       Child Loop BB163_73 Depth 3
                                        ;       Child Loop BB163_75 Depth 3
	s_mov_b32 s11, s29
	s_delay_alu instid0(SALU_CYCLE_1) | instskip(NEXT) | instid1(SALU_CYCLE_1)
	s_mul_u64 s[6:7], s[14:15], s[10:11]
	s_lshl_b64 s[6:7], s[6:7], 4
	s_delay_alu instid0(SALU_CYCLE_1)
	s_add_nc_u64 s[6:7], s[12:13], s[6:7]
	global_load_b128 v[4:7], v0, s[6:7]
	s_wait_loadcnt 0x0
	v_cmp_neq_f64_e32 vcc_lo, 0, v[4:5]
	s_wait_xcnt 0x0
	v_cmp_neq_f64_e64 s6, 0, v[6:7]
	s_or_b32 s6, vcc_lo, s6
	s_delay_alu instid0(SALU_CYCLE_1)
	s_and_b32 vcc_lo, exec_lo, s6
	s_mov_b32 s6, -1
	s_cbranch_vccnz .LBB163_8
; %bb.4:                                ;   in Loop: Header=BB163_3 Depth=1
	s_and_saveexec_b32 s8, s58
	s_cbranch_execz .LBB163_7
; %bb.5:                                ;   in Loop: Header=BB163_3 Depth=1
	s_mul_u64 s[6:7], s[38:39], s[10:11]
	s_mov_b32 s9, s35
	s_add_nc_u64 s[6:7], s[44:45], s[6:7]
.LBB163_6:                              ;   Parent Loop BB163_3 Depth=1
                                        ; =>  This Inner Loop Header: Depth=2
	v_dual_mov_b32 v1, v0 :: v_dual_mov_b32 v2, v0
	v_mov_b32_e32 v3, v0
	s_add_co_i32 s9, s9, -1
	s_delay_alu instid0(SALU_CYCLE_1)
	s_cmp_eq_u32 s9, 0
	global_store_b128 v0, v[0:3], s[6:7] offset:-8
	s_wait_xcnt 0x0
	s_add_nc_u64 s[6:7], s[6:7], s[40:41]
	s_cbranch_scc0 .LBB163_6
.LBB163_7:                              ;   in Loop: Header=BB163_3 Depth=1
	s_or_b32 exec_lo, exec_lo, s8
	s_mov_b32 s6, 0
.LBB163_8:                              ;   in Loop: Header=BB163_3 Depth=1
	s_delay_alu instid0(SALU_CYCLE_1)
	s_and_not1_b32 vcc_lo, exec_lo, s6
	s_cbranch_vccnz .LBB163_2
; %bb.9:                                ;   in Loop: Header=BB163_3 Depth=1
	v_mad_nc_u64_u32 v[36:37], s42, s10, v[34:35]
	s_mul_u64 s[6:7], s[24:25], s[10:11]
	s_mul_u64 s[8:9], s[16:17], s[10:11]
	s_lshl_b64 s[6:7], s[6:7], 4
	s_mul_u64 s[54:55], s[20:21], s[10:11]
	s_add_nc_u64 s[6:7], s[18:19], s[6:7]
	s_lshl_b64 s[68:69], s[8:9], 4
	v_lshl_add_u64 v[38:39], s[54:55], 4, v[32:33]
	v_lshl_add_u64 v[40:41], v[24:25], 4, s[6:7]
	;; [unrolled: 1-line block ×4, first 2 shown]
	v_mad_u32 v37, s43, s10, v37
	v_lshl_add_u64 v[46:47], v[30:31], 4, s[6:7]
	v_cmp_gt_u32_e64 s9, 24, v96
	v_cmp_gt_u32_e64 s8, 28, v96
	;; [unrolled: 1-line block ×3, first 2 shown]
	v_cmp_ne_u32_e64 s6, 31, v96
	s_add_nc_u64 s[54:55], s[26:27], s[68:69]
	s_mul_u64 s[56:57], s[48:49], s[10:11]
	s_and_not1_b32 vcc_lo, exec_lo, s61
	s_add_nc_u64 s[54:55], s[54:55], s[22:23]
	s_cbranch_vccnz .LBB163_57
; %bb.10:                               ;   in Loop: Header=BB163_3 Depth=1
	v_cndmask_b32_e64 v1, 0, 8, s9
	v_cndmask_b32_e64 v2, 0, 4, s8
	;; [unrolled: 1-line block ×3, first 2 shown]
	s_wait_dscnt 0x0
	v_add_co_ci_u32_e64 v8, null, 0, v96, s6
	v_add_nc_u64_e32 v[48:49], s[56:57], v[32:33]
	v_add_lshl_u32 v100, v1, v96, 2
	v_add_lshl_u32 v101, v2, v96, 2
	;; [unrolled: 1-line block ×3, first 2 shown]
	v_lshlrev_b32_e32 v103, 2, v8
	s_mov_b32 s28, 0
	s_branch .LBB163_12
.LBB163_11:                             ;   in Loop: Header=BB163_12 Depth=2
	s_wait_xcnt 0x0
	s_or_b32 exec_lo, exec_lo, s6
	v_add_nc_u64_e32 v[48:49], s[50:51], v[48:49]
	s_add_co_i32 s28, s28, 4
	s_delay_alu instid0(SALU_CYCLE_1)
	s_cmp_ge_i32 s28, s59
	s_cbranch_scc1 .LBB163_58
.LBB163_12:                             ;   Parent Loop BB163_3 Depth=1
                                        ; =>  This Loop Header: Depth=2
                                        ;       Child Loop BB163_43 Depth 3
                                        ;       Child Loop BB163_45 Depth 3
                                        ; implicit-def: $vgpr20_vgpr21
                                        ; implicit-def: $vgpr22_vgpr23
                                        ; implicit-def: $vgpr16_vgpr17
                                        ; implicit-def: $vgpr18_vgpr19
                                        ; implicit-def: $vgpr12_vgpr13
                                        ; implicit-def: $vgpr14_vgpr15
                                        ; implicit-def: $vgpr10_vgpr11
                                        ; implicit-def: $vgpr8_vgpr9
	s_and_saveexec_b32 s6, s5
	s_delay_alu instid0(SALU_CYCLE_1)
	s_xor_b32 s6, exec_lo, s6
	s_cbranch_execnz .LBB163_39
; %bb.13:                               ;   in Loop: Header=BB163_12 Depth=2
	s_and_not1_saveexec_b32 s6, s6
	s_cbranch_execnz .LBB163_40
.LBB163_14:                             ;   in Loop: Header=BB163_12 Depth=2
	s_or_b32 exec_lo, exec_lo, s6
	s_and_saveexec_b32 s6, s1
.LBB163_15:                             ;   in Loop: Header=BB163_12 Depth=2
	v_dual_mov_b32 v1, v0 :: v_dual_mov_b32 v2, v0
	v_mov_b32_e32 v3, v0
	ds_store_b128 v97, v[0:3]
.LBB163_16:                             ;   in Loop: Header=BB163_12 Depth=2
	s_or_b32 exec_lo, exec_lo, s6
	ds_bpermute_b32 v2, v99, v10
	ds_bpermute_b32 v3, v99, v11
	;; [unrolled: 1-line block ×4, first 2 shown]
	s_wait_storecnt_dscnt 0x0
	s_barrier_signal -1
	s_barrier_wait -1
	v_add_f64_e32 v[2:3], v[10:11], v[2:3]
	v_add_f64_e32 v[8:9], v[8:9], v[50:51]
	ds_bpermute_b32 v10, v100, v2
	ds_bpermute_b32 v11, v100, v3
	ds_bpermute_b32 v50, v100, v8
	ds_bpermute_b32 v51, v100, v9
	s_wait_dscnt 0x2
	v_add_f64_e32 v[2:3], v[2:3], v[10:11]
	s_wait_dscnt 0x0
	v_add_f64_e32 v[8:9], v[8:9], v[50:51]
	ds_bpermute_b32 v10, v101, v2
	ds_bpermute_b32 v11, v101, v3
	ds_bpermute_b32 v50, v101, v8
	ds_bpermute_b32 v51, v101, v9
	s_wait_dscnt 0x2
	v_add_f64_e32 v[2:3], v[2:3], v[10:11]
	s_wait_dscnt 0x0
	;; [unrolled: 8-line block ×3, first 2 shown]
	v_add_f64_e32 v[10:11], v[8:9], v[50:51]
	ds_bpermute_b32 v8, v103, v2
	ds_bpermute_b32 v9, v103, v3
	;; [unrolled: 1-line block ×4, first 2 shown]
	s_and_saveexec_b32 s6, s3
	s_cbranch_execz .LBB163_18
; %bb.17:                               ;   in Loop: Header=BB163_12 Depth=2
	s_wait_dscnt 0x0
	v_add_f64_e32 v[10:11], v[10:11], v[50:51]
	v_add_f64_e32 v[8:9], v[2:3], v[8:9]
	ds_store_b128 v98, v[8:11]
.LBB163_18:                             ;   in Loop: Header=BB163_12 Depth=2
	s_or_b32 exec_lo, exec_lo, s6
	v_mov_b64_e32 v[10:11], 0
	s_wait_dscnt 0x2
	v_mov_b64_e32 v[8:9], 0
	s_wait_dscnt 0x0
	s_barrier_signal -1
	s_barrier_wait -1
	s_and_saveexec_b32 s6, s2
	s_cbranch_execnz .LBB163_46
; %bb.19:                               ;   in Loop: Header=BB163_12 Depth=2
	s_or_b32 exec_lo, exec_lo, s6
	s_and_saveexec_b32 s6, s1
	s_cbranch_execnz .LBB163_47
.LBB163_20:                             ;   in Loop: Header=BB163_12 Depth=2
	s_or_b32 exec_lo, exec_lo, s6
	s_and_saveexec_b32 s6, s1
.LBB163_21:                             ;   in Loop: Header=BB163_12 Depth=2
	v_dual_mov_b32 v1, v0 :: v_dual_mov_b32 v2, v0
	v_mov_b32_e32 v3, v0
	ds_store_b128 v97, v[0:3]
.LBB163_22:                             ;   in Loop: Header=BB163_12 Depth=2
	s_or_b32 exec_lo, exec_lo, s6
	ds_bpermute_b32 v2, v99, v12
	ds_bpermute_b32 v3, v99, v13
	;; [unrolled: 1-line block ×4, first 2 shown]
	s_wait_dscnt 0x0
	s_barrier_signal -1
	s_barrier_wait -1
	v_add_f64_e32 v[2:3], v[12:13], v[2:3]
	v_add_f64_e32 v[12:13], v[14:15], v[50:51]
	ds_bpermute_b32 v14, v100, v2
	ds_bpermute_b32 v15, v100, v3
	ds_bpermute_b32 v50, v100, v12
	ds_bpermute_b32 v51, v100, v13
	s_wait_dscnt 0x2
	v_add_f64_e32 v[2:3], v[2:3], v[14:15]
	s_wait_dscnt 0x0
	v_add_f64_e32 v[12:13], v[12:13], v[50:51]
	ds_bpermute_b32 v14, v101, v2
	ds_bpermute_b32 v15, v101, v3
	ds_bpermute_b32 v50, v101, v12
	ds_bpermute_b32 v51, v101, v13
	s_wait_dscnt 0x2
	v_add_f64_e32 v[2:3], v[2:3], v[14:15]
	s_wait_dscnt 0x0
	;; [unrolled: 8-line block ×3, first 2 shown]
	v_add_f64_e32 v[14:15], v[12:13], v[50:51]
	ds_bpermute_b32 v12, v103, v2
	ds_bpermute_b32 v13, v103, v3
	;; [unrolled: 1-line block ×4, first 2 shown]
	s_and_saveexec_b32 s6, s3
	s_cbranch_execz .LBB163_24
; %bb.23:                               ;   in Loop: Header=BB163_12 Depth=2
	s_wait_dscnt 0x0
	v_add_f64_e32 v[14:15], v[14:15], v[50:51]
	v_add_f64_e32 v[12:13], v[2:3], v[12:13]
	ds_store_b128 v98, v[12:15]
.LBB163_24:                             ;   in Loop: Header=BB163_12 Depth=2
	s_or_b32 exec_lo, exec_lo, s6
	v_mov_b64_e32 v[14:15], 0
	s_wait_dscnt 0x2
	v_mov_b64_e32 v[12:13], 0
	s_wait_dscnt 0x0
	s_barrier_signal -1
	s_barrier_wait -1
	s_and_saveexec_b32 s6, s2
	s_cbranch_execnz .LBB163_48
; %bb.25:                               ;   in Loop: Header=BB163_12 Depth=2
	s_or_b32 exec_lo, exec_lo, s6
	s_and_saveexec_b32 s6, s1
	s_cbranch_execnz .LBB163_49
.LBB163_26:                             ;   in Loop: Header=BB163_12 Depth=2
	s_or_b32 exec_lo, exec_lo, s6
	s_and_saveexec_b32 s6, s1
.LBB163_27:                             ;   in Loop: Header=BB163_12 Depth=2
	v_dual_mov_b32 v1, v0 :: v_dual_mov_b32 v2, v0
	v_mov_b32_e32 v3, v0
	ds_store_b128 v97, v[0:3]
.LBB163_28:                             ;   in Loop: Header=BB163_12 Depth=2
	s_or_b32 exec_lo, exec_lo, s6
	ds_bpermute_b32 v2, v99, v16
	ds_bpermute_b32 v3, v99, v17
	;; [unrolled: 1-line block ×4, first 2 shown]
	s_wait_dscnt 0x0
	s_barrier_signal -1
	s_barrier_wait -1
	v_add_f64_e32 v[2:3], v[16:17], v[2:3]
	v_add_f64_e32 v[16:17], v[18:19], v[50:51]
	ds_bpermute_b32 v18, v100, v2
	ds_bpermute_b32 v19, v100, v3
	ds_bpermute_b32 v50, v100, v16
	ds_bpermute_b32 v51, v100, v17
	s_wait_dscnt 0x2
	v_add_f64_e32 v[2:3], v[2:3], v[18:19]
	s_wait_dscnt 0x0
	v_add_f64_e32 v[16:17], v[16:17], v[50:51]
	ds_bpermute_b32 v18, v101, v2
	ds_bpermute_b32 v19, v101, v3
	ds_bpermute_b32 v50, v101, v16
	ds_bpermute_b32 v51, v101, v17
	s_wait_dscnt 0x2
	v_add_f64_e32 v[2:3], v[2:3], v[18:19]
	s_wait_dscnt 0x0
	;; [unrolled: 8-line block ×3, first 2 shown]
	v_add_f64_e32 v[18:19], v[16:17], v[50:51]
	ds_bpermute_b32 v16, v103, v2
	ds_bpermute_b32 v17, v103, v3
	;; [unrolled: 1-line block ×4, first 2 shown]
	s_and_saveexec_b32 s6, s3
	s_cbranch_execz .LBB163_30
; %bb.29:                               ;   in Loop: Header=BB163_12 Depth=2
	s_wait_dscnt 0x0
	v_add_f64_e32 v[18:19], v[18:19], v[50:51]
	v_add_f64_e32 v[16:17], v[2:3], v[16:17]
	ds_store_b128 v98, v[16:19]
.LBB163_30:                             ;   in Loop: Header=BB163_12 Depth=2
	s_or_b32 exec_lo, exec_lo, s6
	v_mov_b64_e32 v[18:19], 0
	s_wait_dscnt 0x2
	v_mov_b64_e32 v[16:17], 0
	s_wait_dscnt 0x0
	s_barrier_signal -1
	s_barrier_wait -1
	s_and_saveexec_b32 s6, s2
	s_cbranch_execnz .LBB163_50
; %bb.31:                               ;   in Loop: Header=BB163_12 Depth=2
	s_or_b32 exec_lo, exec_lo, s6
	s_and_saveexec_b32 s6, s1
	s_cbranch_execnz .LBB163_51
.LBB163_32:                             ;   in Loop: Header=BB163_12 Depth=2
	s_or_b32 exec_lo, exec_lo, s6
	s_and_saveexec_b32 s6, s1
.LBB163_33:                             ;   in Loop: Header=BB163_12 Depth=2
	v_dual_mov_b32 v1, v0 :: v_dual_mov_b32 v2, v0
	v_mov_b32_e32 v3, v0
	ds_store_b128 v97, v[0:3]
.LBB163_34:                             ;   in Loop: Header=BB163_12 Depth=2
	s_or_b32 exec_lo, exec_lo, s6
	ds_bpermute_b32 v2, v99, v20
	ds_bpermute_b32 v3, v99, v21
	;; [unrolled: 1-line block ×4, first 2 shown]
	s_wait_dscnt 0x0
	s_barrier_signal -1
	s_barrier_wait -1
	v_add_f64_e32 v[2:3], v[20:21], v[2:3]
	v_add_f64_e32 v[20:21], v[22:23], v[50:51]
	ds_bpermute_b32 v22, v100, v2
	ds_bpermute_b32 v23, v100, v3
	ds_bpermute_b32 v50, v100, v20
	ds_bpermute_b32 v51, v100, v21
	s_wait_dscnt 0x2
	v_add_f64_e32 v[2:3], v[2:3], v[22:23]
	s_wait_dscnt 0x0
	v_add_f64_e32 v[20:21], v[20:21], v[50:51]
	ds_bpermute_b32 v22, v101, v2
	ds_bpermute_b32 v23, v101, v3
	ds_bpermute_b32 v50, v101, v20
	ds_bpermute_b32 v51, v101, v21
	s_wait_dscnt 0x2
	v_add_f64_e32 v[2:3], v[2:3], v[22:23]
	s_wait_dscnt 0x0
	;; [unrolled: 8-line block ×3, first 2 shown]
	v_add_f64_e32 v[22:23], v[20:21], v[50:51]
	ds_bpermute_b32 v20, v103, v2
	ds_bpermute_b32 v21, v103, v3
	;; [unrolled: 1-line block ×4, first 2 shown]
	s_and_saveexec_b32 s6, s3
	s_cbranch_execz .LBB163_36
; %bb.35:                               ;   in Loop: Header=BB163_12 Depth=2
	s_wait_dscnt 0x0
	v_add_f64_e32 v[22:23], v[22:23], v[50:51]
	v_add_f64_e32 v[20:21], v[2:3], v[20:21]
	ds_store_b128 v98, v[20:23]
.LBB163_36:                             ;   in Loop: Header=BB163_12 Depth=2
	s_or_b32 exec_lo, exec_lo, s6
	v_mov_b64_e32 v[22:23], 0
	s_wait_dscnt 0x2
	v_mov_b64_e32 v[20:21], 0
	s_wait_dscnt 0x0
	s_barrier_signal -1
	s_barrier_wait -1
	s_and_saveexec_b32 s6, s2
	s_cbranch_execnz .LBB163_52
; %bb.37:                               ;   in Loop: Header=BB163_12 Depth=2
	s_or_b32 exec_lo, exec_lo, s6
	s_and_saveexec_b32 s6, s1
	s_cbranch_execnz .LBB163_53
.LBB163_38:                             ;   in Loop: Header=BB163_12 Depth=2
	s_or_b32 exec_lo, exec_lo, s6
	s_and_saveexec_b32 s6, s0
	s_cbranch_execz .LBB163_11
	s_branch .LBB163_54
.LBB163_39:                             ;   in Loop: Header=BB163_12 Depth=2
	global_load_b128 v[8:11], v[42:43], off
	s_mul_u64 s[8:9], s[28:29], s[30:31]
	s_or_b32 s68, s28, 2
	v_lshl_add_u64 v[78:79], s[8:9], 4, v[38:39]
	s_or_b32 s8, s28, 1
	s_mov_b32 s9, s29
	s_mov_b32 s69, s29
	s_mul_u64 s[8:9], s[8:9], s[30:31]
	s_clause 0x1
	global_load_b128 v[12:15], v[44:45], off
	global_load_b128 v[66:69], v[46:47], off
	global_load_b128 v[50:53], v[78:79], off offset:16
	v_lshl_add_u64 v[80:81], s[8:9], 4, v[38:39]
	s_mul_u64 s[8:9], s[68:69], s[30:31]
	s_delay_alu instid0(SALU_CYCLE_1) | instskip(SKIP_2) | instid1(SALU_CYCLE_1)
	v_lshl_add_u64 v[108:109], s[8:9], 4, v[38:39]
	s_or_b32 s8, s28, 3
	s_mov_b32 s9, s29
	s_mul_u64 s[8:9], s[8:9], s[30:31]
	s_delay_alu instid0(SALU_CYCLE_1)
	v_lshl_add_u64 v[110:111], s[8:9], 4, v[38:39]
	s_wait_loadcnt 0x3
	scratch_store_b128 off, v[8:11], s63
	scratch_load_b128 v[54:57], off, off offset:16
	s_clause 0x1
	global_load_b128 v[8:11], v[80:81], off offset:16
	global_load_b128 v[58:61], v[108:109], off offset:16
	s_wait_dscnt 0x0
	s_clause 0x1
	global_load_b128 v[20:23], v[78:79], off
	global_load_b128 v[16:19], v[80:81], off
	s_wait_loadcnt 0x7
	scratch_store_b128 off, v[12:15], s64
	scratch_load_b128 v[70:73], off, off offset:32
	global_load_b128 v[12:15], v[108:109], off
	s_wait_loadcnt 0x6
	v_mul_f64_e32 v[2:3], v[56:57], v[52:53]
	v_mul_f64_e32 v[86:87], v[54:55], v[52:53]
	s_wait_loadcnt 0x5
	v_mul_f64_e32 v[52:53], v[56:57], v[10:11]
	v_mul_f64_e32 v[84:85], v[54:55], v[10:11]
	s_wait_loadcnt 0x4
	v_mul_f64_e32 v[82:83], v[54:55], v[60:61]
	v_fma_f64 v[94:95], v[54:55], v[50:51], -v[2:3]
	v_fmac_f64_e32 v[86:87], v[56:57], v[50:51]
	v_fma_f64 v[92:93], v[54:55], v[8:9], -v[52:53]
	v_fmac_f64_e32 v[84:85], v[56:57], v[8:9]
	s_clause 0x1
	global_load_b128 v[50:53], v[110:111], off offset:16
	global_load_b128 v[8:11], v[110:111], off
	v_mul_f64_e32 v[2:3], v[56:57], v[60:61]
	v_fmac_f64_e32 v[82:83], v[56:57], v[58:59]
	s_clause 0x1
	global_load_b128 v[60:63], v[108:109], off offset:32
	global_load_b128 v[74:77], v[110:111], off offset:32
	scratch_store_b128 off, v[66:69], s65
	v_fma_f64 v[90:91], v[54:55], v[58:59], -v[2:3]
	s_wait_loadcnt 0x3
	v_mul_f64_e32 v[2:3], v[56:57], v[52:53]
	v_mul_f64_e32 v[64:65], v[54:55], v[52:53]
	s_delay_alu instid0(VALU_DEP_2)
	v_fma_f64 v[88:89], v[54:55], v[50:51], -v[2:3]
	global_load_b128 v[52:55], v[78:79], off offset:32
	v_fmac_f64_e32 v[64:65], v[56:57], v[50:51]
	global_load_b128 v[56:59], v[80:81], off offset:32
	s_wait_loadcnt 0x1
	v_mul_f64_e32 v[2:3], v[72:73], v[54:55]
	v_mul_f64_e32 v[50:51], v[70:71], v[54:55]
	s_wait_loadcnt 0x0
	v_mul_f64_e32 v[54:55], v[70:71], v[58:59]
	s_delay_alu instid0(VALU_DEP_3) | instskip(NEXT) | instid1(VALU_DEP_3)
	v_fma_f64 v[2:3], v[70:71], v[52:53], -v[2:3]
	v_fmac_f64_e32 v[50:51], v[72:73], v[52:53]
	v_mul_f64_e32 v[52:53], v[72:73], v[58:59]
	s_delay_alu instid0(VALU_DEP_4) | instskip(SKIP_1) | instid1(VALU_DEP_3)
	v_fmac_f64_e32 v[54:55], v[72:73], v[56:57]
	v_mul_f64_e32 v[58:59], v[70:71], v[62:63]
	v_fma_f64 v[52:53], v[70:71], v[56:57], -v[52:53]
	v_mul_f64_e32 v[56:57], v[72:73], v[62:63]
	s_delay_alu instid0(VALU_DEP_3) | instskip(SKIP_1) | instid1(VALU_DEP_3)
	v_fmac_f64_e32 v[58:59], v[72:73], v[60:61]
	v_mul_f64_e32 v[62:63], v[70:71], v[76:77]
	v_fma_f64 v[56:57], v[70:71], v[60:61], -v[56:57]
	v_mul_f64_e32 v[60:61], v[72:73], v[76:77]
	s_delay_alu instid0(VALU_DEP_3) | instskip(NEXT) | instid1(VALU_DEP_2)
	v_fmac_f64_e32 v[62:63], v[72:73], v[74:75]
	v_fma_f64 v[60:61], v[70:71], v[74:75], -v[60:61]
	global_load_b128 v[70:73], v[78:79], off offset:48
	scratch_load_b128 v[104:107], off, off offset:48
	s_clause 0x2
	global_load_b128 v[74:77], v[80:81], off offset:48
	global_load_b128 v[78:81], v[108:109], off offset:48
	;; [unrolled: 1-line block ×3, first 2 shown]
	s_wait_loadcnt 0x3
	v_mul_f64_e32 v[66:67], v[106:107], v[72:73]
	v_mul_f64_e32 v[68:69], v[104:105], v[72:73]
	s_wait_loadcnt 0x2
	v_mul_f64_e32 v[72:73], v[104:105], v[76:77]
	s_delay_alu instid0(VALU_DEP_3) | instskip(NEXT) | instid1(VALU_DEP_3)
	v_fma_f64 v[66:67], v[104:105], v[70:71], -v[66:67]
	v_fmac_f64_e32 v[68:69], v[106:107], v[70:71]
	v_mul_f64_e32 v[70:71], v[106:107], v[76:77]
	s_delay_alu instid0(VALU_DEP_4) | instskip(SKIP_2) | instid1(VALU_DEP_3)
	v_fmac_f64_e32 v[72:73], v[106:107], v[74:75]
	s_wait_loadcnt 0x1
	v_mul_f64_e32 v[76:77], v[104:105], v[80:81]
	v_fma_f64 v[70:71], v[104:105], v[74:75], -v[70:71]
	v_mul_f64_e32 v[74:75], v[106:107], v[80:81]
	s_delay_alu instid0(VALU_DEP_3) | instskip(SKIP_2) | instid1(VALU_DEP_3)
	v_fmac_f64_e32 v[76:77], v[106:107], v[78:79]
	s_wait_loadcnt 0x0
	v_mul_f64_e32 v[80:81], v[104:105], v[110:111]
	v_fma_f64 v[74:75], v[104:105], v[78:79], -v[74:75]
	v_mul_f64_e32 v[78:79], v[106:107], v[110:111]
	s_delay_alu instid0(VALU_DEP_3) | instskip(NEXT) | instid1(VALU_DEP_2)
	v_fmac_f64_e32 v[80:81], v[106:107], v[108:109]
	v_fma_f64 v[78:79], v[104:105], v[108:109], -v[78:79]
	global_load_b128 v[104:107], v[40:41], off
	s_wait_loadcnt 0x0
	v_mul_f64_e32 v[108:109], v[106:107], v[22:23]
	v_mul_f64_e32 v[22:23], v[104:105], v[22:23]
	scratch_store_b128 off, v[104:107], off
	v_fma_f64 v[108:109], v[104:105], v[20:21], -v[108:109]
	v_fmac_f64_e32 v[22:23], v[106:107], v[20:21]
	v_mul_f64_e32 v[20:21], v[106:107], v[18:19]
	v_mul_f64_e32 v[18:19], v[104:105], v[18:19]
	s_delay_alu instid0(VALU_DEP_3) | instskip(NEXT) | instid1(VALU_DEP_3)
	v_add_f64_e32 v[22:23], 0, v[22:23]
	v_fma_f64 v[20:21], v[104:105], v[16:17], -v[20:21]
	s_delay_alu instid0(VALU_DEP_3)
	v_fmac_f64_e32 v[18:19], v[106:107], v[16:17]
	v_mul_f64_e32 v[16:17], v[106:107], v[14:15]
	v_mul_f64_e32 v[14:15], v[104:105], v[14:15]
	v_add_f64_e32 v[22:23], v[22:23], v[86:87]
	v_add_f64_e32 v[20:21], 0, v[20:21]
	;; [unrolled: 1-line block ×3, first 2 shown]
	v_fma_f64 v[16:17], v[104:105], v[12:13], -v[16:17]
	v_fmac_f64_e32 v[14:15], v[106:107], v[12:13]
	v_mul_f64_e32 v[12:13], v[106:107], v[10:11]
	v_mul_f64_e32 v[10:11], v[104:105], v[10:11]
	v_add_f64_e32 v[20:21], v[20:21], v[92:93]
	v_add_f64_e32 v[18:19], v[18:19], v[84:85]
	;; [unrolled: 1-line block ×4, first 2 shown]
	v_fma_f64 v[12:13], v[104:105], v[8:9], -v[12:13]
	v_fmac_f64_e32 v[10:11], v[106:107], v[8:9]
	v_add_f64_e32 v[8:9], 0, v[108:109]
	v_add_f64_e32 v[20:21], v[20:21], v[52:53]
	;; [unrolled: 1-line block ×9, first 2 shown]
	s_delay_alu instid0(VALU_DEP_4) | instskip(NEXT) | instid1(VALU_DEP_4)
	v_add_f64_e32 v[12:13], v[12:13], v[88:89]
	v_add_f64_e32 v[10:11], v[10:11], v[64:65]
	s_delay_alu instid0(VALU_DEP_4)
	v_add_f64_e32 v[2:3], v[8:9], v[2:3]
	v_add_f64_e32 v[8:9], v[22:23], v[50:51]
	;; [unrolled: 1-line block ×13, first 2 shown]
	s_wait_xcnt 0x0
	s_and_not1_saveexec_b32 s6, s6
	s_cbranch_execz .LBB163_14
.LBB163_40:                             ;   in Loop: Header=BB163_12 Depth=2
	s_wait_dscnt 0x0
	v_mov_b64_e32 v[20:21], 0
	v_mov_b64_e32 v[22:23], 0
	;; [unrolled: 1-line block ×8, first 2 shown]
	s_and_saveexec_b32 s7, s4
	s_cbranch_execz .LBB163_56
; %bb.41:                               ;   in Loop: Header=BB163_12 Depth=2
	s_and_not1_b32 vcc_lo, exec_lo, s62
	s_cbranch_vccnz .LBB163_55
; %bb.42:                               ;   in Loop: Header=BB163_12 Depth=2
	v_mov_b64_e32 v[2:3], v[36:37]
	s_mov_b32 s8, 0
	s_mov_b32 s9, s60
.LBB163_43:                             ;   Parent Loop BB163_3 Depth=1
                                        ;     Parent Loop BB163_12 Depth=2
                                        ; =>    This Inner Loop Header: Depth=3
	global_load_b128 v[8:11], v[2:3], off
	s_wait_xcnt 0x0
	v_add_nc_u64_e32 v[2:3], s[46:47], v[2:3]
	s_add_co_i32 s9, s9, -1
	s_wait_loadcnt 0x0
	scratch_store_b128 off, v[8:11], s8
	s_wait_xcnt 0x0
	s_add_co_i32 s8, s8, 16
	s_cmp_eq_u32 s9, 0
	s_cbranch_scc0 .LBB163_43
; %bb.44:                               ;   in Loop: Header=BB163_12 Depth=2
	v_mov_b64_e32 v[8:9], 0
	v_mov_b64_e32 v[10:11], 0
	;; [unrolled: 1-line block ×9, first 2 shown]
	s_mov_b32 s8, s66
	s_mov_b32 s9, s60
.LBB163_45:                             ;   Parent Loop BB163_3 Depth=1
                                        ;     Parent Loop BB163_12 Depth=2
                                        ; =>    This Inner Loop Header: Depth=3
	s_delay_alu instid0(VALU_DEP_1)
	v_add_nc_u64_e32 v[58:59], s[52:53], v[2:3]
	scratch_load_b128 v[50:53], off, s8 offset:-8
	s_add_co_i32 s9, s9, -1
	s_wait_xcnt 0x0
	s_add_co_i32 s8, s8, 16
	s_cmp_lg_u32 s9, 0
	v_add_nc_u64_e32 v[62:63], s[52:53], v[58:59]
	s_delay_alu instid0(VALU_DEP_1)
	v_add_nc_u64_e32 v[66:67], s[52:53], v[62:63]
	s_clause 0x3
	global_load_b128 v[54:57], v[2:3], off
	global_load_b128 v[58:61], v[58:59], off
	;; [unrolled: 1-line block ×4, first 2 shown]
	s_wait_xcnt 0x3
	v_add_nc_u64_e32 v[2:3], 16, v[2:3]
	s_wait_loadcnt 0x3
	v_mul_f64_e32 v[70:71], v[52:53], v[56:57]
	v_mul_f64_e32 v[56:57], v[50:51], v[56:57]
	s_wait_loadcnt 0x2
	v_mul_f64_e32 v[72:73], v[52:53], v[60:61]
	v_mul_f64_e32 v[60:61], v[50:51], v[60:61]
	;; [unrolled: 3-line block ×4, first 2 shown]
	v_fma_f64 v[70:71], v[50:51], v[54:55], -v[70:71]
	v_fmac_f64_e32 v[56:57], v[52:53], v[54:55]
	v_fma_f64 v[54:55], v[50:51], v[58:59], -v[72:73]
	v_fmac_f64_e32 v[60:61], v[52:53], v[58:59]
	s_wait_xcnt 0x2
	v_fma_f64 v[58:59], v[50:51], v[62:63], -v[74:75]
	v_fmac_f64_e32 v[64:65], v[52:53], v[62:63]
	v_fma_f64 v[50:51], v[50:51], v[66:67], -v[76:77]
	v_fmac_f64_e32 v[68:69], v[52:53], v[66:67]
	v_add_f64_e32 v[10:11], v[10:11], v[70:71]
	v_add_f64_e32 v[8:9], v[8:9], v[56:57]
	;; [unrolled: 1-line block ×8, first 2 shown]
	s_cbranch_scc1 .LBB163_45
	s_branch .LBB163_56
.LBB163_46:                             ;   in Loop: Header=BB163_12 Depth=2
	ds_load_b128 v[8:11], v97
	s_or_b32 exec_lo, exec_lo, s6
	s_and_saveexec_b32 s6, s1
	s_cbranch_execz .LBB163_20
.LBB163_47:                             ;   in Loop: Header=BB163_12 Depth=2
	s_wait_dscnt 0x0
	ds_bpermute_b32 v2, v101, v8
	ds_bpermute_b32 v3, v101, v9
	ds_bpermute_b32 v50, v101, v10
	ds_bpermute_b32 v51, v101, v11
	s_wait_dscnt 0x2
	v_add_f64_e32 v[2:3], v[8:9], v[2:3]
	s_wait_dscnt 0x0
	v_add_f64_e32 v[8:9], v[10:11], v[50:51]
	ds_bpermute_b32 v10, v102, v2
	ds_bpermute_b32 v11, v102, v3
	ds_bpermute_b32 v50, v102, v8
	ds_bpermute_b32 v51, v102, v9
	s_wait_dscnt 0x2
	v_add_f64_e32 v[2:3], v[2:3], v[10:11]
	s_wait_dscnt 0x0
	v_add_f64_e32 v[10:11], v[8:9], v[50:51]
	;; [unrolled: 8-line block ×3, first 2 shown]
	s_or_b32 exec_lo, exec_lo, s6
	s_and_saveexec_b32 s6, s1
	s_cbranch_execnz .LBB163_21
	s_branch .LBB163_22
.LBB163_48:                             ;   in Loop: Header=BB163_12 Depth=2
	ds_load_b128 v[12:15], v97
	s_or_b32 exec_lo, exec_lo, s6
	s_and_saveexec_b32 s6, s1
	s_cbranch_execz .LBB163_26
.LBB163_49:                             ;   in Loop: Header=BB163_12 Depth=2
	s_wait_dscnt 0x0
	ds_bpermute_b32 v2, v101, v12
	ds_bpermute_b32 v3, v101, v13
	ds_bpermute_b32 v50, v101, v14
	ds_bpermute_b32 v51, v101, v15
	s_wait_dscnt 0x2
	v_add_f64_e32 v[2:3], v[12:13], v[2:3]
	s_wait_dscnt 0x0
	v_add_f64_e32 v[12:13], v[14:15], v[50:51]
	ds_bpermute_b32 v14, v102, v2
	ds_bpermute_b32 v15, v102, v3
	ds_bpermute_b32 v50, v102, v12
	ds_bpermute_b32 v51, v102, v13
	s_wait_dscnt 0x2
	v_add_f64_e32 v[2:3], v[2:3], v[14:15]
	s_wait_dscnt 0x0
	v_add_f64_e32 v[14:15], v[12:13], v[50:51]
	;; [unrolled: 8-line block ×3, first 2 shown]
	s_or_b32 exec_lo, exec_lo, s6
	s_and_saveexec_b32 s6, s1
	s_cbranch_execnz .LBB163_27
	s_branch .LBB163_28
.LBB163_50:                             ;   in Loop: Header=BB163_12 Depth=2
	ds_load_b128 v[16:19], v97
	s_or_b32 exec_lo, exec_lo, s6
	s_and_saveexec_b32 s6, s1
	s_cbranch_execz .LBB163_32
.LBB163_51:                             ;   in Loop: Header=BB163_12 Depth=2
	s_wait_dscnt 0x0
	ds_bpermute_b32 v2, v101, v16
	ds_bpermute_b32 v3, v101, v17
	ds_bpermute_b32 v50, v101, v18
	ds_bpermute_b32 v51, v101, v19
	s_wait_dscnt 0x2
	v_add_f64_e32 v[2:3], v[16:17], v[2:3]
	s_wait_dscnt 0x0
	v_add_f64_e32 v[16:17], v[18:19], v[50:51]
	ds_bpermute_b32 v18, v102, v2
	ds_bpermute_b32 v19, v102, v3
	ds_bpermute_b32 v50, v102, v16
	ds_bpermute_b32 v51, v102, v17
	s_wait_dscnt 0x2
	v_add_f64_e32 v[2:3], v[2:3], v[18:19]
	s_wait_dscnt 0x0
	v_add_f64_e32 v[18:19], v[16:17], v[50:51]
	ds_bpermute_b32 v16, v103, v2
	ds_bpermute_b32 v17, v103, v3
	ds_bpermute_b32 v50, v103, v18
	ds_bpermute_b32 v51, v103, v19
	s_wait_dscnt 0x2
	v_add_f64_e32 v[16:17], v[2:3], v[16:17]
	s_wait_dscnt 0x0
	v_add_f64_e32 v[18:19], v[18:19], v[50:51]
	s_or_b32 exec_lo, exec_lo, s6
	s_and_saveexec_b32 s6, s1
	s_cbranch_execnz .LBB163_33
	s_branch .LBB163_34
.LBB163_52:                             ;   in Loop: Header=BB163_12 Depth=2
	ds_load_b128 v[20:23], v97
	s_or_b32 exec_lo, exec_lo, s6
	s_and_saveexec_b32 s6, s1
	s_cbranch_execz .LBB163_38
.LBB163_53:                             ;   in Loop: Header=BB163_12 Depth=2
	s_wait_dscnt 0x0
	ds_bpermute_b32 v2, v101, v20
	ds_bpermute_b32 v3, v101, v21
	ds_bpermute_b32 v50, v101, v22
	ds_bpermute_b32 v51, v101, v23
	s_wait_dscnt 0x2
	v_add_f64_e32 v[2:3], v[20:21], v[2:3]
	s_wait_dscnt 0x0
	v_add_f64_e32 v[20:21], v[22:23], v[50:51]
	ds_bpermute_b32 v22, v102, v2
	ds_bpermute_b32 v23, v102, v3
	ds_bpermute_b32 v50, v102, v20
	ds_bpermute_b32 v51, v102, v21
	s_wait_dscnt 0x2
	v_add_f64_e32 v[2:3], v[2:3], v[22:23]
	s_wait_dscnt 0x0
	v_add_f64_e32 v[22:23], v[20:21], v[50:51]
	;; [unrolled: 8-line block ×3, first 2 shown]
	s_or_b32 exec_lo, exec_lo, s6
	s_and_saveexec_b32 s6, s0
	s_cbranch_execz .LBB163_11
.LBB163_54:                             ;   in Loop: Header=BB163_12 Depth=2
	v_mul_f64_e32 v[2:3], v[6:7], v[10:11]
	v_mul_f64_e32 v[52:53], v[4:5], v[10:11]
	v_mul_f64_e32 v[54:55], v[6:7], v[14:15]
	v_mul_f64_e32 v[10:11], v[4:5], v[14:15]
	v_mul_f64_e32 v[56:57], v[6:7], v[18:19]
	v_mul_f64_e32 v[14:15], v[4:5], v[18:19]
	s_wait_dscnt 0x0
	v_mul_f64_e32 v[58:59], v[6:7], v[22:23]
	v_mul_f64_e32 v[18:19], v[4:5], v[22:23]
	s_or_b32 s68, s28, 1
	s_mov_b32 s69, s29
	s_mul_u64 s[8:9], s[28:29], s[36:37]
	s_or_b32 s70, s28, 2
	s_mov_b32 s71, s29
	s_or_b32 s72, s28, 3
	s_mov_b32 s73, s29
	s_mul_u64 s[68:69], s[68:69], s[36:37]
	s_lshl_b64 s[8:9], s[8:9], 4
	s_mul_u64 s[70:71], s[70:71], s[36:37]
	s_mul_u64 s[72:73], s[72:73], s[36:37]
	s_lshl_b64 s[68:69], s[68:69], 4
	s_add_nc_u64 s[8:9], s[54:55], s[8:9]
	s_lshl_b64 s[70:71], s[70:71], 4
	s_lshl_b64 s[72:73], s[72:73], 4
	s_add_nc_u64 s[68:69], s[54:55], s[68:69]
	s_add_nc_u64 s[70:71], s[54:55], s[70:71]
	;; [unrolled: 1-line block ×3, first 2 shown]
	v_fma_f64 v[50:51], v[4:5], v[8:9], -v[2:3]
	v_fmac_f64_e32 v[52:53], v[6:7], v[8:9]
	v_fma_f64 v[8:9], v[4:5], v[12:13], -v[54:55]
	v_fmac_f64_e32 v[10:11], v[6:7], v[12:13]
	;; [unrolled: 2-line block ×4, first 2 shown]
	s_clause 0x3
	global_store_b128 v0, v[50:53], s[8:9]
	global_store_b128 v0, v[8:11], s[68:69]
	;; [unrolled: 1-line block ×4, first 2 shown]
	s_branch .LBB163_11
.LBB163_55:                             ;   in Loop: Header=BB163_12 Depth=2
	v_mov_b64_e32 v[20:21], 0
	v_mov_b64_e32 v[22:23], 0
	;; [unrolled: 1-line block ×8, first 2 shown]
.LBB163_56:                             ;   in Loop: Header=BB163_12 Depth=2
	s_wait_xcnt 0x0
	s_or_b32 exec_lo, exec_lo, s7
	s_delay_alu instid0(SALU_CYCLE_1)
	s_or_b32 exec_lo, exec_lo, s6
	s_and_saveexec_b32 s6, s1
	s_cbranch_execnz .LBB163_15
	s_branch .LBB163_16
.LBB163_57:                             ;   in Loop: Header=BB163_3 Depth=1
	s_mov_b32 s28, 0
.LBB163_58:                             ;   in Loop: Header=BB163_3 Depth=1
	s_delay_alu instid0(SALU_CYCLE_1)
	s_cmp_ge_i32 s28, s35
	s_cbranch_scc1 .LBB163_2
; %bb.59:                               ;   in Loop: Header=BB163_3 Depth=1
	v_cmp_gt_u32_e32 vcc_lo, 24, v96
	v_add_nc_u64_e32 v[2:3], 8, v[32:33]
	s_mul_u64 s[6:7], s[52:53], s[28:29]
	s_delay_alu instid0(SALU_CYCLE_1) | instskip(SKIP_2) | instid1(VALU_DEP_3)
	s_add_nc_u64 s[6:7], s[6:7], s[56:57]
	v_cndmask_b32_e64 v1, 0, 8, vcc_lo
	v_cmp_gt_u32_e32 vcc_lo, 28, v96
	v_add_nc_u64_e32 v[12:13], s[6:7], v[2:3]
	s_delay_alu instid0(VALU_DEP_3) | instskip(SKIP_3) | instid1(VALU_DEP_2)
	v_add_lshl_u32 v16, v1, v96, 2
	s_wait_dscnt 0x0
	v_cndmask_b32_e64 v8, 0, 4, vcc_lo
	v_cmp_gt_u32_e32 vcc_lo, 30, v96
	v_add_lshl_u32 v17, v8, v96, 2
	v_cndmask_b32_e64 v1, 0, 2, vcc_lo
	v_cmp_ne_u32_e32 vcc_lo, 31, v96
	s_delay_alu instid0(VALU_DEP_2) | instskip(SKIP_1) | instid1(VALU_DEP_1)
	v_add_lshl_u32 v18, v1, v96, 2
	v_add_co_ci_u32_e64 v9, null, 0, v96, vcc_lo
	v_lshlrev_b32_e32 v19, 2, v9
	s_branch .LBB163_61
.LBB163_60:                             ;   in Loop: Header=BB163_61 Depth=2
	s_wait_xcnt 0x0
	s_or_b32 exec_lo, exec_lo, s6
	v_add_nc_u64_e32 v[12:13], s[52:53], v[12:13]
	s_add_co_i32 s28, s28, 1
	s_delay_alu instid0(SALU_CYCLE_1)
	s_cmp_lt_i32 s28, s35
	s_cbranch_scc0 .LBB163_2
.LBB163_61:                             ;   Parent Loop BB163_3 Depth=1
                                        ; =>  This Loop Header: Depth=2
                                        ;       Child Loop BB163_73 Depth 3
                                        ;       Child Loop BB163_75 Depth 3
                                        ; implicit-def: $vgpr8_vgpr9
                                        ; implicit-def: $vgpr10_vgpr11
	s_and_saveexec_b32 s6, s5
	s_delay_alu instid0(SALU_CYCLE_1)
	s_xor_b32 s6, exec_lo, s6
	s_cbranch_execnz .LBB163_70
; %bb.62:                               ;   in Loop: Header=BB163_61 Depth=2
	s_and_not1_saveexec_b32 s6, s6
	s_cbranch_execnz .LBB163_71
.LBB163_63:                             ;   in Loop: Header=BB163_61 Depth=2
	s_or_b32 exec_lo, exec_lo, s6
	s_and_saveexec_b32 s6, s1
.LBB163_64:                             ;   in Loop: Header=BB163_61 Depth=2
	v_dual_mov_b32 v1, v0 :: v_dual_mov_b32 v2, v0
	v_mov_b32_e32 v3, v0
	ds_store_b128 v97, v[0:3]
.LBB163_65:                             ;   in Loop: Header=BB163_61 Depth=2
	s_or_b32 exec_lo, exec_lo, s6
	s_wait_dscnt 0x0
	ds_bpermute_b32 v2, v99, v8
	ds_bpermute_b32 v3, v99, v9
	;; [unrolled: 1-line block ×4, first 2 shown]
	s_wait_storecnt_dscnt 0x0
	s_barrier_signal -1
	s_barrier_wait -1
	v_add_f64_e32 v[2:3], v[8:9], v[2:3]
	v_add_f64_e32 v[8:9], v[10:11], v[14:15]
	ds_bpermute_b32 v10, v16, v2
	ds_bpermute_b32 v11, v16, v3
	ds_bpermute_b32 v14, v16, v8
	ds_bpermute_b32 v15, v16, v9
	s_wait_dscnt 0x2
	v_add_f64_e32 v[2:3], v[2:3], v[10:11]
	s_wait_dscnt 0x0
	v_add_f64_e32 v[8:9], v[8:9], v[14:15]
	ds_bpermute_b32 v10, v17, v2
	ds_bpermute_b32 v11, v17, v3
	ds_bpermute_b32 v14, v17, v8
	ds_bpermute_b32 v15, v17, v9
	s_wait_dscnt 0x2
	v_add_f64_e32 v[2:3], v[2:3], v[10:11]
	s_wait_dscnt 0x0
	;; [unrolled: 8-line block ×3, first 2 shown]
	v_add_f64_e32 v[10:11], v[8:9], v[14:15]
	ds_bpermute_b32 v8, v19, v2
	ds_bpermute_b32 v9, v19, v3
	ds_bpermute_b32 v14, v19, v10
	ds_bpermute_b32 v15, v19, v11
	s_and_saveexec_b32 s6, s3
	s_cbranch_execz .LBB163_67
; %bb.66:                               ;   in Loop: Header=BB163_61 Depth=2
	s_wait_dscnt 0x0
	v_add_f64_e32 v[10:11], v[10:11], v[14:15]
	v_add_f64_e32 v[8:9], v[2:3], v[8:9]
	ds_store_b128 v98, v[8:11]
.LBB163_67:                             ;   in Loop: Header=BB163_61 Depth=2
	s_or_b32 exec_lo, exec_lo, s6
	v_mov_b64_e32 v[10:11], 0
	s_wait_dscnt 0x2
	v_mov_b64_e32 v[8:9], 0
	s_wait_dscnt 0x0
	s_barrier_signal -1
	s_barrier_wait -1
	s_and_saveexec_b32 s6, s2
	s_cbranch_execnz .LBB163_77
; %bb.68:                               ;   in Loop: Header=BB163_61 Depth=2
	s_or_b32 exec_lo, exec_lo, s6
	s_and_saveexec_b32 s6, s1
	s_cbranch_execnz .LBB163_78
.LBB163_69:                             ;   in Loop: Header=BB163_61 Depth=2
	s_or_b32 exec_lo, exec_lo, s6
	s_and_saveexec_b32 s6, s0
	s_cbranch_execz .LBB163_60
	s_branch .LBB163_79
.LBB163_70:                             ;   in Loop: Header=BB163_61 Depth=2
	s_wait_dscnt 0x0
	global_load_b128 v[8:11], v[42:43], off
	s_wait_dscnt 0x0
	s_clause 0x1
	global_load_b128 v[20:23], v[44:45], off
	global_load_b128 v[48:51], v[46:47], off
	s_mul_u64 s[8:9], s[28:29], s[30:31]
	s_delay_alu instid0(SALU_CYCLE_1)
	v_lshl_add_u64 v[2:3], s[8:9], 4, v[38:39]
	global_load_b128 v[52:55], v[40:41], off
	s_clause 0x1
	global_load_b128 v[56:59], v[2:3], off
	global_load_b128 v[60:63], v[2:3], off offset:16
	s_wait_loadcnt 0x5
	scratch_store_b128 off, v[8:11], s63
	s_wait_loadcnt 0x4
	scratch_store_b128 off, v[20:23], s64
	s_clause 0x1
	scratch_load_b128 v[8:11], off, off offset:16
	scratch_load_b128 v[20:23], off, off offset:32
	s_clause 0x1
	global_load_b128 v[64:67], v[2:3], off offset:32
	global_load_b128 v[68:71], v[2:3], off offset:48
	s_wait_loadcnt 0x7
	scratch_store_b128 off, v[48:51], s65
	scratch_load_b128 v[48:51], off, off offset:48
	s_wait_loadcnt 0x7
	scratch_store_b128 off, v[52:55], off
	s_wait_loadcnt 0x6
	v_mul_f64_e32 v[2:3], v[58:59], v[54:55]
	v_mul_f64_e32 v[14:15], v[56:57], v[54:55]
	s_delay_alu instid0(VALU_DEP_2) | instskip(NEXT) | instid1(VALU_DEP_2)
	v_fma_f64 v[2:3], v[56:57], v[52:53], -v[2:3]
	v_fmac_f64_e32 v[14:15], v[58:59], v[52:53]
	s_delay_alu instid0(VALU_DEP_2) | instskip(NEXT) | instid1(VALU_DEP_2)
	v_add_f64_e32 v[2:3], 0, v[2:3]
	v_add_f64_e32 v[14:15], 0, v[14:15]
	s_wait_loadcnt 0x4
	v_mul_f64_e32 v[56:57], v[62:63], v[10:11]
	v_mul_f64_e32 v[10:11], v[60:61], v[10:11]
	s_wait_loadcnt 0x2
	v_mul_f64_e32 v[58:59], v[66:67], v[22:23]
	v_mul_f64_e32 v[22:23], v[64:65], v[22:23]
	s_delay_alu instid0(VALU_DEP_4) | instskip(NEXT) | instid1(VALU_DEP_4)
	v_fma_f64 v[56:57], v[60:61], v[8:9], -v[56:57]
	v_fmac_f64_e32 v[10:11], v[62:63], v[8:9]
	s_wait_loadcnt 0x0
	v_mul_f64_e32 v[8:9], v[70:71], v[50:51]
	v_mul_f64_e32 v[50:51], v[68:69], v[50:51]
	v_fma_f64 v[58:59], v[64:65], v[20:21], -v[58:59]
	v_fmac_f64_e32 v[22:23], v[66:67], v[20:21]
	v_add_f64_e32 v[2:3], v[2:3], v[56:57]
	v_add_f64_e32 v[10:11], v[14:15], v[10:11]
	v_fma_f64 v[8:9], v[68:69], v[48:49], -v[8:9]
	v_fmac_f64_e32 v[50:51], v[70:71], v[48:49]
	s_delay_alu instid0(VALU_DEP_4) | instskip(NEXT) | instid1(VALU_DEP_4)
	v_add_f64_e32 v[2:3], v[2:3], v[58:59]
	v_add_f64_e32 v[10:11], v[10:11], v[22:23]
	s_delay_alu instid0(VALU_DEP_2) | instskip(NEXT) | instid1(VALU_DEP_2)
	v_add_f64_e32 v[8:9], v[2:3], v[8:9]
	v_add_f64_e32 v[10:11], v[10:11], v[50:51]
	s_wait_xcnt 0x0
	s_and_not1_saveexec_b32 s6, s6
	s_cbranch_execz .LBB163_63
.LBB163_71:                             ;   in Loop: Header=BB163_61 Depth=2
	s_wait_dscnt 0x0
	v_mov_b64_e32 v[8:9], 0
	v_mov_b64_e32 v[10:11], 0
	s_and_saveexec_b32 s7, s34
	s_cbranch_execz .LBB163_76
; %bb.72:                               ;   in Loop: Header=BB163_61 Depth=2
	v_mov_b64_e32 v[2:3], v[36:37]
	s_mov_b32 s8, 0
	s_mov_b32 s9, s60
.LBB163_73:                             ;   Parent Loop BB163_3 Depth=1
                                        ;     Parent Loop BB163_61 Depth=2
                                        ; =>    This Inner Loop Header: Depth=3
	global_load_b128 v[8:11], v[2:3], off
	s_wait_xcnt 0x0
	v_add_nc_u64_e32 v[2:3], s[46:47], v[2:3]
	s_add_co_i32 s9, s9, -1
	s_wait_loadcnt 0x0
	scratch_store_b128 off, v[8:11], s8
	s_wait_xcnt 0x0
	s_add_co_i32 s8, s8, 16
	s_cmp_eq_u32 s9, 0
	s_cbranch_scc0 .LBB163_73
; %bb.74:                               ;   in Loop: Header=BB163_61 Depth=2
	v_mov_b64_e32 v[8:9], 0
	v_mov_b64_e32 v[10:11], 0
	;; [unrolled: 1-line block ×3, first 2 shown]
	s_mov_b32 s8, s66
	s_mov_b32 s9, s60
.LBB163_75:                             ;   Parent Loop BB163_3 Depth=1
                                        ;     Parent Loop BB163_61 Depth=2
                                        ; =>    This Inner Loop Header: Depth=3
	s_wait_dscnt 0x0
	global_load_b128 v[20:23], v[2:3], off offset:-8
	scratch_load_b128 v[48:51], off, s8 offset:-8
	s_wait_xcnt 0x1
	v_add_nc_u64_e32 v[2:3], 16, v[2:3]
	s_add_co_i32 s9, s9, -1
	s_wait_xcnt 0x0
	s_add_co_i32 s8, s8, 16
	s_cmp_lg_u32 s9, 0
	s_wait_loadcnt 0x0
	v_mul_f64_e32 v[14:15], v[22:23], v[50:51]
	v_mul_f64_e32 v[50:51], v[20:21], v[50:51]
	s_delay_alu instid0(VALU_DEP_2) | instskip(NEXT) | instid1(VALU_DEP_2)
	v_fma_f64 v[14:15], v[20:21], v[48:49], -v[14:15]
	v_fmac_f64_e32 v[50:51], v[22:23], v[48:49]
	s_delay_alu instid0(VALU_DEP_2) | instskip(NEXT) | instid1(VALU_DEP_2)
	v_add_f64_e32 v[8:9], v[8:9], v[14:15]
	v_add_f64_e32 v[10:11], v[10:11], v[50:51]
	s_cbranch_scc1 .LBB163_75
.LBB163_76:                             ;   in Loop: Header=BB163_61 Depth=2
	s_or_b32 exec_lo, exec_lo, s7
	s_delay_alu instid0(SALU_CYCLE_1)
	s_or_b32 exec_lo, exec_lo, s6
	s_and_saveexec_b32 s6, s1
	s_cbranch_execnz .LBB163_64
	s_branch .LBB163_65
.LBB163_77:                             ;   in Loop: Header=BB163_61 Depth=2
	ds_load_b128 v[8:11], v97
	s_or_b32 exec_lo, exec_lo, s6
	s_and_saveexec_b32 s6, s1
	s_cbranch_execz .LBB163_69
.LBB163_78:                             ;   in Loop: Header=BB163_61 Depth=2
	s_wait_dscnt 0x0
	ds_bpermute_b32 v2, v17, v8
	ds_bpermute_b32 v3, v17, v9
	ds_bpermute_b32 v14, v17, v10
	ds_bpermute_b32 v15, v17, v11
	s_wait_dscnt 0x2
	v_add_f64_e32 v[2:3], v[8:9], v[2:3]
	s_wait_dscnt 0x0
	v_add_f64_e32 v[8:9], v[10:11], v[14:15]
	ds_bpermute_b32 v10, v18, v2
	ds_bpermute_b32 v11, v18, v3
	ds_bpermute_b32 v14, v18, v8
	ds_bpermute_b32 v15, v18, v9
	s_wait_dscnt 0x2
	v_add_f64_e32 v[2:3], v[2:3], v[10:11]
	s_wait_dscnt 0x0
	v_add_f64_e32 v[10:11], v[8:9], v[14:15]
	;; [unrolled: 8-line block ×3, first 2 shown]
	s_or_b32 exec_lo, exec_lo, s6
	s_and_saveexec_b32 s6, s0
	s_cbranch_execz .LBB163_60
.LBB163_79:                             ;   in Loop: Header=BB163_61 Depth=2
	s_wait_dscnt 0x0
	s_delay_alu instid0(VALU_DEP_1) | instskip(SKIP_2) | instid1(SALU_CYCLE_1)
	v_mul_f64_e32 v[2:3], v[6:7], v[10:11]
	v_mul_f64_e32 v[22:23], v[4:5], v[10:11]
	s_mul_u64 s[8:9], s[28:29], s[36:37]
	s_lshl_b64 s[8:9], s[8:9], 4
	s_delay_alu instid0(SALU_CYCLE_1) | instskip(NEXT) | instid1(VALU_DEP_2)
	s_add_nc_u64 s[8:9], s[54:55], s[8:9]
	v_fma_f64 v[20:21], v[4:5], v[8:9], -v[2:3]
	s_delay_alu instid0(VALU_DEP_2)
	v_fmac_f64_e32 v[22:23], v[6:7], v[8:9]
	global_store_b128 v0, v[20:23], s[8:9]
	s_branch .LBB163_60
.LBB163_80:
	s_sendmsg sendmsg(MSG_DEALLOC_VGPRS)
	s_endpgm
	.section	.rodata,"a",@progbits
	.p2align	6, 0x0
	.amdhsa_kernel _ZL23rocblas_gemvt_sn_kernelILb0ELi256ELi4El19rocblas_complex_numIdEPKS1_S1_EviiT4_lPKT3_lilS7_lilPT5_i
		.amdhsa_group_segment_fixed_size 512
		.amdhsa_private_segment_fixed_size 80
		.amdhsa_kernarg_size 360
		.amdhsa_user_sgpr_count 2
		.amdhsa_user_sgpr_dispatch_ptr 0
		.amdhsa_user_sgpr_queue_ptr 0
		.amdhsa_user_sgpr_kernarg_segment_ptr 1
		.amdhsa_user_sgpr_dispatch_id 0
		.amdhsa_user_sgpr_kernarg_preload_length 0
		.amdhsa_user_sgpr_kernarg_preload_offset 0
		.amdhsa_user_sgpr_private_segment_size 0
		.amdhsa_wavefront_size32 1
		.amdhsa_uses_dynamic_stack 0
		.amdhsa_enable_private_segment 1
		.amdhsa_system_sgpr_workgroup_id_x 1
		.amdhsa_system_sgpr_workgroup_id_y 0
		.amdhsa_system_sgpr_workgroup_id_z 1
		.amdhsa_system_sgpr_workgroup_info 0
		.amdhsa_system_vgpr_workitem_id 0
		.amdhsa_next_free_vgpr 112
		.amdhsa_next_free_sgpr 74
		.amdhsa_named_barrier_count 0
		.amdhsa_reserve_vcc 1
		.amdhsa_float_round_mode_32 0
		.amdhsa_float_round_mode_16_64 0
		.amdhsa_float_denorm_mode_32 3
		.amdhsa_float_denorm_mode_16_64 3
		.amdhsa_fp16_overflow 0
		.amdhsa_memory_ordered 1
		.amdhsa_forward_progress 1
		.amdhsa_inst_pref_size 49
		.amdhsa_round_robin_scheduling 0
		.amdhsa_exception_fp_ieee_invalid_op 0
		.amdhsa_exception_fp_denorm_src 0
		.amdhsa_exception_fp_ieee_div_zero 0
		.amdhsa_exception_fp_ieee_overflow 0
		.amdhsa_exception_fp_ieee_underflow 0
		.amdhsa_exception_fp_ieee_inexact 0
		.amdhsa_exception_int_div_zero 0
	.end_amdhsa_kernel
	.section	.text._ZL23rocblas_gemvt_sn_kernelILb0ELi256ELi4El19rocblas_complex_numIdEPKS1_S1_EviiT4_lPKT3_lilS7_lilPT5_i,"axG",@progbits,_ZL23rocblas_gemvt_sn_kernelILb0ELi256ELi4El19rocblas_complex_numIdEPKS1_S1_EviiT4_lPKT3_lilS7_lilPT5_i,comdat
.Lfunc_end163:
	.size	_ZL23rocblas_gemvt_sn_kernelILb0ELi256ELi4El19rocblas_complex_numIdEPKS1_S1_EviiT4_lPKT3_lilS7_lilPT5_i, .Lfunc_end163-_ZL23rocblas_gemvt_sn_kernelILb0ELi256ELi4El19rocblas_complex_numIdEPKS1_S1_EviiT4_lPKT3_lilS7_lilPT5_i
                                        ; -- End function
	.set _ZL23rocblas_gemvt_sn_kernelILb0ELi256ELi4El19rocblas_complex_numIdEPKS1_S1_EviiT4_lPKT3_lilS7_lilPT5_i.num_vgpr, 112
	.set _ZL23rocblas_gemvt_sn_kernelILb0ELi256ELi4El19rocblas_complex_numIdEPKS1_S1_EviiT4_lPKT3_lilS7_lilPT5_i.num_agpr, 0
	.set _ZL23rocblas_gemvt_sn_kernelILb0ELi256ELi4El19rocblas_complex_numIdEPKS1_S1_EviiT4_lPKT3_lilS7_lilPT5_i.numbered_sgpr, 74
	.set _ZL23rocblas_gemvt_sn_kernelILb0ELi256ELi4El19rocblas_complex_numIdEPKS1_S1_EviiT4_lPKT3_lilS7_lilPT5_i.num_named_barrier, 0
	.set _ZL23rocblas_gemvt_sn_kernelILb0ELi256ELi4El19rocblas_complex_numIdEPKS1_S1_EviiT4_lPKT3_lilS7_lilPT5_i.private_seg_size, 80
	.set _ZL23rocblas_gemvt_sn_kernelILb0ELi256ELi4El19rocblas_complex_numIdEPKS1_S1_EviiT4_lPKT3_lilS7_lilPT5_i.uses_vcc, 1
	.set _ZL23rocblas_gemvt_sn_kernelILb0ELi256ELi4El19rocblas_complex_numIdEPKS1_S1_EviiT4_lPKT3_lilS7_lilPT5_i.uses_flat_scratch, 1
	.set _ZL23rocblas_gemvt_sn_kernelILb0ELi256ELi4El19rocblas_complex_numIdEPKS1_S1_EviiT4_lPKT3_lilS7_lilPT5_i.has_dyn_sized_stack, 0
	.set _ZL23rocblas_gemvt_sn_kernelILb0ELi256ELi4El19rocblas_complex_numIdEPKS1_S1_EviiT4_lPKT3_lilS7_lilPT5_i.has_recursion, 0
	.set _ZL23rocblas_gemvt_sn_kernelILb0ELi256ELi4El19rocblas_complex_numIdEPKS1_S1_EviiT4_lPKT3_lilS7_lilPT5_i.has_indirect_call, 0
	.section	.AMDGPU.csdata,"",@progbits
; Kernel info:
; codeLenInByte = 6152
; TotalNumSgprs: 76
; NumVgprs: 112
; ScratchSize: 80
; MemoryBound: 0
; FloatMode: 240
; IeeeMode: 1
; LDSByteSize: 512 bytes/workgroup (compile time only)
; SGPRBlocks: 0
; VGPRBlocks: 6
; NumSGPRsForWavesPerEU: 76
; NumVGPRsForWavesPerEU: 112
; NamedBarCnt: 0
; Occupancy: 9
; WaveLimiterHint : 0
; COMPUTE_PGM_RSRC2:SCRATCH_EN: 1
; COMPUTE_PGM_RSRC2:USER_SGPR: 2
; COMPUTE_PGM_RSRC2:TRAP_HANDLER: 0
; COMPUTE_PGM_RSRC2:TGID_X_EN: 1
; COMPUTE_PGM_RSRC2:TGID_Y_EN: 0
; COMPUTE_PGM_RSRC2:TGID_Z_EN: 1
; COMPUTE_PGM_RSRC2:TIDIG_COMP_CNT: 0
	.section	.text._ZL23rocblas_gemvt_sn_reduceILi256ELi8E19rocblas_complex_numIdEPKS1_S1_EviT2_lPT3_lilPT1_i,"axG",@progbits,_ZL23rocblas_gemvt_sn_reduceILi256ELi8E19rocblas_complex_numIdEPKS1_S1_EviT2_lPT3_lilPT1_i,comdat
	.globl	_ZL23rocblas_gemvt_sn_reduceILi256ELi8E19rocblas_complex_numIdEPKS1_S1_EviT2_lPT3_lilPT1_i ; -- Begin function _ZL23rocblas_gemvt_sn_reduceILi256ELi8E19rocblas_complex_numIdEPKS1_S1_EviT2_lPT3_lilPT1_i
	.p2align	8
	.type	_ZL23rocblas_gemvt_sn_reduceILi256ELi8E19rocblas_complex_numIdEPKS1_S1_EviT2_lPT3_lilPT1_i,@function
_ZL23rocblas_gemvt_sn_reduceILi256ELi8E19rocblas_complex_numIdEPKS1_S1_EviT2_lPT3_lilPT1_i: ; @_ZL23rocblas_gemvt_sn_reduceILi256ELi8E19rocblas_complex_numIdEPKS1_S1_EviT2_lPT3_lilPT1_i
; %bb.0:
	s_load_b32 s30, s[0:1], 0x40
	s_bfe_u32 s2, ttmp6, 0x40014
	s_lshr_b32 s3, ttmp7, 16
	s_add_co_i32 s2, s2, 1
	s_bfe_u32 s5, ttmp6, 0x40008
	s_mul_i32 s4, s3, s2
	s_getreg_b32 s2, hwreg(HW_REG_IB_STS2, 6, 4)
	s_add_co_i32 s5, s5, s4
	s_cmp_eq_u32 s2, 0
	s_mov_b32 s21, 0
	s_cselect_b32 s20, s3, s5
	s_wait_kmcnt 0x0
	s_cmp_ge_u32 s20, s30
	s_cbranch_scc1 .LBB164_21
; %bb.1:
	s_clause 0x5
	s_load_b32 s22, s[0:1], 0x0
	s_load_b32 s31, s[0:1], 0x4c
	;; [unrolled: 1-line block ×4, first 2 shown]
	s_load_b256 s[8:15], s[0:1], 0x8
	s_load_b128 s[16:19], s[0:1], 0x30
	v_mbcnt_lo_u32_b32 v3, -1, 0
	s_wait_xcnt 0x0
	s_bfe_u32 s0, ttmp6, 0x40010
	v_dual_lshlrev_b32 v18, 3, v0 :: v_dual_mov_b32 v2, 0
	v_and_b32_e32 v1, 31, v0
	v_cmp_gt_u32_e32 vcc_lo, 24, v3
	s_and_b32 s4, ttmp7, 0xffff
	s_add_co_i32 s0, s0, 1
	s_bfe_u32 s1, ttmp6, 0x40004
	s_mul_i32 s0, s4, s0
	v_cndmask_b32_e64 v4, 0, 8, vcc_lo
	v_cmp_gt_u32_e32 vcc_lo, 28, v3
	v_dual_mov_b32 v15, v2 :: v_dual_lshlrev_b32 v19, 4, v1
	v_mov_b32_e32 v5, v2
	s_delay_alu instid0(VALU_DEP_4)
	v_add_lshl_u32 v21, v4, v3, 2
	v_cndmask_b32_e64 v6, 0, 4, vcc_lo
	v_cmp_gt_u32_e32 vcc_lo, 30, v3
	v_lshlrev_b32_e32 v4, 7, v0
	s_add_co_i32 s5, s1, s0
	s_wait_kmcnt 0x0
	s_ashr_i32 s23, s22, 31
	s_ashr_i32 s7, s6, 31
	s_lshl_b64 s[0:1], s[14:15], 4
	s_cmp_eq_u32 s2, 0
	v_cndmask_b32_e64 v7, 0, 2, vcc_lo
	s_cselect_b32 s14, s4, s5
	s_lshr_b32 s2, s23, 29
	v_cmp_ne_u32_e32 vcc_lo, 31, v3
	v_add_lshl_u32 v22, v6, v3, 2
	v_lshrrev_b32_e32 v6, 1, v0
	v_add_nc_u64_e32 v[4:5], s[18:19], v[4:5]
	s_add_nc_u64 s[12:13], s[12:13], s[0:1]
	s_add_co_i32 s0, s22, s2
	v_add_co_ci_u32_e64 v8, null, 0, v3, vcc_lo
	s_and_b32 s33, s0, -8
	v_xad_u32 v14, v0, -1, s22
	s_sub_co_i32 s1, s22, s33
	s_and_b32 s26, s3, 0xffff
	v_cmp_gt_u32_e64 s1, s1, v0
	v_cmp_gt_u32_e64 s2, 32, v0
	v_cmp_eq_u32_e64 s3, 0, v1
	v_cmp_gt_u32_e64 s4, 8, v0
	v_cmp_eq_u32_e64 s5, 0, v0
	v_add_nc_u64_e32 v[0:1], 0x78, v[4:5]
	s_mov_b32 s15, s21
	v_cmp_gt_i32_e64 s0, s33, v18
	v_lshl_or_b32 v20, v3, 2, 64
	v_add_lshl_u32 v23, v7, v3, 2
	v_lshlrev_b32_e32 v24, 2, v8
	v_and_b32_e32 v25, 0x70, v6
	s_mul_u64 s[6:7], s[6:7], s[14:15]
	s_mul_i32 s15, s20, s31
	s_lshl_b32 s34, s26, 3
	s_lshl_b64 s[24:25], s[22:23], 4
	s_add_co_i32 s15, s14, s15
	s_lshl_b32 s35, s31, 16
	s_lshl_b32 s26, s26, 7
	s_mov_b32 s27, s21
	s_lshl_b64 s[28:29], s[6:7], 4
	s_branch .LBB164_4
.LBB164_2:                              ;   in Loop: Header=BB164_4 Depth=1
	s_wait_dscnt 0x0
	global_store_b128 v2, v[10:13], s[6:7]
.LBB164_3:                              ;   in Loop: Header=BB164_4 Depth=1
	s_wait_xcnt 0x0
	s_or_b32 exec_lo, exec_lo, s36
	s_add_co_i32 s20, s20, 0x10000
	s_add_co_i32 s15, s15, s35
	s_cmp_lt_u32 s20, s30
	s_cbranch_scc0 .LBB164_21
.LBB164_4:                              ; =>This Loop Header: Depth=1
                                        ;     Child Loop BB164_14 Depth 2
	s_mul_u64 s[6:7], s[10:11], s[20:21]
	s_wait_dscnt 0x0
	v_mov_b64_e32 v[10:11], 0
	s_lshl_b64 s[6:7], s[6:7], 4
	v_mov_b64_e32 v[12:13], 0
	s_add_nc_u64 s[6:7], s[8:9], s[6:7]
	global_load_b128 v[6:9], v2, s[6:7]
	s_wait_xcnt 0x0
	s_and_saveexec_b32 s6, s0
	s_cbranch_execnz .LBB164_13
; %bb.5:                                ;   in Loop: Header=BB164_4 Depth=1
	s_or_b32 exec_lo, exec_lo, s6
	s_and_saveexec_b32 s6, s1
	s_cbranch_execnz .LBB164_16
.LBB164_6:                              ;   in Loop: Header=BB164_4 Depth=1
	s_or_b32 exec_lo, exec_lo, s6
	s_and_saveexec_b32 s6, s2
.LBB164_7:                              ;   in Loop: Header=BB164_4 Depth=1
	v_dual_mov_b32 v3, v2 :: v_dual_mov_b32 v4, v2
	v_mov_b32_e32 v5, v2
	ds_store_b128 v19, v[2:5]
.LBB164_8:                              ;   in Loop: Header=BB164_4 Depth=1
	s_or_b32 exec_lo, exec_lo, s6
	ds_bpermute_b32 v4, v20, v12
	ds_bpermute_b32 v5, v20, v13
	;; [unrolled: 1-line block ×4, first 2 shown]
	s_wait_loadcnt_dscnt 0x0
	s_barrier_signal -1
	s_barrier_wait -1
	v_add_f64_e32 v[4:5], v[12:13], v[4:5]
	v_add_f64_e32 v[10:11], v[10:11], v[16:17]
	ds_bpermute_b32 v12, v21, v4
	ds_bpermute_b32 v13, v21, v5
	ds_bpermute_b32 v16, v21, v10
	ds_bpermute_b32 v17, v21, v11
	s_wait_dscnt 0x2
	v_add_f64_e32 v[4:5], v[4:5], v[12:13]
	s_wait_dscnt 0x0
	v_add_f64_e32 v[10:11], v[10:11], v[16:17]
	ds_bpermute_b32 v12, v22, v4
	ds_bpermute_b32 v13, v22, v5
	ds_bpermute_b32 v16, v22, v10
	ds_bpermute_b32 v17, v22, v11
	s_wait_dscnt 0x2
	v_add_f64_e32 v[4:5], v[4:5], v[12:13]
	s_wait_dscnt 0x0
	;; [unrolled: 8-line block ×3, first 2 shown]
	v_add_f64_e32 v[12:13], v[10:11], v[16:17]
	ds_bpermute_b32 v10, v24, v4
	ds_bpermute_b32 v11, v24, v5
	;; [unrolled: 1-line block ×4, first 2 shown]
	s_and_saveexec_b32 s6, s3
	s_cbranch_execz .LBB164_10
; %bb.9:                                ;   in Loop: Header=BB164_4 Depth=1
	s_wait_dscnt 0x0
	v_add_f64_e32 v[12:13], v[12:13], v[16:17]
	v_add_f64_e32 v[10:11], v[4:5], v[10:11]
	ds_store_b128 v25, v[10:13]
.LBB164_10:                             ;   in Loop: Header=BB164_4 Depth=1
	s_or_b32 exec_lo, exec_lo, s6
	v_mov_b64_e32 v[12:13], 0
	s_wait_dscnt 0x2
	v_mov_b64_e32 v[10:11], 0
	s_wait_dscnt 0x0
	s_barrier_signal -1
	s_barrier_wait -1
	s_and_saveexec_b32 s6, s4
	s_cbranch_execnz .LBB164_17
; %bb.11:                               ;   in Loop: Header=BB164_4 Depth=1
	s_or_b32 exec_lo, exec_lo, s6
	s_and_saveexec_b32 s6, s2
	s_cbranch_execnz .LBB164_18
.LBB164_12:                             ;   in Loop: Header=BB164_4 Depth=1
	s_or_b32 exec_lo, exec_lo, s6
	s_and_saveexec_b32 s36, s5
	s_cbranch_execz .LBB164_3
	s_branch .LBB164_19
.LBB164_13:                             ;   in Loop: Header=BB164_4 Depth=1
	v_mad_nc_u64_u32 v[4:5], s24, s15, v[0:1]
	v_mov_b64_e32 v[10:11], 0
	v_mov_b64_e32 v[12:13], 0
	v_mov_b32_e32 v3, v18
	s_mov_b32 s7, 0
	s_delay_alu instid0(VALU_DEP_4)
	v_mad_u32 v5, s25, s15, v5
.LBB164_14:                             ;   Parent Loop BB164_4 Depth=1
                                        ; =>  This Inner Loop Header: Depth=2
	s_clause 0x7
	global_load_b128 v[26:29], v[4:5], off offset:-120
	global_load_b128 v[30:33], v[4:5], off offset:-104
	;; [unrolled: 1-line block ×8, first 2 shown]
	s_wait_xcnt 0x0
	v_add_nc_u64_e32 v[4:5], s[26:27], v[4:5]
	v_add_nc_u32_e32 v3, s34, v3
	s_delay_alu instid0(VALU_DEP_1)
	v_cmp_le_i32_e32 vcc_lo, s33, v3
	s_or_b32 s7, vcc_lo, s7
	s_wait_loadcnt 0x7
	v_add_f64_e32 v[12:13], v[12:13], v[26:27]
	v_add_f64_e32 v[10:11], v[10:11], v[28:29]
	s_wait_loadcnt 0x6
	s_delay_alu instid0(VALU_DEP_2) | instskip(NEXT) | instid1(VALU_DEP_2)
	v_add_f64_e32 v[12:13], v[12:13], v[30:31]
	v_add_f64_e32 v[10:11], v[10:11], v[32:33]
	s_wait_loadcnt 0x5
	s_delay_alu instid0(VALU_DEP_2) | instskip(NEXT) | instid1(VALU_DEP_2)
	;; [unrolled: 4-line block ×7, first 2 shown]
	v_add_f64_e32 v[12:13], v[12:13], v[54:55]
	v_add_f64_e32 v[10:11], v[10:11], v[56:57]
	s_and_not1_b32 exec_lo, exec_lo, s7
	s_cbranch_execnz .LBB164_14
; %bb.15:                               ;   in Loop: Header=BB164_4 Depth=1
	s_or_b32 exec_lo, exec_lo, s7
	s_delay_alu instid0(SALU_CYCLE_1)
	s_or_b32 exec_lo, exec_lo, s6
	s_and_saveexec_b32 s6, s1
	s_cbranch_execz .LBB164_6
.LBB164_16:                             ;   in Loop: Header=BB164_4 Depth=1
	s_mul_i32 s7, s31, s20
	s_mov_b32 s37, s21
	s_add_co_i32 s36, s7, s14
	s_delay_alu instid0(SALU_CYCLE_1) | instskip(NEXT) | instid1(SALU_CYCLE_1)
	s_mul_u64 s[36:37], s[36:37], s[22:23]
	s_lshl_b64 s[36:37], s[36:37], 4
	s_delay_alu instid0(SALU_CYCLE_1) | instskip(NEXT) | instid1(SALU_CYCLE_1)
	s_add_nc_u64 s[36:37], s[18:19], s[36:37]
	v_lshl_add_u64 v[4:5], v[14:15], 4, s[36:37]
	global_load_b128 v[26:29], v[4:5], off
	s_wait_loadcnt 0x0
	v_add_f64_e32 v[12:13], v[12:13], v[26:27]
	v_add_f64_e32 v[10:11], v[10:11], v[28:29]
	s_wait_xcnt 0x0
	s_or_b32 exec_lo, exec_lo, s6
	s_and_saveexec_b32 s6, s2
	s_cbranch_execnz .LBB164_7
	s_branch .LBB164_8
.LBB164_17:                             ;   in Loop: Header=BB164_4 Depth=1
	ds_load_b128 v[10:13], v19
	s_or_b32 exec_lo, exec_lo, s6
	s_and_saveexec_b32 s6, s2
	s_cbranch_execz .LBB164_12
.LBB164_18:                             ;   in Loop: Header=BB164_4 Depth=1
	s_wait_dscnt 0x0
	ds_bpermute_b32 v4, v22, v10
	ds_bpermute_b32 v5, v22, v11
	ds_bpermute_b32 v16, v22, v12
	ds_bpermute_b32 v17, v22, v13
	s_wait_dscnt 0x2
	v_add_f64_e32 v[4:5], v[10:11], v[4:5]
	s_wait_dscnt 0x0
	v_add_f64_e32 v[10:11], v[12:13], v[16:17]
	ds_bpermute_b32 v12, v23, v4
	ds_bpermute_b32 v13, v23, v5
	ds_bpermute_b32 v16, v23, v10
	ds_bpermute_b32 v17, v23, v11
	s_wait_dscnt 0x2
	v_add_f64_e32 v[4:5], v[4:5], v[12:13]
	s_wait_dscnt 0x0
	v_add_f64_e32 v[12:13], v[10:11], v[16:17]
	;; [unrolled: 8-line block ×3, first 2 shown]
	s_or_b32 exec_lo, exec_lo, s6
	s_and_saveexec_b32 s36, s5
	s_cbranch_execz .LBB164_3
.LBB164_19:                             ;   in Loop: Header=BB164_4 Depth=1
	v_cmp_neq_f64_e32 vcc_lo, 0, v[6:7]
	v_cmp_neq_f64_e64 s6, 0, v[8:9]
	s_or_b32 s37, vcc_lo, s6
	s_mul_u64 s[6:7], s[16:17], s[20:21]
	s_and_not1_b32 vcc_lo, exec_lo, s37
	s_lshl_b64 s[6:7], s[6:7], 4
	s_delay_alu instid0(SALU_CYCLE_1) | instskip(NEXT) | instid1(SALU_CYCLE_1)
	s_add_nc_u64 s[6:7], s[12:13], s[6:7]
	s_add_nc_u64 s[6:7], s[6:7], s[28:29]
	s_cbranch_vccnz .LBB164_2
; %bb.20:                               ;   in Loop: Header=BB164_4 Depth=1
	global_load_b128 v[26:29], v2, s[6:7]
	s_wait_loadcnt 0x0
	v_mul_f64_e32 v[4:5], v[8:9], v[28:29]
	v_mul_f64_e32 v[16:17], v[6:7], v[28:29]
	s_delay_alu instid0(VALU_DEP_2) | instskip(NEXT) | instid1(VALU_DEP_2)
	v_fma_f64 v[4:5], v[6:7], v[26:27], -v[4:5]
	v_fmac_f64_e32 v[16:17], v[8:9], v[26:27]
	s_wait_dscnt 0x0
	s_delay_alu instid0(VALU_DEP_2) | instskip(NEXT) | instid1(VALU_DEP_2)
	v_add_f64_e32 v[10:11], v[10:11], v[4:5]
	v_add_f64_e32 v[12:13], v[12:13], v[16:17]
	s_branch .LBB164_2
.LBB164_21:
	s_endpgm
	.section	.rodata,"a",@progbits
	.p2align	6, 0x0
	.amdhsa_kernel _ZL23rocblas_gemvt_sn_reduceILi256ELi8E19rocblas_complex_numIdEPKS1_S1_EviT2_lPT3_lilPT1_i
		.amdhsa_group_segment_fixed_size 512
		.amdhsa_private_segment_fixed_size 0
		.amdhsa_kernarg_size 328
		.amdhsa_user_sgpr_count 2
		.amdhsa_user_sgpr_dispatch_ptr 0
		.amdhsa_user_sgpr_queue_ptr 0
		.amdhsa_user_sgpr_kernarg_segment_ptr 1
		.amdhsa_user_sgpr_dispatch_id 0
		.amdhsa_user_sgpr_kernarg_preload_length 0
		.amdhsa_user_sgpr_kernarg_preload_offset 0
		.amdhsa_user_sgpr_private_segment_size 0
		.amdhsa_wavefront_size32 1
		.amdhsa_uses_dynamic_stack 0
		.amdhsa_enable_private_segment 0
		.amdhsa_system_sgpr_workgroup_id_x 1
		.amdhsa_system_sgpr_workgroup_id_y 1
		.amdhsa_system_sgpr_workgroup_id_z 1
		.amdhsa_system_sgpr_workgroup_info 0
		.amdhsa_system_vgpr_workitem_id 0
		.amdhsa_next_free_vgpr 58
		.amdhsa_next_free_sgpr 38
		.amdhsa_named_barrier_count 0
		.amdhsa_reserve_vcc 1
		.amdhsa_float_round_mode_32 0
		.amdhsa_float_round_mode_16_64 0
		.amdhsa_float_denorm_mode_32 3
		.amdhsa_float_denorm_mode_16_64 3
		.amdhsa_fp16_overflow 0
		.amdhsa_memory_ordered 1
		.amdhsa_forward_progress 1
		.amdhsa_inst_pref_size 13
		.amdhsa_round_robin_scheduling 0
		.amdhsa_exception_fp_ieee_invalid_op 0
		.amdhsa_exception_fp_denorm_src 0
		.amdhsa_exception_fp_ieee_div_zero 0
		.amdhsa_exception_fp_ieee_overflow 0
		.amdhsa_exception_fp_ieee_underflow 0
		.amdhsa_exception_fp_ieee_inexact 0
		.amdhsa_exception_int_div_zero 0
	.end_amdhsa_kernel
	.section	.text._ZL23rocblas_gemvt_sn_reduceILi256ELi8E19rocblas_complex_numIdEPKS1_S1_EviT2_lPT3_lilPT1_i,"axG",@progbits,_ZL23rocblas_gemvt_sn_reduceILi256ELi8E19rocblas_complex_numIdEPKS1_S1_EviT2_lPT3_lilPT1_i,comdat
.Lfunc_end164:
	.size	_ZL23rocblas_gemvt_sn_reduceILi256ELi8E19rocblas_complex_numIdEPKS1_S1_EviT2_lPT3_lilPT1_i, .Lfunc_end164-_ZL23rocblas_gemvt_sn_reduceILi256ELi8E19rocblas_complex_numIdEPKS1_S1_EviT2_lPT3_lilPT1_i
                                        ; -- End function
	.set _ZL23rocblas_gemvt_sn_reduceILi256ELi8E19rocblas_complex_numIdEPKS1_S1_EviT2_lPT3_lilPT1_i.num_vgpr, 58
	.set _ZL23rocblas_gemvt_sn_reduceILi256ELi8E19rocblas_complex_numIdEPKS1_S1_EviT2_lPT3_lilPT1_i.num_agpr, 0
	.set _ZL23rocblas_gemvt_sn_reduceILi256ELi8E19rocblas_complex_numIdEPKS1_S1_EviT2_lPT3_lilPT1_i.numbered_sgpr, 38
	.set _ZL23rocblas_gemvt_sn_reduceILi256ELi8E19rocblas_complex_numIdEPKS1_S1_EviT2_lPT3_lilPT1_i.num_named_barrier, 0
	.set _ZL23rocblas_gemvt_sn_reduceILi256ELi8E19rocblas_complex_numIdEPKS1_S1_EviT2_lPT3_lilPT1_i.private_seg_size, 0
	.set _ZL23rocblas_gemvt_sn_reduceILi256ELi8E19rocblas_complex_numIdEPKS1_S1_EviT2_lPT3_lilPT1_i.uses_vcc, 1
	.set _ZL23rocblas_gemvt_sn_reduceILi256ELi8E19rocblas_complex_numIdEPKS1_S1_EviT2_lPT3_lilPT1_i.uses_flat_scratch, 0
	.set _ZL23rocblas_gemvt_sn_reduceILi256ELi8E19rocblas_complex_numIdEPKS1_S1_EviT2_lPT3_lilPT1_i.has_dyn_sized_stack, 0
	.set _ZL23rocblas_gemvt_sn_reduceILi256ELi8E19rocblas_complex_numIdEPKS1_S1_EviT2_lPT3_lilPT1_i.has_recursion, 0
	.set _ZL23rocblas_gemvt_sn_reduceILi256ELi8E19rocblas_complex_numIdEPKS1_S1_EviT2_lPT3_lilPT1_i.has_indirect_call, 0
	.section	.AMDGPU.csdata,"",@progbits
; Kernel info:
; codeLenInByte = 1608
; TotalNumSgprs: 40
; NumVgprs: 58
; ScratchSize: 0
; MemoryBound: 1
; FloatMode: 240
; IeeeMode: 1
; LDSByteSize: 512 bytes/workgroup (compile time only)
; SGPRBlocks: 0
; VGPRBlocks: 3
; NumSGPRsForWavesPerEU: 40
; NumVGPRsForWavesPerEU: 58
; NamedBarCnt: 0
; Occupancy: 16
; WaveLimiterHint : 0
; COMPUTE_PGM_RSRC2:SCRATCH_EN: 0
; COMPUTE_PGM_RSRC2:USER_SGPR: 2
; COMPUTE_PGM_RSRC2:TRAP_HANDLER: 0
; COMPUTE_PGM_RSRC2:TGID_X_EN: 1
; COMPUTE_PGM_RSRC2:TGID_Y_EN: 1
; COMPUTE_PGM_RSRC2:TGID_Z_EN: 1
; COMPUTE_PGM_RSRC2:TIDIG_COMP_CNT: 0
	.section	.text._ZL23rocblas_gemvt_sn_kernelILb0ELi256ELi4Ei19rocblas_complex_numIdES1_S1_EviiT4_lPKT3_lilS5_lilPT5_i,"axG",@progbits,_ZL23rocblas_gemvt_sn_kernelILb0ELi256ELi4Ei19rocblas_complex_numIdES1_S1_EviiT4_lPKT3_lilS5_lilPT5_i,comdat
	.globl	_ZL23rocblas_gemvt_sn_kernelILb0ELi256ELi4Ei19rocblas_complex_numIdES1_S1_EviiT4_lPKT3_lilS5_lilPT5_i ; -- Begin function _ZL23rocblas_gemvt_sn_kernelILb0ELi256ELi4Ei19rocblas_complex_numIdES1_S1_EviiT4_lPKT3_lilS5_lilPT5_i
	.p2align	8
	.type	_ZL23rocblas_gemvt_sn_kernelILb0ELi256ELi4Ei19rocblas_complex_numIdES1_S1_EviiT4_lPKT3_lilS5_lilPT5_i,@function
_ZL23rocblas_gemvt_sn_kernelILb0ELi256ELi4Ei19rocblas_complex_numIdES1_S1_EviiT4_lPKT3_lilS5_lilPT5_i: ; @_ZL23rocblas_gemvt_sn_kernelILb0ELi256ELi4Ei19rocblas_complex_numIdES1_S1_EviiT4_lPKT3_lilS5_lilPT5_i
; %bb.0:
	s_load_b32 s11, s[0:1], 0x68
	s_bfe_u32 s2, ttmp6, 0x40014
	s_lshr_b32 s3, ttmp7, 16
	s_add_co_i32 s2, s2, 1
	s_bfe_u32 s4, ttmp6, 0x40008
	s_mul_i32 s2, s3, s2
	s_getreg_b32 s25, hwreg(HW_REG_IB_STS2, 6, 4)
	s_add_co_i32 s4, s4, s2
	s_cmp_eq_u32 s25, 0
	s_mov_b32 s27, 0
	s_cselect_b32 s24, s3, s4
	s_wait_kmcnt 0x0
	s_cmp_ge_u32 s24, s11
	s_cbranch_scc1 .LBB165_80
; %bb.1:
	s_clause 0x7
	s_load_b128 s[12:15], s[0:1], 0x8
	s_load_b96 s[8:10], s[0:1], 0x48
	s_load_b128 s[4:7], s[0:1], 0x20
	s_load_b64 s[28:29], s[0:1], 0x0
	s_load_b128 s[16:19], s[0:1], 0x38
	s_load_b32 s33, s[0:1], 0x30
	s_load_b128 s[20:23], s[0:1], 0x58
	s_load_b32 s30, s[0:1], 0x70
	s_wait_xcnt 0x0
	v_cmp_eq_u32_e64 s0, 0, v0
	v_dual_lshrrev_b32 v3, 1, v0 :: v_dual_bitop2_b32 v1, 31, v0 bitop3:0x40
	v_cmp_gt_u32_e64 s1, 32, v0
	v_cmp_gt_u32_e64 s2, 8, v0
	s_delay_alu instid0(VALU_DEP_3) | instskip(NEXT) | instid1(VALU_DEP_4)
	v_dual_mov_b32 v2, 0 :: v_dual_lshlrev_b32 v47, 4, v1
	v_and_b32_e32 v48, 0x70, v3
	v_cmp_eq_u32_e64 s3, 0, v1
	v_mbcnt_lo_u32_b32 v46, -1, 0
	s_mov_b32 s31, s27
	s_mov_b32 s35, s27
	;; [unrolled: 1-line block ×3, first 2 shown]
	s_wait_kmcnt 0x0
	s_lshl_b64 s[8:9], s[8:9], 4
	s_lshl_b64 s[6:7], s[6:7], 4
	s_ashr_i32 s39, s29, 31
	s_add_nc_u64 s[4:5], s[4:5], s[6:7]
	s_add_nc_u64 s[18:19], s[18:19], s[8:9]
	v_cmp_eq_f64_e64 s26, s[12:13], 0
	v_cmp_eq_f64_e64 s34, s[14:15], 0
	s_mov_b32 s38, s29
	v_lshl_or_b32 v49, v46, 2, 64
	s_mul_u64 s[36:37], s[38:39], s[30:31]
	s_mov_b32 s63, 32
	s_mov_b32 s64, 48
	s_mul_i32 s67, s33, 3
	s_and_b32 s56, s26, s34
	s_cmp_gt_i32 s29, 0
	s_cselect_b32 s6, -1, 0
	s_bfe_u32 s7, ttmp6, 0x4000c
	s_and_b32 s8, ttmp6, 15
	s_add_co_i32 s7, s7, 1
	s_and_b32 s57, s0, s6
	s_mul_i32 s7, ttmp9, s7
	s_delay_alu instid0(SALU_CYCLE_1)
	s_add_co_i32 s8, s8, s7
	s_cmp_eq_u32 s25, 0
	s_cselect_b32 s34, ttmp9, s8
	s_ashr_i32 s7, s28, 31
	s_lshl_b32 s8, s34, 10
	s_lshr_b32 s7, s7, 30
	v_lshl_or_b32 v4, v0, 2, s8
	s_add_co_i32 s7, s28, s7
	s_lshr_b32 s6, s39, 30
	s_and_b32 s7, s7, -4
	s_add_co_i32 s6, s29, s6
	v_mul_lo_u32 v0, s10, v4
	s_sub_co_i32 s59, s28, s7
	v_dual_ashrrev_i32 v5, 31, v4 :: v_dual_add_nc_u32 v1, 4, v4
	s_and_b32 s58, s6, -4
	s_delay_alu instid0(SALU_CYCLE_1) | instskip(NEXT) | instid1(VALU_DEP_1)
	s_cmp_gt_i32 s58, 0
	v_lshl_add_u64 v[24:25], v[4:5], 4, s[4:5]
	s_cselect_b32 s60, -1, 0
	s_cmp_gt_i32 s59, 0
	v_cmp_ge_i32_e64 s4, s28, v1
	s_delay_alu instid0(VALU_DEP_4)
	v_add_nc_u32_e32 v22, s10, v0
	v_add_nc_u32_e32 v3, s59, v4
	v_add_nc_u64_e32 v[28:29], 8, v[24:25]
	s_cselect_b32 s61, -1, 0
	s_lshl_b64 s[38:39], s[34:35], 4
	v_add_nc_u32_e32 v26, s10, v22
	v_cmp_ge_i32_e64 s5, s28, v3
	s_add_nc_u64 s[6:7], s[22:23], s[38:39]
	s_or_b32 s65, 0, 8
	s_lshl_b64 s[40:41], s[36:37], 4
	v_dual_add_nc_u32 v30, s10, v26 :: v_dual_ashrrev_i32 v1, 31, v0
	v_ashrrev_i32_e32 v23, 31, v22
	v_ashrrev_i32_e32 v27, 31, v26
	s_lshl_b64 s[42:43], s[30:31], 4
	s_delay_alu instid0(VALU_DEP_3)
	v_ashrrev_i32_e32 v31, 31, v30
	s_lshl_b32 s35, s33, 2
	s_add_nc_u64 s[44:45], s[6:7], 8
	s_and_b32 s28, s61, s5
	s_lshl_b32 s66, s33, 1
	s_lshl_b64 s[46:47], s[16:17], 4
	s_branch .LBB165_3
.LBB165_2:                              ;   in Loop: Header=BB165_3 Depth=1
	s_add_co_i32 s24, s24, 0x10000
	s_delay_alu instid0(SALU_CYCLE_1)
	s_cmp_lt_u32 s24, s11
	s_cbranch_scc0 .LBB165_80
.LBB165_3:                              ; =>This Loop Header: Depth=1
                                        ;     Child Loop BB165_6 Depth 2
                                        ;     Child Loop BB165_12 Depth 2
                                        ;       Child Loop BB165_43 Depth 3
                                        ;       Child Loop BB165_45 Depth 3
                                        ;     Child Loop BB165_61 Depth 2
                                        ;       Child Loop BB165_73 Depth 3
                                        ;       Child Loop BB165_75 Depth 3
	s_mov_b32 s25, s27
	s_and_not1_b32 vcc_lo, exec_lo, s56
	s_mov_b32 s6, -1
	s_cbranch_vccnz .LBB165_8
; %bb.4:                                ;   in Loop: Header=BB165_3 Depth=1
	s_and_saveexec_b32 s8, s57
	s_cbranch_execz .LBB165_7
; %bb.5:                                ;   in Loop: Header=BB165_3 Depth=1
	s_mul_u64 s[6:7], s[40:41], s[24:25]
	s_mov_b32 s9, s29
	s_add_nc_u64 s[6:7], s[44:45], s[6:7]
.LBB165_6:                              ;   Parent Loop BB165_3 Depth=1
                                        ; =>  This Inner Loop Header: Depth=2
	s_wait_dscnt 0x0
	v_dual_mov_b32 v3, v2 :: v_dual_mov_b32 v4, v2
	v_mov_b32_e32 v5, v2
	s_add_co_i32 s9, s9, -1
	s_delay_alu instid0(SALU_CYCLE_1)
	s_cmp_eq_u32 s9, 0
	global_store_b128 v2, v[2:5], s[6:7] offset:-8
	s_wait_xcnt 0x0
	s_add_nc_u64 s[6:7], s[6:7], s[42:43]
	s_cbranch_scc0 .LBB165_6
.LBB165_7:                              ;   in Loop: Header=BB165_3 Depth=1
	s_or_b32 exec_lo, exec_lo, s8
	s_mov_b32 s6, 0
.LBB165_8:                              ;   in Loop: Header=BB165_3 Depth=1
	s_delay_alu instid0(SALU_CYCLE_1)
	s_and_not1_b32 vcc_lo, exec_lo, s6
	s_cbranch_vccnz .LBB165_2
; %bb.9:                                ;   in Loop: Header=BB165_3 Depth=1
	s_mul_u64 s[6:7], s[20:21], s[24:25]
	s_mul_u64 s[8:9], s[46:47], s[24:25]
	s_lshl_b64 s[6:7], s[6:7], 4
	s_mul_u64 s[50:51], s[16:17], s[24:25]
	s_add_nc_u64 s[48:49], s[18:19], s[6:7]
	v_add_nc_u64_e32 v[42:43], s[8:9], v[28:29]
	s_mul_u64 s[52:53], s[36:37], s[24:25]
	v_lshl_add_u64 v[32:33], s[50:51], 4, v[24:25]
	v_lshl_add_u64 v[34:35], v[0:1], 4, s[48:49]
	;; [unrolled: 1-line block ×5, first 2 shown]
	v_cmp_gt_u32_e64 s9, 24, v46
	v_cmp_gt_u32_e64 s8, 28, v46
	;; [unrolled: 1-line block ×3, first 2 shown]
	v_cmp_ne_u32_e64 s6, 31, v46
	s_lshl_b64 s[50:51], s[52:53], 4
	s_and_not1_b32 vcc_lo, exec_lo, s60
	s_add_nc_u64 s[50:51], s[22:23], s[50:51]
	s_cbranch_vccnz .LBB165_57
; %bb.10:                               ;   in Loop: Header=BB165_3 Depth=1
	v_cndmask_b32_e64 v3, 0, 8, s9
	s_wait_dscnt 0x0
	v_cndmask_b32_e64 v4, 0, 4, s8
	v_cndmask_b32_e64 v5, 0, 2, s7
	v_add_co_ci_u32_e64 v6, null, 0, v46, s6
	v_add_lshl_u32 v50, v3, v46, 2
	s_delay_alu instid0(VALU_DEP_4) | instskip(NEXT) | instid1(VALU_DEP_4)
	v_add_lshl_u32 v51, v4, v46, 2
	v_add_lshl_u32 v52, v5, v46, 2
	s_delay_alu instid0(VALU_DEP_4)
	v_lshlrev_b32_e32 v53, 2, v6
	s_mov_b32 s6, 0
	s_mov_b32 s25, s67
	;; [unrolled: 1-line block ×5, first 2 shown]
	s_branch .LBB165_12
.LBB165_11:                             ;   in Loop: Header=BB165_12 Depth=2
	s_wait_xcnt 0x0
	s_or_b32 exec_lo, exec_lo, s7
	s_add_co_i32 s26, s26, 4
	s_add_co_i32 s69, s69, s35
	;; [unrolled: 1-line block ×5, first 2 shown]
	s_cmp_ge_i32 s26, s58
	s_cbranch_scc1 .LBB165_58
.LBB165_12:                             ;   Parent Loop BB165_3 Depth=1
                                        ; =>  This Loop Header: Depth=2
                                        ;       Child Loop BB165_43 Depth 3
                                        ;       Child Loop BB165_45 Depth 3
                                        ; implicit-def: $vgpr18_vgpr19
                                        ; implicit-def: $vgpr20_vgpr21
                                        ; implicit-def: $vgpr14_vgpr15
                                        ; implicit-def: $vgpr16_vgpr17
                                        ; implicit-def: $vgpr10_vgpr11
                                        ; implicit-def: $vgpr12_vgpr13
                                        ; implicit-def: $vgpr8_vgpr9
                                        ; implicit-def: $vgpr6_vgpr7
	s_and_saveexec_b32 s7, s4
	s_delay_alu instid0(SALU_CYCLE_1)
	s_xor_b32 s7, exec_lo, s7
	s_cbranch_execnz .LBB165_39
; %bb.13:                               ;   in Loop: Header=BB165_12 Depth=2
	s_and_not1_saveexec_b32 s70, s7
	s_cbranch_execnz .LBB165_40
.LBB165_14:                             ;   in Loop: Header=BB165_12 Depth=2
	s_or_b32 exec_lo, exec_lo, s70
	s_and_saveexec_b32 s7, s1
.LBB165_15:                             ;   in Loop: Header=BB165_12 Depth=2
	v_dual_mov_b32 v3, v2 :: v_dual_mov_b32 v4, v2
	v_mov_b32_e32 v5, v2
	ds_store_b128 v47, v[2:5]
.LBB165_16:                             ;   in Loop: Header=BB165_12 Depth=2
	s_or_b32 exec_lo, exec_lo, s7
	ds_bpermute_b32 v4, v49, v8
	ds_bpermute_b32 v5, v49, v9
	;; [unrolled: 1-line block ×4, first 2 shown]
	s_wait_storecnt_dscnt 0x0
	s_barrier_signal -1
	s_barrier_wait -1
	v_add_f64_e32 v[4:5], v[8:9], v[4:5]
	v_add_f64_e32 v[6:7], v[6:7], v[44:45]
	ds_bpermute_b32 v8, v50, v4
	ds_bpermute_b32 v9, v50, v5
	ds_bpermute_b32 v44, v50, v6
	ds_bpermute_b32 v45, v50, v7
	s_wait_dscnt 0x2
	v_add_f64_e32 v[4:5], v[4:5], v[8:9]
	s_wait_dscnt 0x0
	v_add_f64_e32 v[6:7], v[6:7], v[44:45]
	ds_bpermute_b32 v8, v51, v4
	ds_bpermute_b32 v9, v51, v5
	ds_bpermute_b32 v44, v51, v6
	ds_bpermute_b32 v45, v51, v7
	s_wait_dscnt 0x2
	v_add_f64_e32 v[4:5], v[4:5], v[8:9]
	s_wait_dscnt 0x0
	;; [unrolled: 8-line block ×3, first 2 shown]
	v_add_f64_e32 v[8:9], v[6:7], v[44:45]
	ds_bpermute_b32 v6, v53, v4
	ds_bpermute_b32 v7, v53, v5
	;; [unrolled: 1-line block ×4, first 2 shown]
	s_and_saveexec_b32 s7, s3
	s_cbranch_execz .LBB165_18
; %bb.17:                               ;   in Loop: Header=BB165_12 Depth=2
	s_wait_dscnt 0x0
	v_add_f64_e32 v[8:9], v[8:9], v[44:45]
	v_add_f64_e32 v[6:7], v[4:5], v[6:7]
	ds_store_b128 v48, v[6:9]
.LBB165_18:                             ;   in Loop: Header=BB165_12 Depth=2
	s_or_b32 exec_lo, exec_lo, s7
	v_mov_b64_e32 v[8:9], 0
	s_wait_dscnt 0x2
	v_mov_b64_e32 v[6:7], 0
	s_wait_dscnt 0x0
	s_barrier_signal -1
	s_barrier_wait -1
	s_and_saveexec_b32 s7, s2
	s_cbranch_execnz .LBB165_46
; %bb.19:                               ;   in Loop: Header=BB165_12 Depth=2
	s_or_b32 exec_lo, exec_lo, s7
	s_and_saveexec_b32 s7, s1
	s_cbranch_execnz .LBB165_47
.LBB165_20:                             ;   in Loop: Header=BB165_12 Depth=2
	s_or_b32 exec_lo, exec_lo, s7
	s_and_saveexec_b32 s7, s1
.LBB165_21:                             ;   in Loop: Header=BB165_12 Depth=2
	v_dual_mov_b32 v3, v2 :: v_dual_mov_b32 v4, v2
	v_mov_b32_e32 v5, v2
	ds_store_b128 v47, v[2:5]
.LBB165_22:                             ;   in Loop: Header=BB165_12 Depth=2
	s_or_b32 exec_lo, exec_lo, s7
	ds_bpermute_b32 v4, v49, v10
	ds_bpermute_b32 v5, v49, v11
	ds_bpermute_b32 v44, v49, v12
	ds_bpermute_b32 v45, v49, v13
	s_wait_dscnt 0x0
	s_barrier_signal -1
	s_barrier_wait -1
	v_add_f64_e32 v[4:5], v[10:11], v[4:5]
	v_add_f64_e32 v[10:11], v[12:13], v[44:45]
	ds_bpermute_b32 v12, v50, v4
	ds_bpermute_b32 v13, v50, v5
	ds_bpermute_b32 v44, v50, v10
	ds_bpermute_b32 v45, v50, v11
	s_wait_dscnt 0x2
	v_add_f64_e32 v[4:5], v[4:5], v[12:13]
	s_wait_dscnt 0x0
	v_add_f64_e32 v[10:11], v[10:11], v[44:45]
	ds_bpermute_b32 v12, v51, v4
	ds_bpermute_b32 v13, v51, v5
	ds_bpermute_b32 v44, v51, v10
	ds_bpermute_b32 v45, v51, v11
	s_wait_dscnt 0x2
	v_add_f64_e32 v[4:5], v[4:5], v[12:13]
	s_wait_dscnt 0x0
	;; [unrolled: 8-line block ×3, first 2 shown]
	v_add_f64_e32 v[12:13], v[10:11], v[44:45]
	ds_bpermute_b32 v10, v53, v4
	ds_bpermute_b32 v11, v53, v5
	;; [unrolled: 1-line block ×4, first 2 shown]
	s_and_saveexec_b32 s7, s3
	s_cbranch_execz .LBB165_24
; %bb.23:                               ;   in Loop: Header=BB165_12 Depth=2
	s_wait_dscnt 0x0
	v_add_f64_e32 v[12:13], v[12:13], v[44:45]
	v_add_f64_e32 v[10:11], v[4:5], v[10:11]
	ds_store_b128 v48, v[10:13]
.LBB165_24:                             ;   in Loop: Header=BB165_12 Depth=2
	s_or_b32 exec_lo, exec_lo, s7
	v_mov_b64_e32 v[12:13], 0
	s_wait_dscnt 0x2
	v_mov_b64_e32 v[10:11], 0
	s_wait_dscnt 0x0
	s_barrier_signal -1
	s_barrier_wait -1
	s_and_saveexec_b32 s7, s2
	s_cbranch_execnz .LBB165_48
; %bb.25:                               ;   in Loop: Header=BB165_12 Depth=2
	s_or_b32 exec_lo, exec_lo, s7
	s_and_saveexec_b32 s7, s1
	s_cbranch_execnz .LBB165_49
.LBB165_26:                             ;   in Loop: Header=BB165_12 Depth=2
	s_or_b32 exec_lo, exec_lo, s7
	s_and_saveexec_b32 s7, s1
.LBB165_27:                             ;   in Loop: Header=BB165_12 Depth=2
	v_dual_mov_b32 v3, v2 :: v_dual_mov_b32 v4, v2
	v_mov_b32_e32 v5, v2
	ds_store_b128 v47, v[2:5]
.LBB165_28:                             ;   in Loop: Header=BB165_12 Depth=2
	s_or_b32 exec_lo, exec_lo, s7
	ds_bpermute_b32 v4, v49, v14
	ds_bpermute_b32 v5, v49, v15
	;; [unrolled: 1-line block ×4, first 2 shown]
	s_wait_dscnt 0x0
	s_barrier_signal -1
	s_barrier_wait -1
	v_add_f64_e32 v[4:5], v[14:15], v[4:5]
	v_add_f64_e32 v[14:15], v[16:17], v[44:45]
	ds_bpermute_b32 v16, v50, v4
	ds_bpermute_b32 v17, v50, v5
	ds_bpermute_b32 v44, v50, v14
	ds_bpermute_b32 v45, v50, v15
	s_wait_dscnt 0x2
	v_add_f64_e32 v[4:5], v[4:5], v[16:17]
	s_wait_dscnt 0x0
	v_add_f64_e32 v[14:15], v[14:15], v[44:45]
	ds_bpermute_b32 v16, v51, v4
	ds_bpermute_b32 v17, v51, v5
	ds_bpermute_b32 v44, v51, v14
	ds_bpermute_b32 v45, v51, v15
	s_wait_dscnt 0x2
	v_add_f64_e32 v[4:5], v[4:5], v[16:17]
	s_wait_dscnt 0x0
	;; [unrolled: 8-line block ×3, first 2 shown]
	v_add_f64_e32 v[16:17], v[14:15], v[44:45]
	ds_bpermute_b32 v14, v53, v4
	ds_bpermute_b32 v15, v53, v5
	;; [unrolled: 1-line block ×4, first 2 shown]
	s_and_saveexec_b32 s7, s3
	s_cbranch_execz .LBB165_30
; %bb.29:                               ;   in Loop: Header=BB165_12 Depth=2
	s_wait_dscnt 0x0
	v_add_f64_e32 v[16:17], v[16:17], v[44:45]
	v_add_f64_e32 v[14:15], v[4:5], v[14:15]
	ds_store_b128 v48, v[14:17]
.LBB165_30:                             ;   in Loop: Header=BB165_12 Depth=2
	s_or_b32 exec_lo, exec_lo, s7
	v_mov_b64_e32 v[16:17], 0
	s_wait_dscnt 0x2
	v_mov_b64_e32 v[14:15], 0
	s_wait_dscnt 0x0
	s_barrier_signal -1
	s_barrier_wait -1
	s_and_saveexec_b32 s7, s2
	s_cbranch_execnz .LBB165_50
; %bb.31:                               ;   in Loop: Header=BB165_12 Depth=2
	s_or_b32 exec_lo, exec_lo, s7
	s_and_saveexec_b32 s7, s1
	s_cbranch_execnz .LBB165_51
.LBB165_32:                             ;   in Loop: Header=BB165_12 Depth=2
	s_or_b32 exec_lo, exec_lo, s7
	s_and_saveexec_b32 s7, s1
.LBB165_33:                             ;   in Loop: Header=BB165_12 Depth=2
	v_dual_mov_b32 v3, v2 :: v_dual_mov_b32 v4, v2
	v_mov_b32_e32 v5, v2
	ds_store_b128 v47, v[2:5]
.LBB165_34:                             ;   in Loop: Header=BB165_12 Depth=2
	s_or_b32 exec_lo, exec_lo, s7
	ds_bpermute_b32 v4, v49, v18
	ds_bpermute_b32 v5, v49, v19
	;; [unrolled: 1-line block ×4, first 2 shown]
	s_wait_dscnt 0x0
	s_barrier_signal -1
	s_barrier_wait -1
	v_add_f64_e32 v[4:5], v[18:19], v[4:5]
	v_add_f64_e32 v[18:19], v[20:21], v[44:45]
	ds_bpermute_b32 v20, v50, v4
	ds_bpermute_b32 v21, v50, v5
	ds_bpermute_b32 v44, v50, v18
	ds_bpermute_b32 v45, v50, v19
	s_wait_dscnt 0x2
	v_add_f64_e32 v[4:5], v[4:5], v[20:21]
	s_wait_dscnt 0x0
	v_add_f64_e32 v[18:19], v[18:19], v[44:45]
	ds_bpermute_b32 v20, v51, v4
	ds_bpermute_b32 v21, v51, v5
	ds_bpermute_b32 v44, v51, v18
	ds_bpermute_b32 v45, v51, v19
	s_wait_dscnt 0x2
	v_add_f64_e32 v[4:5], v[4:5], v[20:21]
	s_wait_dscnt 0x0
	v_add_f64_e32 v[18:19], v[18:19], v[44:45]
	ds_bpermute_b32 v20, v52, v4
	ds_bpermute_b32 v21, v52, v5
	ds_bpermute_b32 v44, v52, v18
	ds_bpermute_b32 v45, v52, v19
	s_wait_dscnt 0x2
	v_add_f64_e32 v[4:5], v[4:5], v[20:21]
	s_wait_dscnt 0x0
	v_add_f64_e32 v[20:21], v[18:19], v[44:45]
	ds_bpermute_b32 v18, v53, v4
	ds_bpermute_b32 v19, v53, v5
	ds_bpermute_b32 v44, v53, v20
	ds_bpermute_b32 v45, v53, v21
	s_and_saveexec_b32 s7, s3
	s_cbranch_execz .LBB165_36
; %bb.35:                               ;   in Loop: Header=BB165_12 Depth=2
	s_wait_dscnt 0x0
	v_add_f64_e32 v[20:21], v[20:21], v[44:45]
	v_add_f64_e32 v[18:19], v[4:5], v[18:19]
	ds_store_b128 v48, v[18:21]
.LBB165_36:                             ;   in Loop: Header=BB165_12 Depth=2
	s_or_b32 exec_lo, exec_lo, s7
	v_mov_b64_e32 v[20:21], 0
	s_wait_dscnt 0x2
	v_mov_b64_e32 v[18:19], 0
	s_wait_dscnt 0x0
	s_barrier_signal -1
	s_barrier_wait -1
	s_and_saveexec_b32 s7, s2
	s_cbranch_execnz .LBB165_52
; %bb.37:                               ;   in Loop: Header=BB165_12 Depth=2
	s_or_b32 exec_lo, exec_lo, s7
	s_and_saveexec_b32 s7, s1
	s_cbranch_execnz .LBB165_53
.LBB165_38:                             ;   in Loop: Header=BB165_12 Depth=2
	s_or_b32 exec_lo, exec_lo, s7
	s_and_saveexec_b32 s7, s0
	s_cbranch_execz .LBB165_11
	s_branch .LBB165_54
.LBB165_39:                             ;   in Loop: Header=BB165_12 Depth=2
	s_clause 0x2
	global_load_b128 v[4:7], v[36:37], off
	global_load_b128 v[8:11], v[38:39], off
	;; [unrolled: 1-line block ×3, first 2 shown]
	s_mul_i32 s8, s26, s33
	global_load_b128 v[54:57], v[34:35], off
	s_ashr_i32 s9, s8, 31
	s_add_co_i32 s52, s8, s33
	s_wait_dscnt 0x0
	v_lshl_add_u64 v[20:21], s[8:9], 4, v[32:33]
	s_ashr_i32 s53, s52, 31
	s_add_co_i32 s8, s52, s33
	v_lshl_add_u64 v[44:45], s[52:53], 4, v[32:33]
	s_add_co_i32 s52, s8, s33
	s_ashr_i32 s9, s8, 31
	s_ashr_i32 s53, s52, 31
	v_lshl_add_u64 v[110:111], s[8:9], 4, v[32:33]
	v_lshl_add_u64 v[114:115], s[52:53], 4, v[32:33]
	s_clause 0x4
	global_load_b128 v[16:19], v[20:21], off
	global_load_b128 v[58:61], v[44:45], off
	;; [unrolled: 1-line block ×4, first 2 shown]
	global_load_b128 v[70:73], v[20:21], off offset:16
	s_wait_loadcnt 0x8
	scratch_store_b128 off, v[4:7], s62
	scratch_load_b128 v[4:7], off, off offset:16
	s_clause 0x3
	global_load_b128 v[74:77], v[44:45], off offset:16
	global_load_b128 v[78:81], v[110:111], off offset:16
	global_load_b128 v[82:85], v[114:115], off offset:16
	global_load_b128 v[86:89], v[20:21], off offset:32
	s_wait_loadcnt 0xc
	scratch_store_b128 off, v[8:11], s63
	scratch_load_b128 v[8:11], off, off offset:32
	s_clause 0x3
	global_load_b128 v[90:93], v[44:45], off offset:32
	global_load_b128 v[94:97], v[110:111], off offset:32
	global_load_b128 v[98:101], v[114:115], off offset:32
	global_load_b128 v[102:105], v[20:21], off offset:48
	s_wait_loadcnt 0x10
	scratch_store_b128 off, v[12:15], s64
	scratch_load_b128 v[12:15], off, off offset:48
	s_clause 0x2
	global_load_b128 v[106:109], v[44:45], off offset:48
	global_load_b128 v[110:113], v[110:111], off offset:48
	global_load_b128 v[114:117], v[114:115], off offset:48
	s_wait_loadcnt 0x13
	scratch_store_b128 off, v[54:57], off
	s_wait_loadcnt 0x12
	v_mul_f64_e32 v[20:21], v[56:57], v[18:19]
	v_mul_f64_e32 v[18:19], v[54:55], v[18:19]
	s_wait_loadcnt 0x11
	s_wait_xcnt 0x3
	v_mul_f64_e32 v[44:45], v[56:57], v[60:61]
	v_mul_f64_e32 v[60:61], v[54:55], v[60:61]
	s_wait_loadcnt 0x10
	v_mul_f64_e32 v[118:119], v[56:57], v[64:65]
	v_mul_f64_e32 v[64:65], v[54:55], v[64:65]
	s_wait_loadcnt 0xf
	v_mul_f64_e32 v[120:121], v[56:57], v[68:69]
	v_mul_f64_e32 v[68:69], v[54:55], v[68:69]
	v_fma_f64 v[20:21], v[54:55], v[16:17], -v[20:21]
	v_fmac_f64_e32 v[18:19], v[56:57], v[16:17]
	v_fma_f64 v[44:45], v[54:55], v[58:59], -v[44:45]
	v_fmac_f64_e32 v[60:61], v[56:57], v[58:59]
	;; [unrolled: 2-line block ×4, first 2 shown]
	v_add_f64_e32 v[20:21], 0, v[20:21]
	v_add_f64_e32 v[18:19], 0, v[18:19]
	;; [unrolled: 1-line block ×6, first 2 shown]
	s_wait_loadcnt 0xd
	v_mul_f64_e32 v[16:17], v[6:7], v[72:73]
	v_mul_f64_e32 v[72:73], v[4:5], v[72:73]
	s_wait_loadcnt 0xc
	v_mul_f64_e32 v[58:59], v[6:7], v[76:77]
	v_mul_f64_e32 v[76:77], v[4:5], v[76:77]
	;; [unrolled: 3-line block ×4, first 2 shown]
	s_wait_loadcnt 0x8
	v_mul_f64_e32 v[122:123], v[10:11], v[88:89]
	v_fma_f64 v[16:17], v[4:5], v[70:71], -v[16:17]
	v_fmac_f64_e32 v[72:73], v[6:7], v[70:71]
	v_mul_f64_e32 v[70:71], v[8:9], v[88:89]
	s_wait_loadcnt 0x7
	v_mul_f64_e32 v[88:89], v[10:11], v[92:93]
	v_fma_f64 v[58:59], v[4:5], v[74:75], -v[58:59]
	v_fmac_f64_e32 v[76:77], v[6:7], v[74:75]
	v_mul_f64_e32 v[74:75], v[8:9], v[92:93]
	s_wait_loadcnt 0x6
	v_mul_f64_e32 v[92:93], v[10:11], v[96:97]
	v_fma_f64 v[62:63], v[4:5], v[78:79], -v[62:63]
	v_fmac_f64_e32 v[80:81], v[6:7], v[78:79]
	v_mul_f64_e32 v[78:79], v[8:9], v[96:97]
	s_wait_loadcnt 0x5
	v_mul_f64_e32 v[96:97], v[10:11], v[100:101]
	v_fma_f64 v[4:5], v[4:5], v[82:83], -v[66:67]
	v_fmac_f64_e32 v[84:85], v[6:7], v[82:83]
	v_mul_f64_e32 v[6:7], v[8:9], v[100:101]
	v_add_f64_e32 v[66:67], 0, v[118:119]
	v_add_f64_e32 v[82:83], 0, v[120:121]
	s_wait_loadcnt 0x3
	v_mul_f64_e32 v[100:101], v[14:15], v[104:105]
	v_mul_f64_e32 v[104:105], v[12:13], v[104:105]
	s_wait_loadcnt 0x2
	v_mul_f64_e32 v[118:119], v[14:15], v[108:109]
	v_fma_f64 v[120:121], v[8:9], v[86:87], -v[122:123]
	v_fmac_f64_e32 v[70:71], v[10:11], v[86:87]
	v_mul_f64_e32 v[86:87], v[12:13], v[108:109]
	s_wait_loadcnt 0x1
	v_mul_f64_e32 v[108:109], v[14:15], v[112:113]
	v_fma_f64 v[88:89], v[8:9], v[90:91], -v[88:89]
	v_fmac_f64_e32 v[74:75], v[10:11], v[90:91]
	;; [unrolled: 5-line block ×3, first 2 shown]
	v_mul_f64_e32 v[94:95], v[12:13], v[116:117]
	v_fma_f64 v[8:9], v[8:9], v[98:99], -v[96:97]
	v_fmac_f64_e32 v[6:7], v[10:11], v[98:99]
	v_add_f64_e32 v[10:11], v[20:21], v[16:17]
	v_add_f64_e32 v[16:17], v[18:19], v[72:73]
	;; [unrolled: 1-line block ×8, first 2 shown]
	v_fma_f64 v[62:63], v[12:13], v[102:103], -v[100:101]
	v_fmac_f64_e32 v[104:105], v[14:15], v[102:103]
	v_fma_f64 v[64:65], v[12:13], v[106:107], -v[118:119]
	v_fmac_f64_e32 v[86:87], v[14:15], v[106:107]
	;; [unrolled: 2-line block ×4, first 2 shown]
	v_add_f64_e32 v[10:11], v[10:11], v[120:121]
	v_add_f64_e32 v[12:13], v[16:17], v[70:71]
	;; [unrolled: 1-line block ×16, first 2 shown]
	s_wait_xcnt 0x0
	s_and_not1_saveexec_b32 s70, s7
	s_cbranch_execz .LBB165_14
.LBB165_40:                             ;   in Loop: Header=BB165_12 Depth=2
	s_wait_dscnt 0x0
	v_mov_b64_e32 v[18:19], 0
	v_mov_b64_e32 v[20:21], 0
	;; [unrolled: 1-line block ×8, first 2 shown]
	s_and_saveexec_b32 s71, s5
	s_cbranch_execz .LBB165_56
; %bb.41:                               ;   in Loop: Header=BB165_12 Depth=2
	s_and_not1_b32 vcc_lo, exec_lo, s61
	s_cbranch_vccnz .LBB165_55
; %bb.42:                               ;   in Loop: Header=BB165_12 Depth=2
	v_mov_b32_e32 v3, v0
	s_mov_b32 s7, 0
	s_mov_b32 s8, s59
.LBB165_43:                             ;   Parent Loop BB165_3 Depth=1
                                        ;     Parent Loop BB165_12 Depth=2
                                        ; =>    This Inner Loop Header: Depth=3
	global_load_b128 v[4:7], v3, s[48:49] scale_offset
	s_wait_xcnt 0x0
	v_add_nc_u32_e32 v3, s10, v3
	s_add_co_i32 s8, s8, -1
	s_wait_loadcnt 0x0
	scratch_store_b128 off, v[4:7], s7
	s_wait_xcnt 0x0
	s_add_co_i32 s7, s7, 16
	s_cmp_eq_u32 s8, 0
	s_cbranch_scc0 .LBB165_43
; %bb.44:                               ;   in Loop: Header=BB165_12 Depth=2
	s_ashr_i32 s7, s6, 31
	v_mov_b64_e32 v[6:7], 0
	v_mov_b64_e32 v[8:9], 0
	;; [unrolled: 1-line block ×8, first 2 shown]
	v_lshl_add_u64 v[4:5], s[6:7], 4, v[42:43]
	s_mov_b32 s7, s65
	s_mov_b32 s8, s25
	s_mov_b32 s52, s68
	s_mov_b32 s54, s69
	s_mov_b32 s72, s59
.LBB165_45:                             ;   Parent Loop BB165_3 Depth=1
                                        ;     Parent Loop BB165_12 Depth=2
                                        ; =>    This Inner Loop Header: Depth=3
	s_ashr_i32 s55, s54, 31
	s_ashr_i32 s53, s52, 31
	;; [unrolled: 1-line block ×3, first 2 shown]
	v_lshl_add_u64 v[44:45], s[54:55], 4, v[32:33]
	s_wait_xcnt 0x1
	v_lshl_add_u64 v[66:67], s[52:53], 4, v[32:33]
	s_wait_xcnt 0x0
	v_lshl_add_u64 v[70:71], s[8:9], 4, v[32:33]
	scratch_load_b128 v[54:57], off, s7 offset:-8
	global_load_b128 v[58:61], v[4:5], off offset:-8
	s_clause 0x2
	global_load_b128 v[62:65], v[44:45], off
	global_load_b128 v[66:69], v[66:67], off
	;; [unrolled: 1-line block ×3, first 2 shown]
	s_wait_xcnt 0x3
	v_add_nc_u64_e32 v[4:5], 16, v[4:5]
	s_add_co_i32 s72, s72, -1
	s_add_co_i32 s7, s7, 16
	s_add_co_i32 s54, s54, 1
	;; [unrolled: 1-line block ×4, first 2 shown]
	s_cmp_lg_u32 s72, 0
	s_wait_loadcnt 0x3
	s_wait_xcnt 0x2
	v_mul_f64_e32 v[44:45], v[56:57], v[60:61]
	v_mul_f64_e32 v[60:61], v[54:55], v[60:61]
	s_wait_loadcnt 0x2
	v_mul_f64_e32 v[74:75], v[56:57], v[64:65]
	v_mul_f64_e32 v[64:65], v[54:55], v[64:65]
	s_wait_loadcnt 0x1
	;; [unrolled: 3-line block ×3, first 2 shown]
	v_mul_f64_e32 v[78:79], v[56:57], v[72:73]
	v_mul_f64_e32 v[72:73], v[54:55], v[72:73]
	v_fma_f64 v[44:45], v[54:55], v[58:59], -v[44:45]
	v_fmac_f64_e32 v[60:61], v[56:57], v[58:59]
	v_fma_f64 v[58:59], v[54:55], v[62:63], -v[74:75]
	v_fmac_f64_e32 v[64:65], v[56:57], v[62:63]
	;; [unrolled: 2-line block ×4, first 2 shown]
	v_add_f64_e32 v[8:9], v[8:9], v[44:45]
	v_add_f64_e32 v[6:7], v[6:7], v[60:61]
	;; [unrolled: 1-line block ×8, first 2 shown]
	s_cbranch_scc1 .LBB165_45
	s_branch .LBB165_56
.LBB165_46:                             ;   in Loop: Header=BB165_12 Depth=2
	ds_load_b128 v[6:9], v47
	s_or_b32 exec_lo, exec_lo, s7
	s_and_saveexec_b32 s7, s1
	s_cbranch_execz .LBB165_20
.LBB165_47:                             ;   in Loop: Header=BB165_12 Depth=2
	s_wait_dscnt 0x0
	ds_bpermute_b32 v4, v51, v6
	ds_bpermute_b32 v5, v51, v7
	ds_bpermute_b32 v44, v51, v8
	ds_bpermute_b32 v45, v51, v9
	s_wait_dscnt 0x2
	v_add_f64_e32 v[4:5], v[6:7], v[4:5]
	s_wait_dscnt 0x0
	v_add_f64_e32 v[6:7], v[8:9], v[44:45]
	ds_bpermute_b32 v8, v52, v4
	ds_bpermute_b32 v9, v52, v5
	ds_bpermute_b32 v44, v52, v6
	ds_bpermute_b32 v45, v52, v7
	s_wait_dscnt 0x2
	v_add_f64_e32 v[4:5], v[4:5], v[8:9]
	s_wait_dscnt 0x0
	v_add_f64_e32 v[8:9], v[6:7], v[44:45]
	;; [unrolled: 8-line block ×3, first 2 shown]
	s_or_b32 exec_lo, exec_lo, s7
	s_and_saveexec_b32 s7, s1
	s_cbranch_execnz .LBB165_21
	s_branch .LBB165_22
.LBB165_48:                             ;   in Loop: Header=BB165_12 Depth=2
	ds_load_b128 v[10:13], v47
	s_or_b32 exec_lo, exec_lo, s7
	s_and_saveexec_b32 s7, s1
	s_cbranch_execz .LBB165_26
.LBB165_49:                             ;   in Loop: Header=BB165_12 Depth=2
	s_wait_dscnt 0x0
	ds_bpermute_b32 v4, v51, v10
	ds_bpermute_b32 v5, v51, v11
	ds_bpermute_b32 v44, v51, v12
	ds_bpermute_b32 v45, v51, v13
	s_wait_dscnt 0x2
	v_add_f64_e32 v[4:5], v[10:11], v[4:5]
	s_wait_dscnt 0x0
	v_add_f64_e32 v[10:11], v[12:13], v[44:45]
	ds_bpermute_b32 v12, v52, v4
	ds_bpermute_b32 v13, v52, v5
	ds_bpermute_b32 v44, v52, v10
	ds_bpermute_b32 v45, v52, v11
	s_wait_dscnt 0x2
	v_add_f64_e32 v[4:5], v[4:5], v[12:13]
	s_wait_dscnt 0x0
	v_add_f64_e32 v[12:13], v[10:11], v[44:45]
	;; [unrolled: 8-line block ×3, first 2 shown]
	s_or_b32 exec_lo, exec_lo, s7
	s_and_saveexec_b32 s7, s1
	s_cbranch_execnz .LBB165_27
	s_branch .LBB165_28
.LBB165_50:                             ;   in Loop: Header=BB165_12 Depth=2
	ds_load_b128 v[14:17], v47
	s_or_b32 exec_lo, exec_lo, s7
	s_and_saveexec_b32 s7, s1
	s_cbranch_execz .LBB165_32
.LBB165_51:                             ;   in Loop: Header=BB165_12 Depth=2
	s_wait_dscnt 0x0
	ds_bpermute_b32 v4, v51, v14
	ds_bpermute_b32 v5, v51, v15
	ds_bpermute_b32 v44, v51, v16
	ds_bpermute_b32 v45, v51, v17
	s_wait_dscnt 0x2
	v_add_f64_e32 v[4:5], v[14:15], v[4:5]
	s_wait_dscnt 0x0
	v_add_f64_e32 v[14:15], v[16:17], v[44:45]
	ds_bpermute_b32 v16, v52, v4
	ds_bpermute_b32 v17, v52, v5
	ds_bpermute_b32 v44, v52, v14
	ds_bpermute_b32 v45, v52, v15
	s_wait_dscnt 0x2
	v_add_f64_e32 v[4:5], v[4:5], v[16:17]
	s_wait_dscnt 0x0
	v_add_f64_e32 v[16:17], v[14:15], v[44:45]
	;; [unrolled: 8-line block ×3, first 2 shown]
	s_or_b32 exec_lo, exec_lo, s7
	s_and_saveexec_b32 s7, s1
	s_cbranch_execnz .LBB165_33
	s_branch .LBB165_34
.LBB165_52:                             ;   in Loop: Header=BB165_12 Depth=2
	ds_load_b128 v[18:21], v47
	s_or_b32 exec_lo, exec_lo, s7
	s_and_saveexec_b32 s7, s1
	s_cbranch_execz .LBB165_38
.LBB165_53:                             ;   in Loop: Header=BB165_12 Depth=2
	s_wait_dscnt 0x0
	ds_bpermute_b32 v4, v51, v18
	ds_bpermute_b32 v5, v51, v19
	ds_bpermute_b32 v44, v51, v20
	ds_bpermute_b32 v45, v51, v21
	s_wait_dscnt 0x2
	v_add_f64_e32 v[4:5], v[18:19], v[4:5]
	s_wait_dscnt 0x0
	v_add_f64_e32 v[18:19], v[20:21], v[44:45]
	ds_bpermute_b32 v20, v52, v4
	ds_bpermute_b32 v21, v52, v5
	ds_bpermute_b32 v44, v52, v18
	ds_bpermute_b32 v45, v52, v19
	s_wait_dscnt 0x2
	v_add_f64_e32 v[4:5], v[4:5], v[20:21]
	s_wait_dscnt 0x0
	v_add_f64_e32 v[20:21], v[18:19], v[44:45]
	;; [unrolled: 8-line block ×3, first 2 shown]
	s_or_b32 exec_lo, exec_lo, s7
	s_and_saveexec_b32 s7, s0
	s_cbranch_execz .LBB165_11
.LBB165_54:                             ;   in Loop: Header=BB165_12 Depth=2
	s_mul_i32 s8, s26, s30
	v_mul_f64_e32 v[58:59], s[14:15], v[16:17]
	s_add_co_i32 s8, s8, s34
	s_delay_alu instid0(SALU_CYCLE_1)
	v_dual_mul_f64 v[4:5], s[14:15], v[8:9] :: v_dual_mov_b32 v3, s8
	s_add_co_i32 s9, s8, s30
	v_mul_f64_e32 v[56:57], s[12:13], v[8:9]
	s_add_co_i32 s8, s9, s30
	v_mul_f64_e32 v[44:45], s[14:15], v[12:13]
	s_wait_dscnt 0x0
	v_mul_f64_e32 v[60:61], s[14:15], v[20:21]
	s_delay_alu instid0(VALU_DEP_4)
	v_dual_fma_f64 v[54:55], s[12:13], v[6:7], -v[4:5] :: v_dual_mov_b32 v4, s9
	s_add_co_i32 s9, s8, s30
	v_mul_f64_e32 v[8:9], s[12:13], v[12:13]
	v_mul_f64_e32 v[12:13], s[12:13], v[16:17]
	;; [unrolled: 1-line block ×3, first 2 shown]
	v_fmac_f64_e32 v[56:57], s[14:15], v[6:7]
	v_dual_fma_f64 v[6:7], s[12:13], v[10:11], -v[44:45] :: v_dual_mov_b32 v5, s8
	v_fmac_f64_e32 v[8:9], s[14:15], v[10:11]
	v_fma_f64 v[10:11], s[12:13], v[14:15], -v[58:59]
	v_fmac_f64_e32 v[12:13], s[14:15], v[14:15]
	v_fma_f64 v[14:15], s[12:13], v[18:19], -v[60:61]
	v_fmac_f64_e32 v[16:17], s[14:15], v[18:19]
	v_mov_b32_e32 v18, s9
	s_clause 0x3
	global_store_b128 v3, v[54:57], s[50:51] scale_offset
	global_store_b128 v4, v[6:9], s[50:51] scale_offset
	;; [unrolled: 1-line block ×4, first 2 shown]
	s_branch .LBB165_11
.LBB165_55:                             ;   in Loop: Header=BB165_12 Depth=2
	v_mov_b64_e32 v[18:19], 0
	v_mov_b64_e32 v[20:21], 0
	;; [unrolled: 1-line block ×8, first 2 shown]
.LBB165_56:                             ;   in Loop: Header=BB165_12 Depth=2
	s_wait_xcnt 0x0
	s_or_b32 exec_lo, exec_lo, s71
	s_delay_alu instid0(SALU_CYCLE_1)
	s_or_b32 exec_lo, exec_lo, s70
	s_and_saveexec_b32 s7, s1
	s_cbranch_execnz .LBB165_15
	s_branch .LBB165_16
.LBB165_57:                             ;   in Loop: Header=BB165_3 Depth=1
	s_mov_b32 s26, 0
.LBB165_58:                             ;   in Loop: Header=BB165_3 Depth=1
	s_delay_alu instid0(SALU_CYCLE_1)
	s_cmp_ge_i32 s26, s29
	s_cbranch_scc1 .LBB165_2
; %bb.59:                               ;   in Loop: Header=BB165_3 Depth=1
	v_cmp_gt_u32_e32 vcc_lo, 24, v46
	s_add_nc_u64 s[6:7], s[50:51], s[38:39]
	s_mul_i32 s8, s33, s26
	v_cndmask_b32_e64 v3, 0, 8, vcc_lo
	v_cmp_gt_u32_e32 vcc_lo, 28, v46
	s_delay_alu instid0(VALU_DEP_2) | instskip(SKIP_3) | instid1(VALU_DEP_2)
	v_add_lshl_u32 v12, v3, v46, 2
	s_wait_dscnt 0x0
	v_cndmask_b32_e64 v4, 0, 4, vcc_lo
	v_cmp_gt_u32_e32 vcc_lo, 30, v46
	v_add_lshl_u32 v13, v4, v46, 2
	v_cndmask_b32_e64 v5, 0, 2, vcc_lo
	v_cmp_ne_u32_e32 vcc_lo, 31, v46
	s_delay_alu instid0(VALU_DEP_2) | instskip(SKIP_1) | instid1(VALU_DEP_1)
	v_add_lshl_u32 v14, v5, v46, 2
	v_add_co_ci_u32_e64 v6, null, 0, v46, vcc_lo
	v_lshlrev_b32_e32 v15, 2, v6
	s_branch .LBB165_61
.LBB165_60:                             ;   in Loop: Header=BB165_61 Depth=2
	s_wait_xcnt 0x0
	s_or_b32 exec_lo, exec_lo, s9
	s_add_co_i32 s26, s26, 1
	s_add_co_i32 s8, s8, s33
	s_cmp_lt_i32 s26, s29
	s_cbranch_scc0 .LBB165_2
.LBB165_61:                             ;   Parent Loop BB165_3 Depth=1
                                        ; =>  This Loop Header: Depth=2
                                        ;       Child Loop BB165_73 Depth 3
                                        ;       Child Loop BB165_75 Depth 3
                                        ; implicit-def: $vgpr6_vgpr7
                                        ; implicit-def: $vgpr8_vgpr9
	s_and_saveexec_b32 s9, s4
	s_delay_alu instid0(SALU_CYCLE_1)
	s_xor_b32 s9, exec_lo, s9
	s_cbranch_execnz .LBB165_70
; %bb.62:                               ;   in Loop: Header=BB165_61 Depth=2
	s_and_not1_saveexec_b32 s25, s9
	s_cbranch_execnz .LBB165_71
.LBB165_63:                             ;   in Loop: Header=BB165_61 Depth=2
	s_or_b32 exec_lo, exec_lo, s25
	s_and_saveexec_b32 s9, s1
	s_cbranch_execz .LBB165_65
.LBB165_64:                             ;   in Loop: Header=BB165_61 Depth=2
	s_wait_dscnt 0x0
	v_dual_mov_b32 v3, v2 :: v_dual_mov_b32 v4, v2
	v_mov_b32_e32 v5, v2
	ds_store_b128 v47, v[2:5]
.LBB165_65:                             ;   in Loop: Header=BB165_61 Depth=2
	s_or_b32 exec_lo, exec_lo, s9
	s_wait_dscnt 0x0
	ds_bpermute_b32 v4, v49, v6
	ds_bpermute_b32 v5, v49, v7
	;; [unrolled: 1-line block ×4, first 2 shown]
	s_wait_storecnt_dscnt 0x0
	s_barrier_signal -1
	s_barrier_wait -1
	v_add_f64_e32 v[4:5], v[6:7], v[4:5]
	v_add_f64_e32 v[6:7], v[8:9], v[10:11]
	ds_bpermute_b32 v8, v12, v4
	ds_bpermute_b32 v9, v12, v5
	ds_bpermute_b32 v10, v12, v6
	ds_bpermute_b32 v11, v12, v7
	s_wait_dscnt 0x2
	v_add_f64_e32 v[4:5], v[4:5], v[8:9]
	s_wait_dscnt 0x0
	v_add_f64_e32 v[6:7], v[6:7], v[10:11]
	ds_bpermute_b32 v8, v13, v4
	ds_bpermute_b32 v9, v13, v5
	ds_bpermute_b32 v10, v13, v6
	ds_bpermute_b32 v11, v13, v7
	s_wait_dscnt 0x2
	v_add_f64_e32 v[4:5], v[4:5], v[8:9]
	s_wait_dscnt 0x0
	;; [unrolled: 8-line block ×3, first 2 shown]
	v_add_f64_e32 v[8:9], v[6:7], v[10:11]
	ds_bpermute_b32 v6, v15, v4
	ds_bpermute_b32 v7, v15, v5
	;; [unrolled: 1-line block ×4, first 2 shown]
	s_and_saveexec_b32 s9, s3
	s_cbranch_execz .LBB165_67
; %bb.66:                               ;   in Loop: Header=BB165_61 Depth=2
	s_wait_dscnt 0x0
	v_add_f64_e32 v[8:9], v[8:9], v[10:11]
	v_add_f64_e32 v[6:7], v[4:5], v[6:7]
	ds_store_b128 v48, v[6:9]
.LBB165_67:                             ;   in Loop: Header=BB165_61 Depth=2
	s_or_b32 exec_lo, exec_lo, s9
	s_wait_dscnt 0x2
	v_mov_b64_e32 v[6:7], 0
	v_mov_b64_e32 v[4:5], 0
	s_wait_dscnt 0x0
	s_barrier_signal -1
	s_barrier_wait -1
	s_and_saveexec_b32 s9, s2
	s_cbranch_execnz .LBB165_77
; %bb.68:                               ;   in Loop: Header=BB165_61 Depth=2
	s_or_b32 exec_lo, exec_lo, s9
	s_and_saveexec_b32 s9, s1
	s_cbranch_execnz .LBB165_78
.LBB165_69:                             ;   in Loop: Header=BB165_61 Depth=2
	s_or_b32 exec_lo, exec_lo, s9
	s_and_saveexec_b32 s9, s0
	s_cbranch_execz .LBB165_60
	s_branch .LBB165_79
.LBB165_70:                             ;   in Loop: Header=BB165_61 Depth=2
	s_wait_dscnt 0x0
	s_clause 0x1
	global_load_b128 v[4:7], v[36:37], off
	global_load_b128 v[8:11], v[38:39], off
	s_wait_dscnt 0x0
	global_load_b128 v[16:19], v[40:41], off
	s_mul_i32 s50, s26, s33
	s_delay_alu instid0(SALU_CYCLE_1) | instskip(NEXT) | instid1(SALU_CYCLE_1)
	s_ashr_i32 s51, s50, 31
	v_lshl_add_u64 v[20:21], s[50:51], 4, v[32:33]
	global_load_b128 v[50:53], v[34:35], off
	s_clause 0x1
	global_load_b128 v[54:57], v[20:21], off
	global_load_b128 v[58:61], v[20:21], off offset:16
	s_wait_loadcnt 0x5
	scratch_store_b128 off, v[4:7], s62
	s_wait_loadcnt 0x4
	scratch_store_b128 off, v[8:11], s63
	s_clause 0x1
	scratch_load_b128 v[4:7], off, off offset:16
	scratch_load_b128 v[8:11], off, off offset:32
	s_clause 0x1
	global_load_b128 v[62:65], v[20:21], off offset:32
	global_load_b128 v[66:69], v[20:21], off offset:48
	s_wait_loadcnt 0x7
	scratch_store_b128 off, v[16:19], s64
	scratch_load_b128 v[16:19], off, off offset:48
	s_wait_loadcnt 0x7
	scratch_store_b128 off, v[50:53], off
	s_wait_loadcnt 0x6
	v_mul_f64_e32 v[20:21], v[56:57], v[52:53]
	v_mul_f64_e32 v[44:45], v[54:55], v[52:53]
	s_delay_alu instid0(VALU_DEP_2) | instskip(NEXT) | instid1(VALU_DEP_2)
	v_fma_f64 v[20:21], v[54:55], v[50:51], -v[20:21]
	v_fmac_f64_e32 v[44:45], v[56:57], v[50:51]
	s_delay_alu instid0(VALU_DEP_2) | instskip(NEXT) | instid1(VALU_DEP_2)
	v_add_f64_e32 v[20:21], 0, v[20:21]
	v_add_f64_e32 v[44:45], 0, v[44:45]
	s_wait_loadcnt 0x4
	v_mul_f64_e32 v[54:55], v[60:61], v[6:7]
	v_mul_f64_e32 v[6:7], v[58:59], v[6:7]
	s_wait_loadcnt 0x2
	v_mul_f64_e32 v[56:57], v[64:65], v[10:11]
	v_mul_f64_e32 v[10:11], v[62:63], v[10:11]
	s_delay_alu instid0(VALU_DEP_4) | instskip(NEXT) | instid1(VALU_DEP_4)
	v_fma_f64 v[54:55], v[58:59], v[4:5], -v[54:55]
	v_fmac_f64_e32 v[6:7], v[60:61], v[4:5]
	s_wait_loadcnt 0x0
	v_mul_f64_e32 v[4:5], v[68:69], v[18:19]
	v_mul_f64_e32 v[18:19], v[66:67], v[18:19]
	v_fma_f64 v[56:57], v[62:63], v[8:9], -v[56:57]
	v_fmac_f64_e32 v[10:11], v[64:65], v[8:9]
	v_add_f64_e32 v[8:9], v[20:21], v[54:55]
	v_add_f64_e32 v[6:7], v[44:45], v[6:7]
	v_fma_f64 v[4:5], v[66:67], v[16:17], -v[4:5]
	v_fmac_f64_e32 v[18:19], v[68:69], v[16:17]
	s_delay_alu instid0(VALU_DEP_4) | instskip(NEXT) | instid1(VALU_DEP_4)
	v_add_f64_e32 v[8:9], v[8:9], v[56:57]
	v_add_f64_e32 v[10:11], v[6:7], v[10:11]
	s_delay_alu instid0(VALU_DEP_2) | instskip(NEXT) | instid1(VALU_DEP_2)
	v_add_f64_e32 v[6:7], v[8:9], v[4:5]
	v_add_f64_e32 v[8:9], v[10:11], v[18:19]
	s_wait_xcnt 0x0
	s_and_not1_saveexec_b32 s25, s9
	s_cbranch_execz .LBB165_63
.LBB165_71:                             ;   in Loop: Header=BB165_61 Depth=2
	s_wait_dscnt 0x0
	v_mov_b64_e32 v[6:7], 0
	v_mov_b64_e32 v[8:9], 0
	s_and_saveexec_b32 s50, s28
	s_cbranch_execz .LBB165_76
; %bb.72:                               ;   in Loop: Header=BB165_61 Depth=2
	v_mov_b32_e32 v3, v0
	s_mov_b32 s9, 0
	s_mov_b32 s51, s59
.LBB165_73:                             ;   Parent Loop BB165_3 Depth=1
                                        ;     Parent Loop BB165_61 Depth=2
                                        ; =>    This Inner Loop Header: Depth=3
	global_load_b128 v[4:7], v3, s[48:49] scale_offset
	s_wait_xcnt 0x0
	v_add_nc_u32_e32 v3, s10, v3
	s_add_co_i32 s51, s51, -1
	s_wait_loadcnt 0x0
	scratch_store_b128 off, v[4:7], s9
	s_wait_xcnt 0x0
	s_add_co_i32 s9, s9, 16
	s_cmp_eq_u32 s51, 0
	s_cbranch_scc0 .LBB165_73
; %bb.74:                               ;   in Loop: Header=BB165_61 Depth=2
	s_ashr_i32 s9, s8, 31
	v_mov_b64_e32 v[6:7], 0
	v_mov_b64_e32 v[8:9], 0
	v_lshl_add_u64 v[4:5], s[8:9], 4, v[42:43]
	s_mov_b32 s9, s65
	s_mov_b32 s51, s59
.LBB165_75:                             ;   Parent Loop BB165_3 Depth=1
                                        ;     Parent Loop BB165_61 Depth=2
                                        ; =>    This Inner Loop Header: Depth=3
	s_wait_dscnt 0x0
	global_load_b128 v[16:19], v[4:5], off offset:-8
	scratch_load_b128 v[50:53], off, s9 offset:-8
	s_wait_xcnt 0x1
	v_add_nc_u64_e32 v[4:5], 16, v[4:5]
	s_add_co_i32 s51, s51, -1
	s_wait_xcnt 0x0
	s_add_co_i32 s9, s9, 16
	s_cmp_lg_u32 s51, 0
	s_wait_loadcnt 0x0
	v_mul_f64_e32 v[10:11], v[18:19], v[52:53]
	v_mul_f64_e32 v[20:21], v[16:17], v[52:53]
	s_delay_alu instid0(VALU_DEP_2) | instskip(NEXT) | instid1(VALU_DEP_2)
	v_fma_f64 v[10:11], v[16:17], v[50:51], -v[10:11]
	v_fmac_f64_e32 v[20:21], v[18:19], v[50:51]
	s_delay_alu instid0(VALU_DEP_2) | instskip(NEXT) | instid1(VALU_DEP_2)
	v_add_f64_e32 v[6:7], v[6:7], v[10:11]
	v_add_f64_e32 v[8:9], v[8:9], v[20:21]
	s_cbranch_scc1 .LBB165_75
.LBB165_76:                             ;   in Loop: Header=BB165_61 Depth=2
	s_or_b32 exec_lo, exec_lo, s50
	s_delay_alu instid0(SALU_CYCLE_1)
	s_or_b32 exec_lo, exec_lo, s25
	s_and_saveexec_b32 s9, s1
	s_cbranch_execnz .LBB165_64
	s_branch .LBB165_65
.LBB165_77:                             ;   in Loop: Header=BB165_61 Depth=2
	ds_load_b128 v[4:7], v47
	s_or_b32 exec_lo, exec_lo, s9
	s_and_saveexec_b32 s9, s1
	s_cbranch_execz .LBB165_69
.LBB165_78:                             ;   in Loop: Header=BB165_61 Depth=2
	s_wait_dscnt 0x0
	ds_bpermute_b32 v8, v13, v4
	ds_bpermute_b32 v9, v13, v5
	ds_bpermute_b32 v10, v13, v6
	ds_bpermute_b32 v11, v13, v7
	s_wait_dscnt 0x2
	v_add_f64_e32 v[4:5], v[4:5], v[8:9]
	s_wait_dscnt 0x0
	v_add_f64_e32 v[6:7], v[6:7], v[10:11]
	ds_bpermute_b32 v8, v14, v4
	ds_bpermute_b32 v9, v14, v5
	ds_bpermute_b32 v10, v14, v6
	ds_bpermute_b32 v11, v14, v7
	s_wait_dscnt 0x2
	v_add_f64_e32 v[4:5], v[4:5], v[8:9]
	s_wait_dscnt 0x0
	v_add_f64_e32 v[6:7], v[6:7], v[10:11]
	;; [unrolled: 8-line block ×3, first 2 shown]
	s_or_b32 exec_lo, exec_lo, s9
	s_and_saveexec_b32 s9, s0
	s_cbranch_execz .LBB165_60
.LBB165_79:                             ;   in Loop: Header=BB165_61 Depth=2
	s_wait_dscnt 0x0
	s_delay_alu instid0(VALU_DEP_1) | instskip(SKIP_2) | instid1(SALU_CYCLE_1)
	v_mul_f64_e32 v[10:11], s[14:15], v[6:7]
	v_mul_f64_e32 v[8:9], s[12:13], v[6:7]
	s_mul_u64 s[50:51], s[26:27], s[30:31]
	s_lshl_b64 s[50:51], s[50:51], 4
	s_delay_alu instid0(SALU_CYCLE_1) | instskip(NEXT) | instid1(VALU_DEP_2)
	s_add_nc_u64 s[50:51], s[6:7], s[50:51]
	v_fma_f64 v[6:7], s[12:13], v[4:5], -v[10:11]
	s_delay_alu instid0(VALU_DEP_2)
	v_fmac_f64_e32 v[8:9], s[14:15], v[4:5]
	global_store_b128 v2, v[6:9], s[50:51]
	s_branch .LBB165_60
.LBB165_80:
	s_sendmsg sendmsg(MSG_DEALLOC_VGPRS)
	s_endpgm
	.section	.rodata,"a",@progbits
	.p2align	6, 0x0
	.amdhsa_kernel _ZL23rocblas_gemvt_sn_kernelILb0ELi256ELi4Ei19rocblas_complex_numIdES1_S1_EviiT4_lPKT3_lilS5_lilPT5_i
		.amdhsa_group_segment_fixed_size 512
		.amdhsa_private_segment_fixed_size 80
		.amdhsa_kernarg_size 368
		.amdhsa_user_sgpr_count 2
		.amdhsa_user_sgpr_dispatch_ptr 0
		.amdhsa_user_sgpr_queue_ptr 0
		.amdhsa_user_sgpr_kernarg_segment_ptr 1
		.amdhsa_user_sgpr_dispatch_id 0
		.amdhsa_user_sgpr_kernarg_preload_length 0
		.amdhsa_user_sgpr_kernarg_preload_offset 0
		.amdhsa_user_sgpr_private_segment_size 0
		.amdhsa_wavefront_size32 1
		.amdhsa_uses_dynamic_stack 0
		.amdhsa_enable_private_segment 1
		.amdhsa_system_sgpr_workgroup_id_x 1
		.amdhsa_system_sgpr_workgroup_id_y 0
		.amdhsa_system_sgpr_workgroup_id_z 1
		.amdhsa_system_sgpr_workgroup_info 0
		.amdhsa_system_vgpr_workitem_id 0
		.amdhsa_next_free_vgpr 124
		.amdhsa_next_free_sgpr 73
		.amdhsa_named_barrier_count 0
		.amdhsa_reserve_vcc 1
		.amdhsa_float_round_mode_32 0
		.amdhsa_float_round_mode_16_64 0
		.amdhsa_float_denorm_mode_32 3
		.amdhsa_float_denorm_mode_16_64 3
		.amdhsa_fp16_overflow 0
		.amdhsa_memory_ordered 1
		.amdhsa_forward_progress 1
		.amdhsa_inst_pref_size 48
		.amdhsa_round_robin_scheduling 0
		.amdhsa_exception_fp_ieee_invalid_op 0
		.amdhsa_exception_fp_denorm_src 0
		.amdhsa_exception_fp_ieee_div_zero 0
		.amdhsa_exception_fp_ieee_overflow 0
		.amdhsa_exception_fp_ieee_underflow 0
		.amdhsa_exception_fp_ieee_inexact 0
		.amdhsa_exception_int_div_zero 0
	.end_amdhsa_kernel
	.section	.text._ZL23rocblas_gemvt_sn_kernelILb0ELi256ELi4Ei19rocblas_complex_numIdES1_S1_EviiT4_lPKT3_lilS5_lilPT5_i,"axG",@progbits,_ZL23rocblas_gemvt_sn_kernelILb0ELi256ELi4Ei19rocblas_complex_numIdES1_S1_EviiT4_lPKT3_lilS5_lilPT5_i,comdat
.Lfunc_end165:
	.size	_ZL23rocblas_gemvt_sn_kernelILb0ELi256ELi4Ei19rocblas_complex_numIdES1_S1_EviiT4_lPKT3_lilS5_lilPT5_i, .Lfunc_end165-_ZL23rocblas_gemvt_sn_kernelILb0ELi256ELi4Ei19rocblas_complex_numIdES1_S1_EviiT4_lPKT3_lilS5_lilPT5_i
                                        ; -- End function
	.set _ZL23rocblas_gemvt_sn_kernelILb0ELi256ELi4Ei19rocblas_complex_numIdES1_S1_EviiT4_lPKT3_lilS5_lilPT5_i.num_vgpr, 124
	.set _ZL23rocblas_gemvt_sn_kernelILb0ELi256ELi4Ei19rocblas_complex_numIdES1_S1_EviiT4_lPKT3_lilS5_lilPT5_i.num_agpr, 0
	.set _ZL23rocblas_gemvt_sn_kernelILb0ELi256ELi4Ei19rocblas_complex_numIdES1_S1_EviiT4_lPKT3_lilS5_lilPT5_i.numbered_sgpr, 73
	.set _ZL23rocblas_gemvt_sn_kernelILb0ELi256ELi4Ei19rocblas_complex_numIdES1_S1_EviiT4_lPKT3_lilS5_lilPT5_i.num_named_barrier, 0
	.set _ZL23rocblas_gemvt_sn_kernelILb0ELi256ELi4Ei19rocblas_complex_numIdES1_S1_EviiT4_lPKT3_lilS5_lilPT5_i.private_seg_size, 80
	.set _ZL23rocblas_gemvt_sn_kernelILb0ELi256ELi4Ei19rocblas_complex_numIdES1_S1_EviiT4_lPKT3_lilS5_lilPT5_i.uses_vcc, 1
	.set _ZL23rocblas_gemvt_sn_kernelILb0ELi256ELi4Ei19rocblas_complex_numIdES1_S1_EviiT4_lPKT3_lilS5_lilPT5_i.uses_flat_scratch, 1
	.set _ZL23rocblas_gemvt_sn_kernelILb0ELi256ELi4Ei19rocblas_complex_numIdES1_S1_EviiT4_lPKT3_lilS5_lilPT5_i.has_dyn_sized_stack, 0
	.set _ZL23rocblas_gemvt_sn_kernelILb0ELi256ELi4Ei19rocblas_complex_numIdES1_S1_EviiT4_lPKT3_lilS5_lilPT5_i.has_recursion, 0
	.set _ZL23rocblas_gemvt_sn_kernelILb0ELi256ELi4Ei19rocblas_complex_numIdES1_S1_EviiT4_lPKT3_lilS5_lilPT5_i.has_indirect_call, 0
	.section	.AMDGPU.csdata,"",@progbits
; Kernel info:
; codeLenInByte = 6120
; TotalNumSgprs: 75
; NumVgprs: 124
; ScratchSize: 80
; MemoryBound: 0
; FloatMode: 240
; IeeeMode: 1
; LDSByteSize: 512 bytes/workgroup (compile time only)
; SGPRBlocks: 0
; VGPRBlocks: 7
; NumSGPRsForWavesPerEU: 75
; NumVGPRsForWavesPerEU: 124
; NamedBarCnt: 0
; Occupancy: 8
; WaveLimiterHint : 1
; COMPUTE_PGM_RSRC2:SCRATCH_EN: 1
; COMPUTE_PGM_RSRC2:USER_SGPR: 2
; COMPUTE_PGM_RSRC2:TRAP_HANDLER: 0
; COMPUTE_PGM_RSRC2:TGID_X_EN: 1
; COMPUTE_PGM_RSRC2:TGID_Y_EN: 0
; COMPUTE_PGM_RSRC2:TGID_Z_EN: 1
; COMPUTE_PGM_RSRC2:TIDIG_COMP_CNT: 0
	.section	.text._ZL23rocblas_gemvt_sn_kernelILb0ELi256ELi4El19rocblas_complex_numIdES1_S1_EviiT4_lPKT3_lilS5_lilPT5_i,"axG",@progbits,_ZL23rocblas_gemvt_sn_kernelILb0ELi256ELi4El19rocblas_complex_numIdES1_S1_EviiT4_lPKT3_lilS5_lilPT5_i,comdat
	.globl	_ZL23rocblas_gemvt_sn_kernelILb0ELi256ELi4El19rocblas_complex_numIdES1_S1_EviiT4_lPKT3_lilS5_lilPT5_i ; -- Begin function _ZL23rocblas_gemvt_sn_kernelILb0ELi256ELi4El19rocblas_complex_numIdES1_S1_EviiT4_lPKT3_lilS5_lilPT5_i
	.p2align	8
	.type	_ZL23rocblas_gemvt_sn_kernelILb0ELi256ELi4El19rocblas_complex_numIdES1_S1_EviiT4_lPKT3_lilS5_lilPT5_i,@function
_ZL23rocblas_gemvt_sn_kernelILb0ELi256ELi4El19rocblas_complex_numIdES1_S1_EviiT4_lPKT3_lilS5_lilPT5_i: ; @_ZL23rocblas_gemvt_sn_kernelILb0ELi256ELi4El19rocblas_complex_numIdES1_S1_EviiT4_lPKT3_lilS5_lilPT5_i
; %bb.0:
	s_load_b32 s33, s[0:1], 0x68
	s_bfe_u32 s2, ttmp6, 0x40014
	s_lshr_b32 s3, ttmp7, 16
	s_add_co_i32 s2, s2, 1
	s_bfe_u32 s4, ttmp6, 0x40008
	s_mul_i32 s2, s3, s2
	s_getreg_b32 s25, hwreg(HW_REG_IB_STS2, 6, 4)
	s_add_co_i32 s4, s4, s2
	s_cmp_eq_u32 s25, 0
	s_mov_b32 s11, 0
	s_cselect_b32 s24, s3, s4
	s_wait_kmcnt 0x0
	s_cmp_ge_u32 s24, s33
	s_cbranch_scc1 .LBB166_80
; %bb.1:
	s_clause 0x7
	s_load_b128 s[12:15], s[0:1], 0x8
	s_load_b32 s26, s[0:1], 0x30
	s_load_b96 s[8:10], s[0:1], 0x48
	s_load_b128 s[4:7], s[0:1], 0x20
	s_load_b64 s[28:29], s[0:1], 0x0
	s_load_b128 s[16:19], s[0:1], 0x38
	s_load_b128 s[20:23], s[0:1], 0x58
	s_load_b32 s30, s[0:1], 0x70
	s_wait_xcnt 0x0
	v_cmp_eq_u32_e64 s0, 0, v0
	v_dual_lshrrev_b32 v3, 1, v0 :: v_dual_bitop2_b32 v1, 31, v0 bitop3:0x40
	v_cmp_gt_u32_e64 s1, 32, v0
	v_cmp_gt_u32_e64 s2, 8, v0
	s_delay_alu instid0(VALU_DEP_3)
	v_dual_mov_b32 v2, 0 :: v_dual_lshlrev_b32 v51, 4, v1
	v_cmp_eq_u32_e64 s3, 0, v1
	v_and_b32_e32 v52, 0x70, v3
	v_mbcnt_lo_u32_b32 v50, -1, 0
	s_mov_b32 s31, s11
	s_mov_b32 s64, 16
	;; [unrolled: 1-line block ×3, first 2 shown]
	s_wait_kmcnt 0x0
	s_ashr_i32 s27, s26, 31
	s_ashr_i32 s45, s10, 31
	s_lshl_b64 s[8:9], s[8:9], 4
	s_lshl_b64 s[6:7], s[6:7], 4
	s_ashr_i32 s37, s29, 31
	v_cmp_eq_f64_e64 s34, s[12:13], 0
	v_cmp_eq_f64_e64 s35, s[14:15], 0
	s_mov_b32 s44, s10
	s_add_nc_u64 s[4:5], s[4:5], s[6:7]
	s_mov_b32 s36, s29
	s_add_nc_u64 s[18:19], s[18:19], s[8:9]
	v_lshl_or_b32 v53, v50, 2, 64
	s_mov_b32 s66, 48
	s_and_b32 s58, s34, s35
	s_cmp_gt_i32 s29, 0
	s_cselect_b32 s10, -1, 0
	s_bfe_u32 s34, ttmp6, 0x4000c
	s_and_b32 s35, ttmp6, 15
	s_add_co_i32 s34, s34, 1
	s_and_b32 s59, s0, s10
	s_mul_i32 s34, ttmp9, s34
	s_delay_alu instid0(SALU_CYCLE_1)
	s_add_co_i32 s35, s35, s34
	s_cmp_eq_u32 s25, 0
	s_cselect_b32 s10, ttmp9, s35
	s_lshr_b32 s7, s37, 30
	s_lshl_b32 s6, s10, 10
	s_add_co_i32 s7, s29, s7
	v_lshl_or_b32 v4, v0, 2, s6
	s_ashr_i32 s6, s28, 31
	s_and_b32 s60, s7, -4
	s_lshr_b32 s6, s6, 30
	s_mul_u64 s[34:35], s[36:37], s[30:31]
	v_dual_ashrrev_i32 v5, 31, v4 :: v_dual_bitop2_b32 v6, 1, v4 bitop3:0x54
	v_or_b32_e32 v8, 2, v4
	v_dual_add_nc_u32 v3, 4, v4 :: v_dual_bitop2_b32 v10, 3, v4 bitop3:0x54
	s_delay_alu instid0(VALU_DEP_3) | instskip(NEXT) | instid1(VALU_DEP_3)
	v_mul_u64_e32 v[0:1], s[44:45], v[4:5]
	v_dual_ashrrev_i32 v7, 31, v6 :: v_dual_ashrrev_i32 v9, 31, v8
	s_delay_alu instid0(VALU_DEP_3) | instskip(SKIP_2) | instid1(VALU_DEP_3)
	v_ashrrev_i32_e32 v11, 31, v10
	s_add_co_i32 s6, s28, s6
	v_lshl_add_u64 v[28:29], v[4:5], 4, s[4:5]
	v_mul_u64_e32 v[22:23], s[44:45], v[6:7]
	v_mul_u64_e32 v[24:25], s[44:45], v[8:9]
	;; [unrolled: 1-line block ×3, first 2 shown]
	s_and_b32 s6, s6, -4
	v_add_nc_u64_e32 v[30:31], 8, v[28:29]
	s_sub_co_i32 s61, s28, s6
	s_cmp_gt_i32 s60, 0
	v_add_nc_u32_e32 v6, s61, v4
	s_cselect_b32 s62, -1, 0
	s_cmp_gt_i32 s61, 0
	v_cmp_ge_i32_e64 s5, s28, v3
	s_cselect_b32 s63, -1, 0
	v_cmp_ge_i32_e64 s4, s28, v6
	s_lshl_b64 s[36:37], s[10:11], 4
	s_or_b32 s67, 0, 8
	s_add_nc_u64 s[6:7], s[22:23], s[36:37]
	s_lshl_b64 s[38:39], s[34:35], 4
	s_lshl_b64 s[40:41], s[30:31], 4
	;; [unrolled: 1-line block ×4, first 2 shown]
	s_add_nc_u64 s[46:47], s[6:7], 8
	s_and_b32 s28, s63, s4
	s_lshl_b64 s[48:49], s[16:17], 4
	s_lshl_b64 s[50:51], s[26:27], 6
	;; [unrolled: 1-line block ×3, first 2 shown]
	v_lshl_add_u64 v[32:33], v[0:1], 4, s[18:19]
	s_branch .LBB166_3
.LBB166_2:                              ;   in Loop: Header=BB166_3 Depth=1
	s_add_co_i32 s24, s24, 0x10000
	s_delay_alu instid0(SALU_CYCLE_1)
	s_cmp_lt_u32 s24, s33
	s_cbranch_scc0 .LBB166_80
.LBB166_3:                              ; =>This Loop Header: Depth=1
                                        ;     Child Loop BB166_6 Depth 2
                                        ;     Child Loop BB166_12 Depth 2
                                        ;       Child Loop BB166_43 Depth 3
                                        ;       Child Loop BB166_45 Depth 3
                                        ;     Child Loop BB166_61 Depth 2
                                        ;       Child Loop BB166_73 Depth 3
                                        ;       Child Loop BB166_75 Depth 3
	s_mov_b32 s25, s11
	s_and_not1_b32 vcc_lo, exec_lo, s58
	s_mov_b32 s6, -1
	s_cbranch_vccnz .LBB166_8
; %bb.4:                                ;   in Loop: Header=BB166_3 Depth=1
	s_and_saveexec_b32 s8, s59
	s_cbranch_execz .LBB166_7
; %bb.5:                                ;   in Loop: Header=BB166_3 Depth=1
	s_mul_u64 s[6:7], s[38:39], s[24:25]
	s_mov_b32 s9, s29
	s_add_nc_u64 s[6:7], s[46:47], s[6:7]
.LBB166_6:                              ;   Parent Loop BB166_3 Depth=1
                                        ; =>  This Inner Loop Header: Depth=2
	s_wait_dscnt 0x0
	v_dual_mov_b32 v3, v2 :: v_dual_mov_b32 v4, v2
	v_mov_b32_e32 v5, v2
	s_add_co_i32 s9, s9, -1
	s_delay_alu instid0(SALU_CYCLE_1)
	s_cmp_eq_u32 s9, 0
	global_store_b128 v2, v[2:5], s[6:7] offset:-8
	s_wait_xcnt 0x0
	s_add_nc_u64 s[6:7], s[6:7], s[40:41]
	s_cbranch_scc0 .LBB166_6
.LBB166_7:                              ;   in Loop: Header=BB166_3 Depth=1
	s_or_b32 exec_lo, exec_lo, s8
	s_mov_b32 s6, 0
.LBB166_8:                              ;   in Loop: Header=BB166_3 Depth=1
	s_delay_alu instid0(SALU_CYCLE_1)
	s_and_not1_b32 vcc_lo, exec_lo, s6
	s_cbranch_vccnz .LBB166_2
; %bb.9:                                ;   in Loop: Header=BB166_3 Depth=1
	v_mad_nc_u64_u32 v[34:35], s42, s24, v[32:33]
	s_mul_u64 s[6:7], s[20:21], s[24:25]
	s_mul_u64 s[8:9], s[34:35], s[24:25]
	s_lshl_b64 s[6:7], s[6:7], 4
	s_mul_u64 s[54:55], s[16:17], s[24:25]
	s_add_nc_u64 s[6:7], s[18:19], s[6:7]
	s_lshl_b64 s[68:69], s[8:9], 4
	v_lshl_add_u64 v[36:37], s[54:55], 4, v[28:29]
	v_lshl_add_u64 v[38:39], v[0:1], 4, s[6:7]
	;; [unrolled: 1-line block ×4, first 2 shown]
	v_mad_u32 v35, s43, s24, v35
	v_lshl_add_u64 v[44:45], v[26:27], 4, s[6:7]
	v_cmp_gt_u32_e64 s9, 24, v50
	v_cmp_gt_u32_e64 s8, 28, v50
	;; [unrolled: 1-line block ×3, first 2 shown]
	v_cmp_ne_u32_e64 s6, 31, v50
	s_add_nc_u64 s[54:55], s[22:23], s[68:69]
	s_mul_u64 s[56:57], s[48:49], s[24:25]
	s_and_not1_b32 vcc_lo, exec_lo, s62
	s_add_nc_u64 s[54:55], s[54:55], s[36:37]
	s_cbranch_vccnz .LBB166_57
; %bb.10:                               ;   in Loop: Header=BB166_3 Depth=1
	v_cndmask_b32_e64 v3, 0, 8, s9
	s_wait_dscnt 0x0
	v_cndmask_b32_e64 v4, 0, 4, s8
	v_cndmask_b32_e64 v5, 0, 2, s7
	v_add_co_ci_u32_e64 v6, null, 0, v50, s6
	v_add_nc_u64_e32 v[46:47], s[56:57], v[28:29]
	v_add_lshl_u32 v54, v3, v50, 2
	v_add_lshl_u32 v55, v4, v50, 2
	;; [unrolled: 1-line block ×3, first 2 shown]
	v_lshlrev_b32_e32 v57, 2, v6
	s_mov_b32 s10, 0
	s_branch .LBB166_12
.LBB166_11:                             ;   in Loop: Header=BB166_12 Depth=2
	s_wait_xcnt 0x0
	s_or_b32 exec_lo, exec_lo, s6
	v_add_nc_u64_e32 v[46:47], s[50:51], v[46:47]
	s_add_co_i32 s10, s10, 4
	s_delay_alu instid0(SALU_CYCLE_1)
	s_cmp_ge_i32 s10, s60
	s_cbranch_scc1 .LBB166_58
.LBB166_12:                             ;   Parent Loop BB166_3 Depth=1
                                        ; =>  This Loop Header: Depth=2
                                        ;       Child Loop BB166_43 Depth 3
                                        ;       Child Loop BB166_45 Depth 3
                                        ; implicit-def: $vgpr18_vgpr19
                                        ; implicit-def: $vgpr20_vgpr21
                                        ; implicit-def: $vgpr14_vgpr15
                                        ; implicit-def: $vgpr16_vgpr17
                                        ; implicit-def: $vgpr10_vgpr11
                                        ; implicit-def: $vgpr12_vgpr13
                                        ; implicit-def: $vgpr8_vgpr9
                                        ; implicit-def: $vgpr6_vgpr7
	s_and_saveexec_b32 s6, s5
	s_delay_alu instid0(SALU_CYCLE_1)
	s_xor_b32 s6, exec_lo, s6
	s_cbranch_execnz .LBB166_39
; %bb.13:                               ;   in Loop: Header=BB166_12 Depth=2
	s_and_not1_saveexec_b32 s6, s6
	s_cbranch_execnz .LBB166_40
.LBB166_14:                             ;   in Loop: Header=BB166_12 Depth=2
	s_or_b32 exec_lo, exec_lo, s6
	s_and_saveexec_b32 s6, s1
.LBB166_15:                             ;   in Loop: Header=BB166_12 Depth=2
	v_dual_mov_b32 v3, v2 :: v_dual_mov_b32 v4, v2
	v_mov_b32_e32 v5, v2
	ds_store_b128 v51, v[2:5]
.LBB166_16:                             ;   in Loop: Header=BB166_12 Depth=2
	s_or_b32 exec_lo, exec_lo, s6
	ds_bpermute_b32 v4, v53, v8
	ds_bpermute_b32 v5, v53, v9
	;; [unrolled: 1-line block ×4, first 2 shown]
	s_wait_storecnt_dscnt 0x0
	s_barrier_signal -1
	s_barrier_wait -1
	v_add_f64_e32 v[4:5], v[8:9], v[4:5]
	v_add_f64_e32 v[6:7], v[6:7], v[48:49]
	ds_bpermute_b32 v8, v54, v4
	ds_bpermute_b32 v9, v54, v5
	ds_bpermute_b32 v48, v54, v6
	ds_bpermute_b32 v49, v54, v7
	s_wait_dscnt 0x2
	v_add_f64_e32 v[4:5], v[4:5], v[8:9]
	s_wait_dscnt 0x0
	v_add_f64_e32 v[6:7], v[6:7], v[48:49]
	ds_bpermute_b32 v8, v55, v4
	ds_bpermute_b32 v9, v55, v5
	ds_bpermute_b32 v48, v55, v6
	ds_bpermute_b32 v49, v55, v7
	s_wait_dscnt 0x2
	v_add_f64_e32 v[4:5], v[4:5], v[8:9]
	s_wait_dscnt 0x0
	;; [unrolled: 8-line block ×3, first 2 shown]
	v_add_f64_e32 v[8:9], v[6:7], v[48:49]
	ds_bpermute_b32 v6, v57, v4
	ds_bpermute_b32 v7, v57, v5
	;; [unrolled: 1-line block ×4, first 2 shown]
	s_and_saveexec_b32 s6, s3
	s_cbranch_execz .LBB166_18
; %bb.17:                               ;   in Loop: Header=BB166_12 Depth=2
	s_wait_dscnt 0x0
	v_add_f64_e32 v[8:9], v[8:9], v[48:49]
	v_add_f64_e32 v[6:7], v[4:5], v[6:7]
	ds_store_b128 v52, v[6:9]
.LBB166_18:                             ;   in Loop: Header=BB166_12 Depth=2
	s_or_b32 exec_lo, exec_lo, s6
	v_mov_b64_e32 v[8:9], 0
	s_wait_dscnt 0x2
	v_mov_b64_e32 v[6:7], 0
	s_wait_dscnt 0x0
	s_barrier_signal -1
	s_barrier_wait -1
	s_and_saveexec_b32 s6, s2
	s_cbranch_execnz .LBB166_46
; %bb.19:                               ;   in Loop: Header=BB166_12 Depth=2
	s_or_b32 exec_lo, exec_lo, s6
	s_and_saveexec_b32 s6, s1
	s_cbranch_execnz .LBB166_47
.LBB166_20:                             ;   in Loop: Header=BB166_12 Depth=2
	s_or_b32 exec_lo, exec_lo, s6
	s_and_saveexec_b32 s6, s1
.LBB166_21:                             ;   in Loop: Header=BB166_12 Depth=2
	v_dual_mov_b32 v3, v2 :: v_dual_mov_b32 v4, v2
	v_mov_b32_e32 v5, v2
	ds_store_b128 v51, v[2:5]
.LBB166_22:                             ;   in Loop: Header=BB166_12 Depth=2
	s_or_b32 exec_lo, exec_lo, s6
	ds_bpermute_b32 v4, v53, v10
	ds_bpermute_b32 v5, v53, v11
	;; [unrolled: 1-line block ×4, first 2 shown]
	s_wait_dscnt 0x0
	s_barrier_signal -1
	s_barrier_wait -1
	v_add_f64_e32 v[4:5], v[10:11], v[4:5]
	v_add_f64_e32 v[10:11], v[12:13], v[48:49]
	ds_bpermute_b32 v12, v54, v4
	ds_bpermute_b32 v13, v54, v5
	ds_bpermute_b32 v48, v54, v10
	ds_bpermute_b32 v49, v54, v11
	s_wait_dscnt 0x2
	v_add_f64_e32 v[4:5], v[4:5], v[12:13]
	s_wait_dscnt 0x0
	v_add_f64_e32 v[10:11], v[10:11], v[48:49]
	ds_bpermute_b32 v12, v55, v4
	ds_bpermute_b32 v13, v55, v5
	ds_bpermute_b32 v48, v55, v10
	ds_bpermute_b32 v49, v55, v11
	s_wait_dscnt 0x2
	v_add_f64_e32 v[4:5], v[4:5], v[12:13]
	s_wait_dscnt 0x0
	v_add_f64_e32 v[10:11], v[10:11], v[48:49]
	ds_bpermute_b32 v12, v56, v4
	ds_bpermute_b32 v13, v56, v5
	ds_bpermute_b32 v48, v56, v10
	ds_bpermute_b32 v49, v56, v11
	s_wait_dscnt 0x2
	v_add_f64_e32 v[4:5], v[4:5], v[12:13]
	s_wait_dscnt 0x0
	v_add_f64_e32 v[12:13], v[10:11], v[48:49]
	ds_bpermute_b32 v10, v57, v4
	ds_bpermute_b32 v11, v57, v5
	;; [unrolled: 1-line block ×4, first 2 shown]
	s_and_saveexec_b32 s6, s3
	s_cbranch_execz .LBB166_24
; %bb.23:                               ;   in Loop: Header=BB166_12 Depth=2
	s_wait_dscnt 0x0
	v_add_f64_e32 v[12:13], v[12:13], v[48:49]
	v_add_f64_e32 v[10:11], v[4:5], v[10:11]
	ds_store_b128 v52, v[10:13]
.LBB166_24:                             ;   in Loop: Header=BB166_12 Depth=2
	s_or_b32 exec_lo, exec_lo, s6
	v_mov_b64_e32 v[12:13], 0
	s_wait_dscnt 0x2
	v_mov_b64_e32 v[10:11], 0
	s_wait_dscnt 0x0
	s_barrier_signal -1
	s_barrier_wait -1
	s_and_saveexec_b32 s6, s2
	s_cbranch_execnz .LBB166_48
; %bb.25:                               ;   in Loop: Header=BB166_12 Depth=2
	s_or_b32 exec_lo, exec_lo, s6
	s_and_saveexec_b32 s6, s1
	s_cbranch_execnz .LBB166_49
.LBB166_26:                             ;   in Loop: Header=BB166_12 Depth=2
	s_or_b32 exec_lo, exec_lo, s6
	s_and_saveexec_b32 s6, s1
.LBB166_27:                             ;   in Loop: Header=BB166_12 Depth=2
	v_dual_mov_b32 v3, v2 :: v_dual_mov_b32 v4, v2
	v_mov_b32_e32 v5, v2
	ds_store_b128 v51, v[2:5]
.LBB166_28:                             ;   in Loop: Header=BB166_12 Depth=2
	s_or_b32 exec_lo, exec_lo, s6
	ds_bpermute_b32 v4, v53, v14
	ds_bpermute_b32 v5, v53, v15
	;; [unrolled: 1-line block ×4, first 2 shown]
	s_wait_dscnt 0x0
	s_barrier_signal -1
	s_barrier_wait -1
	v_add_f64_e32 v[4:5], v[14:15], v[4:5]
	v_add_f64_e32 v[14:15], v[16:17], v[48:49]
	ds_bpermute_b32 v16, v54, v4
	ds_bpermute_b32 v17, v54, v5
	ds_bpermute_b32 v48, v54, v14
	ds_bpermute_b32 v49, v54, v15
	s_wait_dscnt 0x2
	v_add_f64_e32 v[4:5], v[4:5], v[16:17]
	s_wait_dscnt 0x0
	v_add_f64_e32 v[14:15], v[14:15], v[48:49]
	ds_bpermute_b32 v16, v55, v4
	ds_bpermute_b32 v17, v55, v5
	ds_bpermute_b32 v48, v55, v14
	ds_bpermute_b32 v49, v55, v15
	s_wait_dscnt 0x2
	v_add_f64_e32 v[4:5], v[4:5], v[16:17]
	s_wait_dscnt 0x0
	;; [unrolled: 8-line block ×3, first 2 shown]
	v_add_f64_e32 v[16:17], v[14:15], v[48:49]
	ds_bpermute_b32 v14, v57, v4
	ds_bpermute_b32 v15, v57, v5
	;; [unrolled: 1-line block ×4, first 2 shown]
	s_and_saveexec_b32 s6, s3
	s_cbranch_execz .LBB166_30
; %bb.29:                               ;   in Loop: Header=BB166_12 Depth=2
	s_wait_dscnt 0x0
	v_add_f64_e32 v[16:17], v[16:17], v[48:49]
	v_add_f64_e32 v[14:15], v[4:5], v[14:15]
	ds_store_b128 v52, v[14:17]
.LBB166_30:                             ;   in Loop: Header=BB166_12 Depth=2
	s_or_b32 exec_lo, exec_lo, s6
	v_mov_b64_e32 v[16:17], 0
	s_wait_dscnt 0x2
	v_mov_b64_e32 v[14:15], 0
	s_wait_dscnt 0x0
	s_barrier_signal -1
	s_barrier_wait -1
	s_and_saveexec_b32 s6, s2
	s_cbranch_execnz .LBB166_50
; %bb.31:                               ;   in Loop: Header=BB166_12 Depth=2
	s_or_b32 exec_lo, exec_lo, s6
	s_and_saveexec_b32 s6, s1
	s_cbranch_execnz .LBB166_51
.LBB166_32:                             ;   in Loop: Header=BB166_12 Depth=2
	s_or_b32 exec_lo, exec_lo, s6
	s_and_saveexec_b32 s6, s1
.LBB166_33:                             ;   in Loop: Header=BB166_12 Depth=2
	v_dual_mov_b32 v3, v2 :: v_dual_mov_b32 v4, v2
	v_mov_b32_e32 v5, v2
	ds_store_b128 v51, v[2:5]
.LBB166_34:                             ;   in Loop: Header=BB166_12 Depth=2
	s_or_b32 exec_lo, exec_lo, s6
	ds_bpermute_b32 v4, v53, v18
	ds_bpermute_b32 v5, v53, v19
	;; [unrolled: 1-line block ×4, first 2 shown]
	s_wait_dscnt 0x0
	s_barrier_signal -1
	s_barrier_wait -1
	v_add_f64_e32 v[4:5], v[18:19], v[4:5]
	v_add_f64_e32 v[18:19], v[20:21], v[48:49]
	ds_bpermute_b32 v20, v54, v4
	ds_bpermute_b32 v21, v54, v5
	ds_bpermute_b32 v48, v54, v18
	ds_bpermute_b32 v49, v54, v19
	s_wait_dscnt 0x2
	v_add_f64_e32 v[4:5], v[4:5], v[20:21]
	s_wait_dscnt 0x0
	v_add_f64_e32 v[18:19], v[18:19], v[48:49]
	ds_bpermute_b32 v20, v55, v4
	ds_bpermute_b32 v21, v55, v5
	ds_bpermute_b32 v48, v55, v18
	ds_bpermute_b32 v49, v55, v19
	s_wait_dscnt 0x2
	v_add_f64_e32 v[4:5], v[4:5], v[20:21]
	s_wait_dscnt 0x0
	;; [unrolled: 8-line block ×3, first 2 shown]
	v_add_f64_e32 v[20:21], v[18:19], v[48:49]
	ds_bpermute_b32 v18, v57, v4
	ds_bpermute_b32 v19, v57, v5
	;; [unrolled: 1-line block ×4, first 2 shown]
	s_and_saveexec_b32 s6, s3
	s_cbranch_execz .LBB166_36
; %bb.35:                               ;   in Loop: Header=BB166_12 Depth=2
	s_wait_dscnt 0x0
	v_add_f64_e32 v[20:21], v[20:21], v[48:49]
	v_add_f64_e32 v[18:19], v[4:5], v[18:19]
	ds_store_b128 v52, v[18:21]
.LBB166_36:                             ;   in Loop: Header=BB166_12 Depth=2
	s_or_b32 exec_lo, exec_lo, s6
	v_mov_b64_e32 v[20:21], 0
	s_wait_dscnt 0x2
	v_mov_b64_e32 v[18:19], 0
	s_wait_dscnt 0x0
	s_barrier_signal -1
	s_barrier_wait -1
	s_and_saveexec_b32 s6, s2
	s_cbranch_execnz .LBB166_52
; %bb.37:                               ;   in Loop: Header=BB166_12 Depth=2
	s_or_b32 exec_lo, exec_lo, s6
	s_and_saveexec_b32 s6, s1
	s_cbranch_execnz .LBB166_53
.LBB166_38:                             ;   in Loop: Header=BB166_12 Depth=2
	s_or_b32 exec_lo, exec_lo, s6
	s_and_saveexec_b32 s6, s0
	s_cbranch_execz .LBB166_11
	s_branch .LBB166_54
.LBB166_39:                             ;   in Loop: Header=BB166_12 Depth=2
	s_clause 0x2
	global_load_b128 v[4:7], v[40:41], off
	global_load_b128 v[8:11], v[42:43], off
	;; [unrolled: 1-line block ×3, first 2 shown]
	s_mul_u64 s[8:9], s[10:11], s[26:27]
	s_or_b32 s68, s10, 1
	s_mov_b32 s69, s11
	s_or_b32 s70, s10, 2
	s_mov_b32 s71, s11
	;; [unrolled: 2-line block ×3, first 2 shown]
	s_wait_dscnt 0x0
	v_lshl_add_u64 v[20:21], s[8:9], 4, v[36:37]
	s_mul_u64 s[8:9], s[68:69], s[26:27]
	s_mul_u64 s[68:69], s[70:71], s[26:27]
	v_lshl_add_u64 v[48:49], s[8:9], 4, v[36:37]
	s_mul_u64 s[8:9], s[72:73], s[26:27]
	v_lshl_add_u64 v[114:115], s[68:69], 4, v[36:37]
	v_lshl_add_u64 v[118:119], s[8:9], 4, v[36:37]
	global_load_b128 v[58:61], v[38:39], off
	s_clause 0x4
	global_load_b128 v[16:19], v[20:21], off
	global_load_b128 v[62:65], v[48:49], off
	;; [unrolled: 1-line block ×4, first 2 shown]
	global_load_b128 v[74:77], v[20:21], off offset:16
	s_wait_loadcnt 0x8
	scratch_store_b128 off, v[4:7], s64
	scratch_load_b128 v[4:7], off, off offset:16
	s_clause 0x3
	global_load_b128 v[78:81], v[48:49], off offset:16
	global_load_b128 v[82:85], v[114:115], off offset:16
	global_load_b128 v[86:89], v[118:119], off offset:16
	global_load_b128 v[90:93], v[20:21], off offset:32
	s_wait_loadcnt 0xc
	scratch_store_b128 off, v[8:11], s65
	scratch_load_b128 v[8:11], off, off offset:32
	s_clause 0x3
	global_load_b128 v[94:97], v[48:49], off offset:32
	global_load_b128 v[98:101], v[114:115], off offset:32
	global_load_b128 v[102:105], v[118:119], off offset:32
	;; [unrolled: 8-line block ×3, first 2 shown]
	s_wait_loadcnt 0x13
	scratch_store_b128 off, v[58:61], off
	s_wait_loadcnt 0x12
	v_mul_f64_e32 v[20:21], v[60:61], v[18:19]
	v_mul_f64_e32 v[18:19], v[58:59], v[18:19]
	s_wait_loadcnt 0x11
	s_wait_xcnt 0x3
	v_mul_f64_e32 v[48:49], v[60:61], v[64:65]
	v_mul_f64_e32 v[64:65], v[58:59], v[64:65]
	s_wait_loadcnt 0x10
	v_mul_f64_e32 v[122:123], v[60:61], v[68:69]
	v_mul_f64_e32 v[68:69], v[58:59], v[68:69]
	s_wait_loadcnt 0xf
	v_mul_f64_e32 v[124:125], v[60:61], v[72:73]
	v_mul_f64_e32 v[72:73], v[58:59], v[72:73]
	v_fma_f64 v[20:21], v[58:59], v[16:17], -v[20:21]
	v_fmac_f64_e32 v[18:19], v[60:61], v[16:17]
	v_fma_f64 v[16:17], v[58:59], v[62:63], -v[48:49]
	v_fmac_f64_e32 v[64:65], v[60:61], v[62:63]
	v_fma_f64 v[48:49], v[58:59], v[66:67], -v[122:123]
	v_fmac_f64_e32 v[68:69], v[60:61], v[66:67]
	v_fma_f64 v[62:63], v[58:59], v[70:71], -v[124:125]
	v_fmac_f64_e32 v[72:73], v[60:61], v[70:71]
	v_add_f64_e32 v[20:21], 0, v[20:21]
	v_add_f64_e32 v[18:19], 0, v[18:19]
	v_add_f64_e32 v[16:17], 0, v[16:17]
	v_add_f64_e32 v[64:65], 0, v[64:65]
	v_add_f64_e32 v[48:49], 0, v[48:49]
	v_add_f64_e32 v[68:69], 0, v[68:69]
	v_add_f64_e32 v[62:63], 0, v[62:63]
	v_add_f64_e32 v[72:73], 0, v[72:73]
	s_wait_loadcnt 0xd
	v_mul_f64_e32 v[66:67], v[6:7], v[76:77]
	v_mul_f64_e32 v[70:71], v[4:5], v[76:77]
	s_wait_loadcnt 0xc
	v_mul_f64_e32 v[76:77], v[6:7], v[80:81]
	v_mul_f64_e32 v[80:81], v[4:5], v[80:81]
	s_wait_loadcnt 0xb
	v_mul_f64_e32 v[122:123], v[6:7], v[84:85]
	v_mul_f64_e32 v[84:85], v[4:5], v[84:85]
	s_wait_loadcnt 0xa
	v_mul_f64_e32 v[124:125], v[6:7], v[88:89]
	v_mul_f64_e32 v[88:89], v[4:5], v[88:89]
	s_wait_loadcnt 0x8
	v_mul_f64_e32 v[126:127], v[10:11], v[92:93]
	v_mul_f64_e32 v[92:93], v[8:9], v[92:93]
	s_wait_loadcnt 0x7
	v_mul_f64_e32 v[128:129], v[10:11], v[96:97]
	v_mul_f64_e32 v[96:97], v[8:9], v[96:97]
	s_wait_loadcnt 0x6
	v_mul_f64_e32 v[130:131], v[10:11], v[100:101]
	v_mul_f64_e32 v[100:101], v[8:9], v[100:101]
	s_wait_loadcnt 0x5
	v_mul_f64_e32 v[132:133], v[10:11], v[104:105]
	v_mul_f64_e32 v[104:105], v[8:9], v[104:105]
	v_fma_f64 v[66:67], v[4:5], v[74:75], -v[66:67]
	v_fmac_f64_e32 v[70:71], v[6:7], v[74:75]
	v_fma_f64 v[74:75], v[4:5], v[78:79], -v[76:77]
	v_fmac_f64_e32 v[80:81], v[6:7], v[78:79]
	v_fma_f64 v[76:77], v[4:5], v[82:83], -v[122:123]
	v_fmac_f64_e32 v[84:85], v[6:7], v[82:83]
	v_fma_f64 v[4:5], v[4:5], v[86:87], -v[124:125]
	v_fmac_f64_e32 v[88:89], v[6:7], v[86:87]
	s_wait_loadcnt 0x3
	v_mul_f64_e32 v[6:7], v[14:15], v[108:109]
	v_mul_f64_e32 v[78:79], v[12:13], v[108:109]
	s_wait_loadcnt 0x2
	v_mul_f64_e32 v[82:83], v[14:15], v[112:113]
	v_mul_f64_e32 v[86:87], v[12:13], v[112:113]
	;; [unrolled: 3-line block ×4, first 2 shown]
	v_fma_f64 v[122:123], v[8:9], v[90:91], -v[126:127]
	v_fmac_f64_e32 v[92:93], v[10:11], v[90:91]
	v_fma_f64 v[90:91], v[8:9], v[94:95], -v[128:129]
	v_fmac_f64_e32 v[96:97], v[10:11], v[94:95]
	v_fma_f64 v[94:95], v[8:9], v[98:99], -v[130:131]
	v_fmac_f64_e32 v[100:101], v[10:11], v[98:99]
	v_fma_f64 v[8:9], v[8:9], v[102:103], -v[132:133]
	v_fmac_f64_e32 v[104:105], v[10:11], v[102:103]
	v_add_f64_e32 v[10:11], v[20:21], v[66:67]
	v_add_f64_e32 v[18:19], v[18:19], v[70:71]
	;; [unrolled: 1-line block ×8, first 2 shown]
	v_fma_f64 v[6:7], v[12:13], v[106:107], -v[6:7]
	v_fmac_f64_e32 v[78:79], v[14:15], v[106:107]
	v_fma_f64 v[66:67], v[12:13], v[110:111], -v[82:83]
	v_fmac_f64_e32 v[86:87], v[14:15], v[110:111]
	;; [unrolled: 2-line block ×4, first 2 shown]
	v_add_f64_e32 v[10:11], v[10:11], v[122:123]
	v_add_f64_e32 v[12:13], v[18:19], v[92:93]
	;; [unrolled: 1-line block ×16, first 2 shown]
	s_wait_xcnt 0x0
	s_and_not1_saveexec_b32 s6, s6
	s_cbranch_execz .LBB166_14
.LBB166_40:                             ;   in Loop: Header=BB166_12 Depth=2
	s_wait_dscnt 0x0
	v_mov_b64_e32 v[18:19], 0
	v_mov_b64_e32 v[20:21], 0
	;; [unrolled: 1-line block ×8, first 2 shown]
	s_and_saveexec_b32 s7, s4
	s_cbranch_execz .LBB166_56
; %bb.41:                               ;   in Loop: Header=BB166_12 Depth=2
	s_and_not1_b32 vcc_lo, exec_lo, s63
	s_cbranch_vccnz .LBB166_55
; %bb.42:                               ;   in Loop: Header=BB166_12 Depth=2
	v_mov_b64_e32 v[4:5], v[34:35]
	s_mov_b32 s8, 0
	s_mov_b32 s9, s61
.LBB166_43:                             ;   Parent Loop BB166_3 Depth=1
                                        ;     Parent Loop BB166_12 Depth=2
                                        ; =>    This Inner Loop Header: Depth=3
	global_load_b128 v[6:9], v[4:5], off
	s_wait_xcnt 0x0
	v_add_nc_u64_e32 v[4:5], s[44:45], v[4:5]
	s_add_co_i32 s9, s9, -1
	s_wait_loadcnt 0x0
	scratch_store_b128 off, v[6:9], s8
	s_wait_xcnt 0x0
	s_add_co_i32 s8, s8, 16
	s_cmp_eq_u32 s9, 0
	s_cbranch_scc0 .LBB166_43
; %bb.44:                               ;   in Loop: Header=BB166_12 Depth=2
	v_mov_b64_e32 v[6:7], 0
	v_mov_b64_e32 v[8:9], 0
	;; [unrolled: 1-line block ×9, first 2 shown]
	s_mov_b32 s8, s67
	s_mov_b32 s9, s61
.LBB166_45:                             ;   Parent Loop BB166_3 Depth=1
                                        ;     Parent Loop BB166_12 Depth=2
                                        ; =>    This Inner Loop Header: Depth=3
	s_delay_alu instid0(VALU_DEP_1)
	v_add_nc_u64_e32 v[48:49], s[52:53], v[4:5]
	scratch_load_b128 v[58:61], off, s8 offset:-8
	s_add_co_i32 s9, s9, -1
	s_wait_xcnt 0x0
	s_add_co_i32 s8, s8, 16
	s_cmp_lg_u32 s9, 0
	v_add_nc_u64_e32 v[70:71], s[52:53], v[48:49]
	s_delay_alu instid0(VALU_DEP_1)
	v_add_nc_u64_e32 v[74:75], s[52:53], v[70:71]
	s_clause 0x3
	global_load_b128 v[62:65], v[4:5], off
	global_load_b128 v[66:69], v[48:49], off
	;; [unrolled: 1-line block ×4, first 2 shown]
	s_wait_xcnt 0x3
	v_add_nc_u64_e32 v[4:5], 16, v[4:5]
	s_wait_loadcnt 0x3
	s_wait_xcnt 0x2
	v_mul_f64_e32 v[48:49], v[60:61], v[64:65]
	v_mul_f64_e32 v[64:65], v[58:59], v[64:65]
	s_wait_loadcnt 0x2
	v_mul_f64_e32 v[78:79], v[60:61], v[68:69]
	v_mul_f64_e32 v[68:69], v[58:59], v[68:69]
	s_wait_loadcnt 0x1
	;; [unrolled: 3-line block ×3, first 2 shown]
	v_mul_f64_e32 v[82:83], v[60:61], v[76:77]
	v_mul_f64_e32 v[76:77], v[58:59], v[76:77]
	v_fma_f64 v[48:49], v[58:59], v[62:63], -v[48:49]
	v_fmac_f64_e32 v[64:65], v[60:61], v[62:63]
	v_fma_f64 v[62:63], v[58:59], v[66:67], -v[78:79]
	v_fmac_f64_e32 v[68:69], v[60:61], v[66:67]
	;; [unrolled: 2-line block ×4, first 2 shown]
	v_add_f64_e32 v[8:9], v[8:9], v[48:49]
	v_add_f64_e32 v[6:7], v[6:7], v[64:65]
	;; [unrolled: 1-line block ×8, first 2 shown]
	s_cbranch_scc1 .LBB166_45
	s_branch .LBB166_56
.LBB166_46:                             ;   in Loop: Header=BB166_12 Depth=2
	ds_load_b128 v[6:9], v51
	s_or_b32 exec_lo, exec_lo, s6
	s_and_saveexec_b32 s6, s1
	s_cbranch_execz .LBB166_20
.LBB166_47:                             ;   in Loop: Header=BB166_12 Depth=2
	s_wait_dscnt 0x0
	ds_bpermute_b32 v4, v55, v6
	ds_bpermute_b32 v5, v55, v7
	ds_bpermute_b32 v48, v55, v8
	ds_bpermute_b32 v49, v55, v9
	s_wait_dscnt 0x2
	v_add_f64_e32 v[4:5], v[6:7], v[4:5]
	s_wait_dscnt 0x0
	v_add_f64_e32 v[6:7], v[8:9], v[48:49]
	ds_bpermute_b32 v8, v56, v4
	ds_bpermute_b32 v9, v56, v5
	ds_bpermute_b32 v48, v56, v6
	ds_bpermute_b32 v49, v56, v7
	s_wait_dscnt 0x2
	v_add_f64_e32 v[4:5], v[4:5], v[8:9]
	s_wait_dscnt 0x0
	v_add_f64_e32 v[8:9], v[6:7], v[48:49]
	;; [unrolled: 8-line block ×3, first 2 shown]
	s_or_b32 exec_lo, exec_lo, s6
	s_and_saveexec_b32 s6, s1
	s_cbranch_execnz .LBB166_21
	s_branch .LBB166_22
.LBB166_48:                             ;   in Loop: Header=BB166_12 Depth=2
	ds_load_b128 v[10:13], v51
	s_or_b32 exec_lo, exec_lo, s6
	s_and_saveexec_b32 s6, s1
	s_cbranch_execz .LBB166_26
.LBB166_49:                             ;   in Loop: Header=BB166_12 Depth=2
	s_wait_dscnt 0x0
	ds_bpermute_b32 v4, v55, v10
	ds_bpermute_b32 v5, v55, v11
	ds_bpermute_b32 v48, v55, v12
	ds_bpermute_b32 v49, v55, v13
	s_wait_dscnt 0x2
	v_add_f64_e32 v[4:5], v[10:11], v[4:5]
	s_wait_dscnt 0x0
	v_add_f64_e32 v[10:11], v[12:13], v[48:49]
	ds_bpermute_b32 v12, v56, v4
	ds_bpermute_b32 v13, v56, v5
	ds_bpermute_b32 v48, v56, v10
	ds_bpermute_b32 v49, v56, v11
	s_wait_dscnt 0x2
	v_add_f64_e32 v[4:5], v[4:5], v[12:13]
	s_wait_dscnt 0x0
	v_add_f64_e32 v[12:13], v[10:11], v[48:49]
	;; [unrolled: 8-line block ×3, first 2 shown]
	s_or_b32 exec_lo, exec_lo, s6
	s_and_saveexec_b32 s6, s1
	s_cbranch_execnz .LBB166_27
	s_branch .LBB166_28
.LBB166_50:                             ;   in Loop: Header=BB166_12 Depth=2
	ds_load_b128 v[14:17], v51
	s_or_b32 exec_lo, exec_lo, s6
	s_and_saveexec_b32 s6, s1
	s_cbranch_execz .LBB166_32
.LBB166_51:                             ;   in Loop: Header=BB166_12 Depth=2
	s_wait_dscnt 0x0
	ds_bpermute_b32 v4, v55, v14
	ds_bpermute_b32 v5, v55, v15
	ds_bpermute_b32 v48, v55, v16
	ds_bpermute_b32 v49, v55, v17
	s_wait_dscnt 0x2
	v_add_f64_e32 v[4:5], v[14:15], v[4:5]
	s_wait_dscnt 0x0
	v_add_f64_e32 v[14:15], v[16:17], v[48:49]
	ds_bpermute_b32 v16, v56, v4
	ds_bpermute_b32 v17, v56, v5
	ds_bpermute_b32 v48, v56, v14
	ds_bpermute_b32 v49, v56, v15
	s_wait_dscnt 0x2
	v_add_f64_e32 v[4:5], v[4:5], v[16:17]
	s_wait_dscnt 0x0
	v_add_f64_e32 v[16:17], v[14:15], v[48:49]
	;; [unrolled: 8-line block ×3, first 2 shown]
	s_or_b32 exec_lo, exec_lo, s6
	s_and_saveexec_b32 s6, s1
	s_cbranch_execnz .LBB166_33
	s_branch .LBB166_34
.LBB166_52:                             ;   in Loop: Header=BB166_12 Depth=2
	ds_load_b128 v[18:21], v51
	s_or_b32 exec_lo, exec_lo, s6
	s_and_saveexec_b32 s6, s1
	s_cbranch_execz .LBB166_38
.LBB166_53:                             ;   in Loop: Header=BB166_12 Depth=2
	s_wait_dscnt 0x0
	ds_bpermute_b32 v4, v55, v18
	ds_bpermute_b32 v5, v55, v19
	ds_bpermute_b32 v48, v55, v20
	ds_bpermute_b32 v49, v55, v21
	s_wait_dscnt 0x2
	v_add_f64_e32 v[4:5], v[18:19], v[4:5]
	s_wait_dscnt 0x0
	v_add_f64_e32 v[18:19], v[20:21], v[48:49]
	ds_bpermute_b32 v20, v56, v4
	ds_bpermute_b32 v21, v56, v5
	ds_bpermute_b32 v48, v56, v18
	ds_bpermute_b32 v49, v56, v19
	s_wait_dscnt 0x2
	v_add_f64_e32 v[4:5], v[4:5], v[20:21]
	s_wait_dscnt 0x0
	v_add_f64_e32 v[20:21], v[18:19], v[48:49]
	ds_bpermute_b32 v18, v57, v4
	ds_bpermute_b32 v19, v57, v5
	ds_bpermute_b32 v48, v57, v20
	ds_bpermute_b32 v49, v57, v21
	s_wait_dscnt 0x2
	v_add_f64_e32 v[18:19], v[4:5], v[18:19]
	s_wait_dscnt 0x0
	v_add_f64_e32 v[20:21], v[20:21], v[48:49]
	s_or_b32 exec_lo, exec_lo, s6
	s_and_saveexec_b32 s6, s0
	s_cbranch_execz .LBB166_11
.LBB166_54:                             ;   in Loop: Header=BB166_12 Depth=2
	v_mul_f64_e32 v[4:5], s[14:15], v[8:9]
	v_mul_f64_e32 v[60:61], s[12:13], v[8:9]
	;; [unrolled: 1-line block ×6, first 2 shown]
	s_wait_dscnt 0x0
	v_mul_f64_e32 v[64:65], s[14:15], v[20:21]
	v_mul_f64_e32 v[16:17], s[12:13], v[20:21]
	s_or_b32 s68, s10, 1
	s_mov_b32 s69, s11
	s_mul_u64 s[8:9], s[10:11], s[30:31]
	s_or_b32 s70, s10, 2
	s_mov_b32 s71, s11
	s_or_b32 s72, s10, 3
	s_mov_b32 s73, s11
	s_mul_u64 s[68:69], s[68:69], s[30:31]
	s_lshl_b64 s[8:9], s[8:9], 4
	s_mul_u64 s[70:71], s[70:71], s[30:31]
	s_mul_u64 s[72:73], s[72:73], s[30:31]
	s_lshl_b64 s[68:69], s[68:69], 4
	s_add_nc_u64 s[8:9], s[54:55], s[8:9]
	s_lshl_b64 s[70:71], s[70:71], 4
	s_lshl_b64 s[72:73], s[72:73], 4
	s_add_nc_u64 s[68:69], s[54:55], s[68:69]
	s_add_nc_u64 s[70:71], s[54:55], s[70:71]
	;; [unrolled: 1-line block ×3, first 2 shown]
	v_fma_f64 v[58:59], s[12:13], v[6:7], -v[4:5]
	v_fmac_f64_e32 v[60:61], s[14:15], v[6:7]
	v_fma_f64 v[6:7], s[12:13], v[10:11], -v[48:49]
	v_fmac_f64_e32 v[8:9], s[14:15], v[10:11]
	;; [unrolled: 2-line block ×4, first 2 shown]
	s_clause 0x3
	global_store_b128 v2, v[58:61], s[8:9]
	global_store_b128 v2, v[6:9], s[68:69]
	;; [unrolled: 1-line block ×4, first 2 shown]
	s_branch .LBB166_11
.LBB166_55:                             ;   in Loop: Header=BB166_12 Depth=2
	v_mov_b64_e32 v[18:19], 0
	v_mov_b64_e32 v[20:21], 0
	;; [unrolled: 1-line block ×8, first 2 shown]
.LBB166_56:                             ;   in Loop: Header=BB166_12 Depth=2
	s_wait_xcnt 0x0
	s_or_b32 exec_lo, exec_lo, s7
	s_delay_alu instid0(SALU_CYCLE_1)
	s_or_b32 exec_lo, exec_lo, s6
	s_and_saveexec_b32 s6, s1
	s_cbranch_execnz .LBB166_15
	s_branch .LBB166_16
.LBB166_57:                             ;   in Loop: Header=BB166_3 Depth=1
	s_mov_b32 s10, 0
.LBB166_58:                             ;   in Loop: Header=BB166_3 Depth=1
	s_delay_alu instid0(SALU_CYCLE_1)
	s_cmp_ge_i32 s10, s29
	s_cbranch_scc1 .LBB166_2
; %bb.59:                               ;   in Loop: Header=BB166_3 Depth=1
	v_cmp_gt_u32_e32 vcc_lo, 24, v50
	s_mul_u64 s[6:7], s[52:53], s[10:11]
	s_delay_alu instid0(SALU_CYCLE_1) | instskip(NEXT) | instid1(SALU_CYCLE_1)
	s_add_nc_u64 s[6:7], s[6:7], s[56:57]
	v_add_nc_u64_e32 v[8:9], s[6:7], v[30:31]
	v_cndmask_b32_e64 v3, 0, 8, vcc_lo
	v_cmp_gt_u32_e32 vcc_lo, 28, v50
	s_delay_alu instid0(VALU_DEP_2) | instskip(SKIP_3) | instid1(VALU_DEP_2)
	v_add_lshl_u32 v14, v3, v50, 2
	s_wait_dscnt 0x0
	v_cndmask_b32_e64 v4, 0, 4, vcc_lo
	v_cmp_gt_u32_e32 vcc_lo, 30, v50
	v_add_lshl_u32 v15, v4, v50, 2
	v_cndmask_b32_e64 v3, 0, 2, vcc_lo
	v_cmp_ne_u32_e32 vcc_lo, 31, v50
	s_delay_alu instid0(VALU_DEP_2) | instskip(SKIP_1) | instid1(VALU_DEP_1)
	v_add_lshl_u32 v16, v3, v50, 2
	v_add_co_ci_u32_e64 v5, null, 0, v50, vcc_lo
	v_lshlrev_b32_e32 v17, 2, v5
	s_branch .LBB166_61
.LBB166_60:                             ;   in Loop: Header=BB166_61 Depth=2
	s_wait_xcnt 0x0
	s_or_b32 exec_lo, exec_lo, s6
	v_add_nc_u64_e32 v[8:9], s[52:53], v[8:9]
	s_add_co_i32 s10, s10, 1
	s_delay_alu instid0(SALU_CYCLE_1)
	s_cmp_lt_i32 s10, s29
	s_cbranch_scc0 .LBB166_2
.LBB166_61:                             ;   Parent Loop BB166_3 Depth=1
                                        ; =>  This Loop Header: Depth=2
                                        ;       Child Loop BB166_73 Depth 3
                                        ;       Child Loop BB166_75 Depth 3
                                        ; implicit-def: $vgpr6_vgpr7
                                        ; implicit-def: $vgpr10_vgpr11
	s_and_saveexec_b32 s6, s5
	s_delay_alu instid0(SALU_CYCLE_1)
	s_xor_b32 s6, exec_lo, s6
	s_cbranch_execnz .LBB166_70
; %bb.62:                               ;   in Loop: Header=BB166_61 Depth=2
	s_and_not1_saveexec_b32 s6, s6
	s_cbranch_execnz .LBB166_71
.LBB166_63:                             ;   in Loop: Header=BB166_61 Depth=2
	s_or_b32 exec_lo, exec_lo, s6
	s_and_saveexec_b32 s6, s1
	s_cbranch_execz .LBB166_65
.LBB166_64:                             ;   in Loop: Header=BB166_61 Depth=2
	s_wait_dscnt 0x0
	v_dual_mov_b32 v3, v2 :: v_dual_mov_b32 v4, v2
	v_mov_b32_e32 v5, v2
	ds_store_b128 v51, v[2:5]
.LBB166_65:                             ;   in Loop: Header=BB166_61 Depth=2
	s_or_b32 exec_lo, exec_lo, s6
	s_wait_dscnt 0x0
	ds_bpermute_b32 v4, v53, v6
	ds_bpermute_b32 v5, v53, v7
	;; [unrolled: 1-line block ×4, first 2 shown]
	s_wait_storecnt_dscnt 0x0
	s_barrier_signal -1
	s_barrier_wait -1
	v_add_f64_e32 v[4:5], v[6:7], v[4:5]
	v_add_f64_e32 v[6:7], v[10:11], v[12:13]
	ds_bpermute_b32 v10, v14, v4
	ds_bpermute_b32 v11, v14, v5
	ds_bpermute_b32 v12, v14, v6
	ds_bpermute_b32 v13, v14, v7
	s_wait_dscnt 0x2
	v_add_f64_e32 v[4:5], v[4:5], v[10:11]
	s_wait_dscnt 0x0
	v_add_f64_e32 v[6:7], v[6:7], v[12:13]
	ds_bpermute_b32 v10, v15, v4
	ds_bpermute_b32 v11, v15, v5
	ds_bpermute_b32 v12, v15, v6
	ds_bpermute_b32 v13, v15, v7
	s_wait_dscnt 0x2
	v_add_f64_e32 v[4:5], v[4:5], v[10:11]
	s_wait_dscnt 0x0
	;; [unrolled: 8-line block ×3, first 2 shown]
	v_add_f64_e32 v[10:11], v[6:7], v[12:13]
	ds_bpermute_b32 v6, v17, v4
	ds_bpermute_b32 v7, v17, v5
	ds_bpermute_b32 v12, v17, v10
	ds_bpermute_b32 v13, v17, v11
	s_and_saveexec_b32 s6, s3
	s_cbranch_execz .LBB166_67
; %bb.66:                               ;   in Loop: Header=BB166_61 Depth=2
	s_wait_dscnt 0x0
	v_add_f64_e32 v[12:13], v[10:11], v[12:13]
	v_add_f64_e32 v[10:11], v[4:5], v[6:7]
	ds_store_b128 v52, v[10:13]
.LBB166_67:                             ;   in Loop: Header=BB166_61 Depth=2
	s_or_b32 exec_lo, exec_lo, s6
	s_wait_dscnt 0x2
	v_mov_b64_e32 v[6:7], 0
	v_mov_b64_e32 v[4:5], 0
	s_wait_dscnt 0x0
	s_barrier_signal -1
	s_barrier_wait -1
	s_and_saveexec_b32 s6, s2
	s_cbranch_execnz .LBB166_77
; %bb.68:                               ;   in Loop: Header=BB166_61 Depth=2
	s_or_b32 exec_lo, exec_lo, s6
	s_and_saveexec_b32 s6, s1
	s_cbranch_execnz .LBB166_78
.LBB166_69:                             ;   in Loop: Header=BB166_61 Depth=2
	s_or_b32 exec_lo, exec_lo, s6
	s_and_saveexec_b32 s6, s0
	s_cbranch_execz .LBB166_60
	s_branch .LBB166_79
.LBB166_70:                             ;   in Loop: Header=BB166_61 Depth=2
	s_wait_dscnt 0x0
	s_clause 0x1
	global_load_b128 v[4:7], v[40:41], off
	global_load_b128 v[10:13], v[42:43], off
	s_wait_dscnt 0x0
	global_load_b128 v[18:21], v[44:45], off
	s_mul_u64 s[8:9], s[10:11], s[26:27]
	s_delay_alu instid0(SALU_CYCLE_1)
	v_lshl_add_u64 v[66:67], s[8:9], 4, v[36:37]
	global_load_b128 v[46:49], v[38:39], off
	s_clause 0x1
	global_load_b128 v[54:57], v[66:67], off
	global_load_b128 v[58:61], v[66:67], off offset:16
	s_wait_loadcnt 0x5
	scratch_store_b128 off, v[4:7], s64
	s_wait_loadcnt 0x4
	scratch_store_b128 off, v[10:13], s65
	s_clause 0x1
	scratch_load_b128 v[4:7], off, off offset:16
	scratch_load_b128 v[10:13], off, off offset:32
	s_clause 0x1
	global_load_b128 v[62:65], v[66:67], off offset:32
	global_load_b128 v[66:69], v[66:67], off offset:48
	s_wait_loadcnt 0x7
	scratch_store_b128 off, v[18:21], s66
	scratch_load_b128 v[18:21], off, off offset:48
	s_wait_loadcnt 0x7
	scratch_store_b128 off, v[46:49], off
	s_wait_loadcnt 0x6
	v_mul_f64_e32 v[70:71], v[56:57], v[48:49]
	v_mul_f64_e32 v[72:73], v[54:55], v[48:49]
	s_delay_alu instid0(VALU_DEP_2) | instskip(NEXT) | instid1(VALU_DEP_2)
	v_fma_f64 v[54:55], v[54:55], v[46:47], -v[70:71]
	v_fmac_f64_e32 v[72:73], v[56:57], v[46:47]
	s_delay_alu instid0(VALU_DEP_2) | instskip(NEXT) | instid1(VALU_DEP_2)
	v_add_f64_e32 v[54:55], 0, v[54:55]
	v_add_f64_e32 v[70:71], 0, v[72:73]
	s_wait_loadcnt 0x4
	v_mul_f64_e32 v[56:57], v[60:61], v[6:7]
	v_mul_f64_e32 v[6:7], v[58:59], v[6:7]
	s_wait_loadcnt 0x2
	v_mul_f64_e32 v[72:73], v[64:65], v[12:13]
	v_mul_f64_e32 v[12:13], v[62:63], v[12:13]
	s_delay_alu instid0(VALU_DEP_4) | instskip(NEXT) | instid1(VALU_DEP_4)
	v_fma_f64 v[56:57], v[58:59], v[4:5], -v[56:57]
	v_fmac_f64_e32 v[6:7], v[60:61], v[4:5]
	s_wait_loadcnt 0x0
	v_mul_f64_e32 v[4:5], v[68:69], v[20:21]
	v_mul_f64_e32 v[20:21], v[66:67], v[20:21]
	v_fma_f64 v[58:59], v[62:63], v[10:11], -v[72:73]
	v_fmac_f64_e32 v[12:13], v[64:65], v[10:11]
	v_add_f64_e32 v[10:11], v[54:55], v[56:57]
	v_add_f64_e32 v[6:7], v[70:71], v[6:7]
	v_fma_f64 v[4:5], v[66:67], v[18:19], -v[4:5]
	v_fmac_f64_e32 v[20:21], v[68:69], v[18:19]
	s_delay_alu instid0(VALU_DEP_4) | instskip(NEXT) | instid1(VALU_DEP_4)
	v_add_f64_e32 v[10:11], v[10:11], v[58:59]
	v_add_f64_e32 v[12:13], v[6:7], v[12:13]
	s_delay_alu instid0(VALU_DEP_2) | instskip(NEXT) | instid1(VALU_DEP_2)
	v_add_f64_e32 v[6:7], v[10:11], v[4:5]
	v_add_f64_e32 v[10:11], v[12:13], v[20:21]
	s_wait_xcnt 0x0
	s_and_not1_saveexec_b32 s6, s6
	s_cbranch_execz .LBB166_63
.LBB166_71:                             ;   in Loop: Header=BB166_61 Depth=2
	s_wait_dscnt 0x0
	v_mov_b64_e32 v[6:7], 0
	v_mov_b64_e32 v[10:11], 0
	s_and_saveexec_b32 s7, s28
	s_cbranch_execz .LBB166_76
; %bb.72:                               ;   in Loop: Header=BB166_61 Depth=2
	v_mov_b64_e32 v[4:5], v[34:35]
	s_mov_b32 s8, 0
	s_mov_b32 s9, s61
.LBB166_73:                             ;   Parent Loop BB166_3 Depth=1
                                        ;     Parent Loop BB166_61 Depth=2
                                        ; =>    This Inner Loop Header: Depth=3
	global_load_b128 v[10:13], v[4:5], off
	s_wait_xcnt 0x0
	v_add_nc_u64_e32 v[4:5], s[44:45], v[4:5]
	s_add_co_i32 s9, s9, -1
	s_wait_loadcnt 0x0
	scratch_store_b128 off, v[10:13], s8
	s_wait_xcnt 0x0
	s_add_co_i32 s8, s8, 16
	s_cmp_eq_u32 s9, 0
	s_cbranch_scc0 .LBB166_73
; %bb.74:                               ;   in Loop: Header=BB166_61 Depth=2
	v_mov_b64_e32 v[6:7], 0
	v_mov_b64_e32 v[10:11], 0
	;; [unrolled: 1-line block ×3, first 2 shown]
	s_mov_b32 s8, s67
	s_mov_b32 s9, s61
.LBB166_75:                             ;   Parent Loop BB166_3 Depth=1
                                        ;     Parent Loop BB166_61 Depth=2
                                        ; =>    This Inner Loop Header: Depth=3
	s_wait_dscnt 0x0
	global_load_b128 v[18:21], v[4:5], off offset:-8
	scratch_load_b128 v[46:49], off, s8 offset:-8
	s_wait_xcnt 0x1
	v_add_nc_u64_e32 v[4:5], 16, v[4:5]
	s_add_co_i32 s9, s9, -1
	s_wait_xcnt 0x0
	s_add_co_i32 s8, s8, 16
	s_cmp_lg_u32 s9, 0
	s_wait_loadcnt 0x0
	v_mul_f64_e32 v[12:13], v[20:21], v[48:49]
	v_mul_f64_e32 v[48:49], v[18:19], v[48:49]
	s_delay_alu instid0(VALU_DEP_2) | instskip(NEXT) | instid1(VALU_DEP_2)
	v_fma_f64 v[12:13], v[18:19], v[46:47], -v[12:13]
	v_fmac_f64_e32 v[48:49], v[20:21], v[46:47]
	s_delay_alu instid0(VALU_DEP_2) | instskip(NEXT) | instid1(VALU_DEP_2)
	v_add_f64_e32 v[6:7], v[6:7], v[12:13]
	v_add_f64_e32 v[10:11], v[10:11], v[48:49]
	s_cbranch_scc1 .LBB166_75
.LBB166_76:                             ;   in Loop: Header=BB166_61 Depth=2
	s_or_b32 exec_lo, exec_lo, s7
	s_delay_alu instid0(SALU_CYCLE_1)
	s_or_b32 exec_lo, exec_lo, s6
	s_and_saveexec_b32 s6, s1
	s_cbranch_execnz .LBB166_64
	s_branch .LBB166_65
.LBB166_77:                             ;   in Loop: Header=BB166_61 Depth=2
	ds_load_b128 v[4:7], v51
	s_or_b32 exec_lo, exec_lo, s6
	s_and_saveexec_b32 s6, s1
	s_cbranch_execz .LBB166_69
.LBB166_78:                             ;   in Loop: Header=BB166_61 Depth=2
	s_wait_dscnt 0x0
	ds_bpermute_b32 v10, v15, v4
	ds_bpermute_b32 v11, v15, v5
	ds_bpermute_b32 v12, v15, v6
	ds_bpermute_b32 v13, v15, v7
	s_wait_dscnt 0x2
	v_add_f64_e32 v[4:5], v[4:5], v[10:11]
	s_wait_dscnt 0x0
	v_add_f64_e32 v[6:7], v[6:7], v[12:13]
	ds_bpermute_b32 v10, v16, v4
	ds_bpermute_b32 v11, v16, v5
	ds_bpermute_b32 v12, v16, v6
	ds_bpermute_b32 v13, v16, v7
	s_wait_dscnt 0x2
	v_add_f64_e32 v[4:5], v[4:5], v[10:11]
	s_wait_dscnt 0x0
	v_add_f64_e32 v[6:7], v[6:7], v[12:13]
	;; [unrolled: 8-line block ×3, first 2 shown]
	s_or_b32 exec_lo, exec_lo, s6
	s_and_saveexec_b32 s6, s0
	s_cbranch_execz .LBB166_60
.LBB166_79:                             ;   in Loop: Header=BB166_61 Depth=2
	s_wait_dscnt 0x0
	s_delay_alu instid0(VALU_DEP_1) | instskip(SKIP_2) | instid1(SALU_CYCLE_1)
	v_mul_f64_e32 v[10:11], s[14:15], v[6:7]
	v_mul_f64_e32 v[12:13], s[12:13], v[6:7]
	s_mul_u64 s[8:9], s[10:11], s[30:31]
	s_lshl_b64 s[8:9], s[8:9], 4
	s_delay_alu instid0(SALU_CYCLE_1) | instskip(NEXT) | instid1(VALU_DEP_2)
	s_add_nc_u64 s[8:9], s[54:55], s[8:9]
	v_fma_f64 v[10:11], s[12:13], v[4:5], -v[10:11]
	s_delay_alu instid0(VALU_DEP_2)
	v_fmac_f64_e32 v[12:13], s[14:15], v[4:5]
	global_store_b128 v2, v[10:13], s[8:9]
	s_branch .LBB166_60
.LBB166_80:
	s_sendmsg sendmsg(MSG_DEALLOC_VGPRS)
	s_endpgm
	.section	.rodata,"a",@progbits
	.p2align	6, 0x0
	.amdhsa_kernel _ZL23rocblas_gemvt_sn_kernelILb0ELi256ELi4El19rocblas_complex_numIdES1_S1_EviiT4_lPKT3_lilS5_lilPT5_i
		.amdhsa_group_segment_fixed_size 512
		.amdhsa_private_segment_fixed_size 80
		.amdhsa_kernarg_size 368
		.amdhsa_user_sgpr_count 2
		.amdhsa_user_sgpr_dispatch_ptr 0
		.amdhsa_user_sgpr_queue_ptr 0
		.amdhsa_user_sgpr_kernarg_segment_ptr 1
		.amdhsa_user_sgpr_dispatch_id 0
		.amdhsa_user_sgpr_kernarg_preload_length 0
		.amdhsa_user_sgpr_kernarg_preload_offset 0
		.amdhsa_user_sgpr_private_segment_size 0
		.amdhsa_wavefront_size32 1
		.amdhsa_uses_dynamic_stack 0
		.amdhsa_enable_private_segment 1
		.amdhsa_system_sgpr_workgroup_id_x 1
		.amdhsa_system_sgpr_workgroup_id_y 0
		.amdhsa_system_sgpr_workgroup_id_z 1
		.amdhsa_system_sgpr_workgroup_info 0
		.amdhsa_system_vgpr_workitem_id 0
		.amdhsa_next_free_vgpr 134
		.amdhsa_next_free_sgpr 74
		.amdhsa_named_barrier_count 0
		.amdhsa_reserve_vcc 1
		.amdhsa_float_round_mode_32 0
		.amdhsa_float_round_mode_16_64 0
		.amdhsa_float_denorm_mode_32 3
		.amdhsa_float_denorm_mode_16_64 3
		.amdhsa_fp16_overflow 0
		.amdhsa_memory_ordered 1
		.amdhsa_forward_progress 1
		.amdhsa_inst_pref_size 48
		.amdhsa_round_robin_scheduling 0
		.amdhsa_exception_fp_ieee_invalid_op 0
		.amdhsa_exception_fp_denorm_src 0
		.amdhsa_exception_fp_ieee_div_zero 0
		.amdhsa_exception_fp_ieee_overflow 0
		.amdhsa_exception_fp_ieee_underflow 0
		.amdhsa_exception_fp_ieee_inexact 0
		.amdhsa_exception_int_div_zero 0
	.end_amdhsa_kernel
	.section	.text._ZL23rocblas_gemvt_sn_kernelILb0ELi256ELi4El19rocblas_complex_numIdES1_S1_EviiT4_lPKT3_lilS5_lilPT5_i,"axG",@progbits,_ZL23rocblas_gemvt_sn_kernelILb0ELi256ELi4El19rocblas_complex_numIdES1_S1_EviiT4_lPKT3_lilS5_lilPT5_i,comdat
.Lfunc_end166:
	.size	_ZL23rocblas_gemvt_sn_kernelILb0ELi256ELi4El19rocblas_complex_numIdES1_S1_EviiT4_lPKT3_lilS5_lilPT5_i, .Lfunc_end166-_ZL23rocblas_gemvt_sn_kernelILb0ELi256ELi4El19rocblas_complex_numIdES1_S1_EviiT4_lPKT3_lilS5_lilPT5_i
                                        ; -- End function
	.set _ZL23rocblas_gemvt_sn_kernelILb0ELi256ELi4El19rocblas_complex_numIdES1_S1_EviiT4_lPKT3_lilS5_lilPT5_i.num_vgpr, 134
	.set _ZL23rocblas_gemvt_sn_kernelILb0ELi256ELi4El19rocblas_complex_numIdES1_S1_EviiT4_lPKT3_lilS5_lilPT5_i.num_agpr, 0
	.set _ZL23rocblas_gemvt_sn_kernelILb0ELi256ELi4El19rocblas_complex_numIdES1_S1_EviiT4_lPKT3_lilS5_lilPT5_i.numbered_sgpr, 74
	.set _ZL23rocblas_gemvt_sn_kernelILb0ELi256ELi4El19rocblas_complex_numIdES1_S1_EviiT4_lPKT3_lilS5_lilPT5_i.num_named_barrier, 0
	.set _ZL23rocblas_gemvt_sn_kernelILb0ELi256ELi4El19rocblas_complex_numIdES1_S1_EviiT4_lPKT3_lilS5_lilPT5_i.private_seg_size, 80
	.set _ZL23rocblas_gemvt_sn_kernelILb0ELi256ELi4El19rocblas_complex_numIdES1_S1_EviiT4_lPKT3_lilS5_lilPT5_i.uses_vcc, 1
	.set _ZL23rocblas_gemvt_sn_kernelILb0ELi256ELi4El19rocblas_complex_numIdES1_S1_EviiT4_lPKT3_lilS5_lilPT5_i.uses_flat_scratch, 1
	.set _ZL23rocblas_gemvt_sn_kernelILb0ELi256ELi4El19rocblas_complex_numIdES1_S1_EviiT4_lPKT3_lilS5_lilPT5_i.has_dyn_sized_stack, 0
	.set _ZL23rocblas_gemvt_sn_kernelILb0ELi256ELi4El19rocblas_complex_numIdES1_S1_EviiT4_lPKT3_lilS5_lilPT5_i.has_recursion, 0
	.set _ZL23rocblas_gemvt_sn_kernelILb0ELi256ELi4El19rocblas_complex_numIdES1_S1_EviiT4_lPKT3_lilS5_lilPT5_i.has_indirect_call, 0
	.section	.AMDGPU.csdata,"",@progbits
; Kernel info:
; codeLenInByte = 6112
; TotalNumSgprs: 76
; NumVgprs: 134
; ScratchSize: 80
; MemoryBound: 0
; FloatMode: 240
; IeeeMode: 1
; LDSByteSize: 512 bytes/workgroup (compile time only)
; SGPRBlocks: 0
; VGPRBlocks: 8
; NumSGPRsForWavesPerEU: 76
; NumVGPRsForWavesPerEU: 134
; NamedBarCnt: 0
; Occupancy: 7
; WaveLimiterHint : 1
; COMPUTE_PGM_RSRC2:SCRATCH_EN: 1
; COMPUTE_PGM_RSRC2:USER_SGPR: 2
; COMPUTE_PGM_RSRC2:TRAP_HANDLER: 0
; COMPUTE_PGM_RSRC2:TGID_X_EN: 1
; COMPUTE_PGM_RSRC2:TGID_Y_EN: 0
; COMPUTE_PGM_RSRC2:TGID_Z_EN: 1
; COMPUTE_PGM_RSRC2:TIDIG_COMP_CNT: 0
	.section	.text._ZL23rocblas_gemvt_sn_reduceILi256ELi8E19rocblas_complex_numIdES1_S1_EviT2_lPT3_lilPT1_i,"axG",@progbits,_ZL23rocblas_gemvt_sn_reduceILi256ELi8E19rocblas_complex_numIdES1_S1_EviT2_lPT3_lilPT1_i,comdat
	.globl	_ZL23rocblas_gemvt_sn_reduceILi256ELi8E19rocblas_complex_numIdES1_S1_EviT2_lPT3_lilPT1_i ; -- Begin function _ZL23rocblas_gemvt_sn_reduceILi256ELi8E19rocblas_complex_numIdES1_S1_EviT2_lPT3_lilPT1_i
	.p2align	8
	.type	_ZL23rocblas_gemvt_sn_reduceILi256ELi8E19rocblas_complex_numIdES1_S1_EviT2_lPT3_lilPT1_i,@function
_ZL23rocblas_gemvt_sn_reduceILi256ELi8E19rocblas_complex_numIdES1_S1_EviT2_lPT3_lilPT1_i: ; @_ZL23rocblas_gemvt_sn_reduceILi256ELi8E19rocblas_complex_numIdES1_S1_EviT2_lPT3_lilPT1_i
; %bb.0:
	s_load_b32 s30, s[0:1], 0x48
	s_bfe_u32 s2, ttmp6, 0x40014
	s_lshr_b32 s3, ttmp7, 16
	s_add_co_i32 s2, s2, 1
	s_bfe_u32 s5, ttmp6, 0x40008
	s_mul_i32 s4, s3, s2
	s_getreg_b32 s2, hwreg(HW_REG_IB_STS2, 6, 4)
	s_add_co_i32 s5, s5, s4
	s_cmp_eq_u32 s2, 0
	s_mov_b32 s17, 0
	s_cselect_b32 s16, s3, s5
	s_wait_kmcnt 0x0
	s_cmp_ge_u32 s16, s30
	s_cbranch_scc1 .LBB167_21
; %bb.1:
	s_clause 0x6
	s_load_b32 s18, s[0:1], 0x0
	s_load_b32 s22, s[0:1], 0x30
	s_load_b128 s[4:7], s[0:1], 0x20
	s_load_b128 s[8:11], s[0:1], 0x8
	;; [unrolled: 1-line block ×3, first 2 shown]
	s_load_b32 s31, s[0:1], 0x54
	s_load_b32 s3, s[0:1], 0x5c
	v_mbcnt_lo_u32_b32 v1, -1, 0
	v_dual_lshlrev_b32 v14, 3, v0 :: v_dual_mov_b32 v2, 0
	s_wait_xcnt 0x0
	s_bfe_u32 s0, ttmp6, 0x40010
	v_and_b32_e32 v3, 31, v0
	v_cmp_gt_u32_e32 vcc_lo, 24, v1
	s_and_b32 s20, ttmp7, 0xffff
	v_mov_b32_e32 v9, v2
	s_add_co_i32 s0, s0, 1
	s_bfe_u32 s1, ttmp6, 0x40004
	v_cndmask_b32_e64 v4, 0, 8, vcc_lo
	v_cmp_gt_u32_e32 vcc_lo, 28, v1
	s_mul_i32 s0, s20, s0
	v_lshlrev_b32_e32 v15, 4, v3
	s_add_co_i32 s21, s1, s0
	v_add_lshl_u32 v17, v4, v1, 2
	s_wait_kmcnt 0x0
	v_cmp_neq_f64_e64 s24, s[8:9], 0
	v_cmp_neq_f64_e64 s25, s[10:11], 0
	v_cndmask_b32_e64 v5, 0, 4, vcc_lo
	v_cmp_gt_u32_e32 vcc_lo, 30, v1
	v_lshlrev_b32_e32 v4, 7, v0
	s_ashr_i32 s19, s18, 31
	s_ashr_i32 s23, s22, 31
	v_add_lshl_u32 v18, v5, v1, 2
	v_dual_mov_b32 v5, v2 :: v_dual_lshrrev_b32 v10, 1, v0
	s_lshl_b64 s[0:1], s[6:7], 4
	s_cmp_eq_u32 s2, 0
	v_cndmask_b32_e64 v6, 0, 2, vcc_lo
	s_cselect_b32 s6, s20, s21
	s_lshr_b32 s2, s19, 29
	v_cmp_ne_u32_e32 vcc_lo, 31, v1
	v_add_nc_u64_e32 v[4:5], s[14:15], v[4:5]
	s_add_nc_u64 s[20:21], s[4:5], s[0:1]
	s_add_co_i32 s0, s18, s2
	v_xad_u32 v8, v0, -1, s18
	s_and_b32 s33, s0, -8
	v_add_co_ci_u32_e64 v7, null, 0, v1, vcc_lo
	s_sub_co_i32 s1, s18, s33
	v_cmp_gt_u32_e64 s2, 32, v0
	v_cmp_gt_u32_e64 s1, s1, v0
	v_lshl_or_b32 v16, v1, 2, 64
	v_add_lshl_u32 v19, v6, v1, 2
	v_cmp_gt_u32_e64 s4, 8, v0
	v_cmp_eq_u32_e64 s5, 0, v0
	v_add_nc_u64_e32 v[0:1], 0x78, v[4:5]
	s_mov_b32 s7, s17
	s_and_b32 s28, s3, 0xffff
	v_cmp_gt_i32_e64 s0, s33, v14
	v_lshlrev_b32_e32 v20, 2, v7
	v_cmp_eq_u32_e64 s3, 0, v3
	v_and_b32_e32 v21, 0x70, v10
	s_mul_u64 s[26:27], s[22:23], s[6:7]
	s_mul_i32 s7, s16, s31
	s_lshl_b32 s34, s28, 3
	s_or_b32 s35, s24, s25
	s_lshl_b64 s[22:23], s[18:19], 4
	s_add_co_i32 s7, s6, s7
	s_lshl_b32 s36, s31, 16
	s_lshl_b32 s24, s28, 7
	s_mov_b32 s25, s17
	s_lshl_b64 s[26:27], s[26:27], 4
	s_branch .LBB167_4
.LBB167_2:                              ;   in Loop: Header=BB167_4 Depth=1
	s_wait_dscnt 0x0
	global_store_b128 v2, v[4:7], s[28:29]
.LBB167_3:                              ;   in Loop: Header=BB167_4 Depth=1
	s_wait_xcnt 0x0
	s_or_b32 exec_lo, exec_lo, s37
	s_add_co_i32 s16, s16, 0x10000
	s_add_co_i32 s7, s7, s36
	s_cmp_lt_u32 s16, s30
	s_cbranch_scc0 .LBB167_21
.LBB167_4:                              ; =>This Loop Header: Depth=1
                                        ;     Child Loop BB167_14 Depth 2
	s_wait_dscnt 0x0
	v_mov_b64_e32 v[6:7], 0
	v_mov_b64_e32 v[10:11], 0
	s_and_saveexec_b32 s28, s0
	s_cbranch_execnz .LBB167_13
; %bb.5:                                ;   in Loop: Header=BB167_4 Depth=1
	s_or_b32 exec_lo, exec_lo, s28
	s_and_saveexec_b32 s28, s1
	s_cbranch_execnz .LBB167_16
.LBB167_6:                              ;   in Loop: Header=BB167_4 Depth=1
	s_or_b32 exec_lo, exec_lo, s28
	s_and_saveexec_b32 s28, s2
.LBB167_7:                              ;   in Loop: Header=BB167_4 Depth=1
	v_dual_mov_b32 v3, v2 :: v_dual_mov_b32 v4, v2
	v_mov_b32_e32 v5, v2
	ds_store_b128 v15, v[2:5]
.LBB167_8:                              ;   in Loop: Header=BB167_4 Depth=1
	s_or_b32 exec_lo, exec_lo, s28
	ds_bpermute_b32 v4, v16, v10
	ds_bpermute_b32 v5, v16, v11
	;; [unrolled: 1-line block ×4, first 2 shown]
	s_wait_dscnt 0x0
	s_barrier_signal -1
	s_barrier_wait -1
	v_add_f64_e32 v[4:5], v[10:11], v[4:5]
	v_add_f64_e32 v[6:7], v[6:7], v[12:13]
	ds_bpermute_b32 v10, v17, v4
	ds_bpermute_b32 v11, v17, v5
	ds_bpermute_b32 v12, v17, v6
	ds_bpermute_b32 v13, v17, v7
	s_wait_dscnt 0x2
	v_add_f64_e32 v[4:5], v[4:5], v[10:11]
	s_wait_dscnt 0x0
	v_add_f64_e32 v[6:7], v[6:7], v[12:13]
	ds_bpermute_b32 v10, v18, v4
	ds_bpermute_b32 v11, v18, v5
	ds_bpermute_b32 v12, v18, v6
	ds_bpermute_b32 v13, v18, v7
	s_wait_dscnt 0x2
	v_add_f64_e32 v[4:5], v[4:5], v[10:11]
	s_wait_dscnt 0x0
	;; [unrolled: 8-line block ×3, first 2 shown]
	v_add_f64_e32 v[10:11], v[6:7], v[12:13]
	ds_bpermute_b32 v6, v20, v4
	ds_bpermute_b32 v7, v20, v5
	;; [unrolled: 1-line block ×4, first 2 shown]
	s_and_saveexec_b32 s28, s3
	s_cbranch_execz .LBB167_10
; %bb.9:                                ;   in Loop: Header=BB167_4 Depth=1
	s_wait_dscnt 0x0
	v_add_f64_e32 v[12:13], v[10:11], v[12:13]
	v_add_f64_e32 v[10:11], v[4:5], v[6:7]
	ds_store_b128 v21, v[10:13]
.LBB167_10:                             ;   in Loop: Header=BB167_4 Depth=1
	s_or_b32 exec_lo, exec_lo, s28
	s_wait_dscnt 0x2
	v_mov_b64_e32 v[6:7], 0
	v_mov_b64_e32 v[4:5], 0
	s_wait_dscnt 0x0
	s_barrier_signal -1
	s_barrier_wait -1
	s_and_saveexec_b32 s28, s4
	s_cbranch_execnz .LBB167_17
; %bb.11:                               ;   in Loop: Header=BB167_4 Depth=1
	s_or_b32 exec_lo, exec_lo, s28
	s_and_saveexec_b32 s28, s2
	s_cbranch_execnz .LBB167_18
.LBB167_12:                             ;   in Loop: Header=BB167_4 Depth=1
	s_or_b32 exec_lo, exec_lo, s28
	s_and_saveexec_b32 s37, s5
	s_cbranch_execz .LBB167_3
	s_branch .LBB167_19
.LBB167_13:                             ;   in Loop: Header=BB167_4 Depth=1
	v_mad_nc_u64_u32 v[4:5], s22, s7, v[0:1]
	v_mov_b64_e32 v[6:7], 0
	v_mov_b64_e32 v[10:11], 0
	v_mov_b32_e32 v3, v14
	s_mov_b32 s29, 0
	s_delay_alu instid0(VALU_DEP_4)
	v_mad_u32 v5, s23, s7, v5
.LBB167_14:                             ;   Parent Loop BB167_4 Depth=1
                                        ; =>  This Inner Loop Header: Depth=2
	s_clause 0x7
	global_load_b128 v[22:25], v[4:5], off offset:-120
	global_load_b128 v[26:29], v[4:5], off offset:-104
	;; [unrolled: 1-line block ×8, first 2 shown]
	s_wait_xcnt 0x0
	v_add_nc_u64_e32 v[4:5], s[24:25], v[4:5]
	v_add_nc_u32_e32 v3, s34, v3
	s_delay_alu instid0(VALU_DEP_1)
	v_cmp_le_i32_e32 vcc_lo, s33, v3
	s_or_b32 s29, vcc_lo, s29
	s_wait_loadcnt 0x7
	v_add_f64_e32 v[10:11], v[10:11], v[22:23]
	v_add_f64_e32 v[6:7], v[6:7], v[24:25]
	s_wait_loadcnt 0x6
	s_delay_alu instid0(VALU_DEP_2) | instskip(NEXT) | instid1(VALU_DEP_2)
	v_add_f64_e32 v[10:11], v[10:11], v[26:27]
	v_add_f64_e32 v[6:7], v[6:7], v[28:29]
	s_wait_loadcnt 0x5
	s_delay_alu instid0(VALU_DEP_2) | instskip(NEXT) | instid1(VALU_DEP_2)
	;; [unrolled: 4-line block ×7, first 2 shown]
	v_add_f64_e32 v[10:11], v[10:11], v[50:51]
	v_add_f64_e32 v[6:7], v[6:7], v[52:53]
	s_and_not1_b32 exec_lo, exec_lo, s29
	s_cbranch_execnz .LBB167_14
; %bb.15:                               ;   in Loop: Header=BB167_4 Depth=1
	s_or_b32 exec_lo, exec_lo, s29
	s_delay_alu instid0(SALU_CYCLE_1)
	s_or_b32 exec_lo, exec_lo, s28
	s_and_saveexec_b32 s28, s1
	s_cbranch_execz .LBB167_6
.LBB167_16:                             ;   in Loop: Header=BB167_4 Depth=1
	s_mul_i32 s29, s31, s16
	s_mov_b32 s39, s17
	s_add_co_i32 s38, s29, s6
	s_delay_alu instid0(SALU_CYCLE_1) | instskip(NEXT) | instid1(SALU_CYCLE_1)
	s_mul_u64 s[38:39], s[38:39], s[18:19]
	s_lshl_b64 s[38:39], s[38:39], 4
	s_delay_alu instid0(SALU_CYCLE_1) | instskip(NEXT) | instid1(SALU_CYCLE_1)
	s_add_nc_u64 s[38:39], s[14:15], s[38:39]
	v_lshl_add_u64 v[4:5], v[8:9], 4, s[38:39]
	global_load_b128 v[22:25], v[4:5], off
	s_wait_loadcnt 0x0
	v_add_f64_e32 v[10:11], v[10:11], v[22:23]
	v_add_f64_e32 v[6:7], v[6:7], v[24:25]
	s_wait_xcnt 0x0
	s_or_b32 exec_lo, exec_lo, s28
	s_and_saveexec_b32 s28, s2
	s_cbranch_execnz .LBB167_7
	s_branch .LBB167_8
.LBB167_17:                             ;   in Loop: Header=BB167_4 Depth=1
	ds_load_b128 v[4:7], v15
	s_or_b32 exec_lo, exec_lo, s28
	s_and_saveexec_b32 s28, s2
	s_cbranch_execz .LBB167_12
.LBB167_18:                             ;   in Loop: Header=BB167_4 Depth=1
	s_wait_dscnt 0x0
	ds_bpermute_b32 v10, v18, v4
	ds_bpermute_b32 v11, v18, v5
	ds_bpermute_b32 v12, v18, v6
	ds_bpermute_b32 v13, v18, v7
	s_wait_dscnt 0x2
	v_add_f64_e32 v[4:5], v[4:5], v[10:11]
	s_wait_dscnt 0x0
	v_add_f64_e32 v[6:7], v[6:7], v[12:13]
	ds_bpermute_b32 v10, v19, v4
	ds_bpermute_b32 v11, v19, v5
	ds_bpermute_b32 v12, v19, v6
	ds_bpermute_b32 v13, v19, v7
	s_wait_dscnt 0x2
	v_add_f64_e32 v[4:5], v[4:5], v[10:11]
	s_wait_dscnt 0x0
	v_add_f64_e32 v[6:7], v[6:7], v[12:13]
	ds_bpermute_b32 v10, v20, v4
	ds_bpermute_b32 v11, v20, v5
	ds_bpermute_b32 v12, v20, v6
	ds_bpermute_b32 v13, v20, v7
	s_wait_dscnt 0x2
	v_add_f64_e32 v[4:5], v[4:5], v[10:11]
	s_wait_dscnt 0x0
	v_add_f64_e32 v[6:7], v[6:7], v[12:13]
	s_or_b32 exec_lo, exec_lo, s28
	s_and_saveexec_b32 s37, s5
	s_cbranch_execz .LBB167_3
.LBB167_19:                             ;   in Loop: Header=BB167_4 Depth=1
	s_mul_u64 s[28:29], s[12:13], s[16:17]
	s_and_not1_b32 vcc_lo, exec_lo, s35
	s_lshl_b64 s[28:29], s[28:29], 4
	s_delay_alu instid0(SALU_CYCLE_1) | instskip(NEXT) | instid1(SALU_CYCLE_1)
	s_add_nc_u64 s[28:29], s[20:21], s[28:29]
	s_add_nc_u64 s[28:29], s[28:29], s[26:27]
	s_cbranch_vccnz .LBB167_2
; %bb.20:                               ;   in Loop: Header=BB167_4 Depth=1
	global_load_b128 v[10:13], v2, s[28:29]
	s_wait_loadcnt 0x0
	v_mul_f64_e32 v[22:23], s[10:11], v[12:13]
	v_mul_f64_e32 v[12:13], s[8:9], v[12:13]
	s_delay_alu instid0(VALU_DEP_2) | instskip(NEXT) | instid1(VALU_DEP_2)
	v_fma_f64 v[22:23], s[8:9], v[10:11], -v[22:23]
	v_fmac_f64_e32 v[12:13], s[10:11], v[10:11]
	s_wait_dscnt 0x0
	s_delay_alu instid0(VALU_DEP_2) | instskip(NEXT) | instid1(VALU_DEP_2)
	v_add_f64_e32 v[4:5], v[4:5], v[22:23]
	v_add_f64_e32 v[6:7], v[6:7], v[12:13]
	s_branch .LBB167_2
.LBB167_21:
	s_endpgm
	.section	.rodata,"a",@progbits
	.p2align	6, 0x0
	.amdhsa_kernel _ZL23rocblas_gemvt_sn_reduceILi256ELi8E19rocblas_complex_numIdES1_S1_EviT2_lPT3_lilPT1_i
		.amdhsa_group_segment_fixed_size 512
		.amdhsa_private_segment_fixed_size 0
		.amdhsa_kernarg_size 336
		.amdhsa_user_sgpr_count 2
		.amdhsa_user_sgpr_dispatch_ptr 0
		.amdhsa_user_sgpr_queue_ptr 0
		.amdhsa_user_sgpr_kernarg_segment_ptr 1
		.amdhsa_user_sgpr_dispatch_id 0
		.amdhsa_user_sgpr_kernarg_preload_length 0
		.amdhsa_user_sgpr_kernarg_preload_offset 0
		.amdhsa_user_sgpr_private_segment_size 0
		.amdhsa_wavefront_size32 1
		.amdhsa_uses_dynamic_stack 0
		.amdhsa_enable_private_segment 0
		.amdhsa_system_sgpr_workgroup_id_x 1
		.amdhsa_system_sgpr_workgroup_id_y 1
		.amdhsa_system_sgpr_workgroup_id_z 1
		.amdhsa_system_sgpr_workgroup_info 0
		.amdhsa_system_vgpr_workitem_id 0
		.amdhsa_next_free_vgpr 54
		.amdhsa_next_free_sgpr 40
		.amdhsa_named_barrier_count 0
		.amdhsa_reserve_vcc 1
		.amdhsa_float_round_mode_32 0
		.amdhsa_float_round_mode_16_64 0
		.amdhsa_float_denorm_mode_32 3
		.amdhsa_float_denorm_mode_16_64 3
		.amdhsa_fp16_overflow 0
		.amdhsa_memory_ordered 1
		.amdhsa_forward_progress 1
		.amdhsa_inst_pref_size 13
		.amdhsa_round_robin_scheduling 0
		.amdhsa_exception_fp_ieee_invalid_op 0
		.amdhsa_exception_fp_denorm_src 0
		.amdhsa_exception_fp_ieee_div_zero 0
		.amdhsa_exception_fp_ieee_overflow 0
		.amdhsa_exception_fp_ieee_underflow 0
		.amdhsa_exception_fp_ieee_inexact 0
		.amdhsa_exception_int_div_zero 0
	.end_amdhsa_kernel
	.section	.text._ZL23rocblas_gemvt_sn_reduceILi256ELi8E19rocblas_complex_numIdES1_S1_EviT2_lPT3_lilPT1_i,"axG",@progbits,_ZL23rocblas_gemvt_sn_reduceILi256ELi8E19rocblas_complex_numIdES1_S1_EviT2_lPT3_lilPT1_i,comdat
.Lfunc_end167:
	.size	_ZL23rocblas_gemvt_sn_reduceILi256ELi8E19rocblas_complex_numIdES1_S1_EviT2_lPT3_lilPT1_i, .Lfunc_end167-_ZL23rocblas_gemvt_sn_reduceILi256ELi8E19rocblas_complex_numIdES1_S1_EviT2_lPT3_lilPT1_i
                                        ; -- End function
	.set _ZL23rocblas_gemvt_sn_reduceILi256ELi8E19rocblas_complex_numIdES1_S1_EviT2_lPT3_lilPT1_i.num_vgpr, 54
	.set _ZL23rocblas_gemvt_sn_reduceILi256ELi8E19rocblas_complex_numIdES1_S1_EviT2_lPT3_lilPT1_i.num_agpr, 0
	.set _ZL23rocblas_gemvt_sn_reduceILi256ELi8E19rocblas_complex_numIdES1_S1_EviT2_lPT3_lilPT1_i.numbered_sgpr, 40
	.set _ZL23rocblas_gemvt_sn_reduceILi256ELi8E19rocblas_complex_numIdES1_S1_EviT2_lPT3_lilPT1_i.num_named_barrier, 0
	.set _ZL23rocblas_gemvt_sn_reduceILi256ELi8E19rocblas_complex_numIdES1_S1_EviT2_lPT3_lilPT1_i.private_seg_size, 0
	.set _ZL23rocblas_gemvt_sn_reduceILi256ELi8E19rocblas_complex_numIdES1_S1_EviT2_lPT3_lilPT1_i.uses_vcc, 1
	.set _ZL23rocblas_gemvt_sn_reduceILi256ELi8E19rocblas_complex_numIdES1_S1_EviT2_lPT3_lilPT1_i.uses_flat_scratch, 0
	.set _ZL23rocblas_gemvt_sn_reduceILi256ELi8E19rocblas_complex_numIdES1_S1_EviT2_lPT3_lilPT1_i.has_dyn_sized_stack, 0
	.set _ZL23rocblas_gemvt_sn_reduceILi256ELi8E19rocblas_complex_numIdES1_S1_EviT2_lPT3_lilPT1_i.has_recursion, 0
	.set _ZL23rocblas_gemvt_sn_reduceILi256ELi8E19rocblas_complex_numIdES1_S1_EviT2_lPT3_lilPT1_i.has_indirect_call, 0
	.section	.AMDGPU.csdata,"",@progbits
; Kernel info:
; codeLenInByte = 1584
; TotalNumSgprs: 42
; NumVgprs: 54
; ScratchSize: 0
; MemoryBound: 1
; FloatMode: 240
; IeeeMode: 1
; LDSByteSize: 512 bytes/workgroup (compile time only)
; SGPRBlocks: 0
; VGPRBlocks: 3
; NumSGPRsForWavesPerEU: 42
; NumVGPRsForWavesPerEU: 54
; NamedBarCnt: 0
; Occupancy: 16
; WaveLimiterHint : 0
; COMPUTE_PGM_RSRC2:SCRATCH_EN: 0
; COMPUTE_PGM_RSRC2:USER_SGPR: 2
; COMPUTE_PGM_RSRC2:TRAP_HANDLER: 0
; COMPUTE_PGM_RSRC2:TGID_X_EN: 1
; COMPUTE_PGM_RSRC2:TGID_Y_EN: 1
; COMPUTE_PGM_RSRC2:TGID_Z_EN: 1
; COMPUTE_PGM_RSRC2:TIDIG_COMP_CNT: 0
	.section	.text._ZL32rocblas_gemvt_warp_reduce_kernelILb0ELi256Ei19rocblas_complex_numIdEPKS1_S1_EviiT3_lPKT2_lT1_lS7_lS8_lS4_lPT4_lS8_li,"axG",@progbits,_ZL32rocblas_gemvt_warp_reduce_kernelILb0ELi256Ei19rocblas_complex_numIdEPKS1_S1_EviiT3_lPKT2_lT1_lS7_lS8_lS4_lPT4_lS8_li,comdat
	.globl	_ZL32rocblas_gemvt_warp_reduce_kernelILb0ELi256Ei19rocblas_complex_numIdEPKS1_S1_EviiT3_lPKT2_lT1_lS7_lS8_lS4_lPT4_lS8_li ; -- Begin function _ZL32rocblas_gemvt_warp_reduce_kernelILb0ELi256Ei19rocblas_complex_numIdEPKS1_S1_EviiT3_lPKT2_lT1_lS7_lS8_lS4_lPT4_lS8_li
	.p2align	8
	.type	_ZL32rocblas_gemvt_warp_reduce_kernelILb0ELi256Ei19rocblas_complex_numIdEPKS1_S1_EviiT3_lPKT2_lT1_lS7_lS8_lS4_lPT4_lS8_li,@function
_ZL32rocblas_gemvt_warp_reduce_kernelILb0ELi256Ei19rocblas_complex_numIdEPKS1_S1_EviiT3_lPKT2_lT1_lS7_lS8_lS4_lPT4_lS8_li: ; @_ZL32rocblas_gemvt_warp_reduce_kernelILb0ELi256Ei19rocblas_complex_numIdEPKS1_S1_EviiT3_lPKT2_lT1_lS7_lS8_lS4_lPT4_lS8_li
; %bb.0:
	s_load_b32 s33, s[0:1], 0x88
	s_bfe_u32 s2, ttmp6, 0x40014
	s_lshr_b32 s3, ttmp7, 16
	s_add_co_i32 s2, s2, 1
	s_bfe_u32 s5, ttmp6, 0x40008
	s_mul_i32 s4, s3, s2
	s_getreg_b32 s2, hwreg(HW_REG_IB_STS2, 6, 4)
	s_add_co_i32 s5, s5, s4
	s_cmp_eq_u32 s2, 0
	s_mov_b32 s35, 0
	s_cselect_b32 s34, s3, s5
	s_wait_kmcnt 0x0
	s_cmp_ge_u32 s34, s33
	s_cbranch_scc1 .LBB168_36
; %bb.1:
	s_clause 0x7
	s_load_b96 s[4:6], s[0:1], 0x40
	s_load_b96 s[28:30], s[0:1], 0x70
	s_load_b256 s[8:15], s[0:1], 0x8
	s_load_b32 s7, s[0:1], 0x0
	s_load_b32 s31, s[0:1], 0x28
	s_load_b128 s[24:27], s[0:1], 0x30
	s_load_b256 s[16:23], s[0:1], 0x50
	s_load_b64 s[36:37], s[0:1], 0x80
	s_wait_xcnt 0x0
	s_bfe_u32 s1, ttmp6, 0x4000c
	s_and_b32 s3, ttmp6, 15
	s_add_co_i32 s1, s1, 1
	v_dual_mov_b32 v2, 0 :: v_dual_bitop2_b32 v3, 31, v0 bitop3:0x40
	s_mul_i32 s1, ttmp9, s1
	v_cmp_eq_u32_e64 s0, 0, v0
	s_add_co_i32 s3, s3, s1
	v_mbcnt_lo_u32_b32 v30, -1, 0
	v_lshlrev_b32_e32 v28, 4, v3
	s_wait_kmcnt 0x0
	s_lshl_b64 s[4:5], s[4:5], 4
	s_lshl_b64 s[28:29], s[28:29], 4
	;; [unrolled: 1-line block ×3, first 2 shown]
	s_cmp_eq_u32 s2, 0
	v_cmp_gt_i32_e32 vcc_lo, s7, v0
	s_cselect_b32 s1, ttmp9, s3
	s_ashr_i32 s2, s7, 31
	v_mov_b32_e32 v5, v2
	s_lshr_b32 s2, s2, 24
	v_cndmask_b32_e32 v1, 0, v0, vcc_lo
	s_add_co_i32 s2, s7, s2
	s_add_nc_u64 s[14:15], s[26:27], s[4:5]
	s_and_b32 s26, s2, 0xffffff00
	s_mul_i32 s4, s31, s1
	v_dual_lshlrev_b32 v4, 4, v1 :: v_dual_bitop2_b32 v8, s26, v0 bitop3:0x54
	s_ashr_i32 s5, s4, 31
	s_add_nc_u64 s[2:3], s[12:13], s[38:39]
	s_lshl_b64 s[4:5], s[4:5], 4
	s_delay_alu instid0(VALU_DEP_1)
	v_mul_lo_u32 v22, s6, v8
	v_add_nc_u64_e32 v[6:7], s[2:3], v[4:5]
	s_add_nc_u64 s[2:3], s[38:39], s[4:5]
	v_mul_lo_u32 v1, v0, s6
	s_add_nc_u64 s[2:3], s[12:13], s[2:3]
	s_add_nc_u64 s[22:23], s[22:23], s[28:29]
	v_add_nc_u64_e32 v[4:5], s[2:3], v[4:5]
	s_mul_i32 s28, s30, s1
	v_add_nc_u64_e32 v[24:25], s[4:5], v[6:7]
	v_cmp_gt_i32_e64 s1, s26, v0
	v_dual_lshrrev_b32 v6, 1, v0 :: v_dual_ashrrev_i32 v23, 31, v22
	v_cmp_gt_i32_e64 s2, s7, v8
	v_add_nc_u64_e32 v[26:27], 8, v[4:5]
	v_cmp_gt_u32_e64 s3, 32, v0
	v_cmp_eq_u32_e64 s4, 0, v3
	v_and_b32_e32 v29, 0x70, v6
	v_cmp_gt_u32_e64 s5, 8, v0
	s_ashr_i32 s29, s28, 31
	s_ashr_i32 s27, s26, 31
	s_lshl_b64 s[12:13], s[24:25], 4
	s_lshl_b32 s38, s6, 8
	s_lshl_b64 s[28:29], s[28:29], 4
	s_branch .LBB168_4
.LBB168_2:                              ;   in Loop: Header=BB168_4 Depth=1
	s_wait_xcnt 0x0
	s_or_b32 exec_lo, exec_lo, s6
.LBB168_3:                              ;   in Loop: Header=BB168_4 Depth=1
	s_add_co_i32 s34, s34, 0x10000
	s_delay_alu instid0(SALU_CYCLE_1)
	s_cmp_lt_u32 s34, s33
	s_cbranch_scc0 .LBB168_36
.LBB168_4:                              ; =>This Loop Header: Depth=1
                                        ;     Child Loop BB168_25 Depth 2
	s_mul_u64 s[6:7], s[10:11], s[34:35]
	s_delay_alu instid0(SALU_CYCLE_1) | instskip(NEXT) | instid1(SALU_CYCLE_1)
	s_lshl_b64 s[6:7], s[6:7], 4
	s_add_nc_u64 s[6:7], s[8:9], s[6:7]
	global_load_b128 v[10:13], v2, s[6:7]
	s_wait_xcnt 0x0
	s_mul_u64 s[6:7], s[20:21], s[34:35]
	s_delay_alu instid0(SALU_CYCLE_1) | instskip(NEXT) | instid1(SALU_CYCLE_1)
	s_lshl_b64 s[6:7], s[6:7], 4
	s_add_nc_u64 s[6:7], s[18:19], s[6:7]
	s_wait_loadcnt 0x1
	global_load_b128 v[6:9], v2, s[6:7]
	s_wait_loadcnt 0x1
	v_cmp_neq_f64_e32 vcc_lo, 0, v[10:11]
	s_wait_xcnt 0x0
	v_cmp_neq_f64_e64 s6, 0, v[12:13]
	s_or_b32 s7, vcc_lo, s6
	s_mov_b32 s6, -1
	s_and_b32 vcc_lo, exec_lo, s7
	s_cbranch_vccz .LBB168_6
; %bb.5:                                ;   in Loop: Header=BB168_4 Depth=1
	s_and_not1_b32 vcc_lo, exec_lo, s6
	s_cbranch_vccnz .LBB168_3
	s_branch .LBB168_7
.LBB168_6:                              ;   in Loop: Header=BB168_4 Depth=1
	s_wait_loadcnt 0x0
	v_cmp_neq_f64_e32 vcc_lo, 1.0, v[6:7]
	v_cmp_neq_f64_e64 s6, 0, v[8:9]
	s_or_b32 s6, vcc_lo, s6
	s_delay_alu instid0(SALU_CYCLE_1)
	s_and_not1_b32 vcc_lo, exec_lo, s6
	s_cbranch_vccnz .LBB168_3
.LBB168_7:                              ;   in Loop: Header=BB168_4 Depth=1
	s_xor_b32 s30, s7, -1
	s_mul_u64 s[6:7], s[36:37], s[34:35]
	s_and_not1_b32 vcc_lo, exec_lo, s30
	s_lshl_b64 s[6:7], s[6:7], 4
	s_delay_alu instid0(SALU_CYCLE_1)
	s_add_nc_u64 s[30:31], s[22:23], s[6:7]
	s_cbranch_vccnz .LBB168_11
; %bb.8:                                ;   in Loop: Header=BB168_4 Depth=1
	s_mov_b32 s7, 0
	s_mov_b32 s39, 0
                                        ; implicit-def: $vgpr16_vgpr17
	s_and_saveexec_b32 s40, s0
	s_cbranch_execz .LBB168_12
; %bb.9:                                ;   in Loop: Header=BB168_4 Depth=1
	s_wait_loadcnt 0x0
	v_cmp_neq_f64_e32 vcc_lo, 0, v[6:7]
	v_cmp_neq_f64_e64 s6, 0, v[8:9]
	s_or_b32 s6, vcc_lo, s6
	s_delay_alu instid0(SALU_CYCLE_1)
	s_and_not1_b32 vcc_lo, exec_lo, s6
	s_cbranch_vccnz .LBB168_13
; %bb.10:                               ;   in Loop: Header=BB168_4 Depth=1
	s_add_nc_u64 s[42:43], s[30:31], s[28:29]
	s_wait_dscnt 0x0
	global_load_b128 v[18:21], v2, s[42:43]
	s_wait_loadcnt 0x0
	v_mul_f64_e32 v[4:5], v[8:9], v[20:21]
	v_mul_f64_e32 v[16:17], v[6:7], v[20:21]
	s_delay_alu instid0(VALU_DEP_2) | instskip(NEXT) | instid1(VALU_DEP_2)
	v_fma_f64 v[14:15], v[6:7], v[18:19], -v[4:5]
	v_fmac_f64_e32 v[16:17], v[8:9], v[18:19]
	s_branch .LBB168_14
.LBB168_11:                             ;   in Loop: Header=BB168_4 Depth=1
	s_mov_b32 s39, 0
                                        ; implicit-def: $vgpr16_vgpr17
	s_cbranch_execnz .LBB168_15
	s_branch .LBB168_34
.LBB168_12:                             ;   in Loop: Header=BB168_4 Depth=1
	s_or_b32 exec_lo, exec_lo, s40
	s_delay_alu instid0(SALU_CYCLE_1)
	s_and_b32 vcc_lo, exec_lo, s7
	s_cbranch_vccnz .LBB168_15
	s_branch .LBB168_34
.LBB168_13:                             ;   in Loop: Header=BB168_4 Depth=1
	v_mov_b64_e32 v[16:17], 0
	v_mov_b64_e32 v[14:15], 0
.LBB168_14:                             ;   in Loop: Header=BB168_4 Depth=1
	s_mov_b32 s39, exec_lo
	s_wait_xcnt 0x0
	s_or_b32 exec_lo, exec_lo, s40
	s_delay_alu instid0(SALU_CYCLE_1)
	s_and_b32 vcc_lo, exec_lo, s7
	s_cbranch_vccz .LBB168_34
.LBB168_15:                             ;   in Loop: Header=BB168_4 Depth=1
	v_mov_b64_e32 v[14:15], 0
	v_mov_b64_e32 v[16:17], 0
	s_mul_u64 s[6:7], s[16:17], s[34:35]
	s_delay_alu instid0(SALU_CYCLE_1) | instskip(NEXT) | instid1(SALU_CYCLE_1)
	s_lshl_b64 s[6:7], s[6:7], 4
	s_add_nc_u64 s[6:7], s[14:15], s[6:7]
	s_and_saveexec_b32 s40, s1
	s_cbranch_execnz .LBB168_24
; %bb.16:                               ;   in Loop: Header=BB168_4 Depth=1
	s_or_b32 exec_lo, exec_lo, s40
	s_and_saveexec_b32 s40, s2
	s_cbranch_execnz .LBB168_27
.LBB168_17:                             ;   in Loop: Header=BB168_4 Depth=1
	s_or_b32 exec_lo, exec_lo, s40
	s_and_saveexec_b32 s6, s3
.LBB168_18:                             ;   in Loop: Header=BB168_4 Depth=1
	v_dual_mov_b32 v3, v2 :: v_dual_mov_b32 v4, v2
	v_mov_b32_e32 v5, v2
	ds_store_b128 v28, v[2:5]
.LBB168_19:                             ;   in Loop: Header=BB168_4 Depth=1
	s_or_b32 exec_lo, exec_lo, s6
	v_lshl_or_b32 v3, v30, 2, 64
	v_cmp_gt_u32_e32 vcc_lo, 24, v30
	s_wait_loadcnt_dscnt 0x0
	s_barrier_signal -1
	s_barrier_wait -1
	ds_bpermute_b32 v4, v3, v16
	ds_bpermute_b32 v5, v3, v17
	;; [unrolled: 1-line block ×4, first 2 shown]
	v_cndmask_b32_e64 v3, 0, 8, vcc_lo
	v_cmp_gt_u32_e32 vcc_lo, 28, v30
	s_wait_dscnt 0x0
	s_delay_alu instid0(VALU_DEP_2)
	v_add_lshl_u32 v3, v3, v30, 2
	v_add_f64_e32 v[4:5], v[16:17], v[4:5]
	v_add_f64_e32 v[14:15], v[14:15], v[18:19]
	ds_bpermute_b32 v16, v3, v4
	ds_bpermute_b32 v17, v3, v5
	;; [unrolled: 1-line block ×4, first 2 shown]
	v_cndmask_b32_e64 v3, 0, 4, vcc_lo
	v_cmp_gt_u32_e32 vcc_lo, 30, v30
	s_delay_alu instid0(VALU_DEP_2)
	v_add_lshl_u32 v3, v3, v30, 2
	s_wait_dscnt 0x2
	v_add_f64_e32 v[4:5], v[4:5], v[16:17]
	ds_bpermute_b32 v16, v3, v4
	ds_bpermute_b32 v17, v3, v5
	s_wait_dscnt 0x0
	v_add_f64_e32 v[4:5], v[4:5], v[16:17]
	v_cndmask_b32_e64 v16, 0, 2, vcc_lo
	v_cmp_ne_u32_e32 vcc_lo, 31, v30
	s_delay_alu instid0(VALU_DEP_2)
	v_add_lshl_u32 v31, v16, v30, 2
	ds_bpermute_b32 v16, v31, v4
	ds_bpermute_b32 v17, v31, v5
	s_wait_dscnt 0x0
	v_add_f64_e32 v[4:5], v[4:5], v[16:17]
	v_add_co_ci_u32_e64 v16, null, 0, v30, vcc_lo
	s_delay_alu instid0(VALU_DEP_1)
	v_dual_add_f64 v[14:15], v[14:15], v[18:19] :: v_dual_lshlrev_b32 v32, 2, v16
	ds_bpermute_b32 v16, v32, v4
	ds_bpermute_b32 v17, v32, v5
	;; [unrolled: 1-line block ×4, first 2 shown]
	s_wait_dscnt 0x0
	v_add_f64_e32 v[14:15], v[14:15], v[18:19]
	ds_bpermute_b32 v18, v31, v14
	ds_bpermute_b32 v19, v31, v15
	s_wait_dscnt 0x0
	v_add_f64_e32 v[14:15], v[14:15], v[18:19]
	ds_bpermute_b32 v18, v32, v14
	ds_bpermute_b32 v19, v32, v15
	s_and_saveexec_b32 s6, s4
	s_cbranch_execz .LBB168_21
; %bb.20:                               ;   in Loop: Header=BB168_4 Depth=1
	s_wait_dscnt 0x0
	v_add_f64_e32 v[18:19], v[14:15], v[18:19]
	v_add_f64_e32 v[16:17], v[4:5], v[16:17]
	ds_store_b128 v29, v[16:19]
.LBB168_21:                             ;   in Loop: Header=BB168_4 Depth=1
	s_or_b32 exec_lo, exec_lo, s6
	v_mov_b64_e32 v[20:21], 0
	s_wait_dscnt 0x0
	v_mov_b64_e32 v[18:19], 0
	s_barrier_signal -1
	s_barrier_wait -1
	s_and_saveexec_b32 s6, s5
	s_cbranch_execnz .LBB168_28
; %bb.22:                               ;   in Loop: Header=BB168_4 Depth=1
	s_or_b32 exec_lo, exec_lo, s6
	s_and_saveexec_b32 s6, s3
	s_cbranch_execnz .LBB168_29
.LBB168_23:                             ;   in Loop: Header=BB168_4 Depth=1
	s_or_b32 exec_lo, exec_lo, s6
                                        ; implicit-def: $vgpr16_vgpr17
	s_and_saveexec_b32 s7, s0
	s_cbranch_execnz .LBB168_30
	s_branch .LBB168_33
.LBB168_24:                             ;   in Loop: Header=BB168_4 Depth=1
	v_mad_nc_u64_u32 v[4:5], s12, s34, v[26:27]
	v_mov_b64_e32 v[14:15], 0
	v_mov_b64_e32 v[16:17], 0
	s_wait_dscnt 0x0
	v_dual_mov_b32 v3, v1 :: v_dual_mov_b32 v18, v0
	s_mov_b32 s41, 0
	s_delay_alu instid0(VALU_DEP_4)
	v_mad_u32 v5, s13, s34, v5
.LBB168_25:                             ;   Parent Loop BB168_4 Depth=1
                                        ; =>  This Inner Loop Header: Depth=2
	global_load_b128 v[32:35], v[4:5], off offset:-8
	global_load_b128 v[36:39], v3, s[6:7] scale_offset
	v_add_nc_u32_e32 v18, 0x100, v18
	s_wait_xcnt 0x1
	v_add_nc_u64_e32 v[4:5], 0x1000, v[4:5]
	s_wait_xcnt 0x0
	v_add_nc_u32_e32 v3, s38, v3
	v_cmp_le_i32_e32 vcc_lo, s26, v18
	s_or_b32 s41, vcc_lo, s41
	s_wait_loadcnt 0x0
	v_mul_f64_e32 v[20:21], v[34:35], v[38:39]
	v_mul_f64_e32 v[38:39], v[32:33], v[38:39]
	s_delay_alu instid0(VALU_DEP_2) | instskip(NEXT) | instid1(VALU_DEP_2)
	v_fma_f64 v[20:21], v[32:33], v[36:37], -v[20:21]
	v_fmac_f64_e32 v[38:39], v[34:35], v[36:37]
	s_delay_alu instid0(VALU_DEP_2) | instskip(NEXT) | instid1(VALU_DEP_2)
	v_add_f64_e32 v[16:17], v[16:17], v[20:21]
	v_add_f64_e32 v[14:15], v[14:15], v[38:39]
	s_and_not1_b32 exec_lo, exec_lo, s41
	s_cbranch_execnz .LBB168_25
; %bb.26:                               ;   in Loop: Header=BB168_4 Depth=1
	s_or_b32 exec_lo, exec_lo, s41
	s_delay_alu instid0(SALU_CYCLE_1)
	s_or_b32 exec_lo, exec_lo, s40
	s_and_saveexec_b32 s40, s2
	s_cbranch_execz .LBB168_17
.LBB168_27:                             ;   in Loop: Header=BB168_4 Depth=1
	s_mul_u64 s[42:43], s[24:25], s[34:35]
	v_lshl_add_u64 v[36:37], v[22:23], 4, s[6:7]
	v_lshl_add_u64 v[4:5], s[42:43], 4, v[24:25]
	s_delay_alu instid0(VALU_DEP_1)
	v_lshl_add_u64 v[4:5], s[26:27], 4, v[4:5]
	s_wait_dscnt 0x0
	global_load_b128 v[18:21], v[36:37], off
	global_load_b128 v[32:35], v[4:5], off
	s_wait_loadcnt 0x0
	s_wait_xcnt 0x0
	v_mul_f64_e32 v[4:5], v[34:35], v[20:21]
	v_mul_f64_e32 v[20:21], v[32:33], v[20:21]
	s_delay_alu instid0(VALU_DEP_2) | instskip(NEXT) | instid1(VALU_DEP_2)
	v_fma_f64 v[4:5], v[32:33], v[18:19], -v[4:5]
	v_fmac_f64_e32 v[20:21], v[34:35], v[18:19]
	s_delay_alu instid0(VALU_DEP_2) | instskip(NEXT) | instid1(VALU_DEP_2)
	v_add_f64_e32 v[16:17], v[16:17], v[4:5]
	v_add_f64_e32 v[14:15], v[14:15], v[20:21]
	s_or_b32 exec_lo, exec_lo, s40
	s_and_saveexec_b32 s6, s3
	s_cbranch_execnz .LBB168_18
	s_branch .LBB168_19
.LBB168_28:                             ;   in Loop: Header=BB168_4 Depth=1
	ds_load_b128 v[18:21], v28
	s_or_b32 exec_lo, exec_lo, s6
	s_and_saveexec_b32 s6, s3
	s_cbranch_execz .LBB168_23
.LBB168_29:                             ;   in Loop: Header=BB168_4 Depth=1
	s_wait_dscnt 0x0
	ds_bpermute_b32 v4, v3, v18
	ds_bpermute_b32 v5, v3, v19
	ds_bpermute_b32 v14, v3, v20
	ds_bpermute_b32 v15, v3, v21
	s_wait_dscnt 0x2
	v_add_f64_e32 v[4:5], v[18:19], v[4:5]
	s_wait_dscnt 0x0
	v_add_f64_e32 v[14:15], v[20:21], v[14:15]
	ds_bpermute_b32 v16, v31, v4
	ds_bpermute_b32 v17, v31, v5
	ds_bpermute_b32 v18, v31, v14
	ds_bpermute_b32 v19, v31, v15
	s_wait_dscnt 0x2
	v_add_f64_e32 v[4:5], v[4:5], v[16:17]
	s_wait_dscnt 0x0
	v_add_f64_e32 v[14:15], v[14:15], v[18:19]
	;; [unrolled: 8-line block ×3, first 2 shown]
	s_or_b32 exec_lo, exec_lo, s6
                                        ; implicit-def: $vgpr16_vgpr17
	s_and_saveexec_b32 s7, s0
	s_cbranch_execz .LBB168_33
.LBB168_30:                             ;   in Loop: Header=BB168_4 Depth=1
	s_wait_dscnt 0x0
	s_delay_alu instid0(VALU_DEP_1) | instskip(SKIP_3) | instid1(VALU_DEP_4)
	v_mul_f64_e32 v[4:5], v[12:13], v[20:21]
	v_mul_f64_e32 v[16:17], v[10:11], v[20:21]
	v_cmp_neq_f64_e32 vcc_lo, 0, v[6:7]
	v_cmp_neq_f64_e64 s6, 0, v[8:9]
	v_fma_f64 v[14:15], v[10:11], v[18:19], -v[4:5]
	s_delay_alu instid0(VALU_DEP_4) | instskip(SKIP_1) | instid1(SALU_CYCLE_1)
	v_fmac_f64_e32 v[16:17], v[12:13], v[18:19]
	s_or_b32 s6, vcc_lo, s6
	s_and_not1_b32 vcc_lo, exec_lo, s6
	s_cbranch_vccnz .LBB168_32
; %bb.31:                               ;   in Loop: Header=BB168_4 Depth=1
	s_add_nc_u64 s[40:41], s[30:31], s[28:29]
	global_load_b128 v[10:13], v2, s[40:41]
	s_wait_loadcnt 0x0
	v_mul_f64_e32 v[4:5], v[8:9], v[12:13]
	v_mul_f64_e32 v[12:13], v[6:7], v[12:13]
	s_delay_alu instid0(VALU_DEP_2) | instskip(NEXT) | instid1(VALU_DEP_2)
	v_fma_f64 v[4:5], v[6:7], v[10:11], -v[4:5]
	v_fmac_f64_e32 v[12:13], v[8:9], v[10:11]
	s_delay_alu instid0(VALU_DEP_2) | instskip(NEXT) | instid1(VALU_DEP_2)
	v_add_f64_e32 v[14:15], v[14:15], v[4:5]
	v_add_f64_e32 v[16:17], v[16:17], v[12:13]
.LBB168_32:                             ;   in Loop: Header=BB168_4 Depth=1
	s_or_b32 s39, s39, exec_lo
.LBB168_33:                             ;   in Loop: Header=BB168_4 Depth=1
	s_wait_xcnt 0x0
	s_or_b32 exec_lo, exec_lo, s7
.LBB168_34:                             ;   in Loop: Header=BB168_4 Depth=1
	s_and_saveexec_b32 s6, s39
	s_cbranch_execz .LBB168_2
; %bb.35:                               ;   in Loop: Header=BB168_4 Depth=1
	s_add_nc_u64 s[30:31], s[30:31], s[28:29]
	global_store_b128 v2, v[14:17], s[30:31]
	s_branch .LBB168_2
.LBB168_36:
	s_endpgm
	.section	.rodata,"a",@progbits
	.p2align	6, 0x0
	.amdhsa_kernel _ZL32rocblas_gemvt_warp_reduce_kernelILb0ELi256Ei19rocblas_complex_numIdEPKS1_S1_EviiT3_lPKT2_lT1_lS7_lS8_lS4_lPT4_lS8_li
		.amdhsa_group_segment_fixed_size 512
		.amdhsa_private_segment_fixed_size 0
		.amdhsa_kernarg_size 140
		.amdhsa_user_sgpr_count 2
		.amdhsa_user_sgpr_dispatch_ptr 0
		.amdhsa_user_sgpr_queue_ptr 0
		.amdhsa_user_sgpr_kernarg_segment_ptr 1
		.amdhsa_user_sgpr_dispatch_id 0
		.amdhsa_user_sgpr_kernarg_preload_length 0
		.amdhsa_user_sgpr_kernarg_preload_offset 0
		.amdhsa_user_sgpr_private_segment_size 0
		.amdhsa_wavefront_size32 1
		.amdhsa_uses_dynamic_stack 0
		.amdhsa_enable_private_segment 0
		.amdhsa_system_sgpr_workgroup_id_x 1
		.amdhsa_system_sgpr_workgroup_id_y 0
		.amdhsa_system_sgpr_workgroup_id_z 1
		.amdhsa_system_sgpr_workgroup_info 0
		.amdhsa_system_vgpr_workitem_id 0
		.amdhsa_next_free_vgpr 40
		.amdhsa_next_free_sgpr 44
		.amdhsa_named_barrier_count 0
		.amdhsa_reserve_vcc 1
		.amdhsa_float_round_mode_32 0
		.amdhsa_float_round_mode_16_64 0
		.amdhsa_float_denorm_mode_32 3
		.amdhsa_float_denorm_mode_16_64 3
		.amdhsa_fp16_overflow 0
		.amdhsa_memory_ordered 1
		.amdhsa_forward_progress 1
		.amdhsa_inst_pref_size 15
		.amdhsa_round_robin_scheduling 0
		.amdhsa_exception_fp_ieee_invalid_op 0
		.amdhsa_exception_fp_denorm_src 0
		.amdhsa_exception_fp_ieee_div_zero 0
		.amdhsa_exception_fp_ieee_overflow 0
		.amdhsa_exception_fp_ieee_underflow 0
		.amdhsa_exception_fp_ieee_inexact 0
		.amdhsa_exception_int_div_zero 0
	.end_amdhsa_kernel
	.section	.text._ZL32rocblas_gemvt_warp_reduce_kernelILb0ELi256Ei19rocblas_complex_numIdEPKS1_S1_EviiT3_lPKT2_lT1_lS7_lS8_lS4_lPT4_lS8_li,"axG",@progbits,_ZL32rocblas_gemvt_warp_reduce_kernelILb0ELi256Ei19rocblas_complex_numIdEPKS1_S1_EviiT3_lPKT2_lT1_lS7_lS8_lS4_lPT4_lS8_li,comdat
.Lfunc_end168:
	.size	_ZL32rocblas_gemvt_warp_reduce_kernelILb0ELi256Ei19rocblas_complex_numIdEPKS1_S1_EviiT3_lPKT2_lT1_lS7_lS8_lS4_lPT4_lS8_li, .Lfunc_end168-_ZL32rocblas_gemvt_warp_reduce_kernelILb0ELi256Ei19rocblas_complex_numIdEPKS1_S1_EviiT3_lPKT2_lT1_lS7_lS8_lS4_lPT4_lS8_li
                                        ; -- End function
	.set _ZL32rocblas_gemvt_warp_reduce_kernelILb0ELi256Ei19rocblas_complex_numIdEPKS1_S1_EviiT3_lPKT2_lT1_lS7_lS8_lS4_lPT4_lS8_li.num_vgpr, 40
	.set _ZL32rocblas_gemvt_warp_reduce_kernelILb0ELi256Ei19rocblas_complex_numIdEPKS1_S1_EviiT3_lPKT2_lT1_lS7_lS8_lS4_lPT4_lS8_li.num_agpr, 0
	.set _ZL32rocblas_gemvt_warp_reduce_kernelILb0ELi256Ei19rocblas_complex_numIdEPKS1_S1_EviiT3_lPKT2_lT1_lS7_lS8_lS4_lPT4_lS8_li.numbered_sgpr, 44
	.set _ZL32rocblas_gemvt_warp_reduce_kernelILb0ELi256Ei19rocblas_complex_numIdEPKS1_S1_EviiT3_lPKT2_lT1_lS7_lS8_lS4_lPT4_lS8_li.num_named_barrier, 0
	.set _ZL32rocblas_gemvt_warp_reduce_kernelILb0ELi256Ei19rocblas_complex_numIdEPKS1_S1_EviiT3_lPKT2_lT1_lS7_lS8_lS4_lPT4_lS8_li.private_seg_size, 0
	.set _ZL32rocblas_gemvt_warp_reduce_kernelILb0ELi256Ei19rocblas_complex_numIdEPKS1_S1_EviiT3_lPKT2_lT1_lS7_lS8_lS4_lPT4_lS8_li.uses_vcc, 1
	.set _ZL32rocblas_gemvt_warp_reduce_kernelILb0ELi256Ei19rocblas_complex_numIdEPKS1_S1_EviiT3_lPKT2_lT1_lS7_lS8_lS4_lPT4_lS8_li.uses_flat_scratch, 0
	.set _ZL32rocblas_gemvt_warp_reduce_kernelILb0ELi256Ei19rocblas_complex_numIdEPKS1_S1_EviiT3_lPKT2_lT1_lS7_lS8_lS4_lPT4_lS8_li.has_dyn_sized_stack, 0
	.set _ZL32rocblas_gemvt_warp_reduce_kernelILb0ELi256Ei19rocblas_complex_numIdEPKS1_S1_EviiT3_lPKT2_lT1_lS7_lS8_lS4_lPT4_lS8_li.has_recursion, 0
	.set _ZL32rocblas_gemvt_warp_reduce_kernelILb0ELi256Ei19rocblas_complex_numIdEPKS1_S1_EviiT3_lPKT2_lT1_lS7_lS8_lS4_lPT4_lS8_li.has_indirect_call, 0
	.section	.AMDGPU.csdata,"",@progbits
; Kernel info:
; codeLenInByte = 1908
; TotalNumSgprs: 46
; NumVgprs: 40
; ScratchSize: 0
; MemoryBound: 0
; FloatMode: 240
; IeeeMode: 1
; LDSByteSize: 512 bytes/workgroup (compile time only)
; SGPRBlocks: 0
; VGPRBlocks: 2
; NumSGPRsForWavesPerEU: 46
; NumVGPRsForWavesPerEU: 40
; NamedBarCnt: 0
; Occupancy: 16
; WaveLimiterHint : 0
; COMPUTE_PGM_RSRC2:SCRATCH_EN: 0
; COMPUTE_PGM_RSRC2:USER_SGPR: 2
; COMPUTE_PGM_RSRC2:TRAP_HANDLER: 0
; COMPUTE_PGM_RSRC2:TGID_X_EN: 1
; COMPUTE_PGM_RSRC2:TGID_Y_EN: 0
; COMPUTE_PGM_RSRC2:TGID_Z_EN: 1
; COMPUTE_PGM_RSRC2:TIDIG_COMP_CNT: 0
	.section	.text._ZL32rocblas_gemvt_warp_reduce_kernelILb0ELi256El19rocblas_complex_numIdEPKS1_S1_EviiT3_lPKT2_lT1_lS7_lS8_lS4_lPT4_lS8_li,"axG",@progbits,_ZL32rocblas_gemvt_warp_reduce_kernelILb0ELi256El19rocblas_complex_numIdEPKS1_S1_EviiT3_lPKT2_lT1_lS7_lS8_lS4_lPT4_lS8_li,comdat
	.globl	_ZL32rocblas_gemvt_warp_reduce_kernelILb0ELi256El19rocblas_complex_numIdEPKS1_S1_EviiT3_lPKT2_lT1_lS7_lS8_lS4_lPT4_lS8_li ; -- Begin function _ZL32rocblas_gemvt_warp_reduce_kernelILb0ELi256El19rocblas_complex_numIdEPKS1_S1_EviiT3_lPKT2_lT1_lS7_lS8_lS4_lPT4_lS8_li
	.p2align	8
	.type	_ZL32rocblas_gemvt_warp_reduce_kernelILb0ELi256El19rocblas_complex_numIdEPKS1_S1_EviiT3_lPKT2_lT1_lS7_lS8_lS4_lPT4_lS8_li,@function
_ZL32rocblas_gemvt_warp_reduce_kernelILb0ELi256El19rocblas_complex_numIdEPKS1_S1_EviiT3_lPKT2_lT1_lS7_lS8_lS4_lPT4_lS8_li: ; @_ZL32rocblas_gemvt_warp_reduce_kernelILb0ELi256El19rocblas_complex_numIdEPKS1_S1_EviiT3_lPKT2_lT1_lS7_lS8_lS4_lPT4_lS8_li
; %bb.0:
	s_load_b32 s7, s[0:1], 0x88
	s_bfe_u32 s2, ttmp6, 0x40014
	s_lshr_b32 s3, ttmp7, 16
	s_add_co_i32 s2, s2, 1
	s_bfe_u32 s5, ttmp6, 0x40008
	s_mul_i32 s4, s3, s2
	s_getreg_b32 s2, hwreg(HW_REG_IB_STS2, 6, 4)
	s_add_co_i32 s5, s5, s4
	s_cmp_eq_u32 s2, 0
	s_mov_b32 s25, 0
	s_cselect_b32 s24, s3, s5
	s_wait_kmcnt 0x0
	s_cmp_ge_u32 s24, s7
	s_cbranch_scc1 .LBB169_36
; %bb.1:
	s_clause 0x2
	s_load_b512 s[8:23], s[0:1], 0x8
	s_load_b512 s[36:51], s[0:1], 0x48
	s_load_b32 s6, s[0:1], 0x0
	s_wait_xcnt 0x0
	s_bfe_u32 s0, ttmp6, 0x4000c
	s_and_b32 s1, ttmp6, 15
	s_add_co_i32 s0, s0, 1
	v_mbcnt_lo_u32_b32 v31, -1, 0
	s_mul_i32 s0, ttmp9, s0
	v_and_b32_e32 v3, 31, v0
	s_add_co_i32 s3, s1, s0
	s_wait_kmcnt 0x0
	s_lshl_b64 s[0:1], s[22:23], 4
	s_lshl_b64 s[4:5], s[46:47], 4
	s_lshl_b64 s[26:27], s[14:15], 4
	s_cmp_eq_u32 s2, 0
	v_cmp_gt_i32_e32 vcc_lo, s6, v0
	s_cselect_b32 s2, ttmp9, s3
	s_ashr_i32 s3, s6, 31
	s_add_nc_u64 s[22:23], s[12:13], s[26:27]
	s_lshr_b32 s3, s3, 24
	s_add_nc_u64 s[20:21], s[20:21], s[0:1]
	s_add_co_i32 s3, s6, s3
	v_cmp_eq_u32_e64 s0, 0, v0
	s_and_b32 s14, s3, 0xffffff00
	s_delay_alu instid0(SALU_CYCLE_1)
	v_dual_mov_b32 v2, 0 :: v_dual_bitop2_b32 v6, s14, v0 bitop3:0x54
	s_ashr_i32 s3, s2, 31
	v_cmp_gt_i32_e64 s1, s14, v0
	s_mul_u64 s[28:29], s[48:49], s[2:3]
	v_dual_mov_b32 v1, v2 :: v_dual_ashrrev_i32 v7, 31, v6
	v_mov_b32_e32 v9, v2
	s_ashr_i32 s15, s14, 31
	s_lshl_b64 s[28:29], s[28:29], 4
	s_delay_alu instid0(VALU_DEP_2) | instskip(SKIP_2) | instid1(VALU_DEP_2)
	v_mul_u64_e32 v[4:5], s[36:37], v[0:1]
	v_cndmask_b32_e32 v1, 0, v0, vcc_lo
	v_mul_u64_e32 v[22:23], s[36:37], v[6:7]
	v_dual_lshlrev_b32 v8, 4, v1 :: v_dual_lshlrev_b32 v1, 4, v3
	s_delay_alu instid0(VALU_DEP_1)
	v_add_nc_u64_e32 v[10:11], s[22:23], v[8:9]
	s_add_nc_u64 s[22:23], s[44:45], s[4:5]
	s_mul_u64 s[4:5], s[16:17], s[2:3]
	v_cmp_gt_i32_e64 s2, s6, v6
	s_lshl_b64 s[4:5], s[4:5], 4
	v_cmp_gt_u32_e64 s3, 32, v0
	s_lshl_b64 s[16:17], s[36:37], 12
	v_add_nc_u64_e32 v[24:25], s[4:5], v[10:11]
	s_add_nc_u64 s[4:5], s[4:5], s[26:27]
	v_lshrrev_b32_e32 v10, 1, v0
	s_add_nc_u64 s[4:5], s[12:13], s[4:5]
	s_lshl_b64 s[12:13], s[38:39], 4
	v_add_nc_u64_e32 v[6:7], s[4:5], v[8:9]
	v_cmp_eq_u32_e64 s4, 0, v3
	v_and_b32_e32 v30, 0x70, v10
	v_cmp_gt_u32_e64 s5, 8, v0
	s_lshl_b64 s[26:27], s[18:19], 4
	v_add_nc_u64_e32 v[28:29], 8, v[6:7]
	v_lshl_add_u64 v[4:5], v[4:5], 4, s[20:21]
	s_delay_alu instid0(VALU_DEP_1)
	v_add_nc_u64_e32 v[26:27], 8, v[4:5]
	s_branch .LBB169_4
.LBB169_2:                              ;   in Loop: Header=BB169_4 Depth=1
	s_wait_xcnt 0x0
	s_or_b32 exec_lo, exec_lo, s6
.LBB169_3:                              ;   in Loop: Header=BB169_4 Depth=1
	s_add_co_i32 s24, s24, 0x10000
	s_delay_alu instid0(SALU_CYCLE_1)
	s_cmp_lt_u32 s24, s7
	s_cbranch_scc0 .LBB169_36
.LBB169_4:                              ; =>This Loop Header: Depth=1
                                        ;     Child Loop BB169_25 Depth 2
	s_mul_u64 s[30:31], s[10:11], s[24:25]
	s_delay_alu instid0(SALU_CYCLE_1) | instskip(NEXT) | instid1(SALU_CYCLE_1)
	s_lshl_b64 s[30:31], s[30:31], 4
	s_add_nc_u64 s[30:31], s[8:9], s[30:31]
	global_load_b128 v[10:13], v2, s[30:31]
	s_wait_xcnt 0x0
	s_mul_u64 s[30:31], s[42:43], s[24:25]
	s_delay_alu instid0(SALU_CYCLE_1) | instskip(NEXT) | instid1(SALU_CYCLE_1)
	s_lshl_b64 s[30:31], s[30:31], 4
	s_add_nc_u64 s[30:31], s[40:41], s[30:31]
	s_wait_loadcnt 0x1
	global_load_b128 v[6:9], v2, s[30:31]
	s_wait_loadcnt 0x1
	v_cmp_neq_f64_e32 vcc_lo, 0, v[10:11]
	v_cmp_neq_f64_e64 s6, 0, v[12:13]
	s_wait_xcnt 0x0
	s_or_b32 s30, vcc_lo, s6
	s_mov_b32 s6, -1
	s_and_b32 vcc_lo, exec_lo, s30
	s_cbranch_vccz .LBB169_6
; %bb.5:                                ;   in Loop: Header=BB169_4 Depth=1
	s_and_not1_b32 vcc_lo, exec_lo, s6
	s_cbranch_vccnz .LBB169_3
	s_branch .LBB169_7
.LBB169_6:                              ;   in Loop: Header=BB169_4 Depth=1
	s_wait_loadcnt 0x0
	v_cmp_neq_f64_e32 vcc_lo, 1.0, v[6:7]
	v_cmp_neq_f64_e64 s6, 0, v[8:9]
	s_or_b32 s6, vcc_lo, s6
	s_delay_alu instid0(SALU_CYCLE_1)
	s_and_not1_b32 vcc_lo, exec_lo, s6
	s_cbranch_vccnz .LBB169_3
.LBB169_7:                              ;   in Loop: Header=BB169_4 Depth=1
	s_xor_b32 s6, s30, -1
	s_mul_u64 s[30:31], s[50:51], s[24:25]
	s_and_not1_b32 vcc_lo, exec_lo, s6
	s_lshl_b64 s[30:31], s[30:31], 4
	s_delay_alu instid0(SALU_CYCLE_1)
	s_add_nc_u64 s[30:31], s[22:23], s[30:31]
	s_cbranch_vccnz .LBB169_11
; %bb.8:                                ;   in Loop: Header=BB169_4 Depth=1
	s_mov_b32 s34, 0
	s_mov_b32 s33, 0
                                        ; implicit-def: $vgpr16_vgpr17
	s_and_saveexec_b32 s35, s0
	s_cbranch_execz .LBB169_12
; %bb.9:                                ;   in Loop: Header=BB169_4 Depth=1
	s_wait_loadcnt 0x0
	v_cmp_neq_f64_e32 vcc_lo, 0, v[6:7]
	v_cmp_neq_f64_e64 s6, 0, v[8:9]
	s_or_b32 s6, vcc_lo, s6
	s_delay_alu instid0(SALU_CYCLE_1)
	s_and_not1_b32 vcc_lo, exec_lo, s6
	s_cbranch_vccnz .LBB169_13
; %bb.10:                               ;   in Loop: Header=BB169_4 Depth=1
	s_add_nc_u64 s[36:37], s[30:31], s[28:29]
	s_wait_dscnt 0x0
	global_load_b128 v[18:21], v2, s[36:37]
	s_wait_loadcnt 0x0
	v_mul_f64_e32 v[4:5], v[8:9], v[20:21]
	v_mul_f64_e32 v[16:17], v[6:7], v[20:21]
	s_delay_alu instid0(VALU_DEP_2) | instskip(NEXT) | instid1(VALU_DEP_2)
	v_fma_f64 v[14:15], v[6:7], v[18:19], -v[4:5]
	v_fmac_f64_e32 v[16:17], v[8:9], v[18:19]
	s_branch .LBB169_14
.LBB169_11:                             ;   in Loop: Header=BB169_4 Depth=1
	s_mov_b32 s33, 0
                                        ; implicit-def: $vgpr16_vgpr17
	s_cbranch_execnz .LBB169_15
	s_branch .LBB169_34
.LBB169_12:                             ;   in Loop: Header=BB169_4 Depth=1
	s_or_b32 exec_lo, exec_lo, s35
	s_delay_alu instid0(SALU_CYCLE_1)
	s_and_b32 vcc_lo, exec_lo, s34
	s_cbranch_vccnz .LBB169_15
	s_branch .LBB169_34
.LBB169_13:                             ;   in Loop: Header=BB169_4 Depth=1
	v_mov_b64_e32 v[16:17], 0
	v_mov_b64_e32 v[14:15], 0
.LBB169_14:                             ;   in Loop: Header=BB169_4 Depth=1
	s_mov_b32 s33, exec_lo
	s_wait_xcnt 0x0
	s_or_b32 exec_lo, exec_lo, s35
	s_delay_alu instid0(SALU_CYCLE_1)
	s_and_b32 vcc_lo, exec_lo, s34
	s_cbranch_vccz .LBB169_34
.LBB169_15:                             ;   in Loop: Header=BB169_4 Depth=1
	v_mov_b64_e32 v[14:15], 0
	v_mov_b64_e32 v[16:17], 0
	s_and_saveexec_b32 s6, s1
	s_cbranch_execnz .LBB169_24
; %bb.16:                               ;   in Loop: Header=BB169_4 Depth=1
	s_or_b32 exec_lo, exec_lo, s6
	s_and_saveexec_b32 s6, s2
	s_cbranch_execnz .LBB169_27
.LBB169_17:                             ;   in Loop: Header=BB169_4 Depth=1
	s_or_b32 exec_lo, exec_lo, s6
	s_and_saveexec_b32 s6, s3
.LBB169_18:                             ;   in Loop: Header=BB169_4 Depth=1
	v_dual_mov_b32 v3, v2 :: v_dual_mov_b32 v4, v2
	v_mov_b32_e32 v5, v2
	ds_store_b128 v1, v[2:5]
.LBB169_19:                             ;   in Loop: Header=BB169_4 Depth=1
	s_or_b32 exec_lo, exec_lo, s6
	v_lshl_or_b32 v3, v31, 2, 64
	v_cmp_gt_u32_e32 vcc_lo, 24, v31
	s_wait_loadcnt_dscnt 0x0
	s_barrier_signal -1
	s_barrier_wait -1
	ds_bpermute_b32 v4, v3, v16
	ds_bpermute_b32 v5, v3, v17
	;; [unrolled: 1-line block ×4, first 2 shown]
	v_cndmask_b32_e64 v3, 0, 8, vcc_lo
	v_cmp_gt_u32_e32 vcc_lo, 28, v31
	s_wait_dscnt 0x0
	s_delay_alu instid0(VALU_DEP_2)
	v_add_lshl_u32 v3, v3, v31, 2
	v_add_f64_e32 v[4:5], v[16:17], v[4:5]
	v_add_f64_e32 v[14:15], v[14:15], v[18:19]
	ds_bpermute_b32 v16, v3, v4
	ds_bpermute_b32 v17, v3, v5
	;; [unrolled: 1-line block ×4, first 2 shown]
	v_cndmask_b32_e64 v3, 0, 4, vcc_lo
	v_cmp_gt_u32_e32 vcc_lo, 30, v31
	s_delay_alu instid0(VALU_DEP_2)
	v_add_lshl_u32 v3, v3, v31, 2
	s_wait_dscnt 0x2
	v_add_f64_e32 v[4:5], v[4:5], v[16:17]
	ds_bpermute_b32 v16, v3, v4
	ds_bpermute_b32 v17, v3, v5
	s_wait_dscnt 0x0
	v_add_f64_e32 v[4:5], v[4:5], v[16:17]
	v_cndmask_b32_e64 v16, 0, 2, vcc_lo
	v_cmp_ne_u32_e32 vcc_lo, 31, v31
	s_delay_alu instid0(VALU_DEP_2)
	v_add_lshl_u32 v32, v16, v31, 2
	ds_bpermute_b32 v16, v32, v4
	ds_bpermute_b32 v17, v32, v5
	s_wait_dscnt 0x0
	v_add_f64_e32 v[4:5], v[4:5], v[16:17]
	v_add_co_ci_u32_e64 v16, null, 0, v31, vcc_lo
	s_delay_alu instid0(VALU_DEP_1)
	v_dual_add_f64 v[14:15], v[14:15], v[18:19] :: v_dual_lshlrev_b32 v33, 2, v16
	ds_bpermute_b32 v16, v33, v4
	ds_bpermute_b32 v17, v33, v5
	;; [unrolled: 1-line block ×4, first 2 shown]
	s_wait_dscnt 0x0
	v_add_f64_e32 v[14:15], v[14:15], v[18:19]
	ds_bpermute_b32 v18, v32, v14
	ds_bpermute_b32 v19, v32, v15
	s_wait_dscnt 0x0
	v_add_f64_e32 v[14:15], v[14:15], v[18:19]
	ds_bpermute_b32 v18, v33, v14
	ds_bpermute_b32 v19, v33, v15
	s_and_saveexec_b32 s6, s4
	s_cbranch_execz .LBB169_21
; %bb.20:                               ;   in Loop: Header=BB169_4 Depth=1
	s_wait_dscnt 0x0
	v_add_f64_e32 v[18:19], v[14:15], v[18:19]
	v_add_f64_e32 v[16:17], v[4:5], v[16:17]
	ds_store_b128 v30, v[16:19]
.LBB169_21:                             ;   in Loop: Header=BB169_4 Depth=1
	s_or_b32 exec_lo, exec_lo, s6
	v_mov_b64_e32 v[20:21], 0
	s_wait_dscnt 0x0
	v_mov_b64_e32 v[18:19], 0
	s_barrier_signal -1
	s_barrier_wait -1
	s_and_saveexec_b32 s6, s5
	s_cbranch_execnz .LBB169_28
; %bb.22:                               ;   in Loop: Header=BB169_4 Depth=1
	s_or_b32 exec_lo, exec_lo, s6
	s_and_saveexec_b32 s6, s3
	s_cbranch_execnz .LBB169_29
.LBB169_23:                             ;   in Loop: Header=BB169_4 Depth=1
	s_or_b32 exec_lo, exec_lo, s6
                                        ; implicit-def: $vgpr16_vgpr17
	s_and_saveexec_b32 s34, s0
	s_cbranch_execnz .LBB169_30
	s_branch .LBB169_33
.LBB169_24:                             ;   in Loop: Header=BB169_4 Depth=1
	v_mad_nc_u64_u32 v[4:5], s12, s24, v[26:27]
	s_wait_dscnt 0x0
	v_mad_nc_u64_u32 v[18:19], s26, s24, v[28:29]
	v_mov_b64_e32 v[14:15], 0
	v_mov_b64_e32 v[16:17], 0
	v_mov_b32_e32 v3, v0
	s_mov_b32 s34, 0
	v_mad_u32 v5, s13, s24, v5
	v_mad_u32 v19, s27, s24, v19
.LBB169_25:                             ;   Parent Loop BB169_4 Depth=1
                                        ; =>  This Inner Loop Header: Depth=2
	global_load_b128 v[32:35], v[18:19], off offset:-8
	global_load_b128 v[36:39], v[4:5], off offset:-8
	v_add_nc_u32_e32 v3, 0x100, v3
	s_wait_xcnt 0x0
	v_add_nc_u64_e32 v[4:5], s[16:17], v[4:5]
	v_add_nc_u64_e32 v[18:19], 0x1000, v[18:19]
	s_delay_alu instid0(VALU_DEP_3) | instskip(SKIP_4) | instid1(VALU_DEP_2)
	v_cmp_le_i32_e32 vcc_lo, s14, v3
	s_or_b32 s34, vcc_lo, s34
	s_wait_loadcnt 0x0
	v_mul_f64_e32 v[20:21], v[34:35], v[38:39]
	v_mul_f64_e32 v[38:39], v[32:33], v[38:39]
	v_fma_f64 v[20:21], v[32:33], v[36:37], -v[20:21]
	s_delay_alu instid0(VALU_DEP_2) | instskip(NEXT) | instid1(VALU_DEP_2)
	v_fmac_f64_e32 v[38:39], v[34:35], v[36:37]
	v_add_f64_e32 v[16:17], v[16:17], v[20:21]
	s_delay_alu instid0(VALU_DEP_2)
	v_add_f64_e32 v[14:15], v[14:15], v[38:39]
	s_and_not1_b32 exec_lo, exec_lo, s34
	s_cbranch_execnz .LBB169_25
; %bb.26:                               ;   in Loop: Header=BB169_4 Depth=1
	s_or_b32 exec_lo, exec_lo, s34
	s_delay_alu instid0(SALU_CYCLE_1)
	s_or_b32 exec_lo, exec_lo, s6
	s_and_saveexec_b32 s6, s2
	s_cbranch_execz .LBB169_17
.LBB169_27:                             ;   in Loop: Header=BB169_4 Depth=1
	s_mul_u64 s[34:35], s[18:19], s[24:25]
	s_mul_u64 s[36:37], s[38:39], s[24:25]
	v_lshl_add_u64 v[4:5], s[34:35], 4, v[24:25]
	s_lshl_b64 s[34:35], s[36:37], 4
	s_delay_alu instid0(SALU_CYCLE_1) | instskip(NEXT) | instid1(SALU_CYCLE_1)
	s_add_nc_u64 s[34:35], s[20:21], s[34:35]
	v_lshl_add_u64 v[36:37], v[22:23], 4, s[34:35]
	s_delay_alu instid0(VALU_DEP_2)
	v_lshl_add_u64 v[4:5], s[14:15], 4, v[4:5]
	s_wait_dscnt 0x0
	global_load_b128 v[18:21], v[36:37], off
	global_load_b128 v[32:35], v[4:5], off
	s_wait_loadcnt 0x0
	s_wait_xcnt 0x0
	v_mul_f64_e32 v[4:5], v[34:35], v[20:21]
	v_mul_f64_e32 v[20:21], v[32:33], v[20:21]
	s_delay_alu instid0(VALU_DEP_2) | instskip(NEXT) | instid1(VALU_DEP_2)
	v_fma_f64 v[4:5], v[32:33], v[18:19], -v[4:5]
	v_fmac_f64_e32 v[20:21], v[34:35], v[18:19]
	s_delay_alu instid0(VALU_DEP_2) | instskip(NEXT) | instid1(VALU_DEP_2)
	v_add_f64_e32 v[16:17], v[16:17], v[4:5]
	v_add_f64_e32 v[14:15], v[14:15], v[20:21]
	s_or_b32 exec_lo, exec_lo, s6
	s_and_saveexec_b32 s6, s3
	s_cbranch_execnz .LBB169_18
	s_branch .LBB169_19
.LBB169_28:                             ;   in Loop: Header=BB169_4 Depth=1
	ds_load_b128 v[18:21], v1
	s_or_b32 exec_lo, exec_lo, s6
	s_and_saveexec_b32 s6, s3
	s_cbranch_execz .LBB169_23
.LBB169_29:                             ;   in Loop: Header=BB169_4 Depth=1
	s_wait_dscnt 0x0
	ds_bpermute_b32 v4, v3, v18
	ds_bpermute_b32 v5, v3, v19
	ds_bpermute_b32 v14, v3, v20
	ds_bpermute_b32 v15, v3, v21
	s_wait_dscnt 0x2
	v_add_f64_e32 v[4:5], v[18:19], v[4:5]
	s_wait_dscnt 0x0
	v_add_f64_e32 v[14:15], v[20:21], v[14:15]
	ds_bpermute_b32 v16, v32, v4
	ds_bpermute_b32 v17, v32, v5
	ds_bpermute_b32 v18, v32, v14
	ds_bpermute_b32 v19, v32, v15
	s_wait_dscnt 0x2
	v_add_f64_e32 v[4:5], v[4:5], v[16:17]
	s_wait_dscnt 0x0
	v_add_f64_e32 v[14:15], v[14:15], v[18:19]
	;; [unrolled: 8-line block ×3, first 2 shown]
	s_or_b32 exec_lo, exec_lo, s6
                                        ; implicit-def: $vgpr16_vgpr17
	s_and_saveexec_b32 s34, s0
	s_cbranch_execz .LBB169_33
.LBB169_30:                             ;   in Loop: Header=BB169_4 Depth=1
	s_wait_dscnt 0x0
	s_delay_alu instid0(VALU_DEP_1) | instskip(SKIP_3) | instid1(VALU_DEP_4)
	v_mul_f64_e32 v[4:5], v[12:13], v[20:21]
	v_mul_f64_e32 v[16:17], v[10:11], v[20:21]
	v_cmp_neq_f64_e32 vcc_lo, 0, v[6:7]
	v_cmp_neq_f64_e64 s6, 0, v[8:9]
	v_fma_f64 v[14:15], v[10:11], v[18:19], -v[4:5]
	s_delay_alu instid0(VALU_DEP_4) | instskip(SKIP_1) | instid1(SALU_CYCLE_1)
	v_fmac_f64_e32 v[16:17], v[12:13], v[18:19]
	s_or_b32 s6, vcc_lo, s6
	s_and_not1_b32 vcc_lo, exec_lo, s6
	s_cbranch_vccnz .LBB169_32
; %bb.31:                               ;   in Loop: Header=BB169_4 Depth=1
	s_add_nc_u64 s[36:37], s[30:31], s[28:29]
	global_load_b128 v[10:13], v2, s[36:37]
	s_wait_loadcnt 0x0
	v_mul_f64_e32 v[4:5], v[8:9], v[12:13]
	v_mul_f64_e32 v[12:13], v[6:7], v[12:13]
	s_delay_alu instid0(VALU_DEP_2) | instskip(NEXT) | instid1(VALU_DEP_2)
	v_fma_f64 v[4:5], v[6:7], v[10:11], -v[4:5]
	v_fmac_f64_e32 v[12:13], v[8:9], v[10:11]
	s_delay_alu instid0(VALU_DEP_2) | instskip(NEXT) | instid1(VALU_DEP_2)
	v_add_f64_e32 v[14:15], v[14:15], v[4:5]
	v_add_f64_e32 v[16:17], v[16:17], v[12:13]
.LBB169_32:                             ;   in Loop: Header=BB169_4 Depth=1
	s_or_b32 s33, s33, exec_lo
.LBB169_33:                             ;   in Loop: Header=BB169_4 Depth=1
	s_wait_xcnt 0x0
	s_or_b32 exec_lo, exec_lo, s34
.LBB169_34:                             ;   in Loop: Header=BB169_4 Depth=1
	s_and_saveexec_b32 s6, s33
	s_cbranch_execz .LBB169_2
; %bb.35:                               ;   in Loop: Header=BB169_4 Depth=1
	s_add_nc_u64 s[30:31], s[30:31], s[28:29]
	global_store_b128 v2, v[14:17], s[30:31]
	s_branch .LBB169_2
.LBB169_36:
	s_endpgm
	.section	.rodata,"a",@progbits
	.p2align	6, 0x0
	.amdhsa_kernel _ZL32rocblas_gemvt_warp_reduce_kernelILb0ELi256El19rocblas_complex_numIdEPKS1_S1_EviiT3_lPKT2_lT1_lS7_lS8_lS4_lPT4_lS8_li
		.amdhsa_group_segment_fixed_size 512
		.amdhsa_private_segment_fixed_size 0
		.amdhsa_kernarg_size 140
		.amdhsa_user_sgpr_count 2
		.amdhsa_user_sgpr_dispatch_ptr 0
		.amdhsa_user_sgpr_queue_ptr 0
		.amdhsa_user_sgpr_kernarg_segment_ptr 1
		.amdhsa_user_sgpr_dispatch_id 0
		.amdhsa_user_sgpr_kernarg_preload_length 0
		.amdhsa_user_sgpr_kernarg_preload_offset 0
		.amdhsa_user_sgpr_private_segment_size 0
		.amdhsa_wavefront_size32 1
		.amdhsa_uses_dynamic_stack 0
		.amdhsa_enable_private_segment 0
		.amdhsa_system_sgpr_workgroup_id_x 1
		.amdhsa_system_sgpr_workgroup_id_y 0
		.amdhsa_system_sgpr_workgroup_id_z 1
		.amdhsa_system_sgpr_workgroup_info 0
		.amdhsa_system_vgpr_workitem_id 0
		.amdhsa_next_free_vgpr 40
		.amdhsa_next_free_sgpr 52
		.amdhsa_named_barrier_count 0
		.amdhsa_reserve_vcc 1
		.amdhsa_float_round_mode_32 0
		.amdhsa_float_round_mode_16_64 0
		.amdhsa_float_denorm_mode_32 3
		.amdhsa_float_denorm_mode_16_64 3
		.amdhsa_fp16_overflow 0
		.amdhsa_memory_ordered 1
		.amdhsa_forward_progress 1
		.amdhsa_inst_pref_size 15
		.amdhsa_round_robin_scheduling 0
		.amdhsa_exception_fp_ieee_invalid_op 0
		.amdhsa_exception_fp_denorm_src 0
		.amdhsa_exception_fp_ieee_div_zero 0
		.amdhsa_exception_fp_ieee_overflow 0
		.amdhsa_exception_fp_ieee_underflow 0
		.amdhsa_exception_fp_ieee_inexact 0
		.amdhsa_exception_int_div_zero 0
	.end_amdhsa_kernel
	.section	.text._ZL32rocblas_gemvt_warp_reduce_kernelILb0ELi256El19rocblas_complex_numIdEPKS1_S1_EviiT3_lPKT2_lT1_lS7_lS8_lS4_lPT4_lS8_li,"axG",@progbits,_ZL32rocblas_gemvt_warp_reduce_kernelILb0ELi256El19rocblas_complex_numIdEPKS1_S1_EviiT3_lPKT2_lT1_lS7_lS8_lS4_lPT4_lS8_li,comdat
.Lfunc_end169:
	.size	_ZL32rocblas_gemvt_warp_reduce_kernelILb0ELi256El19rocblas_complex_numIdEPKS1_S1_EviiT3_lPKT2_lT1_lS7_lS8_lS4_lPT4_lS8_li, .Lfunc_end169-_ZL32rocblas_gemvt_warp_reduce_kernelILb0ELi256El19rocblas_complex_numIdEPKS1_S1_EviiT3_lPKT2_lT1_lS7_lS8_lS4_lPT4_lS8_li
                                        ; -- End function
	.set _ZL32rocblas_gemvt_warp_reduce_kernelILb0ELi256El19rocblas_complex_numIdEPKS1_S1_EviiT3_lPKT2_lT1_lS7_lS8_lS4_lPT4_lS8_li.num_vgpr, 40
	.set _ZL32rocblas_gemvt_warp_reduce_kernelILb0ELi256El19rocblas_complex_numIdEPKS1_S1_EviiT3_lPKT2_lT1_lS7_lS8_lS4_lPT4_lS8_li.num_agpr, 0
	.set _ZL32rocblas_gemvt_warp_reduce_kernelILb0ELi256El19rocblas_complex_numIdEPKS1_S1_EviiT3_lPKT2_lT1_lS7_lS8_lS4_lPT4_lS8_li.numbered_sgpr, 52
	.set _ZL32rocblas_gemvt_warp_reduce_kernelILb0ELi256El19rocblas_complex_numIdEPKS1_S1_EviiT3_lPKT2_lT1_lS7_lS8_lS4_lPT4_lS8_li.num_named_barrier, 0
	.set _ZL32rocblas_gemvt_warp_reduce_kernelILb0ELi256El19rocblas_complex_numIdEPKS1_S1_EviiT3_lPKT2_lT1_lS7_lS8_lS4_lPT4_lS8_li.private_seg_size, 0
	.set _ZL32rocblas_gemvt_warp_reduce_kernelILb0ELi256El19rocblas_complex_numIdEPKS1_S1_EviiT3_lPKT2_lT1_lS7_lS8_lS4_lPT4_lS8_li.uses_vcc, 1
	.set _ZL32rocblas_gemvt_warp_reduce_kernelILb0ELi256El19rocblas_complex_numIdEPKS1_S1_EviiT3_lPKT2_lT1_lS7_lS8_lS4_lPT4_lS8_li.uses_flat_scratch, 0
	.set _ZL32rocblas_gemvt_warp_reduce_kernelILb0ELi256El19rocblas_complex_numIdEPKS1_S1_EviiT3_lPKT2_lT1_lS7_lS8_lS4_lPT4_lS8_li.has_dyn_sized_stack, 0
	.set _ZL32rocblas_gemvt_warp_reduce_kernelILb0ELi256El19rocblas_complex_numIdEPKS1_S1_EviiT3_lPKT2_lT1_lS7_lS8_lS4_lPT4_lS8_li.has_recursion, 0
	.set _ZL32rocblas_gemvt_warp_reduce_kernelILb0ELi256El19rocblas_complex_numIdEPKS1_S1_EviiT3_lPKT2_lT1_lS7_lS8_lS4_lPT4_lS8_li.has_indirect_call, 0
	.section	.AMDGPU.csdata,"",@progbits
; Kernel info:
; codeLenInByte = 1896
; TotalNumSgprs: 54
; NumVgprs: 40
; ScratchSize: 0
; MemoryBound: 0
; FloatMode: 240
; IeeeMode: 1
; LDSByteSize: 512 bytes/workgroup (compile time only)
; SGPRBlocks: 0
; VGPRBlocks: 2
; NumSGPRsForWavesPerEU: 54
; NumVGPRsForWavesPerEU: 40
; NamedBarCnt: 0
; Occupancy: 16
; WaveLimiterHint : 0
; COMPUTE_PGM_RSRC2:SCRATCH_EN: 0
; COMPUTE_PGM_RSRC2:USER_SGPR: 2
; COMPUTE_PGM_RSRC2:TRAP_HANDLER: 0
; COMPUTE_PGM_RSRC2:TGID_X_EN: 1
; COMPUTE_PGM_RSRC2:TGID_Y_EN: 0
; COMPUTE_PGM_RSRC2:TGID_Z_EN: 1
; COMPUTE_PGM_RSRC2:TIDIG_COMP_CNT: 0
	.section	.text._ZL32rocblas_gemvt_warp_reduce_kernelILb0ELi256Ei19rocblas_complex_numIdES1_S1_EviiT3_lPKT2_lT1_lS5_lS6_lS2_lPT4_lS6_li,"axG",@progbits,_ZL32rocblas_gemvt_warp_reduce_kernelILb0ELi256Ei19rocblas_complex_numIdES1_S1_EviiT3_lPKT2_lT1_lS5_lS6_lS2_lPT4_lS6_li,comdat
	.globl	_ZL32rocblas_gemvt_warp_reduce_kernelILb0ELi256Ei19rocblas_complex_numIdES1_S1_EviiT3_lPKT2_lT1_lS5_lS6_lS2_lPT4_lS6_li ; -- Begin function _ZL32rocblas_gemvt_warp_reduce_kernelILb0ELi256Ei19rocblas_complex_numIdES1_S1_EviiT3_lPKT2_lT1_lS5_lS6_lS2_lPT4_lS6_li
	.p2align	8
	.type	_ZL32rocblas_gemvt_warp_reduce_kernelILb0ELi256Ei19rocblas_complex_numIdES1_S1_EviiT3_lPKT2_lT1_lS5_lS6_lS2_lPT4_lS6_li,@function
_ZL32rocblas_gemvt_warp_reduce_kernelILb0ELi256Ei19rocblas_complex_numIdES1_S1_EviiT3_lPKT2_lT1_lS5_lS6_lS2_lPT4_lS6_li: ; @_ZL32rocblas_gemvt_warp_reduce_kernelILb0ELi256Ei19rocblas_complex_numIdES1_S1_EviiT3_lPKT2_lT1_lS5_lS6_lS2_lPT4_lS6_li
; %bb.0:
	s_load_b32 s33, s[0:1], 0x98
	s_bfe_u32 s2, ttmp6, 0x40014
	s_lshr_b32 s3, ttmp7, 16
	s_add_co_i32 s2, s2, 1
	s_bfe_u32 s4, ttmp6, 0x40008
	s_mul_i32 s2, s3, s2
	s_getreg_b32 s27, hwreg(HW_REG_IB_STS2, 6, 4)
	s_add_co_i32 s4, s4, s2
	s_cmp_eq_u32 s27, 0
	s_mov_b32 s29, 0
	s_cselect_b32 s28, s3, s4
	s_wait_kmcnt 0x0
	s_cmp_ge_u32 s28, s33
	s_cbranch_scc1 .LBB170_34
; %bb.1:
	s_clause 0xa
	s_load_b128 s[8:11], s[0:1], 0x8
	s_load_b64 s[30:31], s[0:1], 0x68
	s_load_b128 s[12:15], s[0:1], 0x58
	s_load_b32 s41, s[0:1], 0x0
	s_load_b128 s[4:7], s[0:1], 0x20
	s_load_b32 s40, s[0:1], 0x30
	s_load_b128 s[16:19], s[0:1], 0x38
	s_load_b96 s[24:26], s[0:1], 0x48
	s_load_b128 s[20:23], s[0:1], 0x78
	s_load_b32 s44, s[0:1], 0x88
	s_load_b64 s[34:35], s[0:1], 0x90
	v_dual_mov_b32 v2, 0 :: v_dual_bitop2_b32 v3, 31, v0 bitop3:0x40
	s_bfe_u32 s2, ttmp6, 0x4000c
	v_lshrrev_b32_e32 v4, 1, v0
	s_add_co_i32 s3, s2, 1
	s_and_b32 s36, ttmp6, 15
	s_mul_i32 s37, ttmp9, s3
	v_cmp_eq_u32_e64 s3, 0, v3
	v_mov_b32_e32 v5, v2
	v_and_b32_e32 v18, 0x70, v4
	s_add_co_i32 s46, s36, s37
	s_wait_xcnt 0x0
	v_cmp_eq_u32_e64 s0, 0, v0
	v_cmp_gt_u32_e64 s1, 32, v0
	s_wait_kmcnt 0x0
	v_cmp_neq_f64_e64 s38, s[8:9], 0
	v_cmp_neq_f64_e64 s39, s[10:11], 0
	;; [unrolled: 1-line block ×4, first 2 shown]
	v_cmp_gt_i32_e32 vcc_lo, s41, v0
	v_lshlrev_b32_e32 v1, 4, v3
	v_cmp_neq_f64_e64 s45, s[14:15], 1.0
	s_lshl_b64 s[24:25], s[24:25], 4
	s_lshl_b64 s[22:23], s[22:23], 4
	v_cndmask_b32_e32 v3, 0, v0, vcc_lo
	s_lshl_b64 s[36:37], s[6:7], 4
	s_add_nc_u64 s[6:7], s[18:19], s[24:25]
	s_add_nc_u64 s[18:19], s[20:21], s[22:23]
	;; [unrolled: 1-line block ×3, first 2 shown]
	v_lshlrev_b32_e32 v4, 4, v3
	v_mul_lo_u32 v19, v0, s26
	v_cmp_gt_u32_e64 s2, 8, v0
	v_mbcnt_lo_u32_b32 v20, -1, 0
	s_delay_alu instid0(VALU_DEP_4)
	v_add_nc_u64_e32 v[6:7], s[20:21], v[4:5]
	s_or_b32 s47, s38, s39
	s_or_b32 s38, s43, s42
	s_xor_b32 s39, s47, -1
	s_cmp_eq_u32 s27, 0
	s_cselect_b32 s21, ttmp9, s46
	s_ashr_i32 s20, s41, 31
	s_mul_i32 s22, s40, s21
	s_lshr_b32 s20, s20, 24
	s_ashr_i32 s23, s22, 31
	s_add_co_i32 s20, s41, s20
	s_lshl_b64 s[22:23], s[22:23], 4
	s_and_b32 s20, s20, 0xffffff00
	s_add_nc_u64 s[24:25], s[36:37], s[22:23]
	v_or_b32_e32 v3, s20, v0
	s_add_nc_u64 s[4:5], s[4:5], s[24:25]
	v_add_nc_u64_e32 v[14:15], s[22:23], v[6:7]
	v_add_nc_u64_e32 v[4:5], s[4:5], v[4:5]
	s_mul_i32 s24, s44, s21
	v_mul_lo_u32 v12, s26, v3
	v_cmp_gt_i32_e64 s4, s20, v0
	v_cmp_gt_i32_e64 s5, s41, v3
	s_or_b32 s27, s47, s45
	s_ashr_i32 s25, s24, 31
	v_add_nc_u64_e32 v[16:17], 8, v[4:5]
	s_or_b32 s40, s27, s42
	s_ashr_i32 s21, s20, 31
	s_lshl_b64 s[22:23], s[16:17], 4
	s_lshl_b32 s41, s26, 8
	s_lshl_b64 s[24:25], s[24:25], 4
	v_ashrrev_i32_e32 v13, 31, v12
	s_branch .LBB170_4
.LBB170_2:                              ;   in Loop: Header=BB170_4 Depth=1
	s_wait_xcnt 0x0
	s_or_b32 exec_lo, exec_lo, s36
.LBB170_3:                              ;   in Loop: Header=BB170_4 Depth=1
	s_add_co_i32 s28, s28, 0x10000
	s_delay_alu instid0(SALU_CYCLE_1)
	s_cmp_lt_u32 s28, s33
	s_cbranch_scc0 .LBB170_34
.LBB170_4:                              ; =>This Loop Header: Depth=1
                                        ;     Child Loop BB170_23 Depth 2
	s_and_not1_b32 vcc_lo, exec_lo, s40
	s_cbranch_vccnz .LBB170_3
; %bb.5:                                ;   in Loop: Header=BB170_4 Depth=1
	s_mul_u64 s[26:27], s[34:35], s[28:29]
	s_and_not1_b32 vcc_lo, exec_lo, s39
	s_lshl_b64 s[26:27], s[26:27], 4
	s_delay_alu instid0(SALU_CYCLE_1)
	s_add_nc_u64 s[26:27], s[18:19], s[26:27]
	s_cbranch_vccnz .LBB170_9
; %bb.6:                                ;   in Loop: Header=BB170_4 Depth=1
	s_mov_b32 s36, 0
	s_mov_b32 s42, 0
                                        ; implicit-def: $vgpr6_vgpr7
	s_and_saveexec_b32 s37, s0
	s_cbranch_execz .LBB170_10
; %bb.7:                                ;   in Loop: Header=BB170_4 Depth=1
	s_and_not1_b32 vcc_lo, exec_lo, s38
	s_cbranch_vccnz .LBB170_11
; %bb.8:                                ;   in Loop: Header=BB170_4 Depth=1
	s_add_nc_u64 s[42:43], s[26:27], s[24:25]
	s_wait_dscnt 0x0
	global_load_b128 v[8:11], v2, s[42:43]
	s_wait_loadcnt 0x0
	v_mul_f64_e32 v[4:5], s[30:31], v[10:11]
	v_mul_f64_e32 v[6:7], s[14:15], v[10:11]
	s_delay_alu instid0(VALU_DEP_2) | instskip(NEXT) | instid1(VALU_DEP_2)
	v_fma_f64 v[4:5], s[14:15], v[8:9], -v[4:5]
	v_fmac_f64_e32 v[6:7], s[30:31], v[8:9]
	s_branch .LBB170_12
.LBB170_9:                              ;   in Loop: Header=BB170_4 Depth=1
	s_mov_b32 s42, 0
                                        ; implicit-def: $vgpr6_vgpr7
	s_cbranch_execnz .LBB170_13
	s_branch .LBB170_32
.LBB170_10:                             ;   in Loop: Header=BB170_4 Depth=1
	s_or_b32 exec_lo, exec_lo, s37
	s_delay_alu instid0(SALU_CYCLE_1)
	s_and_b32 vcc_lo, exec_lo, s36
	s_cbranch_vccnz .LBB170_13
	s_branch .LBB170_32
.LBB170_11:                             ;   in Loop: Header=BB170_4 Depth=1
	v_mov_b64_e32 v[6:7], 0
	v_mov_b64_e32 v[4:5], 0
.LBB170_12:                             ;   in Loop: Header=BB170_4 Depth=1
	s_wait_xcnt 0x0
	s_mov_b32 s42, exec_lo
	s_or_b32 exec_lo, exec_lo, s37
	s_delay_alu instid0(SALU_CYCLE_1)
	s_and_b32 vcc_lo, exec_lo, s36
	s_cbranch_vccz .LBB170_32
.LBB170_13:                             ;   in Loop: Header=BB170_4 Depth=1
	v_mov_b64_e32 v[6:7], 0
	s_wait_dscnt 0x0
	v_mov_b64_e32 v[8:9], 0
	s_mul_u64 s[36:37], s[12:13], s[28:29]
	s_delay_alu instid0(SALU_CYCLE_1) | instskip(NEXT) | instid1(SALU_CYCLE_1)
	s_lshl_b64 s[36:37], s[36:37], 4
	s_add_nc_u64 s[36:37], s[6:7], s[36:37]
	s_and_saveexec_b32 s43, s4
	s_cbranch_execnz .LBB170_22
; %bb.14:                               ;   in Loop: Header=BB170_4 Depth=1
	s_or_b32 exec_lo, exec_lo, s43
	s_and_saveexec_b32 s43, s5
	s_cbranch_execnz .LBB170_25
.LBB170_15:                             ;   in Loop: Header=BB170_4 Depth=1
	s_or_b32 exec_lo, exec_lo, s43
	s_and_saveexec_b32 s36, s1
.LBB170_16:                             ;   in Loop: Header=BB170_4 Depth=1
	v_dual_mov_b32 v3, v2 :: v_dual_mov_b32 v4, v2
	v_mov_b32_e32 v5, v2
	ds_store_b128 v1, v[2:5]
.LBB170_17:                             ;   in Loop: Header=BB170_4 Depth=1
	s_or_b32 exec_lo, exec_lo, s36
	v_lshl_or_b32 v3, v20, 2, 64
	v_cmp_gt_u32_e32 vcc_lo, 24, v20
	s_wait_dscnt 0x0
	s_barrier_signal -1
	s_barrier_wait -1
	ds_bpermute_b32 v4, v3, v8
	ds_bpermute_b32 v5, v3, v9
	;; [unrolled: 1-line block ×4, first 2 shown]
	v_cndmask_b32_e64 v3, 0, 8, vcc_lo
	v_cmp_gt_u32_e32 vcc_lo, 28, v20
	s_wait_dscnt 0x0
	s_delay_alu instid0(VALU_DEP_2)
	v_add_lshl_u32 v3, v3, v20, 2
	v_add_f64_e32 v[4:5], v[8:9], v[4:5]
	v_add_f64_e32 v[6:7], v[6:7], v[10:11]
	ds_bpermute_b32 v8, v3, v4
	ds_bpermute_b32 v9, v3, v5
	;; [unrolled: 1-line block ×4, first 2 shown]
	v_cndmask_b32_e64 v3, 0, 4, vcc_lo
	v_cmp_gt_u32_e32 vcc_lo, 30, v20
	s_delay_alu instid0(VALU_DEP_2)
	v_add_lshl_u32 v3, v3, v20, 2
	s_wait_dscnt 0x2
	v_add_f64_e32 v[4:5], v[4:5], v[8:9]
	ds_bpermute_b32 v8, v3, v4
	ds_bpermute_b32 v9, v3, v5
	s_wait_dscnt 0x0
	v_add_f64_e32 v[4:5], v[4:5], v[8:9]
	v_cndmask_b32_e64 v8, 0, 2, vcc_lo
	v_cmp_ne_u32_e32 vcc_lo, 31, v20
	s_delay_alu instid0(VALU_DEP_2)
	v_add_lshl_u32 v21, v8, v20, 2
	ds_bpermute_b32 v8, v21, v4
	ds_bpermute_b32 v9, v21, v5
	s_wait_dscnt 0x0
	v_add_f64_e32 v[4:5], v[4:5], v[8:9]
	v_add_co_ci_u32_e64 v8, null, 0, v20, vcc_lo
	s_delay_alu instid0(VALU_DEP_1)
	v_dual_add_f64 v[6:7], v[6:7], v[10:11] :: v_dual_lshlrev_b32 v22, 2, v8
	ds_bpermute_b32 v8, v22, v4
	ds_bpermute_b32 v9, v22, v5
	;; [unrolled: 1-line block ×4, first 2 shown]
	s_wait_dscnt 0x0
	v_add_f64_e32 v[6:7], v[6:7], v[10:11]
	ds_bpermute_b32 v10, v21, v6
	ds_bpermute_b32 v11, v21, v7
	s_wait_dscnt 0x0
	v_add_f64_e32 v[6:7], v[6:7], v[10:11]
	ds_bpermute_b32 v10, v22, v6
	ds_bpermute_b32 v11, v22, v7
	s_and_saveexec_b32 s36, s3
	s_cbranch_execz .LBB170_19
; %bb.18:                               ;   in Loop: Header=BB170_4 Depth=1
	s_wait_dscnt 0x0
	v_add_f64_e32 v[6:7], v[6:7], v[10:11]
	v_add_f64_e32 v[4:5], v[4:5], v[8:9]
	ds_store_b128 v18, v[4:7]
.LBB170_19:                             ;   in Loop: Header=BB170_4 Depth=1
	s_or_b32 exec_lo, exec_lo, s36
	s_wait_dscnt 0x0
	v_mov_b64_e32 v[10:11], 0
	v_mov_b64_e32 v[8:9], 0
	s_barrier_signal -1
	s_barrier_wait -1
	s_and_saveexec_b32 s36, s2
	s_cbranch_execnz .LBB170_26
; %bb.20:                               ;   in Loop: Header=BB170_4 Depth=1
	s_or_b32 exec_lo, exec_lo, s36
	s_and_saveexec_b32 s36, s1
	s_cbranch_execnz .LBB170_27
.LBB170_21:                             ;   in Loop: Header=BB170_4 Depth=1
	s_or_b32 exec_lo, exec_lo, s36
                                        ; implicit-def: $vgpr6_vgpr7
	s_and_saveexec_b32 s36, s0
	s_cbranch_execnz .LBB170_28
	s_branch .LBB170_31
.LBB170_22:                             ;   in Loop: Header=BB170_4 Depth=1
	v_mad_nc_u64_u32 v[4:5], s22, s28, v[16:17]
	v_mov_b64_e32 v[6:7], 0
	v_mov_b64_e32 v[8:9], 0
	v_dual_mov_b32 v3, v19 :: v_dual_mov_b32 v10, v0
	s_mov_b32 s44, 0
	s_delay_alu instid0(VALU_DEP_4)
	v_mad_u32 v5, s23, s28, v5
.LBB170_23:                             ;   Parent Loop BB170_4 Depth=1
                                        ; =>  This Inner Loop Header: Depth=2
	global_load_b128 v[22:25], v[4:5], off offset:-8
	global_load_b128 v[26:29], v3, s[36:37] scale_offset
	v_add_nc_u32_e32 v10, 0x100, v10
	s_wait_xcnt 0x1
	v_add_nc_u64_e32 v[4:5], 0x1000, v[4:5]
	s_wait_xcnt 0x0
	v_add_nc_u32_e32 v3, s41, v3
	v_cmp_le_i32_e32 vcc_lo, s20, v10
	s_or_b32 s44, vcc_lo, s44
	s_wait_loadcnt 0x0
	v_mul_f64_e32 v[30:31], v[24:25], v[28:29]
	v_mul_f64_e32 v[28:29], v[22:23], v[28:29]
	s_delay_alu instid0(VALU_DEP_2) | instskip(NEXT) | instid1(VALU_DEP_2)
	v_fma_f64 v[22:23], v[22:23], v[26:27], -v[30:31]
	v_fmac_f64_e32 v[28:29], v[24:25], v[26:27]
	s_delay_alu instid0(VALU_DEP_2) | instskip(NEXT) | instid1(VALU_DEP_2)
	v_add_f64_e32 v[8:9], v[8:9], v[22:23]
	v_add_f64_e32 v[6:7], v[6:7], v[28:29]
	s_and_not1_b32 exec_lo, exec_lo, s44
	s_cbranch_execnz .LBB170_23
; %bb.24:                               ;   in Loop: Header=BB170_4 Depth=1
	s_or_b32 exec_lo, exec_lo, s44
	s_delay_alu instid0(SALU_CYCLE_1)
	s_or_b32 exec_lo, exec_lo, s43
	s_and_saveexec_b32 s43, s5
	s_cbranch_execz .LBB170_15
.LBB170_25:                             ;   in Loop: Header=BB170_4 Depth=1
	s_mul_u64 s[44:45], s[16:17], s[28:29]
	v_lshl_add_u64 v[10:11], v[12:13], 4, s[36:37]
	v_lshl_add_u64 v[4:5], s[44:45], 4, v[14:15]
	s_delay_alu instid0(VALU_DEP_1)
	v_lshl_add_u64 v[4:5], s[20:21], 4, v[4:5]
	global_load_b128 v[22:25], v[10:11], off
	global_load_b128 v[26:29], v[4:5], off
	s_wait_loadcnt 0x0
	s_wait_xcnt 0x0
	v_mul_f64_e32 v[4:5], v[28:29], v[24:25]
	v_mul_f64_e32 v[10:11], v[26:27], v[24:25]
	s_delay_alu instid0(VALU_DEP_2) | instskip(NEXT) | instid1(VALU_DEP_2)
	v_fma_f64 v[4:5], v[26:27], v[22:23], -v[4:5]
	v_fmac_f64_e32 v[10:11], v[28:29], v[22:23]
	s_delay_alu instid0(VALU_DEP_2) | instskip(NEXT) | instid1(VALU_DEP_2)
	v_add_f64_e32 v[8:9], v[8:9], v[4:5]
	v_add_f64_e32 v[6:7], v[6:7], v[10:11]
	s_or_b32 exec_lo, exec_lo, s43
	s_and_saveexec_b32 s36, s1
	s_cbranch_execnz .LBB170_16
	s_branch .LBB170_17
.LBB170_26:                             ;   in Loop: Header=BB170_4 Depth=1
	ds_load_b128 v[8:11], v1
	s_or_b32 exec_lo, exec_lo, s36
	s_and_saveexec_b32 s36, s1
	s_cbranch_execz .LBB170_21
.LBB170_27:                             ;   in Loop: Header=BB170_4 Depth=1
	s_wait_dscnt 0x0
	ds_bpermute_b32 v4, v3, v8
	ds_bpermute_b32 v5, v3, v9
	ds_bpermute_b32 v6, v3, v10
	ds_bpermute_b32 v7, v3, v11
	s_wait_dscnt 0x2
	v_add_f64_e32 v[4:5], v[8:9], v[4:5]
	s_wait_dscnt 0x0
	v_add_f64_e32 v[6:7], v[10:11], v[6:7]
	ds_bpermute_b32 v8, v21, v4
	ds_bpermute_b32 v9, v21, v5
	ds_bpermute_b32 v10, v21, v6
	ds_bpermute_b32 v11, v21, v7
	s_wait_dscnt 0x2
	v_add_f64_e32 v[4:5], v[4:5], v[8:9]
	s_wait_dscnt 0x0
	v_add_f64_e32 v[6:7], v[6:7], v[10:11]
	;; [unrolled: 8-line block ×3, first 2 shown]
	s_or_b32 exec_lo, exec_lo, s36
                                        ; implicit-def: $vgpr6_vgpr7
	s_and_saveexec_b32 s36, s0
	s_cbranch_execz .LBB170_31
.LBB170_28:                             ;   in Loop: Header=BB170_4 Depth=1
	s_wait_dscnt 0x0
	s_delay_alu instid0(VALU_DEP_1) | instskip(SKIP_2) | instid1(VALU_DEP_2)
	v_mul_f64_e32 v[4:5], s[10:11], v[10:11]
	v_mul_f64_e32 v[6:7], s[8:9], v[10:11]
	s_and_not1_b32 vcc_lo, exec_lo, s38
	v_fma_f64 v[4:5], s[8:9], v[8:9], -v[4:5]
	s_delay_alu instid0(VALU_DEP_2)
	v_fmac_f64_e32 v[6:7], s[10:11], v[8:9]
	s_cbranch_vccnz .LBB170_30
; %bb.29:                               ;   in Loop: Header=BB170_4 Depth=1
	s_add_nc_u64 s[44:45], s[26:27], s[24:25]
	global_load_b128 v[8:11], v2, s[44:45]
	s_wait_loadcnt 0x0
	v_mul_f64_e32 v[22:23], s[30:31], v[10:11]
	v_mul_f64_e32 v[10:11], s[14:15], v[10:11]
	s_delay_alu instid0(VALU_DEP_2) | instskip(NEXT) | instid1(VALU_DEP_2)
	v_fma_f64 v[22:23], s[14:15], v[8:9], -v[22:23]
	v_fmac_f64_e32 v[10:11], s[30:31], v[8:9]
	s_delay_alu instid0(VALU_DEP_2) | instskip(NEXT) | instid1(VALU_DEP_2)
	v_add_f64_e32 v[4:5], v[4:5], v[22:23]
	v_add_f64_e32 v[6:7], v[6:7], v[10:11]
.LBB170_30:                             ;   in Loop: Header=BB170_4 Depth=1
	s_or_b32 s42, s42, exec_lo
.LBB170_31:                             ;   in Loop: Header=BB170_4 Depth=1
	s_wait_xcnt 0x0
	s_or_b32 exec_lo, exec_lo, s36
.LBB170_32:                             ;   in Loop: Header=BB170_4 Depth=1
	s_and_saveexec_b32 s36, s42
	s_cbranch_execz .LBB170_2
; %bb.33:                               ;   in Loop: Header=BB170_4 Depth=1
	s_add_nc_u64 s[26:27], s[26:27], s[24:25]
	global_store_b128 v2, v[4:7], s[26:27]
	s_branch .LBB170_2
.LBB170_34:
	s_endpgm
	.section	.rodata,"a",@progbits
	.p2align	6, 0x0
	.amdhsa_kernel _ZL32rocblas_gemvt_warp_reduce_kernelILb0ELi256Ei19rocblas_complex_numIdES1_S1_EviiT3_lPKT2_lT1_lS5_lS6_lS2_lPT4_lS6_li
		.amdhsa_group_segment_fixed_size 512
		.amdhsa_private_segment_fixed_size 0
		.amdhsa_kernarg_size 156
		.amdhsa_user_sgpr_count 2
		.amdhsa_user_sgpr_dispatch_ptr 0
		.amdhsa_user_sgpr_queue_ptr 0
		.amdhsa_user_sgpr_kernarg_segment_ptr 1
		.amdhsa_user_sgpr_dispatch_id 0
		.amdhsa_user_sgpr_kernarg_preload_length 0
		.amdhsa_user_sgpr_kernarg_preload_offset 0
		.amdhsa_user_sgpr_private_segment_size 0
		.amdhsa_wavefront_size32 1
		.amdhsa_uses_dynamic_stack 0
		.amdhsa_enable_private_segment 0
		.amdhsa_system_sgpr_workgroup_id_x 1
		.amdhsa_system_sgpr_workgroup_id_y 0
		.amdhsa_system_sgpr_workgroup_id_z 1
		.amdhsa_system_sgpr_workgroup_info 0
		.amdhsa_system_vgpr_workitem_id 0
		.amdhsa_next_free_vgpr 32
		.amdhsa_next_free_sgpr 48
		.amdhsa_named_barrier_count 0
		.amdhsa_reserve_vcc 1
		.amdhsa_float_round_mode_32 0
		.amdhsa_float_round_mode_16_64 0
		.amdhsa_float_denorm_mode_32 3
		.amdhsa_float_denorm_mode_16_64 3
		.amdhsa_fp16_overflow 0
		.amdhsa_memory_ordered 1
		.amdhsa_forward_progress 1
		.amdhsa_inst_pref_size 15
		.amdhsa_round_robin_scheduling 0
		.amdhsa_exception_fp_ieee_invalid_op 0
		.amdhsa_exception_fp_denorm_src 0
		.amdhsa_exception_fp_ieee_div_zero 0
		.amdhsa_exception_fp_ieee_overflow 0
		.amdhsa_exception_fp_ieee_underflow 0
		.amdhsa_exception_fp_ieee_inexact 0
		.amdhsa_exception_int_div_zero 0
	.end_amdhsa_kernel
	.section	.text._ZL32rocblas_gemvt_warp_reduce_kernelILb0ELi256Ei19rocblas_complex_numIdES1_S1_EviiT3_lPKT2_lT1_lS5_lS6_lS2_lPT4_lS6_li,"axG",@progbits,_ZL32rocblas_gemvt_warp_reduce_kernelILb0ELi256Ei19rocblas_complex_numIdES1_S1_EviiT3_lPKT2_lT1_lS5_lS6_lS2_lPT4_lS6_li,comdat
.Lfunc_end170:
	.size	_ZL32rocblas_gemvt_warp_reduce_kernelILb0ELi256Ei19rocblas_complex_numIdES1_S1_EviiT3_lPKT2_lT1_lS5_lS6_lS2_lPT4_lS6_li, .Lfunc_end170-_ZL32rocblas_gemvt_warp_reduce_kernelILb0ELi256Ei19rocblas_complex_numIdES1_S1_EviiT3_lPKT2_lT1_lS5_lS6_lS2_lPT4_lS6_li
                                        ; -- End function
	.set _ZL32rocblas_gemvt_warp_reduce_kernelILb0ELi256Ei19rocblas_complex_numIdES1_S1_EviiT3_lPKT2_lT1_lS5_lS6_lS2_lPT4_lS6_li.num_vgpr, 32
	.set _ZL32rocblas_gemvt_warp_reduce_kernelILb0ELi256Ei19rocblas_complex_numIdES1_S1_EviiT3_lPKT2_lT1_lS5_lS6_lS2_lPT4_lS6_li.num_agpr, 0
	.set _ZL32rocblas_gemvt_warp_reduce_kernelILb0ELi256Ei19rocblas_complex_numIdES1_S1_EviiT3_lPKT2_lT1_lS5_lS6_lS2_lPT4_lS6_li.numbered_sgpr, 48
	.set _ZL32rocblas_gemvt_warp_reduce_kernelILb0ELi256Ei19rocblas_complex_numIdES1_S1_EviiT3_lPKT2_lT1_lS5_lS6_lS2_lPT4_lS6_li.num_named_barrier, 0
	.set _ZL32rocblas_gemvt_warp_reduce_kernelILb0ELi256Ei19rocblas_complex_numIdES1_S1_EviiT3_lPKT2_lT1_lS5_lS6_lS2_lPT4_lS6_li.private_seg_size, 0
	.set _ZL32rocblas_gemvt_warp_reduce_kernelILb0ELi256Ei19rocblas_complex_numIdES1_S1_EviiT3_lPKT2_lT1_lS5_lS6_lS2_lPT4_lS6_li.uses_vcc, 1
	.set _ZL32rocblas_gemvt_warp_reduce_kernelILb0ELi256Ei19rocblas_complex_numIdES1_S1_EviiT3_lPKT2_lT1_lS5_lS6_lS2_lPT4_lS6_li.uses_flat_scratch, 0
	.set _ZL32rocblas_gemvt_warp_reduce_kernelILb0ELi256Ei19rocblas_complex_numIdES1_S1_EviiT3_lPKT2_lT1_lS5_lS6_lS2_lPT4_lS6_li.has_dyn_sized_stack, 0
	.set _ZL32rocblas_gemvt_warp_reduce_kernelILb0ELi256Ei19rocblas_complex_numIdES1_S1_EviiT3_lPKT2_lT1_lS5_lS6_lS2_lPT4_lS6_li.has_recursion, 0
	.set _ZL32rocblas_gemvt_warp_reduce_kernelILb0ELi256Ei19rocblas_complex_numIdES1_S1_EviiT3_lPKT2_lT1_lS5_lS6_lS2_lPT4_lS6_li.has_indirect_call, 0
	.section	.AMDGPU.csdata,"",@progbits
; Kernel info:
; codeLenInByte = 1800
; TotalNumSgprs: 50
; NumVgprs: 32
; ScratchSize: 0
; MemoryBound: 0
; FloatMode: 240
; IeeeMode: 1
; LDSByteSize: 512 bytes/workgroup (compile time only)
; SGPRBlocks: 0
; VGPRBlocks: 1
; NumSGPRsForWavesPerEU: 50
; NumVGPRsForWavesPerEU: 32
; NamedBarCnt: 0
; Occupancy: 16
; WaveLimiterHint : 1
; COMPUTE_PGM_RSRC2:SCRATCH_EN: 0
; COMPUTE_PGM_RSRC2:USER_SGPR: 2
; COMPUTE_PGM_RSRC2:TRAP_HANDLER: 0
; COMPUTE_PGM_RSRC2:TGID_X_EN: 1
; COMPUTE_PGM_RSRC2:TGID_Y_EN: 0
; COMPUTE_PGM_RSRC2:TGID_Z_EN: 1
; COMPUTE_PGM_RSRC2:TIDIG_COMP_CNT: 0
	.section	.text._ZL32rocblas_gemvt_warp_reduce_kernelILb0ELi256El19rocblas_complex_numIdES1_S1_EviiT3_lPKT2_lT1_lS5_lS6_lS2_lPT4_lS6_li,"axG",@progbits,_ZL32rocblas_gemvt_warp_reduce_kernelILb0ELi256El19rocblas_complex_numIdES1_S1_EviiT3_lPKT2_lT1_lS5_lS6_lS2_lPT4_lS6_li,comdat
	.globl	_ZL32rocblas_gemvt_warp_reduce_kernelILb0ELi256El19rocblas_complex_numIdES1_S1_EviiT3_lPKT2_lT1_lS5_lS6_lS2_lPT4_lS6_li ; -- Begin function _ZL32rocblas_gemvt_warp_reduce_kernelILb0ELi256El19rocblas_complex_numIdES1_S1_EviiT3_lPKT2_lT1_lS5_lS6_lS2_lPT4_lS6_li
	.p2align	8
	.type	_ZL32rocblas_gemvt_warp_reduce_kernelILb0ELi256El19rocblas_complex_numIdES1_S1_EviiT3_lPKT2_lT1_lS5_lS6_lS2_lPT4_lS6_li,@function
_ZL32rocblas_gemvt_warp_reduce_kernelILb0ELi256El19rocblas_complex_numIdES1_S1_EviiT3_lPKT2_lT1_lS5_lS6_lS2_lPT4_lS6_li: ; @_ZL32rocblas_gemvt_warp_reduce_kernelILb0ELi256El19rocblas_complex_numIdES1_S1_EviiT3_lPKT2_lT1_lS5_lS6_lS2_lPT4_lS6_li
; %bb.0:
	s_load_b32 s33, s[0:1], 0x98
	s_bfe_u32 s2, ttmp6, 0x40014
	s_lshr_b32 s3, ttmp7, 16
	s_add_co_i32 s2, s2, 1
	s_bfe_u32 s5, ttmp6, 0x40008
	s_mul_i32 s4, s3, s2
	s_getreg_b32 s2, hwreg(HW_REG_IB_STS2, 6, 4)
	s_add_co_i32 s5, s5, s4
	s_cmp_eq_u32 s2, 0
	s_mov_b32 s35, 0
	s_cselect_b32 s34, s3, s5
	s_wait_kmcnt 0x0
	s_cmp_ge_u32 s34, s33
	s_cbranch_scc1 .LBB171_34
; %bb.1:
	s_clause 0x4
	s_load_b128 s[28:31], s[0:1], 0x8
	s_load_b128 s[36:39], s[0:1], 0x60
	s_load_b512 s[4:19], s[0:1], 0x20
	s_load_b256 s[20:27], s[0:1], 0x78
	s_load_b32 s43, s[0:1], 0x0
	s_wait_xcnt 0x0
	s_bfe_u32 s0, ttmp6, 0x4000c
	s_and_b32 s1, ttmp6, 15
	s_add_co_i32 s0, s0, 1
	v_mbcnt_lo_u32_b32 v21, -1, 0
	s_mul_i32 s0, ttmp9, s0
	v_and_b32_e32 v3, 31, v0
	s_add_co_i32 s44, s1, s0
	s_wait_kmcnt 0x0
	v_cmp_neq_f64_e64 s3, s[28:29], 0
	v_cmp_neq_f64_e64 s40, s[30:31], 0
	v_cmp_neq_f64_e64 s42, s[38:39], 0
	v_cmp_neq_f64_e64 s41, s[36:37], 0
	s_lshl_b64 s[0:1], s[14:15], 4
	s_lshl_b64 s[14:15], s[22:23], 4
	;; [unrolled: 1-line block ×3, first 2 shown]
	v_cmp_gt_i32_e32 vcc_lo, s43, v0
	v_mov_b32_e32 v2, 0
	s_add_nc_u64 s[12:13], s[12:13], s[0:1]
	s_add_nc_u64 s[0:1], s[4:5], s[22:23]
	;; [unrolled: 1-line block ×3, first 2 shown]
	s_or_b32 s45, s3, s40
	s_or_b32 s40, s41, s42
	s_xor_b32 s41, s45, -1
	s_cmp_eq_u32 s2, 0
	s_cselect_b32 s2, ttmp9, s44
	s_ashr_i32 s3, s43, 31
	v_cmp_neq_f64_e64 s44, s[36:37], 1.0
	s_lshr_b32 s3, s3, 24
	s_delay_alu instid0(SALU_CYCLE_1) | instskip(NEXT) | instid1(SALU_CYCLE_1)
	s_add_co_i32 s3, s43, s3
	s_and_b32 s6, s3, 0xffffff00
	s_delay_alu instid0(SALU_CYCLE_1) | instskip(SKIP_3) | instid1(VALU_DEP_1)
	v_dual_mov_b32 v1, v2 :: v_dual_bitop2_b32 v6, s6, v0 bitop3:0x54
	s_ashr_i32 s3, s2, 31
	s_ashr_i32 s7, s6, 31
	s_mul_u64 s[8:9], s[8:9], s[2:3]
	v_mul_u64_e32 v[4:5], s[16:17], v[0:1]
	v_dual_ashrrev_i32 v7, 31, v6 :: v_dual_cndmask_b32 v1, 0, v0, vcc_lo
	v_mov_b32_e32 v9, v2
	s_lshl_b64 s[8:9], s[8:9], 4
	s_mul_u64 s[24:25], s[24:25], s[2:3]
	s_delay_alu instid0(VALU_DEP_2)
	v_mul_u64_e32 v[12:13], s[16:17], v[6:7]
	v_lshlrev_b32_e32 v8, 4, v1
	v_cmp_gt_i32_e64 s2, s43, v6
	v_lshlrev_b32_e32 v1, 4, v3
	v_cmp_gt_u32_e64 s3, 32, v0
	s_lshl_b64 s[16:17], s[16:17], 12
	v_add_nc_u64_e32 v[10:11], s[0:1], v[8:9]
	v_cmp_eq_u32_e64 s0, 0, v0
	v_cmp_gt_i32_e64 s1, s6, v0
	s_delay_alu instid0(VALU_DEP_3)
	v_add_nc_u64_e32 v[14:15], s[8:9], v[10:11]
	s_add_nc_u64 s[8:9], s[8:9], s[22:23]
	v_lshrrev_b32_e32 v10, 1, v0
	s_add_nc_u64 s[4:5], s[4:5], s[8:9]
	s_or_b32 s20, s45, s44
	v_add_nc_u64_e32 v[6:7], s[4:5], v[8:9]
	v_cmp_eq_u32_e64 s4, 0, v3
	v_and_b32_e32 v20, 0x70, v10
	v_cmp_gt_u32_e64 s5, 8, v0
	s_lshl_b64 s[8:9], s[18:19], 4
	s_or_b32 s42, s20, s42
	s_lshl_b64 s[20:21], s[10:11], 4
	v_add_nc_u64_e32 v[18:19], 8, v[6:7]
	v_lshl_add_u64 v[4:5], v[4:5], 4, s[12:13]
	s_lshl_b64 s[22:23], s[24:25], 4
	s_delay_alu instid0(VALU_DEP_1)
	v_add_nc_u64_e32 v[16:17], 8, v[4:5]
	s_branch .LBB171_4
.LBB171_2:                              ;   in Loop: Header=BB171_4 Depth=1
	s_wait_xcnt 0x0
	s_or_b32 exec_lo, exec_lo, s44
.LBB171_3:                              ;   in Loop: Header=BB171_4 Depth=1
	s_add_co_i32 s34, s34, 0x10000
	s_delay_alu instid0(SALU_CYCLE_1)
	s_cmp_lt_u32 s34, s33
	s_cbranch_scc0 .LBB171_34
.LBB171_4:                              ; =>This Loop Header: Depth=1
                                        ;     Child Loop BB171_23 Depth 2
	s_and_not1_b32 vcc_lo, exec_lo, s42
	s_cbranch_vccnz .LBB171_3
; %bb.5:                                ;   in Loop: Header=BB171_4 Depth=1
	s_mul_u64 s[24:25], s[26:27], s[34:35]
	s_and_not1_b32 vcc_lo, exec_lo, s41
	s_lshl_b64 s[24:25], s[24:25], 4
	s_delay_alu instid0(SALU_CYCLE_1)
	s_add_nc_u64 s[24:25], s[14:15], s[24:25]
	s_cbranch_vccnz .LBB171_9
; %bb.6:                                ;   in Loop: Header=BB171_4 Depth=1
	s_mov_b32 s44, 0
	s_mov_b32 s43, 0
                                        ; implicit-def: $vgpr6_vgpr7
	s_and_saveexec_b32 s45, s0
	s_cbranch_execz .LBB171_10
; %bb.7:                                ;   in Loop: Header=BB171_4 Depth=1
	s_and_not1_b32 vcc_lo, exec_lo, s40
	s_cbranch_vccnz .LBB171_11
; %bb.8:                                ;   in Loop: Header=BB171_4 Depth=1
	s_add_nc_u64 s[46:47], s[24:25], s[22:23]
	s_wait_dscnt 0x0
	global_load_b128 v[8:11], v2, s[46:47]
	s_wait_loadcnt 0x0
	v_mul_f64_e32 v[4:5], s[38:39], v[10:11]
	v_mul_f64_e32 v[6:7], s[36:37], v[10:11]
	s_delay_alu instid0(VALU_DEP_2) | instskip(NEXT) | instid1(VALU_DEP_2)
	v_fma_f64 v[4:5], s[36:37], v[8:9], -v[4:5]
	v_fmac_f64_e32 v[6:7], s[38:39], v[8:9]
	s_branch .LBB171_12
.LBB171_9:                              ;   in Loop: Header=BB171_4 Depth=1
	s_mov_b32 s43, 0
                                        ; implicit-def: $vgpr6_vgpr7
	s_cbranch_execnz .LBB171_13
	s_branch .LBB171_32
.LBB171_10:                             ;   in Loop: Header=BB171_4 Depth=1
	s_or_b32 exec_lo, exec_lo, s45
	s_delay_alu instid0(SALU_CYCLE_1)
	s_and_b32 vcc_lo, exec_lo, s44
	s_cbranch_vccnz .LBB171_13
	s_branch .LBB171_32
.LBB171_11:                             ;   in Loop: Header=BB171_4 Depth=1
	v_mov_b64_e32 v[6:7], 0
	v_mov_b64_e32 v[4:5], 0
.LBB171_12:                             ;   in Loop: Header=BB171_4 Depth=1
	s_mov_b32 s43, exec_lo
	s_wait_xcnt 0x0
	s_or_b32 exec_lo, exec_lo, s45
	s_delay_alu instid0(SALU_CYCLE_1)
	s_and_b32 vcc_lo, exec_lo, s44
	s_cbranch_vccz .LBB171_32
.LBB171_13:                             ;   in Loop: Header=BB171_4 Depth=1
	v_mov_b64_e32 v[6:7], 0
	s_wait_dscnt 0x0
	v_mov_b64_e32 v[8:9], 0
	s_and_saveexec_b32 s44, s1
	s_cbranch_execnz .LBB171_22
; %bb.14:                               ;   in Loop: Header=BB171_4 Depth=1
	s_or_b32 exec_lo, exec_lo, s44
	s_and_saveexec_b32 s44, s2
	s_cbranch_execnz .LBB171_25
.LBB171_15:                             ;   in Loop: Header=BB171_4 Depth=1
	s_or_b32 exec_lo, exec_lo, s44
	s_and_saveexec_b32 s44, s3
.LBB171_16:                             ;   in Loop: Header=BB171_4 Depth=1
	v_dual_mov_b32 v3, v2 :: v_dual_mov_b32 v4, v2
	v_mov_b32_e32 v5, v2
	ds_store_b128 v1, v[2:5]
.LBB171_17:                             ;   in Loop: Header=BB171_4 Depth=1
	s_or_b32 exec_lo, exec_lo, s44
	v_lshl_or_b32 v3, v21, 2, 64
	v_cmp_gt_u32_e32 vcc_lo, 24, v21
	s_wait_dscnt 0x0
	s_barrier_signal -1
	s_barrier_wait -1
	ds_bpermute_b32 v4, v3, v8
	ds_bpermute_b32 v5, v3, v9
	;; [unrolled: 1-line block ×4, first 2 shown]
	v_cndmask_b32_e64 v3, 0, 8, vcc_lo
	v_cmp_gt_u32_e32 vcc_lo, 28, v21
	s_wait_dscnt 0x0
	s_delay_alu instid0(VALU_DEP_2)
	v_add_lshl_u32 v3, v3, v21, 2
	v_add_f64_e32 v[4:5], v[8:9], v[4:5]
	v_add_f64_e32 v[6:7], v[6:7], v[10:11]
	ds_bpermute_b32 v8, v3, v4
	ds_bpermute_b32 v9, v3, v5
	;; [unrolled: 1-line block ×4, first 2 shown]
	v_cndmask_b32_e64 v3, 0, 4, vcc_lo
	v_cmp_gt_u32_e32 vcc_lo, 30, v21
	s_delay_alu instid0(VALU_DEP_2)
	v_add_lshl_u32 v3, v3, v21, 2
	s_wait_dscnt 0x2
	v_add_f64_e32 v[4:5], v[4:5], v[8:9]
	ds_bpermute_b32 v8, v3, v4
	ds_bpermute_b32 v9, v3, v5
	s_wait_dscnt 0x0
	v_add_f64_e32 v[4:5], v[4:5], v[8:9]
	v_cndmask_b32_e64 v8, 0, 2, vcc_lo
	v_cmp_ne_u32_e32 vcc_lo, 31, v21
	s_delay_alu instid0(VALU_DEP_2)
	v_add_lshl_u32 v22, v8, v21, 2
	ds_bpermute_b32 v8, v22, v4
	ds_bpermute_b32 v9, v22, v5
	s_wait_dscnt 0x0
	v_add_f64_e32 v[4:5], v[4:5], v[8:9]
	v_add_co_ci_u32_e64 v8, null, 0, v21, vcc_lo
	s_delay_alu instid0(VALU_DEP_1)
	v_dual_add_f64 v[6:7], v[6:7], v[10:11] :: v_dual_lshlrev_b32 v23, 2, v8
	ds_bpermute_b32 v8, v23, v4
	ds_bpermute_b32 v9, v23, v5
	;; [unrolled: 1-line block ×4, first 2 shown]
	s_wait_dscnt 0x0
	v_add_f64_e32 v[6:7], v[6:7], v[10:11]
	ds_bpermute_b32 v10, v22, v6
	ds_bpermute_b32 v11, v22, v7
	s_wait_dscnt 0x0
	v_add_f64_e32 v[6:7], v[6:7], v[10:11]
	ds_bpermute_b32 v10, v23, v6
	ds_bpermute_b32 v11, v23, v7
	s_and_saveexec_b32 s44, s4
	s_cbranch_execz .LBB171_19
; %bb.18:                               ;   in Loop: Header=BB171_4 Depth=1
	s_wait_dscnt 0x0
	v_add_f64_e32 v[6:7], v[6:7], v[10:11]
	v_add_f64_e32 v[4:5], v[4:5], v[8:9]
	ds_store_b128 v20, v[4:7]
.LBB171_19:                             ;   in Loop: Header=BB171_4 Depth=1
	s_or_b32 exec_lo, exec_lo, s44
	s_wait_dscnt 0x0
	v_mov_b64_e32 v[10:11], 0
	v_mov_b64_e32 v[8:9], 0
	s_barrier_signal -1
	s_barrier_wait -1
	s_and_saveexec_b32 s44, s5
	s_cbranch_execnz .LBB171_26
; %bb.20:                               ;   in Loop: Header=BB171_4 Depth=1
	s_or_b32 exec_lo, exec_lo, s44
	s_and_saveexec_b32 s44, s3
	s_cbranch_execnz .LBB171_27
.LBB171_21:                             ;   in Loop: Header=BB171_4 Depth=1
	s_or_b32 exec_lo, exec_lo, s44
                                        ; implicit-def: $vgpr6_vgpr7
	s_and_saveexec_b32 s44, s0
	s_cbranch_execnz .LBB171_28
	s_branch .LBB171_31
.LBB171_22:                             ;   in Loop: Header=BB171_4 Depth=1
	v_mad_nc_u64_u32 v[4:5], s8, s34, v[16:17]
	v_mad_nc_u64_u32 v[10:11], s20, s34, v[18:19]
	v_mov_b64_e32 v[6:7], 0
	v_mov_b64_e32 v[8:9], 0
	v_mov_b32_e32 v3, v0
	s_mov_b32 s45, 0
	v_mad_u32 v5, s9, s34, v5
	v_mad_u32 v11, s21, s34, v11
.LBB171_23:                             ;   Parent Loop BB171_4 Depth=1
                                        ; =>  This Inner Loop Header: Depth=2
	global_load_b128 v[22:25], v[10:11], off offset:-8
	global_load_b128 v[26:29], v[4:5], off offset:-8
	v_add_nc_u32_e32 v3, 0x100, v3
	s_wait_xcnt 0x0
	v_add_nc_u64_e32 v[4:5], s[16:17], v[4:5]
	v_add_nc_u64_e32 v[10:11], 0x1000, v[10:11]
	s_delay_alu instid0(VALU_DEP_3) | instskip(SKIP_4) | instid1(VALU_DEP_2)
	v_cmp_le_i32_e32 vcc_lo, s6, v3
	s_or_b32 s45, vcc_lo, s45
	s_wait_loadcnt 0x0
	v_mul_f64_e32 v[30:31], v[24:25], v[28:29]
	v_mul_f64_e32 v[28:29], v[22:23], v[28:29]
	v_fma_f64 v[22:23], v[22:23], v[26:27], -v[30:31]
	s_delay_alu instid0(VALU_DEP_2) | instskip(NEXT) | instid1(VALU_DEP_2)
	v_fmac_f64_e32 v[28:29], v[24:25], v[26:27]
	v_add_f64_e32 v[8:9], v[8:9], v[22:23]
	s_delay_alu instid0(VALU_DEP_2)
	v_add_f64_e32 v[6:7], v[6:7], v[28:29]
	s_and_not1_b32 exec_lo, exec_lo, s45
	s_cbranch_execnz .LBB171_23
; %bb.24:                               ;   in Loop: Header=BB171_4 Depth=1
	s_or_b32 exec_lo, exec_lo, s45
	s_delay_alu instid0(SALU_CYCLE_1)
	s_or_b32 exec_lo, exec_lo, s44
	s_and_saveexec_b32 s44, s2
	s_cbranch_execz .LBB171_15
.LBB171_25:                             ;   in Loop: Header=BB171_4 Depth=1
	s_mul_u64 s[46:47], s[10:11], s[34:35]
	s_mul_u64 s[48:49], s[18:19], s[34:35]
	v_lshl_add_u64 v[4:5], s[46:47], 4, v[14:15]
	s_lshl_b64 s[46:47], s[48:49], 4
	s_delay_alu instid0(SALU_CYCLE_1) | instskip(NEXT) | instid1(SALU_CYCLE_1)
	s_add_nc_u64 s[46:47], s[12:13], s[46:47]
	v_lshl_add_u64 v[10:11], v[12:13], 4, s[46:47]
	s_delay_alu instid0(VALU_DEP_2)
	v_lshl_add_u64 v[4:5], s[6:7], 4, v[4:5]
	global_load_b128 v[22:25], v[10:11], off
	global_load_b128 v[26:29], v[4:5], off
	s_wait_loadcnt 0x0
	s_wait_xcnt 0x0
	v_mul_f64_e32 v[4:5], v[28:29], v[24:25]
	v_mul_f64_e32 v[10:11], v[26:27], v[24:25]
	s_delay_alu instid0(VALU_DEP_2) | instskip(NEXT) | instid1(VALU_DEP_2)
	v_fma_f64 v[4:5], v[26:27], v[22:23], -v[4:5]
	v_fmac_f64_e32 v[10:11], v[28:29], v[22:23]
	s_delay_alu instid0(VALU_DEP_2) | instskip(NEXT) | instid1(VALU_DEP_2)
	v_add_f64_e32 v[8:9], v[8:9], v[4:5]
	v_add_f64_e32 v[6:7], v[6:7], v[10:11]
	s_or_b32 exec_lo, exec_lo, s44
	s_and_saveexec_b32 s44, s3
	s_cbranch_execnz .LBB171_16
	s_branch .LBB171_17
.LBB171_26:                             ;   in Loop: Header=BB171_4 Depth=1
	ds_load_b128 v[8:11], v1
	s_or_b32 exec_lo, exec_lo, s44
	s_and_saveexec_b32 s44, s3
	s_cbranch_execz .LBB171_21
.LBB171_27:                             ;   in Loop: Header=BB171_4 Depth=1
	s_wait_dscnt 0x0
	ds_bpermute_b32 v4, v3, v8
	ds_bpermute_b32 v5, v3, v9
	ds_bpermute_b32 v6, v3, v10
	ds_bpermute_b32 v7, v3, v11
	s_wait_dscnt 0x2
	v_add_f64_e32 v[4:5], v[8:9], v[4:5]
	s_wait_dscnt 0x0
	v_add_f64_e32 v[6:7], v[10:11], v[6:7]
	ds_bpermute_b32 v8, v22, v4
	ds_bpermute_b32 v9, v22, v5
	ds_bpermute_b32 v10, v22, v6
	ds_bpermute_b32 v11, v22, v7
	s_wait_dscnt 0x2
	v_add_f64_e32 v[4:5], v[4:5], v[8:9]
	s_wait_dscnt 0x0
	v_add_f64_e32 v[6:7], v[6:7], v[10:11]
	;; [unrolled: 8-line block ×3, first 2 shown]
	s_or_b32 exec_lo, exec_lo, s44
                                        ; implicit-def: $vgpr6_vgpr7
	s_and_saveexec_b32 s44, s0
	s_cbranch_execz .LBB171_31
.LBB171_28:                             ;   in Loop: Header=BB171_4 Depth=1
	s_wait_dscnt 0x0
	s_delay_alu instid0(VALU_DEP_1) | instskip(SKIP_2) | instid1(VALU_DEP_2)
	v_mul_f64_e32 v[4:5], s[30:31], v[10:11]
	v_mul_f64_e32 v[6:7], s[28:29], v[10:11]
	s_and_not1_b32 vcc_lo, exec_lo, s40
	v_fma_f64 v[4:5], s[28:29], v[8:9], -v[4:5]
	s_delay_alu instid0(VALU_DEP_2)
	v_fmac_f64_e32 v[6:7], s[30:31], v[8:9]
	s_cbranch_vccnz .LBB171_30
; %bb.29:                               ;   in Loop: Header=BB171_4 Depth=1
	s_add_nc_u64 s[46:47], s[24:25], s[22:23]
	global_load_b128 v[8:11], v2, s[46:47]
	s_wait_loadcnt 0x0
	v_mul_f64_e32 v[22:23], s[38:39], v[10:11]
	v_mul_f64_e32 v[10:11], s[36:37], v[10:11]
	s_delay_alu instid0(VALU_DEP_2) | instskip(NEXT) | instid1(VALU_DEP_2)
	v_fma_f64 v[22:23], s[36:37], v[8:9], -v[22:23]
	v_fmac_f64_e32 v[10:11], s[38:39], v[8:9]
	s_delay_alu instid0(VALU_DEP_2) | instskip(NEXT) | instid1(VALU_DEP_2)
	v_add_f64_e32 v[4:5], v[4:5], v[22:23]
	v_add_f64_e32 v[6:7], v[6:7], v[10:11]
.LBB171_30:                             ;   in Loop: Header=BB171_4 Depth=1
	s_or_b32 s43, s43, exec_lo
.LBB171_31:                             ;   in Loop: Header=BB171_4 Depth=1
	s_wait_xcnt 0x0
	s_or_b32 exec_lo, exec_lo, s44
.LBB171_32:                             ;   in Loop: Header=BB171_4 Depth=1
	s_and_saveexec_b32 s44, s43
	s_cbranch_execz .LBB171_2
; %bb.33:                               ;   in Loop: Header=BB171_4 Depth=1
	s_add_nc_u64 s[24:25], s[24:25], s[22:23]
	global_store_b128 v2, v[4:7], s[24:25]
	s_branch .LBB171_2
.LBB171_34:
	s_endpgm
	.section	.rodata,"a",@progbits
	.p2align	6, 0x0
	.amdhsa_kernel _ZL32rocblas_gemvt_warp_reduce_kernelILb0ELi256El19rocblas_complex_numIdES1_S1_EviiT3_lPKT2_lT1_lS5_lS6_lS2_lPT4_lS6_li
		.amdhsa_group_segment_fixed_size 512
		.amdhsa_private_segment_fixed_size 0
		.amdhsa_kernarg_size 156
		.amdhsa_user_sgpr_count 2
		.amdhsa_user_sgpr_dispatch_ptr 0
		.amdhsa_user_sgpr_queue_ptr 0
		.amdhsa_user_sgpr_kernarg_segment_ptr 1
		.amdhsa_user_sgpr_dispatch_id 0
		.amdhsa_user_sgpr_kernarg_preload_length 0
		.amdhsa_user_sgpr_kernarg_preload_offset 0
		.amdhsa_user_sgpr_private_segment_size 0
		.amdhsa_wavefront_size32 1
		.amdhsa_uses_dynamic_stack 0
		.amdhsa_enable_private_segment 0
		.amdhsa_system_sgpr_workgroup_id_x 1
		.amdhsa_system_sgpr_workgroup_id_y 0
		.amdhsa_system_sgpr_workgroup_id_z 1
		.amdhsa_system_sgpr_workgroup_info 0
		.amdhsa_system_vgpr_workitem_id 0
		.amdhsa_next_free_vgpr 32
		.amdhsa_next_free_sgpr 50
		.amdhsa_named_barrier_count 0
		.amdhsa_reserve_vcc 1
		.amdhsa_float_round_mode_32 0
		.amdhsa_float_round_mode_16_64 0
		.amdhsa_float_denorm_mode_32 3
		.amdhsa_float_denorm_mode_16_64 3
		.amdhsa_fp16_overflow 0
		.amdhsa_memory_ordered 1
		.amdhsa_forward_progress 1
		.amdhsa_inst_pref_size 14
		.amdhsa_round_robin_scheduling 0
		.amdhsa_exception_fp_ieee_invalid_op 0
		.amdhsa_exception_fp_denorm_src 0
		.amdhsa_exception_fp_ieee_div_zero 0
		.amdhsa_exception_fp_ieee_overflow 0
		.amdhsa_exception_fp_ieee_underflow 0
		.amdhsa_exception_fp_ieee_inexact 0
		.amdhsa_exception_int_div_zero 0
	.end_amdhsa_kernel
	.section	.text._ZL32rocblas_gemvt_warp_reduce_kernelILb0ELi256El19rocblas_complex_numIdES1_S1_EviiT3_lPKT2_lT1_lS5_lS6_lS2_lPT4_lS6_li,"axG",@progbits,_ZL32rocblas_gemvt_warp_reduce_kernelILb0ELi256El19rocblas_complex_numIdES1_S1_EviiT3_lPKT2_lT1_lS5_lS6_lS2_lPT4_lS6_li,comdat
.Lfunc_end171:
	.size	_ZL32rocblas_gemvt_warp_reduce_kernelILb0ELi256El19rocblas_complex_numIdES1_S1_EviiT3_lPKT2_lT1_lS5_lS6_lS2_lPT4_lS6_li, .Lfunc_end171-_ZL32rocblas_gemvt_warp_reduce_kernelILb0ELi256El19rocblas_complex_numIdES1_S1_EviiT3_lPKT2_lT1_lS5_lS6_lS2_lPT4_lS6_li
                                        ; -- End function
	.set _ZL32rocblas_gemvt_warp_reduce_kernelILb0ELi256El19rocblas_complex_numIdES1_S1_EviiT3_lPKT2_lT1_lS5_lS6_lS2_lPT4_lS6_li.num_vgpr, 32
	.set _ZL32rocblas_gemvt_warp_reduce_kernelILb0ELi256El19rocblas_complex_numIdES1_S1_EviiT3_lPKT2_lT1_lS5_lS6_lS2_lPT4_lS6_li.num_agpr, 0
	.set _ZL32rocblas_gemvt_warp_reduce_kernelILb0ELi256El19rocblas_complex_numIdES1_S1_EviiT3_lPKT2_lT1_lS5_lS6_lS2_lPT4_lS6_li.numbered_sgpr, 50
	.set _ZL32rocblas_gemvt_warp_reduce_kernelILb0ELi256El19rocblas_complex_numIdES1_S1_EviiT3_lPKT2_lT1_lS5_lS6_lS2_lPT4_lS6_li.num_named_barrier, 0
	.set _ZL32rocblas_gemvt_warp_reduce_kernelILb0ELi256El19rocblas_complex_numIdES1_S1_EviiT3_lPKT2_lT1_lS5_lS6_lS2_lPT4_lS6_li.private_seg_size, 0
	.set _ZL32rocblas_gemvt_warp_reduce_kernelILb0ELi256El19rocblas_complex_numIdES1_S1_EviiT3_lPKT2_lT1_lS5_lS6_lS2_lPT4_lS6_li.uses_vcc, 1
	.set _ZL32rocblas_gemvt_warp_reduce_kernelILb0ELi256El19rocblas_complex_numIdES1_S1_EviiT3_lPKT2_lT1_lS5_lS6_lS2_lPT4_lS6_li.uses_flat_scratch, 0
	.set _ZL32rocblas_gemvt_warp_reduce_kernelILb0ELi256El19rocblas_complex_numIdES1_S1_EviiT3_lPKT2_lT1_lS5_lS6_lS2_lPT4_lS6_li.has_dyn_sized_stack, 0
	.set _ZL32rocblas_gemvt_warp_reduce_kernelILb0ELi256El19rocblas_complex_numIdES1_S1_EviiT3_lPKT2_lT1_lS5_lS6_lS2_lPT4_lS6_li.has_recursion, 0
	.set _ZL32rocblas_gemvt_warp_reduce_kernelILb0ELi256El19rocblas_complex_numIdES1_S1_EviiT3_lPKT2_lT1_lS5_lS6_lS2_lPT4_lS6_li.has_indirect_call, 0
	.section	.AMDGPU.csdata,"",@progbits
; Kernel info:
; codeLenInByte = 1788
; TotalNumSgprs: 52
; NumVgprs: 32
; ScratchSize: 0
; MemoryBound: 0
; FloatMode: 240
; IeeeMode: 1
; LDSByteSize: 512 bytes/workgroup (compile time only)
; SGPRBlocks: 0
; VGPRBlocks: 1
; NumSGPRsForWavesPerEU: 52
; NumVGPRsForWavesPerEU: 32
; NamedBarCnt: 0
; Occupancy: 16
; WaveLimiterHint : 1
; COMPUTE_PGM_RSRC2:SCRATCH_EN: 0
; COMPUTE_PGM_RSRC2:USER_SGPR: 2
; COMPUTE_PGM_RSRC2:TRAP_HANDLER: 0
; COMPUTE_PGM_RSRC2:TGID_X_EN: 1
; COMPUTE_PGM_RSRC2:TGID_Y_EN: 0
; COMPUTE_PGM_RSRC2:TGID_Z_EN: 1
; COMPUTE_PGM_RSRC2:TIDIG_COMP_CNT: 0
	.section	.text._ZL20rocblas_gemvt_kernelILb0ELi256E19rocblas_complex_numIdEPKS1_S1_EviiT2_lPKT1_lilS7_lilS4_lPT3_lili,"axG",@progbits,_ZL20rocblas_gemvt_kernelILb0ELi256E19rocblas_complex_numIdEPKS1_S1_EviiT2_lPKT1_lilS7_lilS4_lPT3_lili,comdat
	.globl	_ZL20rocblas_gemvt_kernelILb0ELi256E19rocblas_complex_numIdEPKS1_S1_EviiT2_lPKT1_lilS7_lilS4_lPT3_lili ; -- Begin function _ZL20rocblas_gemvt_kernelILb0ELi256E19rocblas_complex_numIdEPKS1_S1_EviiT2_lPKT1_lilS7_lilS4_lPT3_lili
	.p2align	8
	.type	_ZL20rocblas_gemvt_kernelILb0ELi256E19rocblas_complex_numIdEPKS1_S1_EviiT2_lPKT1_lilS7_lilS4_lPT3_lili,@function
_ZL20rocblas_gemvt_kernelILb0ELi256E19rocblas_complex_numIdEPKS1_S1_EviiT2_lPKT1_lilS7_lilS4_lPT3_lili: ; @_ZL20rocblas_gemvt_kernelILb0ELi256E19rocblas_complex_numIdEPKS1_S1_EviiT2_lPKT1_lilS7_lilS4_lPT3_lili
; %bb.0:
	s_load_b32 s33, s[0:1], 0x88
	s_bfe_u32 s2, ttmp6, 0x40014
	s_lshr_b32 s3, ttmp7, 16
	s_add_co_i32 s2, s2, 1
	s_bfe_u32 s4, ttmp6, 0x40008
	s_mul_i32 s2, s3, s2
	s_getreg_b32 s7, hwreg(HW_REG_IB_STS2, 6, 4)
	s_add_co_i32 s4, s4, s2
	s_cmp_eq_u32 s7, 0
	s_mov_b32 s35, 0
	s_cselect_b32 s34, s3, s4
	s_wait_kmcnt 0x0
	s_cmp_ge_u32 s34, s33
	s_cbranch_scc1 .LBB172_43
; %bb.1:
	s_clause 0x6
	s_load_b32 s2, s[0:1], 0x28
	s_load_b96 s[4:6], s[0:1], 0x40
	s_load_b96 s[8:10], s[0:1], 0x70
	s_load_b256 s[12:19], s[0:1], 0x8
	s_load_b32 s45, s[0:1], 0x0
	s_load_b128 s[28:31], s[0:1], 0x30
	s_load_b256 s[20:27], s[0:1], 0x50
	s_bfe_u32 s3, ttmp6, 0x4000c
	s_load_b64 s[36:37], s[0:1], 0x80
	s_add_co_i32 s3, s3, 1
	s_wait_xcnt 0x0
	s_and_b32 s0, ttmp6, 15
	s_mul_i32 s1, ttmp9, s3
	v_lshlrev_b32_e32 v26, 4, v0
	s_add_co_i32 s11, s0, s1
	s_wait_kmcnt 0x0
	s_ashr_i32 s3, s2, 31
	s_ashr_i32 s39, s6, 31
	;; [unrolled: 1-line block ×3, first 2 shown]
	s_lshl_b64 s[0:1], s[4:5], 4
	s_lshl_b64 s[4:5], s[8:9], 4
	;; [unrolled: 1-line block ×3, first 2 shown]
	s_cmp_eq_u32 s7, 0
	s_mov_b32 s38, s6
	s_cselect_b32 s42, ttmp9, s11
	s_ashr_i32 s7, s45, 31
	v_cmp_gt_i32_e32 vcc_lo, s45, v0
	s_lshr_b32 s7, s7, 24
	s_ashr_i32 s43, s42, 31
	s_add_co_i32 s7, s45, s7
	s_mul_u64 s[2:3], s[2:3], s[42:43]
	s_and_b32 s18, s7, 0xffffff00
	s_delay_alu instid0(SALU_CYCLE_1) | instskip(SKIP_3) | instid1(VALU_DEP_1)
	v_dual_mov_b32 v13, 0 :: v_dual_bitop2_b32 v4, s18, v0 bitop3:0x54
	s_lshl_b64 s[2:3], s[2:3], 4
	s_add_nc_u64 s[26:27], s[26:27], s[4:5]
	s_add_nc_u64 s[4:5], s[2:3], s[8:9]
	v_dual_mov_b32 v1, v13 :: v_dual_ashrrev_i32 v5, 31, v4
	s_mov_b32 s40, s10
	s_add_nc_u64 s[10:11], s[30:31], s[0:1]
	s_add_nc_u64 s[0:1], s[16:17], s[8:9]
	s_delay_alu instid0(VALU_DEP_1)
	v_mul_u64_e32 v[2:3], s[38:39], v[0:1]
	v_mul_u64_e32 v[14:15], s[38:39], v[4:5]
	v_cndmask_b32_e32 v1, 0, v0, vcc_lo
	s_add_nc_u64 s[4:5], s[16:17], s[4:5]
	v_cmp_gt_u32_e64 s6, 8, v0
	v_cmp_gt_u32_e64 s7, 4, v0
	;; [unrolled: 1-line block ×3, first 2 shown]
	v_lshlrev_b32_e32 v12, 4, v1
	s_mul_u64 s[40:41], s[40:41], s[42:43]
	s_cmp_gt_i32 s45, 0xff
	s_cselect_b32 s44, -1, 0
	s_delay_alu instid0(VALU_DEP_1)
	v_add_nc_u64_e32 v[6:7], s[0:1], v[12:13]
	v_cmp_gt_i32_e64 s1, s45, v4
	v_add_nc_u64_e32 v[4:5], s[4:5], v[12:13]
	v_cmp_eq_u32_e64 s0, 0, v0
	v_cmp_gt_u32_e64 s4, 32, v0
	v_cmp_gt_u32_e64 s5, 16, v0
	s_ashr_i32 s19, s18, 31
	v_add_nc_u64_e32 v[16:17], s[2:3], v[6:7]
	v_cmp_gt_u32_e64 s2, 0x80, v0
	v_add_nc_u64_e32 v[18:19], 8, v[4:5]
	v_cmp_gt_u32_e64 s3, 64, v0
	s_lshl_b64 s[16:17], s[28:29], 4
	s_lshl_b64 s[30:31], s[20:21], 4
	;; [unrolled: 1-line block ×4, first 2 shown]
	v_lshl_add_u64 v[2:3], v[2:3], 4, s[10:11]
	s_delay_alu instid0(VALU_DEP_1)
	v_add_nc_u64_e32 v[20:21], 8, v[2:3]
	s_branch .LBB172_4
.LBB172_2:                              ;   in Loop: Header=BB172_4 Depth=1
	s_wait_xcnt 0x0
	s_or_b32 exec_lo, exec_lo, s9
.LBB172_3:                              ;   in Loop: Header=BB172_4 Depth=1
	s_add_co_i32 s34, s34, 0x10000
	s_delay_alu instid0(SALU_CYCLE_1)
	s_cmp_lt_u32 s34, s33
	s_cbranch_scc0 .LBB172_43
.LBB172_4:                              ; =>This Loop Header: Depth=1
                                        ;     Child Loop BB172_17 Depth 2
	s_mul_u64 s[42:43], s[14:15], s[34:35]
	s_delay_alu instid0(SALU_CYCLE_1) | instskip(NEXT) | instid1(SALU_CYCLE_1)
	s_lshl_b64 s[42:43], s[42:43], 4
	s_add_nc_u64 s[42:43], s[12:13], s[42:43]
	global_load_b128 v[4:7], v13, s[42:43]
	s_wait_xcnt 0x0
	s_mul_u64 s[42:43], s[24:25], s[34:35]
	s_delay_alu instid0(SALU_CYCLE_1) | instskip(NEXT) | instid1(SALU_CYCLE_1)
	s_lshl_b64 s[42:43], s[42:43], 4
	s_add_nc_u64 s[42:43], s[22:23], s[42:43]
	s_wait_loadcnt 0x1
	global_load_b128 v[0:3], v13, s[42:43]
	s_wait_loadcnt 0x1
	v_cmp_neq_f64_e32 vcc_lo, 0, v[4:5]
	v_cmp_neq_f64_e64 s9, 0, v[6:7]
	s_wait_xcnt 0x0
	s_or_b32 s42, vcc_lo, s9
	s_mov_b32 s9, -1
	s_and_b32 vcc_lo, exec_lo, s42
	s_cbranch_vccz .LBB172_6
; %bb.5:                                ;   in Loop: Header=BB172_4 Depth=1
	s_and_not1_b32 vcc_lo, exec_lo, s9
	s_cbranch_vccnz .LBB172_3
	s_branch .LBB172_7
.LBB172_6:                              ;   in Loop: Header=BB172_4 Depth=1
	s_wait_loadcnt 0x0
	v_cmp_neq_f64_e32 vcc_lo, 1.0, v[0:1]
	v_cmp_neq_f64_e64 s9, 0, v[2:3]
	s_or_b32 s9, vcc_lo, s9
	s_delay_alu instid0(SALU_CYCLE_1)
	s_and_not1_b32 vcc_lo, exec_lo, s9
	s_cbranch_vccnz .LBB172_3
.LBB172_7:                              ;   in Loop: Header=BB172_4 Depth=1
	s_xor_b32 s9, s42, -1
	s_mul_u64 s[42:43], s[36:37], s[34:35]
	s_and_not1_b32 vcc_lo, exec_lo, s9
	s_lshl_b64 s[42:43], s[42:43], 4
	s_delay_alu instid0(SALU_CYCLE_1)
	s_add_nc_u64 s[42:43], s[26:27], s[42:43]
	s_cbranch_vccnz .LBB172_11
; %bb.8:                                ;   in Loop: Header=BB172_4 Depth=1
	s_mov_b32 s46, 0
	s_mov_b32 s45, 0
                                        ; implicit-def: $vgpr10_vgpr11
	s_and_saveexec_b32 s47, s0
	s_cbranch_execz .LBB172_12
; %bb.9:                                ;   in Loop: Header=BB172_4 Depth=1
	s_wait_loadcnt 0x0
	v_cmp_neq_f64_e32 vcc_lo, 0, v[0:1]
	v_cmp_neq_f64_e64 s9, 0, v[2:3]
	s_or_b32 s9, vcc_lo, s9
	s_delay_alu instid0(SALU_CYCLE_1)
	s_and_not1_b32 vcc_lo, exec_lo, s9
	s_cbranch_vccnz .LBB172_13
; %bb.10:                               ;   in Loop: Header=BB172_4 Depth=1
	s_add_nc_u64 s[48:49], s[42:43], s[40:41]
	global_load_b128 v[22:25], v13, s[48:49]
	s_wait_loadcnt 0x0
	v_mul_f64_e32 v[8:9], v[2:3], v[24:25]
	v_mul_f64_e32 v[10:11], v[0:1], v[24:25]
	s_delay_alu instid0(VALU_DEP_2) | instskip(NEXT) | instid1(VALU_DEP_2)
	v_fma_f64 v[8:9], v[0:1], v[22:23], -v[8:9]
	v_fmac_f64_e32 v[10:11], v[2:3], v[22:23]
	s_branch .LBB172_14
.LBB172_11:                             ;   in Loop: Header=BB172_4 Depth=1
	s_mov_b32 s45, 0
                                        ; implicit-def: $vgpr10_vgpr11
	s_cbranch_execnz .LBB172_15
	s_branch .LBB172_41
.LBB172_12:                             ;   in Loop: Header=BB172_4 Depth=1
	s_or_b32 exec_lo, exec_lo, s47
	s_delay_alu instid0(SALU_CYCLE_1)
	s_and_b32 vcc_lo, exec_lo, s46
	s_cbranch_vccnz .LBB172_15
	s_branch .LBB172_41
.LBB172_13:                             ;   in Loop: Header=BB172_4 Depth=1
	v_mov_b64_e32 v[10:11], 0
	v_mov_b64_e32 v[8:9], 0
.LBB172_14:                             ;   in Loop: Header=BB172_4 Depth=1
	s_mov_b32 s45, exec_lo
	s_wait_xcnt 0x0
	s_or_b32 exec_lo, exec_lo, s47
	s_delay_alu instid0(SALU_CYCLE_1)
	s_and_b32 vcc_lo, exec_lo, s46
	s_cbranch_vccz .LBB172_41
.LBB172_15:                             ;   in Loop: Header=BB172_4 Depth=1
	v_mov_b64_e32 v[10:11], 0
	s_and_not1_b32 vcc_lo, exec_lo, s44
	s_delay_alu instid0(VALU_DEP_1)
	v_mov_b64_e32 v[8:9], v[10:11]
	s_cbranch_vccnz .LBB172_18
; %bb.16:                               ;   in Loop: Header=BB172_4 Depth=1
	v_mad_nc_u64_u32 v[22:23], s16, s34, v[18:19]
	v_mad_nc_u64_u32 v[24:25], s30, s34, v[20:21]
	v_mov_b64_e32 v[10:11], 0
	s_mov_b32 s9, 0
	s_delay_alu instid0(VALU_DEP_1) | instskip(NEXT) | instid1(VALU_DEP_4)
	v_mov_b64_e32 v[8:9], v[10:11]
	v_mad_u32 v23, s17, s34, v23
	s_delay_alu instid0(VALU_DEP_4)
	v_mad_u32 v25, s31, s34, v25
.LBB172_17:                             ;   Parent Loop BB172_4 Depth=1
                                        ; =>  This Inner Loop Header: Depth=2
	global_load_b128 v[28:31], v[22:23], off offset:-8
	global_load_b128 v[32:35], v[24:25], off offset:-8
	s_wait_xcnt 0x1
	v_add_nc_u64_e32 v[22:23], 0x1000, v[22:23]
	s_wait_xcnt 0x0
	v_add_nc_u64_e32 v[24:25], s[38:39], v[24:25]
	s_addk_co_i32 s9, 0x100
	s_delay_alu instid0(SALU_CYCLE_1) | instskip(SKIP_3) | instid1(VALU_DEP_2)
	s_cmp_ge_i32 s9, s18
	s_wait_loadcnt 0x0
	v_mul_f64_e32 v[36:37], v[30:31], v[34:35]
	v_mul_f64_e32 v[34:35], v[28:29], v[34:35]
	v_fma_f64 v[28:29], v[28:29], v[32:33], -v[36:37]
	s_delay_alu instid0(VALU_DEP_2) | instskip(NEXT) | instid1(VALU_DEP_2)
	v_fmac_f64_e32 v[34:35], v[30:31], v[32:33]
	v_add_f64_e32 v[8:9], v[8:9], v[28:29]
	s_delay_alu instid0(VALU_DEP_2)
	v_add_f64_e32 v[10:11], v[10:11], v[34:35]
	s_cbranch_scc0 .LBB172_17
.LBB172_18:                             ;   in Loop: Header=BB172_4 Depth=1
	s_and_saveexec_b32 s9, s1
	s_cbranch_execz .LBB172_20
; %bb.19:                               ;   in Loop: Header=BB172_4 Depth=1
	s_mul_u64 s[46:47], s[28:29], s[34:35]
	s_mul_u64 s[48:49], s[20:21], s[34:35]
	v_lshl_add_u64 v[22:23], s[46:47], 4, v[16:17]
	s_lshl_b64 s[46:47], s[48:49], 4
	s_delay_alu instid0(SALU_CYCLE_1) | instskip(NEXT) | instid1(SALU_CYCLE_1)
	s_add_nc_u64 s[46:47], s[10:11], s[46:47]
	v_lshl_add_u64 v[32:33], v[14:15], 4, s[46:47]
	s_delay_alu instid0(VALU_DEP_2)
	v_lshl_add_u64 v[34:35], s[18:19], 4, v[22:23]
	global_load_b128 v[22:25], v[32:33], off
	global_load_b128 v[28:31], v[34:35], off
	s_wait_loadcnt 0x0
	s_wait_xcnt 0x1
	v_mul_f64_e32 v[32:33], v[30:31], v[24:25]
	v_mul_f64_e32 v[24:25], v[28:29], v[24:25]
	s_delay_alu instid0(VALU_DEP_2) | instskip(NEXT) | instid1(VALU_DEP_2)
	v_fma_f64 v[28:29], v[28:29], v[22:23], -v[32:33]
	v_fmac_f64_e32 v[24:25], v[30:31], v[22:23]
	s_delay_alu instid0(VALU_DEP_2) | instskip(NEXT) | instid1(VALU_DEP_2)
	v_add_f64_e32 v[8:9], v[8:9], v[28:29]
	v_add_f64_e32 v[10:11], v[10:11], v[24:25]
.LBB172_20:                             ;   in Loop: Header=BB172_4 Depth=1
	s_wait_xcnt 0x0
	s_or_b32 exec_lo, exec_lo, s9
	ds_store_b128 v26, v[8:11]
	s_wait_loadcnt_dscnt 0x0
	s_barrier_signal -1
	s_barrier_wait -1
	s_and_saveexec_b32 s9, s2
	s_cbranch_execz .LBB172_22
; %bb.21:                               ;   in Loop: Header=BB172_4 Depth=1
	ds_load_b128 v[8:11], v26 offset:2048
	ds_load_b128 v[22:25], v26
	s_wait_dscnt 0x0
	v_add_f64_e32 v[8:9], v[8:9], v[22:23]
	v_add_f64_e32 v[10:11], v[10:11], v[24:25]
	ds_store_b128 v26, v[8:11]
.LBB172_22:                             ;   in Loop: Header=BB172_4 Depth=1
	s_or_b32 exec_lo, exec_lo, s9
	s_wait_dscnt 0x0
	s_barrier_signal -1
	s_barrier_wait -1
	s_and_saveexec_b32 s9, s3
	s_cbranch_execz .LBB172_24
; %bb.23:                               ;   in Loop: Header=BB172_4 Depth=1
	ds_load_b128 v[8:11], v26 offset:1024
	ds_load_b128 v[22:25], v26
	s_wait_dscnt 0x0
	v_add_f64_e32 v[8:9], v[8:9], v[22:23]
	v_add_f64_e32 v[10:11], v[10:11], v[24:25]
	ds_store_b128 v26, v[8:11]
.LBB172_24:                             ;   in Loop: Header=BB172_4 Depth=1
	s_or_b32 exec_lo, exec_lo, s9
	s_wait_dscnt 0x0
	;; [unrolled: 14-line block ×6, first 2 shown]
	s_barrier_signal -1
	s_barrier_wait -1
	s_and_saveexec_b32 s9, s8
	s_cbranch_execz .LBB172_34
; %bb.33:                               ;   in Loop: Header=BB172_4 Depth=1
	ds_load_b128 v[8:11], v26
	ds_load_b128 v[22:25], v26 offset:32
	s_wait_dscnt 0x0
	v_add_f64_e32 v[8:9], v[22:23], v[8:9]
	v_add_f64_e32 v[10:11], v[24:25], v[10:11]
	ds_store_b128 v26, v[8:11]
.LBB172_34:                             ;   in Loop: Header=BB172_4 Depth=1
	s_or_b32 exec_lo, exec_lo, s9
	s_wait_dscnt 0x0
	s_barrier_signal -1
	s_barrier_wait -1
	s_and_saveexec_b32 s9, s0
	s_cbranch_execz .LBB172_36
; %bb.35:                               ;   in Loop: Header=BB172_4 Depth=1
	ds_load_b128 v[8:11], v13
	ds_load_b128 v[22:25], v13 offset:16
	s_wait_dscnt 0x0
	v_add_f64_e32 v[8:9], v[22:23], v[8:9]
	v_add_f64_e32 v[10:11], v[24:25], v[10:11]
	ds_store_b128 v13, v[8:11]
.LBB172_36:                             ;   in Loop: Header=BB172_4 Depth=1
	s_or_b32 exec_lo, exec_lo, s9
	s_wait_dscnt 0x0
	s_barrier_signal -1
	s_barrier_wait -1
                                        ; implicit-def: $vgpr10_vgpr11
	s_and_saveexec_b32 s46, s0
	s_cbranch_execz .LBB172_40
; %bb.37:                               ;   in Loop: Header=BB172_4 Depth=1
	ds_load_b128 v[22:25], v13
	v_cmp_neq_f64_e32 vcc_lo, 0, v[0:1]
	v_cmp_neq_f64_e64 s9, 0, v[2:3]
	s_wait_dscnt 0x0
	v_mul_f64_e32 v[8:9], v[6:7], v[24:25]
	v_mul_f64_e32 v[10:11], v[4:5], v[24:25]
	s_or_b32 s9, vcc_lo, s9
	s_delay_alu instid0(SALU_CYCLE_1) | instskip(NEXT) | instid1(VALU_DEP_2)
	s_and_not1_b32 vcc_lo, exec_lo, s9
	v_fma_f64 v[8:9], v[4:5], v[22:23], -v[8:9]
	s_delay_alu instid0(VALU_DEP_2)
	v_fmac_f64_e32 v[10:11], v[6:7], v[22:23]
	s_cbranch_vccnz .LBB172_39
; %bb.38:                               ;   in Loop: Header=BB172_4 Depth=1
	s_add_nc_u64 s[48:49], s[42:43], s[40:41]
	global_load_b128 v[4:7], v13, s[48:49]
	s_wait_loadcnt 0x0
	v_mul_f64_e32 v[22:23], v[2:3], v[6:7]
	v_mul_f64_e32 v[6:7], v[0:1], v[6:7]
	s_delay_alu instid0(VALU_DEP_2) | instskip(NEXT) | instid1(VALU_DEP_2)
	v_fma_f64 v[0:1], v[0:1], v[4:5], -v[22:23]
	v_fmac_f64_e32 v[6:7], v[2:3], v[4:5]
	s_delay_alu instid0(VALU_DEP_2) | instskip(NEXT) | instid1(VALU_DEP_2)
	v_add_f64_e32 v[8:9], v[8:9], v[0:1]
	v_add_f64_e32 v[10:11], v[10:11], v[6:7]
.LBB172_39:                             ;   in Loop: Header=BB172_4 Depth=1
	s_or_b32 s45, s45, exec_lo
.LBB172_40:                             ;   in Loop: Header=BB172_4 Depth=1
	s_wait_xcnt 0x0
	s_or_b32 exec_lo, exec_lo, s46
.LBB172_41:                             ;   in Loop: Header=BB172_4 Depth=1
	s_and_saveexec_b32 s9, s45
	s_cbranch_execz .LBB172_2
; %bb.42:                               ;   in Loop: Header=BB172_4 Depth=1
	s_add_nc_u64 s[42:43], s[42:43], s[40:41]
	global_store_b128 v13, v[8:11], s[42:43]
	s_branch .LBB172_2
.LBB172_43:
	s_endpgm
	.section	.rodata,"a",@progbits
	.p2align	6, 0x0
	.amdhsa_kernel _ZL20rocblas_gemvt_kernelILb0ELi256E19rocblas_complex_numIdEPKS1_S1_EviiT2_lPKT1_lilS7_lilS4_lPT3_lili
		.amdhsa_group_segment_fixed_size 4096
		.amdhsa_private_segment_fixed_size 0
		.amdhsa_kernarg_size 140
		.amdhsa_user_sgpr_count 2
		.amdhsa_user_sgpr_dispatch_ptr 0
		.amdhsa_user_sgpr_queue_ptr 0
		.amdhsa_user_sgpr_kernarg_segment_ptr 1
		.amdhsa_user_sgpr_dispatch_id 0
		.amdhsa_user_sgpr_kernarg_preload_length 0
		.amdhsa_user_sgpr_kernarg_preload_offset 0
		.amdhsa_user_sgpr_private_segment_size 0
		.amdhsa_wavefront_size32 1
		.amdhsa_uses_dynamic_stack 0
		.amdhsa_enable_private_segment 0
		.amdhsa_system_sgpr_workgroup_id_x 1
		.amdhsa_system_sgpr_workgroup_id_y 0
		.amdhsa_system_sgpr_workgroup_id_z 1
		.amdhsa_system_sgpr_workgroup_info 0
		.amdhsa_system_vgpr_workitem_id 0
		.amdhsa_next_free_vgpr 38
		.amdhsa_next_free_sgpr 50
		.amdhsa_named_barrier_count 0
		.amdhsa_reserve_vcc 1
		.amdhsa_float_round_mode_32 0
		.amdhsa_float_round_mode_16_64 0
		.amdhsa_float_denorm_mode_32 3
		.amdhsa_float_denorm_mode_16_64 3
		.amdhsa_fp16_overflow 0
		.amdhsa_memory_ordered 1
		.amdhsa_forward_progress 1
		.amdhsa_inst_pref_size 15
		.amdhsa_round_robin_scheduling 0
		.amdhsa_exception_fp_ieee_invalid_op 0
		.amdhsa_exception_fp_denorm_src 0
		.amdhsa_exception_fp_ieee_div_zero 0
		.amdhsa_exception_fp_ieee_overflow 0
		.amdhsa_exception_fp_ieee_underflow 0
		.amdhsa_exception_fp_ieee_inexact 0
		.amdhsa_exception_int_div_zero 0
	.end_amdhsa_kernel
	.section	.text._ZL20rocblas_gemvt_kernelILb0ELi256E19rocblas_complex_numIdEPKS1_S1_EviiT2_lPKT1_lilS7_lilS4_lPT3_lili,"axG",@progbits,_ZL20rocblas_gemvt_kernelILb0ELi256E19rocblas_complex_numIdEPKS1_S1_EviiT2_lPKT1_lilS7_lilS4_lPT3_lili,comdat
.Lfunc_end172:
	.size	_ZL20rocblas_gemvt_kernelILb0ELi256E19rocblas_complex_numIdEPKS1_S1_EviiT2_lPKT1_lilS7_lilS4_lPT3_lili, .Lfunc_end172-_ZL20rocblas_gemvt_kernelILb0ELi256E19rocblas_complex_numIdEPKS1_S1_EviiT2_lPKT1_lilS7_lilS4_lPT3_lili
                                        ; -- End function
	.set _ZL20rocblas_gemvt_kernelILb0ELi256E19rocblas_complex_numIdEPKS1_S1_EviiT2_lPKT1_lilS7_lilS4_lPT3_lili.num_vgpr, 38
	.set _ZL20rocblas_gemvt_kernelILb0ELi256E19rocblas_complex_numIdEPKS1_S1_EviiT2_lPKT1_lilS7_lilS4_lPT3_lili.num_agpr, 0
	.set _ZL20rocblas_gemvt_kernelILb0ELi256E19rocblas_complex_numIdEPKS1_S1_EviiT2_lPKT1_lilS7_lilS4_lPT3_lili.numbered_sgpr, 50
	.set _ZL20rocblas_gemvt_kernelILb0ELi256E19rocblas_complex_numIdEPKS1_S1_EviiT2_lPKT1_lilS7_lilS4_lPT3_lili.num_named_barrier, 0
	.set _ZL20rocblas_gemvt_kernelILb0ELi256E19rocblas_complex_numIdEPKS1_S1_EviiT2_lPKT1_lilS7_lilS4_lPT3_lili.private_seg_size, 0
	.set _ZL20rocblas_gemvt_kernelILb0ELi256E19rocblas_complex_numIdEPKS1_S1_EviiT2_lPKT1_lilS7_lilS4_lPT3_lili.uses_vcc, 1
	.set _ZL20rocblas_gemvt_kernelILb0ELi256E19rocblas_complex_numIdEPKS1_S1_EviiT2_lPKT1_lilS7_lilS4_lPT3_lili.uses_flat_scratch, 0
	.set _ZL20rocblas_gemvt_kernelILb0ELi256E19rocblas_complex_numIdEPKS1_S1_EviiT2_lPKT1_lilS7_lilS4_lPT3_lili.has_dyn_sized_stack, 0
	.set _ZL20rocblas_gemvt_kernelILb0ELi256E19rocblas_complex_numIdEPKS1_S1_EviiT2_lPKT1_lilS7_lilS4_lPT3_lili.has_recursion, 0
	.set _ZL20rocblas_gemvt_kernelILb0ELi256E19rocblas_complex_numIdEPKS1_S1_EviiT2_lPKT1_lilS7_lilS4_lPT3_lili.has_indirect_call, 0
	.section	.AMDGPU.csdata,"",@progbits
; Kernel info:
; codeLenInByte = 1804
; TotalNumSgprs: 52
; NumVgprs: 38
; ScratchSize: 0
; MemoryBound: 0
; FloatMode: 240
; IeeeMode: 1
; LDSByteSize: 4096 bytes/workgroup (compile time only)
; SGPRBlocks: 0
; VGPRBlocks: 2
; NumSGPRsForWavesPerEU: 52
; NumVGPRsForWavesPerEU: 38
; NamedBarCnt: 0
; Occupancy: 16
; WaveLimiterHint : 0
; COMPUTE_PGM_RSRC2:SCRATCH_EN: 0
; COMPUTE_PGM_RSRC2:USER_SGPR: 2
; COMPUTE_PGM_RSRC2:TRAP_HANDLER: 0
; COMPUTE_PGM_RSRC2:TGID_X_EN: 1
; COMPUTE_PGM_RSRC2:TGID_Y_EN: 0
; COMPUTE_PGM_RSRC2:TGID_Z_EN: 1
; COMPUTE_PGM_RSRC2:TIDIG_COMP_CNT: 0
	.section	.text._ZL20rocblas_gemvt_kernelILb0ELi256E19rocblas_complex_numIdES1_S1_EviiT2_lPKT1_lilS5_lilS2_lPT3_lili,"axG",@progbits,_ZL20rocblas_gemvt_kernelILb0ELi256E19rocblas_complex_numIdES1_S1_EviiT2_lPKT1_lilS5_lilS2_lPT3_lili,comdat
	.globl	_ZL20rocblas_gemvt_kernelILb0ELi256E19rocblas_complex_numIdES1_S1_EviiT2_lPKT1_lilS5_lilS2_lPT3_lili ; -- Begin function _ZL20rocblas_gemvt_kernelILb0ELi256E19rocblas_complex_numIdES1_S1_EviiT2_lPKT1_lilS5_lilS2_lPT3_lili
	.p2align	8
	.type	_ZL20rocblas_gemvt_kernelILb0ELi256E19rocblas_complex_numIdES1_S1_EviiT2_lPKT1_lilS5_lilS2_lPT3_lili,@function
_ZL20rocblas_gemvt_kernelILb0ELi256E19rocblas_complex_numIdES1_S1_EviiT2_lPKT1_lilS5_lilS2_lPT3_lili: ; @_ZL20rocblas_gemvt_kernelILb0ELi256E19rocblas_complex_numIdES1_S1_EviiT2_lPKT1_lilS5_lilS2_lPT3_lili
; %bb.0:
	s_load_b32 s33, s[0:1], 0x98
	s_bfe_u32 s2, ttmp6, 0x40014
	s_lshr_b32 s3, ttmp7, 16
	s_add_co_i32 s2, s2, 1
	s_bfe_u32 s5, ttmp6, 0x40008
	s_mul_i32 s4, s3, s2
	s_getreg_b32 s2, hwreg(HW_REG_IB_STS2, 6, 4)
	s_add_co_i32 s5, s5, s4
	s_cmp_eq_u32 s2, 0
	s_mov_b32 s29, 0
	s_cselect_b32 s28, s3, s5
	s_wait_kmcnt 0x0
	s_cmp_ge_u32 s28, s33
	s_cbranch_scc1 .LBB173_41
; %bb.1:
	s_clause 0x9
	s_load_b128 s[12:15], s[0:1], 0x8
	s_load_b64 s[30:31], s[0:1], 0x68
	s_load_b128 s[16:19], s[0:1], 0x58
	s_load_b32 s36, s[0:1], 0x30
	s_load_b96 s[24:26], s[0:1], 0x48
	s_load_b32 s38, s[0:1], 0x88
	s_load_b128 s[8:11], s[0:1], 0x78
	s_load_b128 s[4:7], s[0:1], 0x20
	s_load_b32 s47, s[0:1], 0x0
	s_load_b128 s[20:23], s[0:1], 0x38
	s_bfe_u32 s37, ttmp6, 0x4000c
	s_load_b64 s[34:35], s[0:1], 0x90
	s_add_co_i32 s37, s37, 1
	s_wait_xcnt 0x0
	s_and_b32 s0, ttmp6, 15
	s_mul_i32 s1, ttmp9, s37
	v_lshlrev_b32_e32 v18, 4, v0
	s_add_co_i32 s42, s0, s1
	s_wait_kmcnt 0x0
	s_ashr_i32 s37, s36, 31
	s_ashr_i32 s41, s26, 31
	;; [unrolled: 1-line block ×3, first 2 shown]
	v_cmp_neq_f64_e64 s3, s[12:13], 0
	v_cmp_neq_f64_e64 s27, s[14:15], 0
	;; [unrolled: 1-line block ×4, first 2 shown]
	s_lshl_b64 s[0:1], s[24:25], 4
	s_lshl_b64 s[24:25], s[10:11], 4
	;; [unrolled: 1-line block ×3, first 2 shown]
	v_cmp_gt_i32_e32 vcc_lo, s47, v0
	v_mov_b32_e32 v5, 0
	v_cmp_neq_f64_e64 s49, s[18:19], 1.0
	s_add_nc_u64 s[22:23], s[22:23], s[0:1]
	s_add_nc_u64 s[0:1], s[4:5], s[6:7]
	v_cndmask_b32_e32 v4, 0, v0, vcc_lo
	s_add_nc_u64 s[24:25], s[8:9], s[24:25]
	v_cmp_gt_u32_e64 s8, 2, v0
	s_or_b32 s48, s3, s27
	s_or_b32 s44, s40, s46
	s_xor_b32 s45, s48, -1
	s_cmp_eq_u32 s2, 0
	s_mov_b32 s40, s26
	s_cselect_b32 s2, ttmp9, s42
	s_ashr_i32 s3, s47, 31
	s_delay_alu instid0(SALU_CYCLE_1) | instskip(NEXT) | instid1(SALU_CYCLE_1)
	s_lshr_b32 s3, s3, 24
	s_add_co_i32 s3, s47, s3
	s_delay_alu instid0(SALU_CYCLE_1) | instskip(NEXT) | instid1(SALU_CYCLE_1)
	s_and_b32 s10, s3, 0xffffff00
	v_dual_mov_b32 v1, v5 :: v_dual_bitop2_b32 v10, s10, v0 bitop3:0x54
	v_lshlrev_b32_e32 v4, 4, v4
	s_ashr_i32 s3, s2, 31
	s_delay_alu instid0(VALU_DEP_2) | instskip(NEXT) | instid1(VALU_DEP_3)
	v_mul_u64_e32 v[2:3], s[40:41], v[0:1]
	v_ashrrev_i32_e32 v11, 31, v10
	s_mul_u64 s[42:43], s[38:39], s[2:3]
	s_mul_u64 s[2:3], s[36:37], s[2:3]
	v_add_nc_u64_e32 v[8:9], s[0:1], v[4:5]
	s_lshl_b64 s[26:27], s[2:3], 4
	v_mul_u64_e32 v[6:7], s[40:41], v[10:11]
	s_add_nc_u64 s[6:7], s[26:27], s[6:7]
	v_cmp_gt_i32_e64 s1, s47, v10
	s_add_nc_u64 s[6:7], s[4:5], s[6:7]
	s_cmp_gt_i32 s47, 0xff
	v_add_nc_u64_e32 v[10:11], s[6:7], v[4:5]
	v_add_nc_u64_e32 v[8:9], s[26:27], v[8:9]
	v_cmp_eq_u32_e64 s0, 0, v0
	v_cmp_gt_u32_e64 s2, 0x80, v0
	v_cmp_gt_u32_e64 s3, 64, v0
	;; [unrolled: 1-line block ×4, first 2 shown]
	v_add_nc_u64_e32 v[10:11], 8, v[10:11]
	v_cmp_gt_u32_e64 s6, 8, v0
	v_cmp_gt_u32_e64 s7, 4, v0
	s_cselect_b32 s9, -1, 0
	s_or_b32 s36, s48, s49
	s_ashr_i32 s11, s10, 31
	s_lshl_b64 s[26:27], s[20:21], 4
	s_or_b32 s46, s36, s46
	s_lshl_b64 s[36:37], s[16:17], 4
	s_lshl_b64 s[38:39], s[40:41], 12
	;; [unrolled: 1-line block ×3, first 2 shown]
	v_lshl_add_u64 v[2:3], v[2:3], 4, s[22:23]
	s_delay_alu instid0(VALU_DEP_1)
	v_add_nc_u64_e32 v[12:13], 8, v[2:3]
	s_branch .LBB173_4
.LBB173_2:                              ;   in Loop: Header=BB173_4 Depth=1
	s_wait_xcnt 0x0
	s_or_b32 exec_lo, exec_lo, s48
.LBB173_3:                              ;   in Loop: Header=BB173_4 Depth=1
	s_add_co_i32 s28, s28, 0x10000
	s_delay_alu instid0(SALU_CYCLE_1)
	s_cmp_lt_u32 s28, s33
	s_cbranch_scc0 .LBB173_41
.LBB173_4:                              ; =>This Loop Header: Depth=1
                                        ;     Child Loop BB173_15 Depth 2
	s_and_not1_b32 vcc_lo, exec_lo, s46
	s_cbranch_vccnz .LBB173_3
; %bb.5:                                ;   in Loop: Header=BB173_4 Depth=1
	s_mul_u64 s[42:43], s[34:35], s[28:29]
	s_and_not1_b32 vcc_lo, exec_lo, s45
	s_lshl_b64 s[42:43], s[42:43], 4
	s_delay_alu instid0(SALU_CYCLE_1)
	s_add_nc_u64 s[42:43], s[24:25], s[42:43]
	s_cbranch_vccnz .LBB173_9
; %bb.6:                                ;   in Loop: Header=BB173_4 Depth=1
	s_mov_b32 s48, 0
	s_mov_b32 s47, 0
                                        ; implicit-def: $vgpr2_vgpr3
	s_and_saveexec_b32 s49, s0
	s_cbranch_execz .LBB173_10
; %bb.7:                                ;   in Loop: Header=BB173_4 Depth=1
	s_and_not1_b32 vcc_lo, exec_lo, s44
	s_cbranch_vccnz .LBB173_11
; %bb.8:                                ;   in Loop: Header=BB173_4 Depth=1
	s_add_nc_u64 s[50:51], s[42:43], s[40:41]
	global_load_b128 v[14:17], v5, s[50:51]
	s_wait_loadcnt 0x0
	v_mul_f64_e32 v[0:1], s[30:31], v[16:17]
	v_mul_f64_e32 v[2:3], s[18:19], v[16:17]
	s_delay_alu instid0(VALU_DEP_2) | instskip(NEXT) | instid1(VALU_DEP_2)
	v_fma_f64 v[0:1], s[18:19], v[14:15], -v[0:1]
	v_fmac_f64_e32 v[2:3], s[30:31], v[14:15]
	s_branch .LBB173_12
.LBB173_9:                              ;   in Loop: Header=BB173_4 Depth=1
	s_mov_b32 s47, 0
                                        ; implicit-def: $vgpr2_vgpr3
	s_cbranch_execnz .LBB173_13
	s_branch .LBB173_39
.LBB173_10:                             ;   in Loop: Header=BB173_4 Depth=1
	s_or_b32 exec_lo, exec_lo, s49
	s_delay_alu instid0(SALU_CYCLE_1)
	s_and_b32 vcc_lo, exec_lo, s48
	s_cbranch_vccnz .LBB173_13
	s_branch .LBB173_39
.LBB173_11:                             ;   in Loop: Header=BB173_4 Depth=1
	v_mov_b64_e32 v[2:3], 0
	v_mov_b64_e32 v[0:1], 0
.LBB173_12:                             ;   in Loop: Header=BB173_4 Depth=1
	s_mov_b32 s47, exec_lo
	s_wait_xcnt 0x0
	s_or_b32 exec_lo, exec_lo, s49
	s_delay_alu instid0(SALU_CYCLE_1)
	s_and_b32 vcc_lo, exec_lo, s48
	s_cbranch_vccz .LBB173_39
.LBB173_13:                             ;   in Loop: Header=BB173_4 Depth=1
	v_mov_b64_e32 v[2:3], 0
	s_and_not1_b32 vcc_lo, exec_lo, s9
	s_delay_alu instid0(VALU_DEP_1)
	v_mov_b64_e32 v[0:1], v[2:3]
	s_cbranch_vccnz .LBB173_16
; %bb.14:                               ;   in Loop: Header=BB173_4 Depth=1
	v_mad_nc_u64_u32 v[14:15], s26, s28, v[10:11]
	v_mad_nc_u64_u32 v[16:17], s36, s28, v[12:13]
	v_mov_b64_e32 v[2:3], 0
	s_mov_b32 s48, 0
	s_delay_alu instid0(VALU_DEP_1) | instskip(NEXT) | instid1(VALU_DEP_4)
	v_mov_b64_e32 v[0:1], v[2:3]
	v_mad_u32 v15, s27, s28, v15
	s_delay_alu instid0(VALU_DEP_4)
	v_mad_u32 v17, s37, s28, v17
.LBB173_15:                             ;   Parent Loop BB173_4 Depth=1
                                        ; =>  This Inner Loop Header: Depth=2
	global_load_b128 v[20:23], v[14:15], off offset:-8
	global_load_b128 v[24:27], v[16:17], off offset:-8
	s_wait_xcnt 0x1
	v_add_nc_u64_e32 v[14:15], 0x1000, v[14:15]
	s_wait_xcnt 0x0
	v_add_nc_u64_e32 v[16:17], s[38:39], v[16:17]
	s_addk_co_i32 s48, 0x100
	s_delay_alu instid0(SALU_CYCLE_1) | instskip(SKIP_3) | instid1(VALU_DEP_2)
	s_cmp_ge_i32 s48, s10
	s_wait_loadcnt 0x0
	v_mul_f64_e32 v[28:29], v[22:23], v[26:27]
	v_mul_f64_e32 v[26:27], v[20:21], v[26:27]
	v_fma_f64 v[20:21], v[20:21], v[24:25], -v[28:29]
	s_delay_alu instid0(VALU_DEP_2) | instskip(NEXT) | instid1(VALU_DEP_2)
	v_fmac_f64_e32 v[26:27], v[22:23], v[24:25]
	v_add_f64_e32 v[0:1], v[0:1], v[20:21]
	s_delay_alu instid0(VALU_DEP_2)
	v_add_f64_e32 v[2:3], v[2:3], v[26:27]
	s_cbranch_scc0 .LBB173_15
.LBB173_16:                             ;   in Loop: Header=BB173_4 Depth=1
	s_and_saveexec_b32 s48, s1
	s_cbranch_execz .LBB173_18
; %bb.17:                               ;   in Loop: Header=BB173_4 Depth=1
	s_mul_u64 s[50:51], s[20:21], s[28:29]
	s_mul_u64 s[52:53], s[16:17], s[28:29]
	v_lshl_add_u64 v[14:15], s[50:51], 4, v[8:9]
	s_lshl_b64 s[50:51], s[52:53], 4
	s_delay_alu instid0(SALU_CYCLE_1) | instskip(NEXT) | instid1(SALU_CYCLE_1)
	s_add_nc_u64 s[50:51], s[22:23], s[50:51]
	v_lshl_add_u64 v[24:25], v[6:7], 4, s[50:51]
	s_delay_alu instid0(VALU_DEP_2)
	v_lshl_add_u64 v[26:27], s[10:11], 4, v[14:15]
	global_load_b128 v[14:17], v[24:25], off
	global_load_b128 v[20:23], v[26:27], off
	s_wait_loadcnt 0x0
	s_wait_xcnt 0x1
	v_mul_f64_e32 v[24:25], v[22:23], v[16:17]
	v_mul_f64_e32 v[16:17], v[20:21], v[16:17]
	s_delay_alu instid0(VALU_DEP_2) | instskip(NEXT) | instid1(VALU_DEP_2)
	v_fma_f64 v[20:21], v[20:21], v[14:15], -v[24:25]
	v_fmac_f64_e32 v[16:17], v[22:23], v[14:15]
	s_delay_alu instid0(VALU_DEP_2) | instskip(NEXT) | instid1(VALU_DEP_2)
	v_add_f64_e32 v[0:1], v[0:1], v[20:21]
	v_add_f64_e32 v[2:3], v[2:3], v[16:17]
.LBB173_18:                             ;   in Loop: Header=BB173_4 Depth=1
	s_wait_xcnt 0x0
	s_or_b32 exec_lo, exec_lo, s48
	ds_store_b128 v18, v[0:3]
	s_wait_dscnt 0x0
	s_barrier_signal -1
	s_barrier_wait -1
	s_and_saveexec_b32 s48, s2
	s_cbranch_execz .LBB173_20
; %bb.19:                               ;   in Loop: Header=BB173_4 Depth=1
	ds_load_b128 v[0:3], v18 offset:2048
	ds_load_b128 v[14:17], v18
	s_wait_dscnt 0x0
	v_add_f64_e32 v[0:1], v[0:1], v[14:15]
	v_add_f64_e32 v[2:3], v[2:3], v[16:17]
	ds_store_b128 v18, v[0:3]
.LBB173_20:                             ;   in Loop: Header=BB173_4 Depth=1
	s_or_b32 exec_lo, exec_lo, s48
	s_wait_dscnt 0x0
	s_barrier_signal -1
	s_barrier_wait -1
	s_and_saveexec_b32 s48, s3
	s_cbranch_execz .LBB173_22
; %bb.21:                               ;   in Loop: Header=BB173_4 Depth=1
	ds_load_b128 v[0:3], v18 offset:1024
	ds_load_b128 v[14:17], v18
	s_wait_dscnt 0x0
	v_add_f64_e32 v[0:1], v[0:1], v[14:15]
	v_add_f64_e32 v[2:3], v[2:3], v[16:17]
	ds_store_b128 v18, v[0:3]
.LBB173_22:                             ;   in Loop: Header=BB173_4 Depth=1
	s_or_b32 exec_lo, exec_lo, s48
	;; [unrolled: 14-line block ×6, first 2 shown]
	s_wait_dscnt 0x0
	s_barrier_signal -1
	s_barrier_wait -1
	s_and_saveexec_b32 s48, s8
	s_cbranch_execz .LBB173_32
; %bb.31:                               ;   in Loop: Header=BB173_4 Depth=1
	ds_load_b128 v[0:3], v18
	ds_load_b128 v[14:17], v18 offset:32
	s_wait_dscnt 0x0
	v_add_f64_e32 v[0:1], v[14:15], v[0:1]
	v_add_f64_e32 v[2:3], v[16:17], v[2:3]
	ds_store_b128 v18, v[0:3]
.LBB173_32:                             ;   in Loop: Header=BB173_4 Depth=1
	s_or_b32 exec_lo, exec_lo, s48
	s_wait_dscnt 0x0
	s_barrier_signal -1
	s_barrier_wait -1
	s_and_saveexec_b32 s48, s0
	s_cbranch_execz .LBB173_34
; %bb.33:                               ;   in Loop: Header=BB173_4 Depth=1
	ds_load_b128 v[0:3], v5
	ds_load_b128 v[14:17], v5 offset:16
	s_wait_dscnt 0x0
	v_add_f64_e32 v[0:1], v[14:15], v[0:1]
	v_add_f64_e32 v[2:3], v[16:17], v[2:3]
	ds_store_b128 v5, v[0:3]
.LBB173_34:                             ;   in Loop: Header=BB173_4 Depth=1
	s_or_b32 exec_lo, exec_lo, s48
	s_wait_dscnt 0x0
	s_barrier_signal -1
	s_barrier_wait -1
                                        ; implicit-def: $vgpr2_vgpr3
	s_and_saveexec_b32 s48, s0
	s_cbranch_execz .LBB173_38
; %bb.35:                               ;   in Loop: Header=BB173_4 Depth=1
	ds_load_b128 v[14:17], v5
	s_and_not1_b32 vcc_lo, exec_lo, s44
	s_wait_dscnt 0x0
	v_mul_f64_e32 v[0:1], s[14:15], v[16:17]
	v_mul_f64_e32 v[2:3], s[12:13], v[16:17]
	s_delay_alu instid0(VALU_DEP_2) | instskip(NEXT) | instid1(VALU_DEP_2)
	v_fma_f64 v[0:1], s[12:13], v[14:15], -v[0:1]
	v_fmac_f64_e32 v[2:3], s[14:15], v[14:15]
	s_cbranch_vccnz .LBB173_37
; %bb.36:                               ;   in Loop: Header=BB173_4 Depth=1
	s_add_nc_u64 s[50:51], s[42:43], s[40:41]
	global_load_b128 v[14:17], v5, s[50:51]
	s_wait_loadcnt 0x0
	v_mul_f64_e32 v[20:21], s[30:31], v[16:17]
	v_mul_f64_e32 v[16:17], s[18:19], v[16:17]
	s_delay_alu instid0(VALU_DEP_2) | instskip(NEXT) | instid1(VALU_DEP_2)
	v_fma_f64 v[20:21], s[18:19], v[14:15], -v[20:21]
	v_fmac_f64_e32 v[16:17], s[30:31], v[14:15]
	s_delay_alu instid0(VALU_DEP_2) | instskip(NEXT) | instid1(VALU_DEP_2)
	v_add_f64_e32 v[0:1], v[0:1], v[20:21]
	v_add_f64_e32 v[2:3], v[2:3], v[16:17]
.LBB173_37:                             ;   in Loop: Header=BB173_4 Depth=1
	s_or_b32 s47, s47, exec_lo
.LBB173_38:                             ;   in Loop: Header=BB173_4 Depth=1
	s_wait_xcnt 0x0
	s_or_b32 exec_lo, exec_lo, s48
.LBB173_39:                             ;   in Loop: Header=BB173_4 Depth=1
	s_and_saveexec_b32 s48, s47
	s_cbranch_execz .LBB173_2
; %bb.40:                               ;   in Loop: Header=BB173_4 Depth=1
	s_add_nc_u64 s[42:43], s[42:43], s[40:41]
	global_store_b128 v5, v[0:3], s[42:43]
	s_branch .LBB173_2
.LBB173_41:
	s_endpgm
	.section	.rodata,"a",@progbits
	.p2align	6, 0x0
	.amdhsa_kernel _ZL20rocblas_gemvt_kernelILb0ELi256E19rocblas_complex_numIdES1_S1_EviiT2_lPKT1_lilS5_lilS2_lPT3_lili
		.amdhsa_group_segment_fixed_size 4096
		.amdhsa_private_segment_fixed_size 0
		.amdhsa_kernarg_size 156
		.amdhsa_user_sgpr_count 2
		.amdhsa_user_sgpr_dispatch_ptr 0
		.amdhsa_user_sgpr_queue_ptr 0
		.amdhsa_user_sgpr_kernarg_segment_ptr 1
		.amdhsa_user_sgpr_dispatch_id 0
		.amdhsa_user_sgpr_kernarg_preload_length 0
		.amdhsa_user_sgpr_kernarg_preload_offset 0
		.amdhsa_user_sgpr_private_segment_size 0
		.amdhsa_wavefront_size32 1
		.amdhsa_uses_dynamic_stack 0
		.amdhsa_enable_private_segment 0
		.amdhsa_system_sgpr_workgroup_id_x 1
		.amdhsa_system_sgpr_workgroup_id_y 0
		.amdhsa_system_sgpr_workgroup_id_z 1
		.amdhsa_system_sgpr_workgroup_info 0
		.amdhsa_system_vgpr_workitem_id 0
		.amdhsa_next_free_vgpr 30
		.amdhsa_next_free_sgpr 54
		.amdhsa_named_barrier_count 0
		.amdhsa_reserve_vcc 1
		.amdhsa_float_round_mode_32 0
		.amdhsa_float_round_mode_16_64 0
		.amdhsa_float_denorm_mode_32 3
		.amdhsa_float_denorm_mode_16_64 3
		.amdhsa_fp16_overflow 0
		.amdhsa_memory_ordered 1
		.amdhsa_forward_progress 1
		.amdhsa_inst_pref_size 14
		.amdhsa_round_robin_scheduling 0
		.amdhsa_exception_fp_ieee_invalid_op 0
		.amdhsa_exception_fp_denorm_src 0
		.amdhsa_exception_fp_ieee_div_zero 0
		.amdhsa_exception_fp_ieee_overflow 0
		.amdhsa_exception_fp_ieee_underflow 0
		.amdhsa_exception_fp_ieee_inexact 0
		.amdhsa_exception_int_div_zero 0
	.end_amdhsa_kernel
	.section	.text._ZL20rocblas_gemvt_kernelILb0ELi256E19rocblas_complex_numIdES1_S1_EviiT2_lPKT1_lilS5_lilS2_lPT3_lili,"axG",@progbits,_ZL20rocblas_gemvt_kernelILb0ELi256E19rocblas_complex_numIdES1_S1_EviiT2_lPKT1_lilS5_lilS2_lPT3_lili,comdat
.Lfunc_end173:
	.size	_ZL20rocblas_gemvt_kernelILb0ELi256E19rocblas_complex_numIdES1_S1_EviiT2_lPKT1_lilS5_lilS2_lPT3_lili, .Lfunc_end173-_ZL20rocblas_gemvt_kernelILb0ELi256E19rocblas_complex_numIdES1_S1_EviiT2_lPKT1_lilS5_lilS2_lPT3_lili
                                        ; -- End function
	.set _ZL20rocblas_gemvt_kernelILb0ELi256E19rocblas_complex_numIdES1_S1_EviiT2_lPKT1_lilS5_lilS2_lPT3_lili.num_vgpr, 30
	.set _ZL20rocblas_gemvt_kernelILb0ELi256E19rocblas_complex_numIdES1_S1_EviiT2_lPKT1_lilS5_lilS2_lPT3_lili.num_agpr, 0
	.set _ZL20rocblas_gemvt_kernelILb0ELi256E19rocblas_complex_numIdES1_S1_EviiT2_lPKT1_lilS5_lilS2_lPT3_lili.numbered_sgpr, 54
	.set _ZL20rocblas_gemvt_kernelILb0ELi256E19rocblas_complex_numIdES1_S1_EviiT2_lPKT1_lilS5_lilS2_lPT3_lili.num_named_barrier, 0
	.set _ZL20rocblas_gemvt_kernelILb0ELi256E19rocblas_complex_numIdES1_S1_EviiT2_lPKT1_lilS5_lilS2_lPT3_lili.private_seg_size, 0
	.set _ZL20rocblas_gemvt_kernelILb0ELi256E19rocblas_complex_numIdES1_S1_EviiT2_lPKT1_lilS5_lilS2_lPT3_lili.uses_vcc, 1
	.set _ZL20rocblas_gemvt_kernelILb0ELi256E19rocblas_complex_numIdES1_S1_EviiT2_lPKT1_lilS5_lilS2_lPT3_lili.uses_flat_scratch, 0
	.set _ZL20rocblas_gemvt_kernelILb0ELi256E19rocblas_complex_numIdES1_S1_EviiT2_lPKT1_lilS5_lilS2_lPT3_lili.has_dyn_sized_stack, 0
	.set _ZL20rocblas_gemvt_kernelILb0ELi256E19rocblas_complex_numIdES1_S1_EviiT2_lPKT1_lilS5_lilS2_lPT3_lili.has_recursion, 0
	.set _ZL20rocblas_gemvt_kernelILb0ELi256E19rocblas_complex_numIdES1_S1_EviiT2_lPKT1_lilS5_lilS2_lPT3_lili.has_indirect_call, 0
	.section	.AMDGPU.csdata,"",@progbits
; Kernel info:
; codeLenInByte = 1696
; TotalNumSgprs: 56
; NumVgprs: 30
; ScratchSize: 0
; MemoryBound: 0
; FloatMode: 240
; IeeeMode: 1
; LDSByteSize: 4096 bytes/workgroup (compile time only)
; SGPRBlocks: 0
; VGPRBlocks: 1
; NumSGPRsForWavesPerEU: 56
; NumVGPRsForWavesPerEU: 30
; NamedBarCnt: 0
; Occupancy: 16
; WaveLimiterHint : 1
; COMPUTE_PGM_RSRC2:SCRATCH_EN: 0
; COMPUTE_PGM_RSRC2:USER_SGPR: 2
; COMPUTE_PGM_RSRC2:TRAP_HANDLER: 0
; COMPUTE_PGM_RSRC2:TGID_X_EN: 1
; COMPUTE_PGM_RSRC2:TGID_Y_EN: 0
; COMPUTE_PGM_RSRC2:TGID_Z_EN: 1
; COMPUTE_PGM_RSRC2:TIDIG_COMP_CNT: 0
	.section	.text._ZL32rocblas_gemvt_warp_reduce_kernelILb0ELi1024Ei19rocblas_complex_numIdEPKS1_S1_EviiT3_lPKT2_lT1_lS7_lS8_lS4_lPT4_lS8_li,"axG",@progbits,_ZL32rocblas_gemvt_warp_reduce_kernelILb0ELi1024Ei19rocblas_complex_numIdEPKS1_S1_EviiT3_lPKT2_lT1_lS7_lS8_lS4_lPT4_lS8_li,comdat
	.globl	_ZL32rocblas_gemvt_warp_reduce_kernelILb0ELi1024Ei19rocblas_complex_numIdEPKS1_S1_EviiT3_lPKT2_lT1_lS7_lS8_lS4_lPT4_lS8_li ; -- Begin function _ZL32rocblas_gemvt_warp_reduce_kernelILb0ELi1024Ei19rocblas_complex_numIdEPKS1_S1_EviiT3_lPKT2_lT1_lS7_lS8_lS4_lPT4_lS8_li
	.p2align	8
	.type	_ZL32rocblas_gemvt_warp_reduce_kernelILb0ELi1024Ei19rocblas_complex_numIdEPKS1_S1_EviiT3_lPKT2_lT1_lS7_lS8_lS4_lPT4_lS8_li,@function
_ZL32rocblas_gemvt_warp_reduce_kernelILb0ELi1024Ei19rocblas_complex_numIdEPKS1_S1_EviiT3_lPKT2_lT1_lS7_lS8_lS4_lPT4_lS8_li: ; @_ZL32rocblas_gemvt_warp_reduce_kernelILb0ELi1024Ei19rocblas_complex_numIdEPKS1_S1_EviiT3_lPKT2_lT1_lS7_lS8_lS4_lPT4_lS8_li
; %bb.0:
	s_load_b32 s33, s[0:1], 0x88
	s_bfe_u32 s2, ttmp6, 0x40014
	s_lshr_b32 s3, ttmp7, 16
	s_add_co_i32 s2, s2, 1
	s_bfe_u32 s5, ttmp6, 0x40008
	s_mul_i32 s4, s3, s2
	s_getreg_b32 s2, hwreg(HW_REG_IB_STS2, 6, 4)
	s_add_co_i32 s5, s5, s4
	s_cmp_eq_u32 s2, 0
	s_mov_b32 s35, 0
	s_cselect_b32 s34, s3, s5
	s_wait_kmcnt 0x0
	s_cmp_ge_u32 s34, s33
	s_cbranch_scc1 .LBB174_36
; %bb.1:
	s_clause 0x7
	s_load_b96 s[4:6], s[0:1], 0x40
	s_load_b96 s[28:30], s[0:1], 0x70
	s_load_b256 s[8:15], s[0:1], 0x8
	s_load_b32 s7, s[0:1], 0x0
	s_load_b32 s31, s[0:1], 0x28
	s_load_b128 s[24:27], s[0:1], 0x30
	s_load_b256 s[16:23], s[0:1], 0x50
	s_load_b64 s[36:37], s[0:1], 0x80
	s_wait_xcnt 0x0
	s_bfe_u32 s1, ttmp6, 0x4000c
	s_and_b32 s3, ttmp6, 15
	s_add_co_i32 s1, s1, 1
	v_dual_mov_b32 v2, 0 :: v_dual_bitop2_b32 v3, 31, v0 bitop3:0x40
	s_mul_i32 s1, ttmp9, s1
	v_cmp_eq_u32_e64 s0, 0, v0
	s_add_co_i32 s3, s3, s1
	v_mbcnt_lo_u32_b32 v30, -1, 0
	v_lshlrev_b32_e32 v28, 4, v3
	s_wait_kmcnt 0x0
	s_lshl_b64 s[4:5], s[4:5], 4
	s_lshl_b64 s[28:29], s[28:29], 4
	;; [unrolled: 1-line block ×3, first 2 shown]
	s_cmp_eq_u32 s2, 0
	v_cmp_gt_i32_e32 vcc_lo, s7, v0
	s_cselect_b32 s1, ttmp9, s3
	s_ashr_i32 s2, s7, 31
	v_mov_b32_e32 v5, v2
	s_lshr_b32 s2, s2, 22
	v_cndmask_b32_e32 v1, 0, v0, vcc_lo
	s_add_co_i32 s2, s7, s2
	s_add_nc_u64 s[14:15], s[26:27], s[4:5]
	s_and_b32 s26, s2, 0xfffffc00
	s_mul_i32 s4, s31, s1
	v_dual_lshlrev_b32 v4, 4, v1 :: v_dual_bitop2_b32 v8, s26, v0 bitop3:0x54
	s_ashr_i32 s5, s4, 31
	s_add_nc_u64 s[2:3], s[12:13], s[38:39]
	s_lshl_b64 s[4:5], s[4:5], 4
	s_delay_alu instid0(VALU_DEP_1)
	v_mul_lo_u32 v22, s6, v8
	v_add_nc_u64_e32 v[6:7], s[2:3], v[4:5]
	s_add_nc_u64 s[2:3], s[38:39], s[4:5]
	v_mul_lo_u32 v1, v0, s6
	s_add_nc_u64 s[2:3], s[12:13], s[2:3]
	s_add_nc_u64 s[22:23], s[22:23], s[28:29]
	v_add_nc_u64_e32 v[4:5], s[2:3], v[4:5]
	s_mul_i32 s28, s30, s1
	v_add_nc_u64_e32 v[24:25], s[4:5], v[6:7]
	v_cmp_gt_i32_e64 s1, s26, v0
	v_dual_lshrrev_b32 v6, 1, v0 :: v_dual_ashrrev_i32 v23, 31, v22
	v_cmp_gt_i32_e64 s2, s7, v8
	v_add_nc_u64_e32 v[26:27], 8, v[4:5]
	v_cmp_gt_u32_e64 s3, 32, v0
	v_cmp_eq_u32_e64 s4, 0, v3
	v_and_b32_e32 v29, 0x1f0, v6
	s_ashr_i32 s29, s28, 31
	s_ashr_i32 s27, s26, 31
	s_lshl_b32 s38, s6, 10
	s_lshl_b64 s[6:7], s[24:25], 4
	s_lshl_b64 s[12:13], s[28:29], 4
	s_branch .LBB174_4
.LBB174_2:                              ;   in Loop: Header=BB174_4 Depth=1
	s_wait_xcnt 0x0
	s_or_b32 exec_lo, exec_lo, s5
.LBB174_3:                              ;   in Loop: Header=BB174_4 Depth=1
	s_add_co_i32 s34, s34, 0x10000
	s_delay_alu instid0(SALU_CYCLE_1)
	s_cmp_lt_u32 s34, s33
	s_cbranch_scc0 .LBB174_36
.LBB174_4:                              ; =>This Loop Header: Depth=1
                                        ;     Child Loop BB174_25 Depth 2
	s_mul_u64 s[28:29], s[10:11], s[34:35]
	s_delay_alu instid0(SALU_CYCLE_1) | instskip(NEXT) | instid1(SALU_CYCLE_1)
	s_lshl_b64 s[28:29], s[28:29], 4
	s_add_nc_u64 s[28:29], s[8:9], s[28:29]
	global_load_b128 v[10:13], v2, s[28:29]
	s_wait_xcnt 0x0
	s_mul_u64 s[28:29], s[20:21], s[34:35]
	s_delay_alu instid0(SALU_CYCLE_1) | instskip(NEXT) | instid1(SALU_CYCLE_1)
	s_lshl_b64 s[28:29], s[28:29], 4
	s_add_nc_u64 s[28:29], s[18:19], s[28:29]
	s_wait_loadcnt 0x1
	global_load_b128 v[6:9], v2, s[28:29]
	s_wait_loadcnt 0x1
	v_cmp_neq_f64_e32 vcc_lo, 0, v[10:11]
	v_cmp_neq_f64_e64 s5, 0, v[12:13]
	s_wait_xcnt 0x0
	s_or_b32 s28, vcc_lo, s5
	s_mov_b32 s5, -1
	s_and_b32 vcc_lo, exec_lo, s28
	s_cbranch_vccz .LBB174_6
; %bb.5:                                ;   in Loop: Header=BB174_4 Depth=1
	s_and_not1_b32 vcc_lo, exec_lo, s5
	s_cbranch_vccnz .LBB174_3
	s_branch .LBB174_7
.LBB174_6:                              ;   in Loop: Header=BB174_4 Depth=1
	s_wait_loadcnt 0x0
	v_cmp_neq_f64_e32 vcc_lo, 1.0, v[6:7]
	v_cmp_neq_f64_e64 s5, 0, v[8:9]
	s_or_b32 s5, vcc_lo, s5
	s_delay_alu instid0(SALU_CYCLE_1)
	s_and_not1_b32 vcc_lo, exec_lo, s5
	s_cbranch_vccnz .LBB174_3
.LBB174_7:                              ;   in Loop: Header=BB174_4 Depth=1
	s_xor_b32 s5, s28, -1
	s_mul_u64 s[28:29], s[36:37], s[34:35]
	s_and_not1_b32 vcc_lo, exec_lo, s5
	s_lshl_b64 s[28:29], s[28:29], 4
	s_delay_alu instid0(SALU_CYCLE_1)
	s_add_nc_u64 s[28:29], s[22:23], s[28:29]
	s_cbranch_vccnz .LBB174_11
; %bb.8:                                ;   in Loop: Header=BB174_4 Depth=1
	s_mov_b32 s30, 0
	s_mov_b32 s39, 0
                                        ; implicit-def: $vgpr16_vgpr17
	s_and_saveexec_b32 s31, s0
	s_cbranch_execz .LBB174_12
; %bb.9:                                ;   in Loop: Header=BB174_4 Depth=1
	s_wait_loadcnt 0x0
	v_cmp_neq_f64_e32 vcc_lo, 0, v[6:7]
	v_cmp_neq_f64_e64 s5, 0, v[8:9]
	s_or_b32 s5, vcc_lo, s5
	s_delay_alu instid0(SALU_CYCLE_1)
	s_and_not1_b32 vcc_lo, exec_lo, s5
	s_cbranch_vccnz .LBB174_13
; %bb.10:                               ;   in Loop: Header=BB174_4 Depth=1
	s_add_nc_u64 s[40:41], s[28:29], s[12:13]
	s_wait_dscnt 0x0
	global_load_b128 v[18:21], v2, s[40:41]
	s_wait_loadcnt 0x0
	v_mul_f64_e32 v[4:5], v[8:9], v[20:21]
	v_mul_f64_e32 v[16:17], v[6:7], v[20:21]
	s_delay_alu instid0(VALU_DEP_2) | instskip(NEXT) | instid1(VALU_DEP_2)
	v_fma_f64 v[14:15], v[6:7], v[18:19], -v[4:5]
	v_fmac_f64_e32 v[16:17], v[8:9], v[18:19]
	s_branch .LBB174_14
.LBB174_11:                             ;   in Loop: Header=BB174_4 Depth=1
	s_mov_b32 s39, 0
                                        ; implicit-def: $vgpr16_vgpr17
	s_cbranch_execnz .LBB174_15
	s_branch .LBB174_34
.LBB174_12:                             ;   in Loop: Header=BB174_4 Depth=1
	s_or_b32 exec_lo, exec_lo, s31
	s_delay_alu instid0(SALU_CYCLE_1)
	s_and_b32 vcc_lo, exec_lo, s30
	s_cbranch_vccnz .LBB174_15
	s_branch .LBB174_34
.LBB174_13:                             ;   in Loop: Header=BB174_4 Depth=1
	v_mov_b64_e32 v[16:17], 0
	v_mov_b64_e32 v[14:15], 0
.LBB174_14:                             ;   in Loop: Header=BB174_4 Depth=1
	s_mov_b32 s39, exec_lo
	s_wait_xcnt 0x0
	s_or_b32 exec_lo, exec_lo, s31
	s_delay_alu instid0(SALU_CYCLE_1)
	s_and_b32 vcc_lo, exec_lo, s30
	s_cbranch_vccz .LBB174_34
.LBB174_15:                             ;   in Loop: Header=BB174_4 Depth=1
	v_mov_b64_e32 v[14:15], 0
	v_mov_b64_e32 v[16:17], 0
	s_mul_u64 s[30:31], s[16:17], s[34:35]
	s_delay_alu instid0(SALU_CYCLE_1) | instskip(NEXT) | instid1(SALU_CYCLE_1)
	s_lshl_b64 s[30:31], s[30:31], 4
	s_add_nc_u64 s[30:31], s[14:15], s[30:31]
	s_and_saveexec_b32 s5, s1
	s_cbranch_execnz .LBB174_24
; %bb.16:                               ;   in Loop: Header=BB174_4 Depth=1
	s_or_b32 exec_lo, exec_lo, s5
	s_and_saveexec_b32 s5, s2
	s_cbranch_execnz .LBB174_27
.LBB174_17:                             ;   in Loop: Header=BB174_4 Depth=1
	s_or_b32 exec_lo, exec_lo, s5
	s_and_saveexec_b32 s5, s3
.LBB174_18:                             ;   in Loop: Header=BB174_4 Depth=1
	v_dual_mov_b32 v3, v2 :: v_dual_mov_b32 v4, v2
	v_mov_b32_e32 v5, v2
	ds_store_b128 v28, v[2:5]
.LBB174_19:                             ;   in Loop: Header=BB174_4 Depth=1
	s_or_b32 exec_lo, exec_lo, s5
	v_lshl_or_b32 v3, v30, 2, 64
	v_cmp_gt_u32_e32 vcc_lo, 24, v30
	s_wait_loadcnt_dscnt 0x0
	s_barrier_signal -1
	s_barrier_wait -1
	ds_bpermute_b32 v4, v3, v16
	ds_bpermute_b32 v5, v3, v17
	;; [unrolled: 1-line block ×4, first 2 shown]
	s_wait_dscnt 0x0
	v_add_f64_e32 v[4:5], v[16:17], v[4:5]
	v_cndmask_b32_e64 v16, 0, 8, vcc_lo
	v_cmp_gt_u32_e32 vcc_lo, 28, v30
	s_delay_alu instid0(VALU_DEP_2)
	v_add_lshl_u32 v31, v16, v30, 2
	ds_bpermute_b32 v16, v31, v4
	ds_bpermute_b32 v17, v31, v5
	s_wait_dscnt 0x0
	v_add_f64_e32 v[4:5], v[4:5], v[16:17]
	v_cndmask_b32_e64 v16, 0, 4, vcc_lo
	v_cmp_gt_u32_e32 vcc_lo, 30, v30
	s_delay_alu instid0(VALU_DEP_2)
	v_add_lshl_u32 v32, v16, v30, 2
	ds_bpermute_b32 v16, v32, v4
	ds_bpermute_b32 v17, v32, v5
	s_wait_dscnt 0x0
	v_add_f64_e32 v[4:5], v[4:5], v[16:17]
	v_cndmask_b32_e64 v16, 0, 2, vcc_lo
	v_cmp_ne_u32_e32 vcc_lo, 31, v30
	s_delay_alu instid0(VALU_DEP_2)
	v_add_lshl_u32 v33, v16, v30, 2
	ds_bpermute_b32 v16, v33, v4
	ds_bpermute_b32 v17, v33, v5
	s_wait_dscnt 0x0
	v_add_f64_e32 v[4:5], v[4:5], v[16:17]
	v_add_co_ci_u32_e64 v16, null, 0, v30, vcc_lo
	s_delay_alu instid0(VALU_DEP_1)
	v_dual_add_f64 v[14:15], v[14:15], v[18:19] :: v_dual_lshlrev_b32 v34, 2, v16
	ds_bpermute_b32 v16, v34, v4
	ds_bpermute_b32 v17, v34, v5
	;; [unrolled: 1-line block ×4, first 2 shown]
	s_wait_dscnt 0x0
	v_add_f64_e32 v[14:15], v[14:15], v[18:19]
	ds_bpermute_b32 v18, v32, v14
	ds_bpermute_b32 v19, v32, v15
	s_wait_dscnt 0x0
	v_add_f64_e32 v[14:15], v[14:15], v[18:19]
	ds_bpermute_b32 v18, v33, v14
	ds_bpermute_b32 v19, v33, v15
	;; [unrolled: 4-line block ×3, first 2 shown]
	s_and_saveexec_b32 s5, s4
	s_cbranch_execz .LBB174_21
; %bb.20:                               ;   in Loop: Header=BB174_4 Depth=1
	s_wait_dscnt 0x0
	v_add_f64_e32 v[18:19], v[14:15], v[18:19]
	v_add_f64_e32 v[16:17], v[4:5], v[16:17]
	ds_store_b128 v29, v[16:19]
.LBB174_21:                             ;   in Loop: Header=BB174_4 Depth=1
	s_or_b32 exec_lo, exec_lo, s5
	v_mov_b64_e32 v[20:21], 0
	s_wait_dscnt 0x0
	v_mov_b64_e32 v[18:19], 0
	s_barrier_signal -1
	s_barrier_wait -1
	s_and_saveexec_b32 s5, s3
	s_cbranch_execnz .LBB174_28
; %bb.22:                               ;   in Loop: Header=BB174_4 Depth=1
	s_or_b32 exec_lo, exec_lo, s5
	s_and_saveexec_b32 s5, s3
	s_cbranch_execnz .LBB174_29
.LBB174_23:                             ;   in Loop: Header=BB174_4 Depth=1
	s_or_b32 exec_lo, exec_lo, s5
                                        ; implicit-def: $vgpr16_vgpr17
	s_and_saveexec_b32 s30, s0
	s_cbranch_execnz .LBB174_30
	s_branch .LBB174_33
.LBB174_24:                             ;   in Loop: Header=BB174_4 Depth=1
	v_mad_nc_u64_u32 v[4:5], s6, s34, v[26:27]
	v_mov_b64_e32 v[14:15], 0
	v_mov_b64_e32 v[16:17], 0
	s_wait_dscnt 0x0
	v_dual_mov_b32 v3, v0 :: v_dual_mov_b32 v18, v1
	s_mov_b32 s40, 0
	s_delay_alu instid0(VALU_DEP_4)
	v_mad_u32 v5, s7, s34, v5
.LBB174_25:                             ;   Parent Loop BB174_4 Depth=1
                                        ; =>  This Inner Loop Header: Depth=2
	global_load_b128 v[32:35], v[4:5], off offset:-8
	global_load_b128 v[36:39], v18, s[30:31] scale_offset
	v_add_nc_u32_e32 v3, 0x400, v3
	s_wait_xcnt 0x1
	v_add_nc_u64_e32 v[4:5], 0x4000, v[4:5]
	s_wait_xcnt 0x0
	v_add_nc_u32_e32 v18, s38, v18
	v_cmp_le_i32_e32 vcc_lo, s26, v3
	s_or_b32 s40, vcc_lo, s40
	s_wait_loadcnt 0x0
	v_mul_f64_e32 v[20:21], v[34:35], v[38:39]
	v_mul_f64_e32 v[38:39], v[32:33], v[38:39]
	s_delay_alu instid0(VALU_DEP_2) | instskip(NEXT) | instid1(VALU_DEP_2)
	v_fma_f64 v[20:21], v[32:33], v[36:37], -v[20:21]
	v_fmac_f64_e32 v[38:39], v[34:35], v[36:37]
	s_delay_alu instid0(VALU_DEP_2) | instskip(NEXT) | instid1(VALU_DEP_2)
	v_add_f64_e32 v[16:17], v[16:17], v[20:21]
	v_add_f64_e32 v[14:15], v[14:15], v[38:39]
	s_and_not1_b32 exec_lo, exec_lo, s40
	s_cbranch_execnz .LBB174_25
; %bb.26:                               ;   in Loop: Header=BB174_4 Depth=1
	s_or_b32 exec_lo, exec_lo, s40
	s_delay_alu instid0(SALU_CYCLE_1)
	s_or_b32 exec_lo, exec_lo, s5
	s_and_saveexec_b32 s5, s2
	s_cbranch_execz .LBB174_17
.LBB174_27:                             ;   in Loop: Header=BB174_4 Depth=1
	s_mul_u64 s[40:41], s[24:25], s[34:35]
	v_lshl_add_u64 v[36:37], v[22:23], 4, s[30:31]
	v_lshl_add_u64 v[4:5], s[40:41], 4, v[24:25]
	s_delay_alu instid0(VALU_DEP_1)
	v_lshl_add_u64 v[4:5], s[26:27], 4, v[4:5]
	s_wait_dscnt 0x0
	global_load_b128 v[18:21], v[36:37], off
	global_load_b128 v[32:35], v[4:5], off
	s_wait_loadcnt 0x0
	s_wait_xcnt 0x0
	v_mul_f64_e32 v[4:5], v[34:35], v[20:21]
	v_mul_f64_e32 v[20:21], v[32:33], v[20:21]
	s_delay_alu instid0(VALU_DEP_2) | instskip(NEXT) | instid1(VALU_DEP_2)
	v_fma_f64 v[4:5], v[32:33], v[18:19], -v[4:5]
	v_fmac_f64_e32 v[20:21], v[34:35], v[18:19]
	s_delay_alu instid0(VALU_DEP_2) | instskip(NEXT) | instid1(VALU_DEP_2)
	v_add_f64_e32 v[16:17], v[16:17], v[4:5]
	v_add_f64_e32 v[14:15], v[14:15], v[20:21]
	s_or_b32 exec_lo, exec_lo, s5
	s_and_saveexec_b32 s5, s3
	s_cbranch_execnz .LBB174_18
	s_branch .LBB174_19
.LBB174_28:                             ;   in Loop: Header=BB174_4 Depth=1
	ds_load_b128 v[18:21], v28
	s_or_b32 exec_lo, exec_lo, s5
	s_and_saveexec_b32 s5, s3
	s_cbranch_execz .LBB174_23
.LBB174_29:                             ;   in Loop: Header=BB174_4 Depth=1
	s_wait_dscnt 0x0
	ds_bpermute_b32 v4, v3, v18
	ds_bpermute_b32 v5, v3, v19
	ds_bpermute_b32 v14, v3, v20
	ds_bpermute_b32 v15, v3, v21
	s_wait_dscnt 0x2
	v_add_f64_e32 v[4:5], v[18:19], v[4:5]
	s_wait_dscnt 0x0
	v_add_f64_e32 v[14:15], v[20:21], v[14:15]
	ds_bpermute_b32 v16, v31, v4
	ds_bpermute_b32 v17, v31, v5
	ds_bpermute_b32 v18, v31, v14
	ds_bpermute_b32 v19, v31, v15
	s_wait_dscnt 0x2
	v_add_f64_e32 v[4:5], v[4:5], v[16:17]
	s_wait_dscnt 0x0
	v_add_f64_e32 v[14:15], v[14:15], v[18:19]
	;; [unrolled: 8-line block ×5, first 2 shown]
	s_or_b32 exec_lo, exec_lo, s5
                                        ; implicit-def: $vgpr16_vgpr17
	s_and_saveexec_b32 s30, s0
	s_cbranch_execz .LBB174_33
.LBB174_30:                             ;   in Loop: Header=BB174_4 Depth=1
	s_wait_dscnt 0x0
	s_delay_alu instid0(VALU_DEP_1) | instskip(SKIP_3) | instid1(VALU_DEP_4)
	v_mul_f64_e32 v[4:5], v[12:13], v[20:21]
	v_mul_f64_e32 v[16:17], v[10:11], v[20:21]
	v_cmp_neq_f64_e32 vcc_lo, 0, v[6:7]
	v_cmp_neq_f64_e64 s5, 0, v[8:9]
	v_fma_f64 v[14:15], v[10:11], v[18:19], -v[4:5]
	s_delay_alu instid0(VALU_DEP_4) | instskip(SKIP_1) | instid1(SALU_CYCLE_1)
	v_fmac_f64_e32 v[16:17], v[12:13], v[18:19]
	s_or_b32 s5, vcc_lo, s5
	s_and_not1_b32 vcc_lo, exec_lo, s5
	s_cbranch_vccnz .LBB174_32
; %bb.31:                               ;   in Loop: Header=BB174_4 Depth=1
	s_add_nc_u64 s[40:41], s[28:29], s[12:13]
	global_load_b128 v[10:13], v2, s[40:41]
	s_wait_loadcnt 0x0
	v_mul_f64_e32 v[4:5], v[8:9], v[12:13]
	v_mul_f64_e32 v[12:13], v[6:7], v[12:13]
	s_delay_alu instid0(VALU_DEP_2) | instskip(NEXT) | instid1(VALU_DEP_2)
	v_fma_f64 v[4:5], v[6:7], v[10:11], -v[4:5]
	v_fmac_f64_e32 v[12:13], v[8:9], v[10:11]
	s_delay_alu instid0(VALU_DEP_2) | instskip(NEXT) | instid1(VALU_DEP_2)
	v_add_f64_e32 v[14:15], v[14:15], v[4:5]
	v_add_f64_e32 v[16:17], v[16:17], v[12:13]
.LBB174_32:                             ;   in Loop: Header=BB174_4 Depth=1
	s_or_b32 s39, s39, exec_lo
.LBB174_33:                             ;   in Loop: Header=BB174_4 Depth=1
	s_wait_xcnt 0x0
	s_or_b32 exec_lo, exec_lo, s30
.LBB174_34:                             ;   in Loop: Header=BB174_4 Depth=1
	s_and_saveexec_b32 s5, s39
	s_cbranch_execz .LBB174_2
; %bb.35:                               ;   in Loop: Header=BB174_4 Depth=1
	s_add_nc_u64 s[28:29], s[28:29], s[12:13]
	global_store_b128 v2, v[14:17], s[28:29]
	s_branch .LBB174_2
.LBB174_36:
	s_endpgm
	.section	.rodata,"a",@progbits
	.p2align	6, 0x0
	.amdhsa_kernel _ZL32rocblas_gemvt_warp_reduce_kernelILb0ELi1024Ei19rocblas_complex_numIdEPKS1_S1_EviiT3_lPKT2_lT1_lS7_lS8_lS4_lPT4_lS8_li
		.amdhsa_group_segment_fixed_size 512
		.amdhsa_private_segment_fixed_size 0
		.amdhsa_kernarg_size 140
		.amdhsa_user_sgpr_count 2
		.amdhsa_user_sgpr_dispatch_ptr 0
		.amdhsa_user_sgpr_queue_ptr 0
		.amdhsa_user_sgpr_kernarg_segment_ptr 1
		.amdhsa_user_sgpr_dispatch_id 0
		.amdhsa_user_sgpr_kernarg_preload_length 0
		.amdhsa_user_sgpr_kernarg_preload_offset 0
		.amdhsa_user_sgpr_private_segment_size 0
		.amdhsa_wavefront_size32 1
		.amdhsa_uses_dynamic_stack 0
		.amdhsa_enable_private_segment 0
		.amdhsa_system_sgpr_workgroup_id_x 1
		.amdhsa_system_sgpr_workgroup_id_y 0
		.amdhsa_system_sgpr_workgroup_id_z 1
		.amdhsa_system_sgpr_workgroup_info 0
		.amdhsa_system_vgpr_workitem_id 0
		.amdhsa_next_free_vgpr 40
		.amdhsa_next_free_sgpr 42
		.amdhsa_named_barrier_count 0
		.amdhsa_reserve_vcc 1
		.amdhsa_float_round_mode_32 0
		.amdhsa_float_round_mode_16_64 0
		.amdhsa_float_denorm_mode_32 3
		.amdhsa_float_denorm_mode_16_64 3
		.amdhsa_fp16_overflow 0
		.amdhsa_memory_ordered 1
		.amdhsa_forward_progress 1
		.amdhsa_inst_pref_size 16
		.amdhsa_round_robin_scheduling 0
		.amdhsa_exception_fp_ieee_invalid_op 0
		.amdhsa_exception_fp_denorm_src 0
		.amdhsa_exception_fp_ieee_div_zero 0
		.amdhsa_exception_fp_ieee_overflow 0
		.amdhsa_exception_fp_ieee_underflow 0
		.amdhsa_exception_fp_ieee_inexact 0
		.amdhsa_exception_int_div_zero 0
	.end_amdhsa_kernel
	.section	.text._ZL32rocblas_gemvt_warp_reduce_kernelILb0ELi1024Ei19rocblas_complex_numIdEPKS1_S1_EviiT3_lPKT2_lT1_lS7_lS8_lS4_lPT4_lS8_li,"axG",@progbits,_ZL32rocblas_gemvt_warp_reduce_kernelILb0ELi1024Ei19rocblas_complex_numIdEPKS1_S1_EviiT3_lPKT2_lT1_lS7_lS8_lS4_lPT4_lS8_li,comdat
.Lfunc_end174:
	.size	_ZL32rocblas_gemvt_warp_reduce_kernelILb0ELi1024Ei19rocblas_complex_numIdEPKS1_S1_EviiT3_lPKT2_lT1_lS7_lS8_lS4_lPT4_lS8_li, .Lfunc_end174-_ZL32rocblas_gemvt_warp_reduce_kernelILb0ELi1024Ei19rocblas_complex_numIdEPKS1_S1_EviiT3_lPKT2_lT1_lS7_lS8_lS4_lPT4_lS8_li
                                        ; -- End function
	.set _ZL32rocblas_gemvt_warp_reduce_kernelILb0ELi1024Ei19rocblas_complex_numIdEPKS1_S1_EviiT3_lPKT2_lT1_lS7_lS8_lS4_lPT4_lS8_li.num_vgpr, 40
	.set _ZL32rocblas_gemvt_warp_reduce_kernelILb0ELi1024Ei19rocblas_complex_numIdEPKS1_S1_EviiT3_lPKT2_lT1_lS7_lS8_lS4_lPT4_lS8_li.num_agpr, 0
	.set _ZL32rocblas_gemvt_warp_reduce_kernelILb0ELi1024Ei19rocblas_complex_numIdEPKS1_S1_EviiT3_lPKT2_lT1_lS7_lS8_lS4_lPT4_lS8_li.numbered_sgpr, 42
	.set _ZL32rocblas_gemvt_warp_reduce_kernelILb0ELi1024Ei19rocblas_complex_numIdEPKS1_S1_EviiT3_lPKT2_lT1_lS7_lS8_lS4_lPT4_lS8_li.num_named_barrier, 0
	.set _ZL32rocblas_gemvt_warp_reduce_kernelILb0ELi1024Ei19rocblas_complex_numIdEPKS1_S1_EviiT3_lPKT2_lT1_lS7_lS8_lS4_lPT4_lS8_li.private_seg_size, 0
	.set _ZL32rocblas_gemvt_warp_reduce_kernelILb0ELi1024Ei19rocblas_complex_numIdEPKS1_S1_EviiT3_lPKT2_lT1_lS7_lS8_lS4_lPT4_lS8_li.uses_vcc, 1
	.set _ZL32rocblas_gemvt_warp_reduce_kernelILb0ELi1024Ei19rocblas_complex_numIdEPKS1_S1_EviiT3_lPKT2_lT1_lS7_lS8_lS4_lPT4_lS8_li.uses_flat_scratch, 0
	.set _ZL32rocblas_gemvt_warp_reduce_kernelILb0ELi1024Ei19rocblas_complex_numIdEPKS1_S1_EviiT3_lPKT2_lT1_lS7_lS8_lS4_lPT4_lS8_li.has_dyn_sized_stack, 0
	.set _ZL32rocblas_gemvt_warp_reduce_kernelILb0ELi1024Ei19rocblas_complex_numIdEPKS1_S1_EviiT3_lPKT2_lT1_lS7_lS8_lS4_lPT4_lS8_li.has_recursion, 0
	.set _ZL32rocblas_gemvt_warp_reduce_kernelILb0ELi1024Ei19rocblas_complex_numIdEPKS1_S1_EviiT3_lPKT2_lT1_lS7_lS8_lS4_lPT4_lS8_li.has_indirect_call, 0
	.section	.AMDGPU.csdata,"",@progbits
; Kernel info:
; codeLenInByte = 2000
; TotalNumSgprs: 44
; NumVgprs: 40
; ScratchSize: 0
; MemoryBound: 0
; FloatMode: 240
; IeeeMode: 1
; LDSByteSize: 512 bytes/workgroup (compile time only)
; SGPRBlocks: 0
; VGPRBlocks: 2
; NumSGPRsForWavesPerEU: 44
; NumVGPRsForWavesPerEU: 40
; NamedBarCnt: 0
; Occupancy: 16
; WaveLimiterHint : 0
; COMPUTE_PGM_RSRC2:SCRATCH_EN: 0
; COMPUTE_PGM_RSRC2:USER_SGPR: 2
; COMPUTE_PGM_RSRC2:TRAP_HANDLER: 0
; COMPUTE_PGM_RSRC2:TGID_X_EN: 1
; COMPUTE_PGM_RSRC2:TGID_Y_EN: 0
; COMPUTE_PGM_RSRC2:TGID_Z_EN: 1
; COMPUTE_PGM_RSRC2:TIDIG_COMP_CNT: 0
	.section	.text._ZL32rocblas_gemvt_warp_reduce_kernelILb0ELi1024El19rocblas_complex_numIdEPKS1_S1_EviiT3_lPKT2_lT1_lS7_lS8_lS4_lPT4_lS8_li,"axG",@progbits,_ZL32rocblas_gemvt_warp_reduce_kernelILb0ELi1024El19rocblas_complex_numIdEPKS1_S1_EviiT3_lPKT2_lT1_lS7_lS8_lS4_lPT4_lS8_li,comdat
	.globl	_ZL32rocblas_gemvt_warp_reduce_kernelILb0ELi1024El19rocblas_complex_numIdEPKS1_S1_EviiT3_lPKT2_lT1_lS7_lS8_lS4_lPT4_lS8_li ; -- Begin function _ZL32rocblas_gemvt_warp_reduce_kernelILb0ELi1024El19rocblas_complex_numIdEPKS1_S1_EviiT3_lPKT2_lT1_lS7_lS8_lS4_lPT4_lS8_li
	.p2align	8
	.type	_ZL32rocblas_gemvt_warp_reduce_kernelILb0ELi1024El19rocblas_complex_numIdEPKS1_S1_EviiT3_lPKT2_lT1_lS7_lS8_lS4_lPT4_lS8_li,@function
_ZL32rocblas_gemvt_warp_reduce_kernelILb0ELi1024El19rocblas_complex_numIdEPKS1_S1_EviiT3_lPKT2_lT1_lS7_lS8_lS4_lPT4_lS8_li: ; @_ZL32rocblas_gemvt_warp_reduce_kernelILb0ELi1024El19rocblas_complex_numIdEPKS1_S1_EviiT3_lPKT2_lT1_lS7_lS8_lS4_lPT4_lS8_li
; %bb.0:
	s_load_b32 s30, s[0:1], 0x88
	s_bfe_u32 s2, ttmp6, 0x40014
	s_lshr_b32 s3, ttmp7, 16
	s_add_co_i32 s2, s2, 1
	s_bfe_u32 s5, ttmp6, 0x40008
	s_mul_i32 s4, s3, s2
	s_getreg_b32 s2, hwreg(HW_REG_IB_STS2, 6, 4)
	s_add_co_i32 s5, s5, s4
	s_cmp_eq_u32 s2, 0
	s_mov_b32 s7, 0
	s_cselect_b32 s6, s3, s5
	s_wait_kmcnt 0x0
	s_cmp_ge_u32 s6, s30
	s_cbranch_scc1 .LBB175_36
; %bb.1:
	s_clause 0x2
	s_load_b512 s[8:23], s[0:1], 0x8
	s_load_b512 s[36:51], s[0:1], 0x48
	s_load_b32 s28, s[0:1], 0x0
	s_wait_xcnt 0x0
	s_bfe_u32 s0, ttmp6, 0x4000c
	s_and_b32 s1, ttmp6, 15
	s_add_co_i32 s0, s0, 1
	v_mbcnt_lo_u32_b32 v31, -1, 0
	s_mul_i32 s0, ttmp9, s0
	v_and_b32_e32 v3, 31, v0
	s_add_co_i32 s3, s1, s0
	s_wait_kmcnt 0x0
	s_lshl_b64 s[0:1], s[22:23], 4
	s_lshl_b64 s[4:5], s[46:47], 4
	;; [unrolled: 1-line block ×3, first 2 shown]
	s_cmp_eq_u32 s2, 0
	v_cmp_gt_i32_e32 vcc_lo, s28, v0
	s_cselect_b32 s2, ttmp9, s3
	s_ashr_i32 s3, s28, 31
	s_add_nc_u64 s[22:23], s[12:13], s[24:25]
	s_lshr_b32 s3, s3, 22
	s_add_nc_u64 s[20:21], s[20:21], s[0:1]
	s_add_co_i32 s3, s28, s3
	v_cmp_eq_u32_e64 s0, 0, v0
	s_and_b32 s14, s3, 0xfffffc00
	s_delay_alu instid0(SALU_CYCLE_1)
	v_dual_mov_b32 v2, 0 :: v_dual_bitop2_b32 v6, s14, v0 bitop3:0x54
	s_ashr_i32 s3, s2, 31
	v_cmp_gt_i32_e64 s1, s14, v0
	s_mul_u64 s[26:27], s[48:49], s[2:3]
	v_dual_mov_b32 v1, v2 :: v_dual_ashrrev_i32 v7, 31, v6
	v_mov_b32_e32 v9, v2
	s_ashr_i32 s15, s14, 31
	s_lshl_b64 s[26:27], s[26:27], 4
	s_delay_alu instid0(VALU_DEP_2) | instskip(SKIP_2) | instid1(VALU_DEP_2)
	v_mul_u64_e32 v[4:5], s[36:37], v[0:1]
	v_cndmask_b32_e32 v1, 0, v0, vcc_lo
	v_mul_u64_e32 v[22:23], s[36:37], v[6:7]
	v_dual_lshlrev_b32 v8, 4, v1 :: v_dual_lshlrev_b32 v1, 4, v3
	s_delay_alu instid0(VALU_DEP_1)
	v_add_nc_u64_e32 v[10:11], s[22:23], v[8:9]
	s_add_nc_u64 s[22:23], s[44:45], s[4:5]
	s_mul_u64 s[4:5], s[16:17], s[2:3]
	v_cmp_gt_i32_e64 s2, s28, v6
	s_lshl_b64 s[4:5], s[4:5], 4
	v_cmp_gt_u32_e64 s3, 32, v0
	s_lshl_b64 s[16:17], s[36:37], 14
	v_add_nc_u64_e32 v[24:25], s[4:5], v[10:11]
	s_add_nc_u64 s[4:5], s[4:5], s[24:25]
	v_lshrrev_b32_e32 v10, 1, v0
	s_add_nc_u64 s[4:5], s[12:13], s[4:5]
	s_lshl_b64 s[12:13], s[38:39], 4
	v_add_nc_u64_e32 v[6:7], s[4:5], v[8:9]
	v_cmp_eq_u32_e64 s4, 0, v3
	v_and_b32_e32 v30, 0x1f0, v10
	s_lshl_b64 s[24:25], s[18:19], 4
	v_add_nc_u64_e32 v[28:29], 8, v[6:7]
	v_lshl_add_u64 v[4:5], v[4:5], 4, s[20:21]
	s_delay_alu instid0(VALU_DEP_1)
	v_add_nc_u64_e32 v[26:27], 8, v[4:5]
	s_branch .LBB175_4
.LBB175_2:                              ;   in Loop: Header=BB175_4 Depth=1
	s_wait_xcnt 0x0
	s_or_b32 exec_lo, exec_lo, s5
.LBB175_3:                              ;   in Loop: Header=BB175_4 Depth=1
	s_add_co_i32 s6, s6, 0x10000
	s_delay_alu instid0(SALU_CYCLE_1)
	s_cmp_lt_u32 s6, s30
	s_cbranch_scc0 .LBB175_36
.LBB175_4:                              ; =>This Loop Header: Depth=1
                                        ;     Child Loop BB175_25 Depth 2
	s_mul_u64 s[28:29], s[10:11], s[6:7]
	s_delay_alu instid0(SALU_CYCLE_1) | instskip(NEXT) | instid1(SALU_CYCLE_1)
	s_lshl_b64 s[28:29], s[28:29], 4
	s_add_nc_u64 s[28:29], s[8:9], s[28:29]
	global_load_b128 v[10:13], v2, s[28:29]
	s_wait_xcnt 0x0
	s_mul_u64 s[28:29], s[42:43], s[6:7]
	s_delay_alu instid0(SALU_CYCLE_1) | instskip(NEXT) | instid1(SALU_CYCLE_1)
	s_lshl_b64 s[28:29], s[28:29], 4
	s_add_nc_u64 s[28:29], s[40:41], s[28:29]
	s_wait_loadcnt 0x1
	global_load_b128 v[6:9], v2, s[28:29]
	s_wait_loadcnt 0x1
	v_cmp_neq_f64_e32 vcc_lo, 0, v[10:11]
	v_cmp_neq_f64_e64 s5, 0, v[12:13]
	s_wait_xcnt 0x0
	s_or_b32 s28, vcc_lo, s5
	s_mov_b32 s5, -1
	s_and_b32 vcc_lo, exec_lo, s28
	s_cbranch_vccz .LBB175_6
; %bb.5:                                ;   in Loop: Header=BB175_4 Depth=1
	s_and_not1_b32 vcc_lo, exec_lo, s5
	s_cbranch_vccnz .LBB175_3
	s_branch .LBB175_7
.LBB175_6:                              ;   in Loop: Header=BB175_4 Depth=1
	s_wait_loadcnt 0x0
	v_cmp_neq_f64_e32 vcc_lo, 1.0, v[6:7]
	v_cmp_neq_f64_e64 s5, 0, v[8:9]
	s_or_b32 s5, vcc_lo, s5
	s_delay_alu instid0(SALU_CYCLE_1)
	s_and_not1_b32 vcc_lo, exec_lo, s5
	s_cbranch_vccnz .LBB175_3
.LBB175_7:                              ;   in Loop: Header=BB175_4 Depth=1
	s_xor_b32 s5, s28, -1
	s_mul_u64 s[28:29], s[50:51], s[6:7]
	s_and_not1_b32 vcc_lo, exec_lo, s5
	s_lshl_b64 s[28:29], s[28:29], 4
	s_delay_alu instid0(SALU_CYCLE_1)
	s_add_nc_u64 s[28:29], s[22:23], s[28:29]
	s_cbranch_vccnz .LBB175_11
; %bb.8:                                ;   in Loop: Header=BB175_4 Depth=1
	s_mov_b32 s33, 0
	s_mov_b32 s31, 0
                                        ; implicit-def: $vgpr16_vgpr17
	s_and_saveexec_b32 s34, s0
	s_cbranch_execz .LBB175_12
; %bb.9:                                ;   in Loop: Header=BB175_4 Depth=1
	s_wait_loadcnt 0x0
	v_cmp_neq_f64_e32 vcc_lo, 0, v[6:7]
	v_cmp_neq_f64_e64 s5, 0, v[8:9]
	s_or_b32 s5, vcc_lo, s5
	s_delay_alu instid0(SALU_CYCLE_1)
	s_and_not1_b32 vcc_lo, exec_lo, s5
	s_cbranch_vccnz .LBB175_13
; %bb.10:                               ;   in Loop: Header=BB175_4 Depth=1
	s_add_nc_u64 s[36:37], s[28:29], s[26:27]
	s_wait_dscnt 0x0
	global_load_b128 v[18:21], v2, s[36:37]
	s_wait_loadcnt 0x0
	v_mul_f64_e32 v[4:5], v[8:9], v[20:21]
	v_mul_f64_e32 v[16:17], v[6:7], v[20:21]
	s_delay_alu instid0(VALU_DEP_2) | instskip(NEXT) | instid1(VALU_DEP_2)
	v_fma_f64 v[14:15], v[6:7], v[18:19], -v[4:5]
	v_fmac_f64_e32 v[16:17], v[8:9], v[18:19]
	s_branch .LBB175_14
.LBB175_11:                             ;   in Loop: Header=BB175_4 Depth=1
	s_mov_b32 s31, 0
                                        ; implicit-def: $vgpr16_vgpr17
	s_cbranch_execnz .LBB175_15
	s_branch .LBB175_34
.LBB175_12:                             ;   in Loop: Header=BB175_4 Depth=1
	s_or_b32 exec_lo, exec_lo, s34
	s_delay_alu instid0(SALU_CYCLE_1)
	s_and_b32 vcc_lo, exec_lo, s33
	s_cbranch_vccnz .LBB175_15
	s_branch .LBB175_34
.LBB175_13:                             ;   in Loop: Header=BB175_4 Depth=1
	v_mov_b64_e32 v[16:17], 0
	v_mov_b64_e32 v[14:15], 0
.LBB175_14:                             ;   in Loop: Header=BB175_4 Depth=1
	s_mov_b32 s31, exec_lo
	s_wait_xcnt 0x0
	s_or_b32 exec_lo, exec_lo, s34
	s_delay_alu instid0(SALU_CYCLE_1)
	s_and_b32 vcc_lo, exec_lo, s33
	s_cbranch_vccz .LBB175_34
.LBB175_15:                             ;   in Loop: Header=BB175_4 Depth=1
	v_mov_b64_e32 v[14:15], 0
	v_mov_b64_e32 v[16:17], 0
	s_and_saveexec_b32 s5, s1
	s_cbranch_execnz .LBB175_24
; %bb.16:                               ;   in Loop: Header=BB175_4 Depth=1
	s_or_b32 exec_lo, exec_lo, s5
	s_and_saveexec_b32 s5, s2
	s_cbranch_execnz .LBB175_27
.LBB175_17:                             ;   in Loop: Header=BB175_4 Depth=1
	s_or_b32 exec_lo, exec_lo, s5
	s_and_saveexec_b32 s5, s3
.LBB175_18:                             ;   in Loop: Header=BB175_4 Depth=1
	v_dual_mov_b32 v3, v2 :: v_dual_mov_b32 v4, v2
	v_mov_b32_e32 v5, v2
	ds_store_b128 v1, v[2:5]
.LBB175_19:                             ;   in Loop: Header=BB175_4 Depth=1
	s_or_b32 exec_lo, exec_lo, s5
	v_lshl_or_b32 v3, v31, 2, 64
	v_cmp_gt_u32_e32 vcc_lo, 24, v31
	s_wait_loadcnt_dscnt 0x0
	s_barrier_signal -1
	s_barrier_wait -1
	ds_bpermute_b32 v4, v3, v16
	ds_bpermute_b32 v5, v3, v17
	;; [unrolled: 1-line block ×4, first 2 shown]
	s_wait_dscnt 0x0
	v_add_f64_e32 v[4:5], v[16:17], v[4:5]
	v_cndmask_b32_e64 v16, 0, 8, vcc_lo
	v_cmp_gt_u32_e32 vcc_lo, 28, v31
	s_delay_alu instid0(VALU_DEP_2)
	v_add_lshl_u32 v32, v16, v31, 2
	ds_bpermute_b32 v16, v32, v4
	ds_bpermute_b32 v17, v32, v5
	s_wait_dscnt 0x0
	v_add_f64_e32 v[4:5], v[4:5], v[16:17]
	v_cndmask_b32_e64 v16, 0, 4, vcc_lo
	v_cmp_gt_u32_e32 vcc_lo, 30, v31
	s_delay_alu instid0(VALU_DEP_2)
	v_add_lshl_u32 v33, v16, v31, 2
	ds_bpermute_b32 v16, v33, v4
	ds_bpermute_b32 v17, v33, v5
	s_wait_dscnt 0x0
	v_add_f64_e32 v[4:5], v[4:5], v[16:17]
	v_cndmask_b32_e64 v16, 0, 2, vcc_lo
	v_cmp_ne_u32_e32 vcc_lo, 31, v31
	s_delay_alu instid0(VALU_DEP_2)
	v_add_lshl_u32 v34, v16, v31, 2
	ds_bpermute_b32 v16, v34, v4
	ds_bpermute_b32 v17, v34, v5
	s_wait_dscnt 0x0
	v_add_f64_e32 v[4:5], v[4:5], v[16:17]
	v_add_co_ci_u32_e64 v16, null, 0, v31, vcc_lo
	s_delay_alu instid0(VALU_DEP_1)
	v_dual_add_f64 v[14:15], v[14:15], v[18:19] :: v_dual_lshlrev_b32 v35, 2, v16
	ds_bpermute_b32 v16, v35, v4
	ds_bpermute_b32 v17, v35, v5
	;; [unrolled: 1-line block ×4, first 2 shown]
	s_wait_dscnt 0x0
	v_add_f64_e32 v[14:15], v[14:15], v[18:19]
	ds_bpermute_b32 v18, v33, v14
	ds_bpermute_b32 v19, v33, v15
	s_wait_dscnt 0x0
	v_add_f64_e32 v[14:15], v[14:15], v[18:19]
	ds_bpermute_b32 v18, v34, v14
	ds_bpermute_b32 v19, v34, v15
	;; [unrolled: 4-line block ×3, first 2 shown]
	s_and_saveexec_b32 s5, s4
	s_cbranch_execz .LBB175_21
; %bb.20:                               ;   in Loop: Header=BB175_4 Depth=1
	s_wait_dscnt 0x0
	v_add_f64_e32 v[18:19], v[14:15], v[18:19]
	v_add_f64_e32 v[16:17], v[4:5], v[16:17]
	ds_store_b128 v30, v[16:19]
.LBB175_21:                             ;   in Loop: Header=BB175_4 Depth=1
	s_or_b32 exec_lo, exec_lo, s5
	v_mov_b64_e32 v[20:21], 0
	s_wait_dscnt 0x0
	v_mov_b64_e32 v[18:19], 0
	s_barrier_signal -1
	s_barrier_wait -1
	s_and_saveexec_b32 s5, s3
	s_cbranch_execnz .LBB175_28
; %bb.22:                               ;   in Loop: Header=BB175_4 Depth=1
	s_or_b32 exec_lo, exec_lo, s5
	s_and_saveexec_b32 s5, s3
	s_cbranch_execnz .LBB175_29
.LBB175_23:                             ;   in Loop: Header=BB175_4 Depth=1
	s_or_b32 exec_lo, exec_lo, s5
                                        ; implicit-def: $vgpr16_vgpr17
	s_and_saveexec_b32 s33, s0
	s_cbranch_execnz .LBB175_30
	s_branch .LBB175_33
.LBB175_24:                             ;   in Loop: Header=BB175_4 Depth=1
	v_mad_nc_u64_u32 v[4:5], s12, s6, v[26:27]
	s_wait_dscnt 0x0
	v_mad_nc_u64_u32 v[18:19], s24, s6, v[28:29]
	v_mov_b64_e32 v[14:15], 0
	v_mov_b64_e32 v[16:17], 0
	v_mov_b32_e32 v3, v0
	s_mov_b32 s33, 0
	v_mad_u32 v5, s13, s6, v5
	v_mad_u32 v19, s25, s6, v19
.LBB175_25:                             ;   Parent Loop BB175_4 Depth=1
                                        ; =>  This Inner Loop Header: Depth=2
	global_load_b128 v[32:35], v[18:19], off offset:-8
	global_load_b128 v[36:39], v[4:5], off offset:-8
	v_add_nc_u32_e32 v3, 0x400, v3
	s_wait_xcnt 0x0
	v_add_nc_u64_e32 v[4:5], s[16:17], v[4:5]
	v_add_nc_u64_e32 v[18:19], 0x4000, v[18:19]
	s_delay_alu instid0(VALU_DEP_3) | instskip(SKIP_4) | instid1(VALU_DEP_2)
	v_cmp_le_i32_e32 vcc_lo, s14, v3
	s_or_b32 s33, vcc_lo, s33
	s_wait_loadcnt 0x0
	v_mul_f64_e32 v[20:21], v[34:35], v[38:39]
	v_mul_f64_e32 v[38:39], v[32:33], v[38:39]
	v_fma_f64 v[20:21], v[32:33], v[36:37], -v[20:21]
	s_delay_alu instid0(VALU_DEP_2) | instskip(NEXT) | instid1(VALU_DEP_2)
	v_fmac_f64_e32 v[38:39], v[34:35], v[36:37]
	v_add_f64_e32 v[16:17], v[16:17], v[20:21]
	s_delay_alu instid0(VALU_DEP_2)
	v_add_f64_e32 v[14:15], v[14:15], v[38:39]
	s_and_not1_b32 exec_lo, exec_lo, s33
	s_cbranch_execnz .LBB175_25
; %bb.26:                               ;   in Loop: Header=BB175_4 Depth=1
	s_or_b32 exec_lo, exec_lo, s33
	s_delay_alu instid0(SALU_CYCLE_1)
	s_or_b32 exec_lo, exec_lo, s5
	s_and_saveexec_b32 s5, s2
	s_cbranch_execz .LBB175_17
.LBB175_27:                             ;   in Loop: Header=BB175_4 Depth=1
	s_mul_u64 s[34:35], s[18:19], s[6:7]
	s_mul_u64 s[36:37], s[38:39], s[6:7]
	v_lshl_add_u64 v[4:5], s[34:35], 4, v[24:25]
	s_lshl_b64 s[34:35], s[36:37], 4
	s_delay_alu instid0(SALU_CYCLE_1) | instskip(NEXT) | instid1(SALU_CYCLE_1)
	s_add_nc_u64 s[34:35], s[20:21], s[34:35]
	v_lshl_add_u64 v[36:37], v[22:23], 4, s[34:35]
	s_delay_alu instid0(VALU_DEP_2)
	v_lshl_add_u64 v[4:5], s[14:15], 4, v[4:5]
	s_wait_dscnt 0x0
	global_load_b128 v[18:21], v[36:37], off
	global_load_b128 v[32:35], v[4:5], off
	s_wait_loadcnt 0x0
	s_wait_xcnt 0x0
	v_mul_f64_e32 v[4:5], v[34:35], v[20:21]
	v_mul_f64_e32 v[20:21], v[32:33], v[20:21]
	s_delay_alu instid0(VALU_DEP_2) | instskip(NEXT) | instid1(VALU_DEP_2)
	v_fma_f64 v[4:5], v[32:33], v[18:19], -v[4:5]
	v_fmac_f64_e32 v[20:21], v[34:35], v[18:19]
	s_delay_alu instid0(VALU_DEP_2) | instskip(NEXT) | instid1(VALU_DEP_2)
	v_add_f64_e32 v[16:17], v[16:17], v[4:5]
	v_add_f64_e32 v[14:15], v[14:15], v[20:21]
	s_or_b32 exec_lo, exec_lo, s5
	s_and_saveexec_b32 s5, s3
	s_cbranch_execnz .LBB175_18
	s_branch .LBB175_19
.LBB175_28:                             ;   in Loop: Header=BB175_4 Depth=1
	ds_load_b128 v[18:21], v1
	s_or_b32 exec_lo, exec_lo, s5
	s_and_saveexec_b32 s5, s3
	s_cbranch_execz .LBB175_23
.LBB175_29:                             ;   in Loop: Header=BB175_4 Depth=1
	s_wait_dscnt 0x0
	ds_bpermute_b32 v4, v3, v18
	ds_bpermute_b32 v5, v3, v19
	ds_bpermute_b32 v14, v3, v20
	ds_bpermute_b32 v15, v3, v21
	s_wait_dscnt 0x2
	v_add_f64_e32 v[4:5], v[18:19], v[4:5]
	s_wait_dscnt 0x0
	v_add_f64_e32 v[14:15], v[20:21], v[14:15]
	ds_bpermute_b32 v16, v32, v4
	ds_bpermute_b32 v17, v32, v5
	ds_bpermute_b32 v18, v32, v14
	ds_bpermute_b32 v19, v32, v15
	s_wait_dscnt 0x2
	v_add_f64_e32 v[4:5], v[4:5], v[16:17]
	s_wait_dscnt 0x0
	v_add_f64_e32 v[14:15], v[14:15], v[18:19]
	;; [unrolled: 8-line block ×5, first 2 shown]
	s_or_b32 exec_lo, exec_lo, s5
                                        ; implicit-def: $vgpr16_vgpr17
	s_and_saveexec_b32 s33, s0
	s_cbranch_execz .LBB175_33
.LBB175_30:                             ;   in Loop: Header=BB175_4 Depth=1
	s_wait_dscnt 0x0
	s_delay_alu instid0(VALU_DEP_1) | instskip(SKIP_3) | instid1(VALU_DEP_4)
	v_mul_f64_e32 v[4:5], v[12:13], v[20:21]
	v_mul_f64_e32 v[16:17], v[10:11], v[20:21]
	v_cmp_neq_f64_e32 vcc_lo, 0, v[6:7]
	v_cmp_neq_f64_e64 s5, 0, v[8:9]
	v_fma_f64 v[14:15], v[10:11], v[18:19], -v[4:5]
	s_delay_alu instid0(VALU_DEP_4) | instskip(SKIP_1) | instid1(SALU_CYCLE_1)
	v_fmac_f64_e32 v[16:17], v[12:13], v[18:19]
	s_or_b32 s5, vcc_lo, s5
	s_and_not1_b32 vcc_lo, exec_lo, s5
	s_cbranch_vccnz .LBB175_32
; %bb.31:                               ;   in Loop: Header=BB175_4 Depth=1
	s_add_nc_u64 s[34:35], s[28:29], s[26:27]
	global_load_b128 v[10:13], v2, s[34:35]
	s_wait_loadcnt 0x0
	v_mul_f64_e32 v[4:5], v[8:9], v[12:13]
	v_mul_f64_e32 v[12:13], v[6:7], v[12:13]
	s_delay_alu instid0(VALU_DEP_2) | instskip(NEXT) | instid1(VALU_DEP_2)
	v_fma_f64 v[4:5], v[6:7], v[10:11], -v[4:5]
	v_fmac_f64_e32 v[12:13], v[8:9], v[10:11]
	s_delay_alu instid0(VALU_DEP_2) | instskip(NEXT) | instid1(VALU_DEP_2)
	v_add_f64_e32 v[14:15], v[14:15], v[4:5]
	v_add_f64_e32 v[16:17], v[16:17], v[12:13]
.LBB175_32:                             ;   in Loop: Header=BB175_4 Depth=1
	s_or_b32 s31, s31, exec_lo
.LBB175_33:                             ;   in Loop: Header=BB175_4 Depth=1
	s_wait_xcnt 0x0
	s_or_b32 exec_lo, exec_lo, s33
.LBB175_34:                             ;   in Loop: Header=BB175_4 Depth=1
	s_and_saveexec_b32 s5, s31
	s_cbranch_execz .LBB175_2
; %bb.35:                               ;   in Loop: Header=BB175_4 Depth=1
	s_add_nc_u64 s[28:29], s[28:29], s[26:27]
	global_store_b128 v2, v[14:17], s[28:29]
	s_branch .LBB175_2
.LBB175_36:
	s_endpgm
	.section	.rodata,"a",@progbits
	.p2align	6, 0x0
	.amdhsa_kernel _ZL32rocblas_gemvt_warp_reduce_kernelILb0ELi1024El19rocblas_complex_numIdEPKS1_S1_EviiT3_lPKT2_lT1_lS7_lS8_lS4_lPT4_lS8_li
		.amdhsa_group_segment_fixed_size 512
		.amdhsa_private_segment_fixed_size 0
		.amdhsa_kernarg_size 140
		.amdhsa_user_sgpr_count 2
		.amdhsa_user_sgpr_dispatch_ptr 0
		.amdhsa_user_sgpr_queue_ptr 0
		.amdhsa_user_sgpr_kernarg_segment_ptr 1
		.amdhsa_user_sgpr_dispatch_id 0
		.amdhsa_user_sgpr_kernarg_preload_length 0
		.amdhsa_user_sgpr_kernarg_preload_offset 0
		.amdhsa_user_sgpr_private_segment_size 0
		.amdhsa_wavefront_size32 1
		.amdhsa_uses_dynamic_stack 0
		.amdhsa_enable_private_segment 0
		.amdhsa_system_sgpr_workgroup_id_x 1
		.amdhsa_system_sgpr_workgroup_id_y 0
		.amdhsa_system_sgpr_workgroup_id_z 1
		.amdhsa_system_sgpr_workgroup_info 0
		.amdhsa_system_vgpr_workitem_id 0
		.amdhsa_next_free_vgpr 40
		.amdhsa_next_free_sgpr 52
		.amdhsa_named_barrier_count 0
		.amdhsa_reserve_vcc 1
		.amdhsa_float_round_mode_32 0
		.amdhsa_float_round_mode_16_64 0
		.amdhsa_float_denorm_mode_32 3
		.amdhsa_float_denorm_mode_16_64 3
		.amdhsa_fp16_overflow 0
		.amdhsa_memory_ordered 1
		.amdhsa_forward_progress 1
		.amdhsa_inst_pref_size 16
		.amdhsa_round_robin_scheduling 0
		.amdhsa_exception_fp_ieee_invalid_op 0
		.amdhsa_exception_fp_denorm_src 0
		.amdhsa_exception_fp_ieee_div_zero 0
		.amdhsa_exception_fp_ieee_overflow 0
		.amdhsa_exception_fp_ieee_underflow 0
		.amdhsa_exception_fp_ieee_inexact 0
		.amdhsa_exception_int_div_zero 0
	.end_amdhsa_kernel
	.section	.text._ZL32rocblas_gemvt_warp_reduce_kernelILb0ELi1024El19rocblas_complex_numIdEPKS1_S1_EviiT3_lPKT2_lT1_lS7_lS8_lS4_lPT4_lS8_li,"axG",@progbits,_ZL32rocblas_gemvt_warp_reduce_kernelILb0ELi1024El19rocblas_complex_numIdEPKS1_S1_EviiT3_lPKT2_lT1_lS7_lS8_lS4_lPT4_lS8_li,comdat
.Lfunc_end175:
	.size	_ZL32rocblas_gemvt_warp_reduce_kernelILb0ELi1024El19rocblas_complex_numIdEPKS1_S1_EviiT3_lPKT2_lT1_lS7_lS8_lS4_lPT4_lS8_li, .Lfunc_end175-_ZL32rocblas_gemvt_warp_reduce_kernelILb0ELi1024El19rocblas_complex_numIdEPKS1_S1_EviiT3_lPKT2_lT1_lS7_lS8_lS4_lPT4_lS8_li
                                        ; -- End function
	.set _ZL32rocblas_gemvt_warp_reduce_kernelILb0ELi1024El19rocblas_complex_numIdEPKS1_S1_EviiT3_lPKT2_lT1_lS7_lS8_lS4_lPT4_lS8_li.num_vgpr, 40
	.set _ZL32rocblas_gemvt_warp_reduce_kernelILb0ELi1024El19rocblas_complex_numIdEPKS1_S1_EviiT3_lPKT2_lT1_lS7_lS8_lS4_lPT4_lS8_li.num_agpr, 0
	.set _ZL32rocblas_gemvt_warp_reduce_kernelILb0ELi1024El19rocblas_complex_numIdEPKS1_S1_EviiT3_lPKT2_lT1_lS7_lS8_lS4_lPT4_lS8_li.numbered_sgpr, 52
	.set _ZL32rocblas_gemvt_warp_reduce_kernelILb0ELi1024El19rocblas_complex_numIdEPKS1_S1_EviiT3_lPKT2_lT1_lS7_lS8_lS4_lPT4_lS8_li.num_named_barrier, 0
	.set _ZL32rocblas_gemvt_warp_reduce_kernelILb0ELi1024El19rocblas_complex_numIdEPKS1_S1_EviiT3_lPKT2_lT1_lS7_lS8_lS4_lPT4_lS8_li.private_seg_size, 0
	.set _ZL32rocblas_gemvt_warp_reduce_kernelILb0ELi1024El19rocblas_complex_numIdEPKS1_S1_EviiT3_lPKT2_lT1_lS7_lS8_lS4_lPT4_lS8_li.uses_vcc, 1
	.set _ZL32rocblas_gemvt_warp_reduce_kernelILb0ELi1024El19rocblas_complex_numIdEPKS1_S1_EviiT3_lPKT2_lT1_lS7_lS8_lS4_lPT4_lS8_li.uses_flat_scratch, 0
	.set _ZL32rocblas_gemvt_warp_reduce_kernelILb0ELi1024El19rocblas_complex_numIdEPKS1_S1_EviiT3_lPKT2_lT1_lS7_lS8_lS4_lPT4_lS8_li.has_dyn_sized_stack, 0
	.set _ZL32rocblas_gemvt_warp_reduce_kernelILb0ELi1024El19rocblas_complex_numIdEPKS1_S1_EviiT3_lPKT2_lT1_lS7_lS8_lS4_lPT4_lS8_li.has_recursion, 0
	.set _ZL32rocblas_gemvt_warp_reduce_kernelILb0ELi1024El19rocblas_complex_numIdEPKS1_S1_EviiT3_lPKT2_lT1_lS7_lS8_lS4_lPT4_lS8_li.has_indirect_call, 0
	.section	.AMDGPU.csdata,"",@progbits
; Kernel info:
; codeLenInByte = 1988
; TotalNumSgprs: 54
; NumVgprs: 40
; ScratchSize: 0
; MemoryBound: 0
; FloatMode: 240
; IeeeMode: 1
; LDSByteSize: 512 bytes/workgroup (compile time only)
; SGPRBlocks: 0
; VGPRBlocks: 2
; NumSGPRsForWavesPerEU: 54
; NumVGPRsForWavesPerEU: 40
; NamedBarCnt: 0
; Occupancy: 16
; WaveLimiterHint : 0
; COMPUTE_PGM_RSRC2:SCRATCH_EN: 0
; COMPUTE_PGM_RSRC2:USER_SGPR: 2
; COMPUTE_PGM_RSRC2:TRAP_HANDLER: 0
; COMPUTE_PGM_RSRC2:TGID_X_EN: 1
; COMPUTE_PGM_RSRC2:TGID_Y_EN: 0
; COMPUTE_PGM_RSRC2:TGID_Z_EN: 1
; COMPUTE_PGM_RSRC2:TIDIG_COMP_CNT: 0
	.section	.text._ZL32rocblas_gemvt_warp_reduce_kernelILb0ELi1024Ei19rocblas_complex_numIdES1_S1_EviiT3_lPKT2_lT1_lS5_lS6_lS2_lPT4_lS6_li,"axG",@progbits,_ZL32rocblas_gemvt_warp_reduce_kernelILb0ELi1024Ei19rocblas_complex_numIdES1_S1_EviiT3_lPKT2_lT1_lS5_lS6_lS2_lPT4_lS6_li,comdat
	.globl	_ZL32rocblas_gemvt_warp_reduce_kernelILb0ELi1024Ei19rocblas_complex_numIdES1_S1_EviiT3_lPKT2_lT1_lS5_lS6_lS2_lPT4_lS6_li ; -- Begin function _ZL32rocblas_gemvt_warp_reduce_kernelILb0ELi1024Ei19rocblas_complex_numIdES1_S1_EviiT3_lPKT2_lT1_lS5_lS6_lS2_lPT4_lS6_li
	.p2align	8
	.type	_ZL32rocblas_gemvt_warp_reduce_kernelILb0ELi1024Ei19rocblas_complex_numIdES1_S1_EviiT3_lPKT2_lT1_lS5_lS6_lS2_lPT4_lS6_li,@function
_ZL32rocblas_gemvt_warp_reduce_kernelILb0ELi1024Ei19rocblas_complex_numIdES1_S1_EviiT3_lPKT2_lT1_lS5_lS6_lS2_lPT4_lS6_li: ; @_ZL32rocblas_gemvt_warp_reduce_kernelILb0ELi1024Ei19rocblas_complex_numIdES1_S1_EviiT3_lPKT2_lT1_lS5_lS6_lS2_lPT4_lS6_li
; %bb.0:
	s_load_b32 s33, s[0:1], 0x98
	s_bfe_u32 s2, ttmp6, 0x40014
	s_lshr_b32 s4, ttmp7, 16
	s_add_co_i32 s2, s2, 1
	s_bfe_u32 s5, ttmp6, 0x40008
	s_mul_i32 s2, s4, s2
	s_getreg_b32 s3, hwreg(HW_REG_IB_STS2, 6, 4)
	s_add_co_i32 s5, s5, s2
	s_cmp_eq_u32 s3, 0
	s_mov_b32 s29, 0
	s_cselect_b32 s28, s4, s5
	s_wait_kmcnt 0x0
	s_cmp_ge_u32 s28, s33
	s_cbranch_scc1 .LBB176_34
; %bb.1:
	s_clause 0xa
	s_load_b128 s[8:11], s[0:1], 0x8
	s_load_b64 s[30:31], s[0:1], 0x68
	s_load_b128 s[12:15], s[0:1], 0x58
	s_load_b32 s27, s[0:1], 0x0
	s_load_b128 s[16:19], s[0:1], 0x38
	s_load_b96 s[24:26], s[0:1], 0x48
	s_load_b128 s[20:23], s[0:1], 0x78
	s_load_b128 s[4:7], s[0:1], 0x20
	s_load_b32 s42, s[0:1], 0x30
	s_load_b32 s43, s[0:1], 0x88
	s_load_b64 s[34:35], s[0:1], 0x90
	v_dual_mov_b32 v2, 0 :: v_dual_bitop2_b32 v3, 31, v0 bitop3:0x40
	s_bfe_u32 s2, ttmp6, 0x4000c
	v_lshrrev_b32_e32 v4, 1, v0
	s_add_co_i32 s2, s2, 1
	s_and_b32 s36, ttmp6, 15
	s_mul_i32 s37, ttmp9, s2
	v_cmp_eq_u32_e64 s2, 0, v3
	v_mov_b32_e32 v5, v2
	v_and_b32_e32 v18, 0x1f0, v4
	s_add_co_i32 s45, s36, s37
	s_wait_xcnt 0x0
	v_cmp_eq_u32_e64 s0, 0, v0
	v_cmp_gt_u32_e64 s1, 32, v0
	s_wait_kmcnt 0x0
	v_cmp_neq_f64_e64 s38, s[8:9], 0
	v_cmp_neq_f64_e64 s39, s[10:11], 0
	;; [unrolled: 1-line block ×4, first 2 shown]
	v_cmp_gt_i32_e32 vcc_lo, s27, v0
	v_lshlrev_b32_e32 v1, 4, v3
	v_cmp_neq_f64_e64 s44, s[14:15], 1.0
	s_lshl_b64 s[24:25], s[24:25], 4
	s_lshl_b64 s[22:23], s[22:23], 4
	v_cndmask_b32_e32 v3, 0, v0, vcc_lo
	s_lshl_b64 s[36:37], s[6:7], 4
	s_add_nc_u64 s[6:7], s[18:19], s[24:25]
	s_add_nc_u64 s[18:19], s[20:21], s[22:23]
	;; [unrolled: 1-line block ×3, first 2 shown]
	v_lshlrev_b32_e32 v4, 4, v3
	v_mul_lo_u32 v19, v0, s26
	v_mbcnt_lo_u32_b32 v20, -1, 0
	s_delay_alu instid0(VALU_DEP_3)
	v_add_nc_u64_e32 v[6:7], s[20:21], v[4:5]
	s_or_b32 s46, s38, s39
	s_or_b32 s38, s41, s40
	s_xor_b32 s39, s46, -1
	s_cmp_eq_u32 s3, 0
	s_cselect_b32 s3, ttmp9, s45
	s_ashr_i32 s20, s27, 31
	s_mul_i32 s22, s42, s3
	s_lshr_b32 s20, s20, 22
	s_ashr_i32 s23, s22, 31
	s_add_co_i32 s20, s27, s20
	s_lshl_b64 s[22:23], s[22:23], 4
	s_and_b32 s20, s20, 0xfffffc00
	s_add_nc_u64 s[24:25], s[36:37], s[22:23]
	v_or_b32_e32 v3, s20, v0
	s_add_nc_u64 s[4:5], s[4:5], s[24:25]
	v_add_nc_u64_e32 v[14:15], s[22:23], v[6:7]
	v_add_nc_u64_e32 v[4:5], s[4:5], v[4:5]
	s_mul_i32 s24, s43, s3
	v_mul_lo_u32 v12, s26, v3
	v_cmp_gt_i32_e64 s3, s20, v0
	v_cmp_gt_i32_e64 s4, s27, v3
	s_or_b32 s21, s46, s44
	s_ashr_i32 s25, s24, 31
	v_add_nc_u64_e32 v[16:17], 8, v[4:5]
	s_or_b32 s5, s21, s40
	s_ashr_i32 s21, s20, 31
	s_lshl_b32 s40, s26, 10
	s_lshl_b64 s[22:23], s[16:17], 4
	s_lshl_b64 s[24:25], s[24:25], 4
	v_ashrrev_i32_e32 v13, 31, v12
	s_branch .LBB176_4
.LBB176_2:                              ;   in Loop: Header=BB176_4 Depth=1
	s_wait_xcnt 0x0
	s_or_b32 exec_lo, exec_lo, s36
.LBB176_3:                              ;   in Loop: Header=BB176_4 Depth=1
	s_add_co_i32 s28, s28, 0x10000
	s_delay_alu instid0(SALU_CYCLE_1)
	s_cmp_lt_u32 s28, s33
	s_cbranch_scc0 .LBB176_34
.LBB176_4:                              ; =>This Loop Header: Depth=1
                                        ;     Child Loop BB176_23 Depth 2
	s_and_not1_b32 vcc_lo, exec_lo, s5
	s_cbranch_vccnz .LBB176_3
; %bb.5:                                ;   in Loop: Header=BB176_4 Depth=1
	s_mul_u64 s[26:27], s[34:35], s[28:29]
	s_and_not1_b32 vcc_lo, exec_lo, s39
	s_lshl_b64 s[26:27], s[26:27], 4
	s_delay_alu instid0(SALU_CYCLE_1)
	s_add_nc_u64 s[26:27], s[18:19], s[26:27]
	s_cbranch_vccnz .LBB176_9
; %bb.6:                                ;   in Loop: Header=BB176_4 Depth=1
	s_mov_b32 s36, 0
	s_mov_b32 s41, 0
                                        ; implicit-def: $vgpr6_vgpr7
	s_and_saveexec_b32 s37, s0
	s_cbranch_execz .LBB176_10
; %bb.7:                                ;   in Loop: Header=BB176_4 Depth=1
	s_and_not1_b32 vcc_lo, exec_lo, s38
	s_cbranch_vccnz .LBB176_11
; %bb.8:                                ;   in Loop: Header=BB176_4 Depth=1
	s_add_nc_u64 s[42:43], s[26:27], s[24:25]
	s_wait_dscnt 0x0
	global_load_b128 v[8:11], v2, s[42:43]
	s_wait_loadcnt 0x0
	v_mul_f64_e32 v[4:5], s[30:31], v[10:11]
	v_mul_f64_e32 v[6:7], s[14:15], v[10:11]
	s_delay_alu instid0(VALU_DEP_2) | instskip(NEXT) | instid1(VALU_DEP_2)
	v_fma_f64 v[4:5], s[14:15], v[8:9], -v[4:5]
	v_fmac_f64_e32 v[6:7], s[30:31], v[8:9]
	s_branch .LBB176_12
.LBB176_9:                              ;   in Loop: Header=BB176_4 Depth=1
	s_mov_b32 s41, 0
                                        ; implicit-def: $vgpr6_vgpr7
	s_cbranch_execnz .LBB176_13
	s_branch .LBB176_32
.LBB176_10:                             ;   in Loop: Header=BB176_4 Depth=1
	s_or_b32 exec_lo, exec_lo, s37
	s_delay_alu instid0(SALU_CYCLE_1)
	s_and_b32 vcc_lo, exec_lo, s36
	s_cbranch_vccnz .LBB176_13
	s_branch .LBB176_32
.LBB176_11:                             ;   in Loop: Header=BB176_4 Depth=1
	v_mov_b64_e32 v[6:7], 0
	v_mov_b64_e32 v[4:5], 0
.LBB176_12:                             ;   in Loop: Header=BB176_4 Depth=1
	s_mov_b32 s41, exec_lo
	s_wait_xcnt 0x0
	s_or_b32 exec_lo, exec_lo, s37
	s_delay_alu instid0(SALU_CYCLE_1)
	s_and_b32 vcc_lo, exec_lo, s36
	s_cbranch_vccz .LBB176_32
.LBB176_13:                             ;   in Loop: Header=BB176_4 Depth=1
	v_mov_b64_e32 v[6:7], 0
	s_wait_dscnt 0x0
	v_mov_b64_e32 v[8:9], 0
	s_mul_u64 s[36:37], s[12:13], s[28:29]
	s_delay_alu instid0(SALU_CYCLE_1) | instskip(NEXT) | instid1(SALU_CYCLE_1)
	s_lshl_b64 s[36:37], s[36:37], 4
	s_add_nc_u64 s[36:37], s[6:7], s[36:37]
	s_and_saveexec_b32 s42, s3
	s_cbranch_execnz .LBB176_22
; %bb.14:                               ;   in Loop: Header=BB176_4 Depth=1
	s_or_b32 exec_lo, exec_lo, s42
	s_and_saveexec_b32 s42, s4
	s_cbranch_execnz .LBB176_25
.LBB176_15:                             ;   in Loop: Header=BB176_4 Depth=1
	s_or_b32 exec_lo, exec_lo, s42
	s_and_saveexec_b32 s36, s1
.LBB176_16:                             ;   in Loop: Header=BB176_4 Depth=1
	v_dual_mov_b32 v3, v2 :: v_dual_mov_b32 v4, v2
	v_mov_b32_e32 v5, v2
	ds_store_b128 v1, v[2:5]
.LBB176_17:                             ;   in Loop: Header=BB176_4 Depth=1
	s_or_b32 exec_lo, exec_lo, s36
	v_lshl_or_b32 v3, v20, 2, 64
	v_cmp_gt_u32_e32 vcc_lo, 24, v20
	s_wait_dscnt 0x0
	s_barrier_signal -1
	s_barrier_wait -1
	ds_bpermute_b32 v4, v3, v8
	ds_bpermute_b32 v5, v3, v9
	ds_bpermute_b32 v10, v3, v6
	ds_bpermute_b32 v11, v3, v7
	s_wait_dscnt 0x0
	v_add_f64_e32 v[4:5], v[8:9], v[4:5]
	v_cndmask_b32_e64 v8, 0, 8, vcc_lo
	v_cmp_gt_u32_e32 vcc_lo, 28, v20
	s_delay_alu instid0(VALU_DEP_2)
	v_add_lshl_u32 v21, v8, v20, 2
	ds_bpermute_b32 v8, v21, v4
	ds_bpermute_b32 v9, v21, v5
	s_wait_dscnt 0x0
	v_add_f64_e32 v[4:5], v[4:5], v[8:9]
	v_cndmask_b32_e64 v8, 0, 4, vcc_lo
	v_cmp_gt_u32_e32 vcc_lo, 30, v20
	s_delay_alu instid0(VALU_DEP_2)
	v_add_lshl_u32 v22, v8, v20, 2
	ds_bpermute_b32 v8, v22, v4
	ds_bpermute_b32 v9, v22, v5
	s_wait_dscnt 0x0
	v_add_f64_e32 v[4:5], v[4:5], v[8:9]
	v_cndmask_b32_e64 v8, 0, 2, vcc_lo
	v_cmp_ne_u32_e32 vcc_lo, 31, v20
	s_delay_alu instid0(VALU_DEP_2)
	v_add_lshl_u32 v23, v8, v20, 2
	ds_bpermute_b32 v8, v23, v4
	ds_bpermute_b32 v9, v23, v5
	s_wait_dscnt 0x0
	v_add_f64_e32 v[4:5], v[4:5], v[8:9]
	v_add_co_ci_u32_e64 v8, null, 0, v20, vcc_lo
	s_delay_alu instid0(VALU_DEP_1)
	v_dual_add_f64 v[6:7], v[6:7], v[10:11] :: v_dual_lshlrev_b32 v24, 2, v8
	ds_bpermute_b32 v8, v24, v4
	ds_bpermute_b32 v9, v24, v5
	;; [unrolled: 1-line block ×4, first 2 shown]
	s_wait_dscnt 0x0
	v_add_f64_e32 v[6:7], v[6:7], v[10:11]
	ds_bpermute_b32 v10, v22, v6
	ds_bpermute_b32 v11, v22, v7
	s_wait_dscnt 0x0
	v_add_f64_e32 v[6:7], v[6:7], v[10:11]
	ds_bpermute_b32 v10, v23, v6
	ds_bpermute_b32 v11, v23, v7
	s_wait_dscnt 0x0
	v_add_f64_e32 v[6:7], v[6:7], v[10:11]
	ds_bpermute_b32 v10, v24, v6
	ds_bpermute_b32 v11, v24, v7
	s_and_saveexec_b32 s36, s2
	s_cbranch_execz .LBB176_19
; %bb.18:                               ;   in Loop: Header=BB176_4 Depth=1
	s_wait_dscnt 0x0
	v_add_f64_e32 v[6:7], v[6:7], v[10:11]
	v_add_f64_e32 v[4:5], v[4:5], v[8:9]
	ds_store_b128 v18, v[4:7]
.LBB176_19:                             ;   in Loop: Header=BB176_4 Depth=1
	s_or_b32 exec_lo, exec_lo, s36
	s_wait_dscnt 0x0
	v_mov_b64_e32 v[10:11], 0
	v_mov_b64_e32 v[8:9], 0
	s_barrier_signal -1
	s_barrier_wait -1
	s_and_saveexec_b32 s36, s1
	s_cbranch_execnz .LBB176_26
; %bb.20:                               ;   in Loop: Header=BB176_4 Depth=1
	s_or_b32 exec_lo, exec_lo, s36
	s_and_saveexec_b32 s36, s1
	s_cbranch_execnz .LBB176_27
.LBB176_21:                             ;   in Loop: Header=BB176_4 Depth=1
	s_or_b32 exec_lo, exec_lo, s36
                                        ; implicit-def: $vgpr6_vgpr7
	s_and_saveexec_b32 s36, s0
	s_cbranch_execnz .LBB176_28
	s_branch .LBB176_31
.LBB176_22:                             ;   in Loop: Header=BB176_4 Depth=1
	v_mad_nc_u64_u32 v[4:5], s22, s28, v[16:17]
	v_mov_b64_e32 v[6:7], 0
	v_mov_b64_e32 v[8:9], 0
	v_dual_mov_b32 v3, v0 :: v_dual_mov_b32 v10, v19
	s_mov_b32 s43, 0
	s_delay_alu instid0(VALU_DEP_4)
	v_mad_u32 v5, s23, s28, v5
.LBB176_23:                             ;   Parent Loop BB176_4 Depth=1
                                        ; =>  This Inner Loop Header: Depth=2
	global_load_b128 v[22:25], v[4:5], off offset:-8
	global_load_b128 v[26:29], v10, s[36:37] scale_offset
	v_add_nc_u32_e32 v3, 0x400, v3
	s_wait_xcnt 0x1
	v_add_nc_u64_e32 v[4:5], 0x4000, v[4:5]
	s_wait_xcnt 0x0
	v_add_nc_u32_e32 v10, s40, v10
	v_cmp_le_i32_e32 vcc_lo, s20, v3
	s_or_b32 s43, vcc_lo, s43
	s_wait_loadcnt 0x0
	v_mul_f64_e32 v[30:31], v[24:25], v[28:29]
	v_mul_f64_e32 v[28:29], v[22:23], v[28:29]
	s_delay_alu instid0(VALU_DEP_2) | instskip(NEXT) | instid1(VALU_DEP_2)
	v_fma_f64 v[22:23], v[22:23], v[26:27], -v[30:31]
	v_fmac_f64_e32 v[28:29], v[24:25], v[26:27]
	s_delay_alu instid0(VALU_DEP_2) | instskip(NEXT) | instid1(VALU_DEP_2)
	v_add_f64_e32 v[8:9], v[8:9], v[22:23]
	v_add_f64_e32 v[6:7], v[6:7], v[28:29]
	s_and_not1_b32 exec_lo, exec_lo, s43
	s_cbranch_execnz .LBB176_23
; %bb.24:                               ;   in Loop: Header=BB176_4 Depth=1
	s_or_b32 exec_lo, exec_lo, s43
	s_delay_alu instid0(SALU_CYCLE_1)
	s_or_b32 exec_lo, exec_lo, s42
	s_and_saveexec_b32 s42, s4
	s_cbranch_execz .LBB176_15
.LBB176_25:                             ;   in Loop: Header=BB176_4 Depth=1
	s_mul_u64 s[44:45], s[16:17], s[28:29]
	v_lshl_add_u64 v[10:11], v[12:13], 4, s[36:37]
	v_lshl_add_u64 v[4:5], s[44:45], 4, v[14:15]
	s_delay_alu instid0(VALU_DEP_1)
	v_lshl_add_u64 v[4:5], s[20:21], 4, v[4:5]
	global_load_b128 v[22:25], v[10:11], off
	global_load_b128 v[26:29], v[4:5], off
	s_wait_loadcnt 0x0
	s_wait_xcnt 0x0
	v_mul_f64_e32 v[4:5], v[28:29], v[24:25]
	v_mul_f64_e32 v[10:11], v[26:27], v[24:25]
	s_delay_alu instid0(VALU_DEP_2) | instskip(NEXT) | instid1(VALU_DEP_2)
	v_fma_f64 v[4:5], v[26:27], v[22:23], -v[4:5]
	v_fmac_f64_e32 v[10:11], v[28:29], v[22:23]
	s_delay_alu instid0(VALU_DEP_2) | instskip(NEXT) | instid1(VALU_DEP_2)
	v_add_f64_e32 v[8:9], v[8:9], v[4:5]
	v_add_f64_e32 v[6:7], v[6:7], v[10:11]
	s_or_b32 exec_lo, exec_lo, s42
	s_and_saveexec_b32 s36, s1
	s_cbranch_execnz .LBB176_16
	s_branch .LBB176_17
.LBB176_26:                             ;   in Loop: Header=BB176_4 Depth=1
	ds_load_b128 v[8:11], v1
	s_or_b32 exec_lo, exec_lo, s36
	s_and_saveexec_b32 s36, s1
	s_cbranch_execz .LBB176_21
.LBB176_27:                             ;   in Loop: Header=BB176_4 Depth=1
	s_wait_dscnt 0x0
	ds_bpermute_b32 v4, v3, v8
	ds_bpermute_b32 v5, v3, v9
	ds_bpermute_b32 v6, v3, v10
	ds_bpermute_b32 v7, v3, v11
	s_wait_dscnt 0x2
	v_add_f64_e32 v[4:5], v[8:9], v[4:5]
	s_wait_dscnt 0x0
	v_add_f64_e32 v[6:7], v[10:11], v[6:7]
	ds_bpermute_b32 v8, v21, v4
	ds_bpermute_b32 v9, v21, v5
	ds_bpermute_b32 v10, v21, v6
	ds_bpermute_b32 v11, v21, v7
	s_wait_dscnt 0x2
	v_add_f64_e32 v[4:5], v[4:5], v[8:9]
	s_wait_dscnt 0x0
	v_add_f64_e32 v[6:7], v[6:7], v[10:11]
	;; [unrolled: 8-line block ×5, first 2 shown]
	s_or_b32 exec_lo, exec_lo, s36
                                        ; implicit-def: $vgpr6_vgpr7
	s_and_saveexec_b32 s36, s0
	s_cbranch_execz .LBB176_31
.LBB176_28:                             ;   in Loop: Header=BB176_4 Depth=1
	s_wait_dscnt 0x0
	s_delay_alu instid0(VALU_DEP_1) | instskip(SKIP_2) | instid1(VALU_DEP_2)
	v_mul_f64_e32 v[4:5], s[10:11], v[10:11]
	v_mul_f64_e32 v[6:7], s[8:9], v[10:11]
	s_and_not1_b32 vcc_lo, exec_lo, s38
	v_fma_f64 v[4:5], s[8:9], v[8:9], -v[4:5]
	s_delay_alu instid0(VALU_DEP_2)
	v_fmac_f64_e32 v[6:7], s[10:11], v[8:9]
	s_cbranch_vccnz .LBB176_30
; %bb.29:                               ;   in Loop: Header=BB176_4 Depth=1
	s_add_nc_u64 s[42:43], s[26:27], s[24:25]
	global_load_b128 v[8:11], v2, s[42:43]
	s_wait_loadcnt 0x0
	v_mul_f64_e32 v[22:23], s[30:31], v[10:11]
	v_mul_f64_e32 v[10:11], s[14:15], v[10:11]
	s_delay_alu instid0(VALU_DEP_2) | instskip(NEXT) | instid1(VALU_DEP_2)
	v_fma_f64 v[22:23], s[14:15], v[8:9], -v[22:23]
	v_fmac_f64_e32 v[10:11], s[30:31], v[8:9]
	s_delay_alu instid0(VALU_DEP_2) | instskip(NEXT) | instid1(VALU_DEP_2)
	v_add_f64_e32 v[4:5], v[4:5], v[22:23]
	v_add_f64_e32 v[6:7], v[6:7], v[10:11]
.LBB176_30:                             ;   in Loop: Header=BB176_4 Depth=1
	s_or_b32 s41, s41, exec_lo
.LBB176_31:                             ;   in Loop: Header=BB176_4 Depth=1
	s_wait_xcnt 0x0
	s_or_b32 exec_lo, exec_lo, s36
.LBB176_32:                             ;   in Loop: Header=BB176_4 Depth=1
	s_and_saveexec_b32 s36, s41
	s_cbranch_execz .LBB176_2
; %bb.33:                               ;   in Loop: Header=BB176_4 Depth=1
	s_add_nc_u64 s[26:27], s[26:27], s[24:25]
	global_store_b128 v2, v[4:7], s[26:27]
	s_branch .LBB176_2
.LBB176_34:
	s_endpgm
	.section	.rodata,"a",@progbits
	.p2align	6, 0x0
	.amdhsa_kernel _ZL32rocblas_gemvt_warp_reduce_kernelILb0ELi1024Ei19rocblas_complex_numIdES1_S1_EviiT3_lPKT2_lT1_lS5_lS6_lS2_lPT4_lS6_li
		.amdhsa_group_segment_fixed_size 512
		.amdhsa_private_segment_fixed_size 0
		.amdhsa_kernarg_size 156
		.amdhsa_user_sgpr_count 2
		.amdhsa_user_sgpr_dispatch_ptr 0
		.amdhsa_user_sgpr_queue_ptr 0
		.amdhsa_user_sgpr_kernarg_segment_ptr 1
		.amdhsa_user_sgpr_dispatch_id 0
		.amdhsa_user_sgpr_kernarg_preload_length 0
		.amdhsa_user_sgpr_kernarg_preload_offset 0
		.amdhsa_user_sgpr_private_segment_size 0
		.amdhsa_wavefront_size32 1
		.amdhsa_uses_dynamic_stack 0
		.amdhsa_enable_private_segment 0
		.amdhsa_system_sgpr_workgroup_id_x 1
		.amdhsa_system_sgpr_workgroup_id_y 0
		.amdhsa_system_sgpr_workgroup_id_z 1
		.amdhsa_system_sgpr_workgroup_info 0
		.amdhsa_system_vgpr_workitem_id 0
		.amdhsa_next_free_vgpr 32
		.amdhsa_next_free_sgpr 47
		.amdhsa_named_barrier_count 0
		.amdhsa_reserve_vcc 1
		.amdhsa_float_round_mode_32 0
		.amdhsa_float_round_mode_16_64 0
		.amdhsa_float_denorm_mode_32 3
		.amdhsa_float_denorm_mode_16_64 3
		.amdhsa_fp16_overflow 0
		.amdhsa_memory_ordered 1
		.amdhsa_forward_progress 1
		.amdhsa_inst_pref_size 15
		.amdhsa_round_robin_scheduling 0
		.amdhsa_exception_fp_ieee_invalid_op 0
		.amdhsa_exception_fp_denorm_src 0
		.amdhsa_exception_fp_ieee_div_zero 0
		.amdhsa_exception_fp_ieee_overflow 0
		.amdhsa_exception_fp_ieee_underflow 0
		.amdhsa_exception_fp_ieee_inexact 0
		.amdhsa_exception_int_div_zero 0
	.end_amdhsa_kernel
	.section	.text._ZL32rocblas_gemvt_warp_reduce_kernelILb0ELi1024Ei19rocblas_complex_numIdES1_S1_EviiT3_lPKT2_lT1_lS5_lS6_lS2_lPT4_lS6_li,"axG",@progbits,_ZL32rocblas_gemvt_warp_reduce_kernelILb0ELi1024Ei19rocblas_complex_numIdES1_S1_EviiT3_lPKT2_lT1_lS5_lS6_lS2_lPT4_lS6_li,comdat
.Lfunc_end176:
	.size	_ZL32rocblas_gemvt_warp_reduce_kernelILb0ELi1024Ei19rocblas_complex_numIdES1_S1_EviiT3_lPKT2_lT1_lS5_lS6_lS2_lPT4_lS6_li, .Lfunc_end176-_ZL32rocblas_gemvt_warp_reduce_kernelILb0ELi1024Ei19rocblas_complex_numIdES1_S1_EviiT3_lPKT2_lT1_lS5_lS6_lS2_lPT4_lS6_li
                                        ; -- End function
	.set _ZL32rocblas_gemvt_warp_reduce_kernelILb0ELi1024Ei19rocblas_complex_numIdES1_S1_EviiT3_lPKT2_lT1_lS5_lS6_lS2_lPT4_lS6_li.num_vgpr, 32
	.set _ZL32rocblas_gemvt_warp_reduce_kernelILb0ELi1024Ei19rocblas_complex_numIdES1_S1_EviiT3_lPKT2_lT1_lS5_lS6_lS2_lPT4_lS6_li.num_agpr, 0
	.set _ZL32rocblas_gemvt_warp_reduce_kernelILb0ELi1024Ei19rocblas_complex_numIdES1_S1_EviiT3_lPKT2_lT1_lS5_lS6_lS2_lPT4_lS6_li.numbered_sgpr, 47
	.set _ZL32rocblas_gemvt_warp_reduce_kernelILb0ELi1024Ei19rocblas_complex_numIdES1_S1_EviiT3_lPKT2_lT1_lS5_lS6_lS2_lPT4_lS6_li.num_named_barrier, 0
	.set _ZL32rocblas_gemvt_warp_reduce_kernelILb0ELi1024Ei19rocblas_complex_numIdES1_S1_EviiT3_lPKT2_lT1_lS5_lS6_lS2_lPT4_lS6_li.private_seg_size, 0
	.set _ZL32rocblas_gemvt_warp_reduce_kernelILb0ELi1024Ei19rocblas_complex_numIdES1_S1_EviiT3_lPKT2_lT1_lS5_lS6_lS2_lPT4_lS6_li.uses_vcc, 1
	.set _ZL32rocblas_gemvt_warp_reduce_kernelILb0ELi1024Ei19rocblas_complex_numIdES1_S1_EviiT3_lPKT2_lT1_lS5_lS6_lS2_lPT4_lS6_li.uses_flat_scratch, 0
	.set _ZL32rocblas_gemvt_warp_reduce_kernelILb0ELi1024Ei19rocblas_complex_numIdES1_S1_EviiT3_lPKT2_lT1_lS5_lS6_lS2_lPT4_lS6_li.has_dyn_sized_stack, 0
	.set _ZL32rocblas_gemvt_warp_reduce_kernelILb0ELi1024Ei19rocblas_complex_numIdES1_S1_EviiT3_lPKT2_lT1_lS5_lS6_lS2_lPT4_lS6_li.has_recursion, 0
	.set _ZL32rocblas_gemvt_warp_reduce_kernelILb0ELi1024Ei19rocblas_complex_numIdES1_S1_EviiT3_lPKT2_lT1_lS5_lS6_lS2_lPT4_lS6_li.has_indirect_call, 0
	.section	.AMDGPU.csdata,"",@progbits
; Kernel info:
; codeLenInByte = 1892
; TotalNumSgprs: 49
; NumVgprs: 32
; ScratchSize: 0
; MemoryBound: 0
; FloatMode: 240
; IeeeMode: 1
; LDSByteSize: 512 bytes/workgroup (compile time only)
; SGPRBlocks: 0
; VGPRBlocks: 1
; NumSGPRsForWavesPerEU: 49
; NumVGPRsForWavesPerEU: 32
; NamedBarCnt: 0
; Occupancy: 16
; WaveLimiterHint : 1
; COMPUTE_PGM_RSRC2:SCRATCH_EN: 0
; COMPUTE_PGM_RSRC2:USER_SGPR: 2
; COMPUTE_PGM_RSRC2:TRAP_HANDLER: 0
; COMPUTE_PGM_RSRC2:TGID_X_EN: 1
; COMPUTE_PGM_RSRC2:TGID_Y_EN: 0
; COMPUTE_PGM_RSRC2:TGID_Z_EN: 1
; COMPUTE_PGM_RSRC2:TIDIG_COMP_CNT: 0
	.section	.text._ZL32rocblas_gemvt_warp_reduce_kernelILb0ELi1024El19rocblas_complex_numIdES1_S1_EviiT3_lPKT2_lT1_lS5_lS6_lS2_lPT4_lS6_li,"axG",@progbits,_ZL32rocblas_gemvt_warp_reduce_kernelILb0ELi1024El19rocblas_complex_numIdES1_S1_EviiT3_lPKT2_lT1_lS5_lS6_lS2_lPT4_lS6_li,comdat
	.globl	_ZL32rocblas_gemvt_warp_reduce_kernelILb0ELi1024El19rocblas_complex_numIdES1_S1_EviiT3_lPKT2_lT1_lS5_lS6_lS2_lPT4_lS6_li ; -- Begin function _ZL32rocblas_gemvt_warp_reduce_kernelILb0ELi1024El19rocblas_complex_numIdES1_S1_EviiT3_lPKT2_lT1_lS5_lS6_lS2_lPT4_lS6_li
	.p2align	8
	.type	_ZL32rocblas_gemvt_warp_reduce_kernelILb0ELi1024El19rocblas_complex_numIdES1_S1_EviiT3_lPKT2_lT1_lS5_lS6_lS2_lPT4_lS6_li,@function
_ZL32rocblas_gemvt_warp_reduce_kernelILb0ELi1024El19rocblas_complex_numIdES1_S1_EviiT3_lPKT2_lT1_lS5_lS6_lS2_lPT4_lS6_li: ; @_ZL32rocblas_gemvt_warp_reduce_kernelILb0ELi1024El19rocblas_complex_numIdES1_S1_EviiT3_lPKT2_lT1_lS5_lS6_lS2_lPT4_lS6_li
; %bb.0:
	s_load_b32 s33, s[0:1], 0x98
	s_bfe_u32 s2, ttmp6, 0x40014
	s_lshr_b32 s3, ttmp7, 16
	s_add_co_i32 s2, s2, 1
	s_bfe_u32 s5, ttmp6, 0x40008
	s_mul_i32 s4, s3, s2
	s_getreg_b32 s2, hwreg(HW_REG_IB_STS2, 6, 4)
	s_add_co_i32 s5, s5, s4
	s_cmp_eq_u32 s2, 0
	s_mov_b32 s35, 0
	s_cselect_b32 s34, s3, s5
	s_wait_kmcnt 0x0
	s_cmp_ge_u32 s34, s33
	s_cbranch_scc1 .LBB177_34
; %bb.1:
	s_clause 0x4
	s_load_b128 s[28:31], s[0:1], 0x8
	s_load_b128 s[36:39], s[0:1], 0x60
	s_load_b512 s[4:19], s[0:1], 0x20
	s_load_b256 s[20:27], s[0:1], 0x78
	s_load_b32 s43, s[0:1], 0x0
	s_wait_xcnt 0x0
	s_bfe_u32 s0, ttmp6, 0x4000c
	s_and_b32 s1, ttmp6, 15
	s_add_co_i32 s0, s0, 1
	v_mbcnt_lo_u32_b32 v21, -1, 0
	s_mul_i32 s0, ttmp9, s0
	v_and_b32_e32 v3, 31, v0
	s_add_co_i32 s44, s1, s0
	s_wait_kmcnt 0x0
	v_cmp_neq_f64_e64 s3, s[28:29], 0
	v_cmp_neq_f64_e64 s40, s[30:31], 0
	v_cmp_neq_f64_e64 s42, s[38:39], 0
	v_cmp_neq_f64_e64 s41, s[36:37], 0
	s_lshl_b64 s[0:1], s[14:15], 4
	s_lshl_b64 s[14:15], s[22:23], 4
	;; [unrolled: 1-line block ×3, first 2 shown]
	v_cmp_gt_i32_e32 vcc_lo, s43, v0
	v_mov_b32_e32 v2, 0
	s_add_nc_u64 s[12:13], s[12:13], s[0:1]
	s_add_nc_u64 s[0:1], s[4:5], s[22:23]
	;; [unrolled: 1-line block ×3, first 2 shown]
	s_or_b32 s45, s3, s40
	s_or_b32 s40, s41, s42
	s_xor_b32 s41, s45, -1
	s_cmp_eq_u32 s2, 0
	s_cselect_b32 s2, ttmp9, s44
	s_ashr_i32 s3, s43, 31
	v_cmp_neq_f64_e64 s44, s[36:37], 1.0
	s_lshr_b32 s3, s3, 22
	s_lshl_b64 s[20:21], s[10:11], 4
	s_add_co_i32 s3, s43, s3
	s_delay_alu instid0(SALU_CYCLE_1) | instskip(NEXT) | instid1(SALU_CYCLE_1)
	s_and_b32 s6, s3, 0xfffffc00
	v_dual_mov_b32 v1, v2 :: v_dual_bitop2_b32 v6, s6, v0 bitop3:0x54
	s_ashr_i32 s3, s2, 31
	s_ashr_i32 s7, s6, 31
	s_mul_u64 s[8:9], s[8:9], s[2:3]
	s_delay_alu instid0(VALU_DEP_1) | instskip(SKIP_4) | instid1(VALU_DEP_2)
	v_mul_u64_e32 v[4:5], s[16:17], v[0:1]
	v_dual_ashrrev_i32 v7, 31, v6 :: v_dual_cndmask_b32 v1, 0, v0, vcc_lo
	v_mov_b32_e32 v9, v2
	s_lshl_b64 s[8:9], s[8:9], 4
	s_mul_u64 s[24:25], s[24:25], s[2:3]
	v_mul_u64_e32 v[12:13], s[16:17], v[6:7]
	v_lshlrev_b32_e32 v8, 4, v1
	v_cmp_gt_i32_e64 s2, s43, v6
	v_cmp_gt_u32_e64 s3, 32, v0
	s_lshl_b64 s[16:17], s[16:17], 14
	v_lshlrev_b32_e32 v1, 4, v3
	v_add_nc_u64_e32 v[10:11], s[0:1], v[8:9]
	v_cmp_eq_u32_e64 s0, 0, v0
	v_cmp_gt_i32_e64 s1, s6, v0
	s_delay_alu instid0(VALU_DEP_3)
	v_add_nc_u64_e32 v[14:15], s[8:9], v[10:11]
	s_add_nc_u64 s[8:9], s[8:9], s[22:23]
	v_lshrrev_b32_e32 v10, 1, v0
	s_add_nc_u64 s[4:5], s[4:5], s[8:9]
	s_lshl_b64 s[8:9], s[18:19], 4
	v_add_nc_u64_e32 v[6:7], s[4:5], v[8:9]
	v_cmp_eq_u32_e64 s4, 0, v3
	v_and_b32_e32 v20, 0x1f0, v10
	s_or_b32 s5, s45, s44
	s_lshl_b64 s[22:23], s[24:25], 4
	s_or_b32 s5, s5, s42
	v_add_nc_u64_e32 v[18:19], 8, v[6:7]
	v_lshl_add_u64 v[4:5], v[4:5], 4, s[12:13]
	s_delay_alu instid0(VALU_DEP_1)
	v_add_nc_u64_e32 v[16:17], 8, v[4:5]
	s_branch .LBB177_4
.LBB177_2:                              ;   in Loop: Header=BB177_4 Depth=1
	s_wait_xcnt 0x0
	s_or_b32 exec_lo, exec_lo, s43
.LBB177_3:                              ;   in Loop: Header=BB177_4 Depth=1
	s_add_co_i32 s34, s34, 0x10000
	s_delay_alu instid0(SALU_CYCLE_1)
	s_cmp_lt_u32 s34, s33
	s_cbranch_scc0 .LBB177_34
.LBB177_4:                              ; =>This Loop Header: Depth=1
                                        ;     Child Loop BB177_23 Depth 2
	s_and_not1_b32 vcc_lo, exec_lo, s5
	s_cbranch_vccnz .LBB177_3
; %bb.5:                                ;   in Loop: Header=BB177_4 Depth=1
	s_mul_u64 s[24:25], s[26:27], s[34:35]
	s_and_not1_b32 vcc_lo, exec_lo, s41
	s_lshl_b64 s[24:25], s[24:25], 4
	s_delay_alu instid0(SALU_CYCLE_1)
	s_add_nc_u64 s[24:25], s[14:15], s[24:25]
	s_cbranch_vccnz .LBB177_9
; %bb.6:                                ;   in Loop: Header=BB177_4 Depth=1
	s_mov_b32 s43, 0
	s_mov_b32 s42, 0
                                        ; implicit-def: $vgpr6_vgpr7
	s_and_saveexec_b32 s44, s0
	s_cbranch_execz .LBB177_10
; %bb.7:                                ;   in Loop: Header=BB177_4 Depth=1
	s_and_not1_b32 vcc_lo, exec_lo, s40
	s_cbranch_vccnz .LBB177_11
; %bb.8:                                ;   in Loop: Header=BB177_4 Depth=1
	s_add_nc_u64 s[46:47], s[24:25], s[22:23]
	s_wait_dscnt 0x0
	global_load_b128 v[8:11], v2, s[46:47]
	s_wait_loadcnt 0x0
	v_mul_f64_e32 v[4:5], s[38:39], v[10:11]
	v_mul_f64_e32 v[6:7], s[36:37], v[10:11]
	s_delay_alu instid0(VALU_DEP_2) | instskip(NEXT) | instid1(VALU_DEP_2)
	v_fma_f64 v[4:5], s[36:37], v[8:9], -v[4:5]
	v_fmac_f64_e32 v[6:7], s[38:39], v[8:9]
	s_branch .LBB177_12
.LBB177_9:                              ;   in Loop: Header=BB177_4 Depth=1
	s_mov_b32 s42, 0
                                        ; implicit-def: $vgpr6_vgpr7
	s_cbranch_execnz .LBB177_13
	s_branch .LBB177_32
.LBB177_10:                             ;   in Loop: Header=BB177_4 Depth=1
	s_or_b32 exec_lo, exec_lo, s44
	s_delay_alu instid0(SALU_CYCLE_1)
	s_and_b32 vcc_lo, exec_lo, s43
	s_cbranch_vccnz .LBB177_13
	s_branch .LBB177_32
.LBB177_11:                             ;   in Loop: Header=BB177_4 Depth=1
	v_mov_b64_e32 v[6:7], 0
	v_mov_b64_e32 v[4:5], 0
.LBB177_12:                             ;   in Loop: Header=BB177_4 Depth=1
	s_mov_b32 s42, exec_lo
	s_wait_xcnt 0x0
	s_or_b32 exec_lo, exec_lo, s44
	s_delay_alu instid0(SALU_CYCLE_1)
	s_and_b32 vcc_lo, exec_lo, s43
	s_cbranch_vccz .LBB177_32
.LBB177_13:                             ;   in Loop: Header=BB177_4 Depth=1
	v_mov_b64_e32 v[6:7], 0
	s_wait_dscnt 0x0
	v_mov_b64_e32 v[8:9], 0
	s_and_saveexec_b32 s43, s1
	s_cbranch_execnz .LBB177_22
; %bb.14:                               ;   in Loop: Header=BB177_4 Depth=1
	s_or_b32 exec_lo, exec_lo, s43
	s_and_saveexec_b32 s43, s2
	s_cbranch_execnz .LBB177_25
.LBB177_15:                             ;   in Loop: Header=BB177_4 Depth=1
	s_or_b32 exec_lo, exec_lo, s43
	s_and_saveexec_b32 s43, s3
.LBB177_16:                             ;   in Loop: Header=BB177_4 Depth=1
	v_dual_mov_b32 v3, v2 :: v_dual_mov_b32 v4, v2
	v_mov_b32_e32 v5, v2
	ds_store_b128 v1, v[2:5]
.LBB177_17:                             ;   in Loop: Header=BB177_4 Depth=1
	s_or_b32 exec_lo, exec_lo, s43
	v_lshl_or_b32 v3, v21, 2, 64
	v_cmp_gt_u32_e32 vcc_lo, 24, v21
	s_wait_dscnt 0x0
	s_barrier_signal -1
	s_barrier_wait -1
	ds_bpermute_b32 v4, v3, v8
	ds_bpermute_b32 v5, v3, v9
	;; [unrolled: 1-line block ×4, first 2 shown]
	s_wait_dscnt 0x0
	v_add_f64_e32 v[4:5], v[8:9], v[4:5]
	v_cndmask_b32_e64 v8, 0, 8, vcc_lo
	v_cmp_gt_u32_e32 vcc_lo, 28, v21
	s_delay_alu instid0(VALU_DEP_2)
	v_add_lshl_u32 v22, v8, v21, 2
	ds_bpermute_b32 v8, v22, v4
	ds_bpermute_b32 v9, v22, v5
	s_wait_dscnt 0x0
	v_add_f64_e32 v[4:5], v[4:5], v[8:9]
	v_cndmask_b32_e64 v8, 0, 4, vcc_lo
	v_cmp_gt_u32_e32 vcc_lo, 30, v21
	s_delay_alu instid0(VALU_DEP_2)
	v_add_lshl_u32 v23, v8, v21, 2
	ds_bpermute_b32 v8, v23, v4
	ds_bpermute_b32 v9, v23, v5
	s_wait_dscnt 0x0
	v_add_f64_e32 v[4:5], v[4:5], v[8:9]
	v_cndmask_b32_e64 v8, 0, 2, vcc_lo
	v_cmp_ne_u32_e32 vcc_lo, 31, v21
	s_delay_alu instid0(VALU_DEP_2)
	v_add_lshl_u32 v24, v8, v21, 2
	ds_bpermute_b32 v8, v24, v4
	ds_bpermute_b32 v9, v24, v5
	s_wait_dscnt 0x0
	v_add_f64_e32 v[4:5], v[4:5], v[8:9]
	v_add_co_ci_u32_e64 v8, null, 0, v21, vcc_lo
	s_delay_alu instid0(VALU_DEP_1)
	v_dual_add_f64 v[6:7], v[6:7], v[10:11] :: v_dual_lshlrev_b32 v25, 2, v8
	ds_bpermute_b32 v8, v25, v4
	ds_bpermute_b32 v9, v25, v5
	;; [unrolled: 1-line block ×4, first 2 shown]
	s_wait_dscnt 0x0
	v_add_f64_e32 v[6:7], v[6:7], v[10:11]
	ds_bpermute_b32 v10, v23, v6
	ds_bpermute_b32 v11, v23, v7
	s_wait_dscnt 0x0
	v_add_f64_e32 v[6:7], v[6:7], v[10:11]
	ds_bpermute_b32 v10, v24, v6
	ds_bpermute_b32 v11, v24, v7
	;; [unrolled: 4-line block ×3, first 2 shown]
	s_and_saveexec_b32 s43, s4
	s_cbranch_execz .LBB177_19
; %bb.18:                               ;   in Loop: Header=BB177_4 Depth=1
	s_wait_dscnt 0x0
	v_add_f64_e32 v[6:7], v[6:7], v[10:11]
	v_add_f64_e32 v[4:5], v[4:5], v[8:9]
	ds_store_b128 v20, v[4:7]
.LBB177_19:                             ;   in Loop: Header=BB177_4 Depth=1
	s_or_b32 exec_lo, exec_lo, s43
	s_wait_dscnt 0x0
	v_mov_b64_e32 v[10:11], 0
	v_mov_b64_e32 v[8:9], 0
	s_barrier_signal -1
	s_barrier_wait -1
	s_and_saveexec_b32 s43, s3
	s_cbranch_execnz .LBB177_26
; %bb.20:                               ;   in Loop: Header=BB177_4 Depth=1
	s_or_b32 exec_lo, exec_lo, s43
	s_and_saveexec_b32 s43, s3
	s_cbranch_execnz .LBB177_27
.LBB177_21:                             ;   in Loop: Header=BB177_4 Depth=1
	s_or_b32 exec_lo, exec_lo, s43
                                        ; implicit-def: $vgpr6_vgpr7
	s_and_saveexec_b32 s43, s0
	s_cbranch_execnz .LBB177_28
	s_branch .LBB177_31
.LBB177_22:                             ;   in Loop: Header=BB177_4 Depth=1
	v_mad_nc_u64_u32 v[4:5], s8, s34, v[16:17]
	v_mad_nc_u64_u32 v[10:11], s20, s34, v[18:19]
	v_mov_b64_e32 v[6:7], 0
	v_mov_b64_e32 v[8:9], 0
	v_mov_b32_e32 v3, v0
	s_mov_b32 s44, 0
	v_mad_u32 v5, s9, s34, v5
	v_mad_u32 v11, s21, s34, v11
.LBB177_23:                             ;   Parent Loop BB177_4 Depth=1
                                        ; =>  This Inner Loop Header: Depth=2
	global_load_b128 v[22:25], v[10:11], off offset:-8
	global_load_b128 v[26:29], v[4:5], off offset:-8
	v_add_nc_u32_e32 v3, 0x400, v3
	s_wait_xcnt 0x0
	v_add_nc_u64_e32 v[4:5], s[16:17], v[4:5]
	v_add_nc_u64_e32 v[10:11], 0x4000, v[10:11]
	s_delay_alu instid0(VALU_DEP_3) | instskip(SKIP_4) | instid1(VALU_DEP_2)
	v_cmp_le_i32_e32 vcc_lo, s6, v3
	s_or_b32 s44, vcc_lo, s44
	s_wait_loadcnt 0x0
	v_mul_f64_e32 v[30:31], v[24:25], v[28:29]
	v_mul_f64_e32 v[28:29], v[22:23], v[28:29]
	v_fma_f64 v[22:23], v[22:23], v[26:27], -v[30:31]
	s_delay_alu instid0(VALU_DEP_2) | instskip(NEXT) | instid1(VALU_DEP_2)
	v_fmac_f64_e32 v[28:29], v[24:25], v[26:27]
	v_add_f64_e32 v[8:9], v[8:9], v[22:23]
	s_delay_alu instid0(VALU_DEP_2)
	v_add_f64_e32 v[6:7], v[6:7], v[28:29]
	s_and_not1_b32 exec_lo, exec_lo, s44
	s_cbranch_execnz .LBB177_23
; %bb.24:                               ;   in Loop: Header=BB177_4 Depth=1
	s_or_b32 exec_lo, exec_lo, s44
	s_delay_alu instid0(SALU_CYCLE_1)
	s_or_b32 exec_lo, exec_lo, s43
	s_and_saveexec_b32 s43, s2
	s_cbranch_execz .LBB177_15
.LBB177_25:                             ;   in Loop: Header=BB177_4 Depth=1
	s_mul_u64 s[44:45], s[10:11], s[34:35]
	s_mul_u64 s[46:47], s[18:19], s[34:35]
	v_lshl_add_u64 v[4:5], s[44:45], 4, v[14:15]
	s_lshl_b64 s[44:45], s[46:47], 4
	s_delay_alu instid0(SALU_CYCLE_1) | instskip(NEXT) | instid1(SALU_CYCLE_1)
	s_add_nc_u64 s[44:45], s[12:13], s[44:45]
	v_lshl_add_u64 v[10:11], v[12:13], 4, s[44:45]
	s_delay_alu instid0(VALU_DEP_2)
	v_lshl_add_u64 v[4:5], s[6:7], 4, v[4:5]
	global_load_b128 v[22:25], v[10:11], off
	global_load_b128 v[26:29], v[4:5], off
	s_wait_loadcnt 0x0
	s_wait_xcnt 0x0
	v_mul_f64_e32 v[4:5], v[28:29], v[24:25]
	v_mul_f64_e32 v[10:11], v[26:27], v[24:25]
	s_delay_alu instid0(VALU_DEP_2) | instskip(NEXT) | instid1(VALU_DEP_2)
	v_fma_f64 v[4:5], v[26:27], v[22:23], -v[4:5]
	v_fmac_f64_e32 v[10:11], v[28:29], v[22:23]
	s_delay_alu instid0(VALU_DEP_2) | instskip(NEXT) | instid1(VALU_DEP_2)
	v_add_f64_e32 v[8:9], v[8:9], v[4:5]
	v_add_f64_e32 v[6:7], v[6:7], v[10:11]
	s_or_b32 exec_lo, exec_lo, s43
	s_and_saveexec_b32 s43, s3
	s_cbranch_execnz .LBB177_16
	s_branch .LBB177_17
.LBB177_26:                             ;   in Loop: Header=BB177_4 Depth=1
	ds_load_b128 v[8:11], v1
	s_or_b32 exec_lo, exec_lo, s43
	s_and_saveexec_b32 s43, s3
	s_cbranch_execz .LBB177_21
.LBB177_27:                             ;   in Loop: Header=BB177_4 Depth=1
	s_wait_dscnt 0x0
	ds_bpermute_b32 v4, v3, v8
	ds_bpermute_b32 v5, v3, v9
	ds_bpermute_b32 v6, v3, v10
	ds_bpermute_b32 v7, v3, v11
	s_wait_dscnt 0x2
	v_add_f64_e32 v[4:5], v[8:9], v[4:5]
	s_wait_dscnt 0x0
	v_add_f64_e32 v[6:7], v[10:11], v[6:7]
	ds_bpermute_b32 v8, v22, v4
	ds_bpermute_b32 v9, v22, v5
	ds_bpermute_b32 v10, v22, v6
	ds_bpermute_b32 v11, v22, v7
	s_wait_dscnt 0x2
	v_add_f64_e32 v[4:5], v[4:5], v[8:9]
	s_wait_dscnt 0x0
	v_add_f64_e32 v[6:7], v[6:7], v[10:11]
	;; [unrolled: 8-line block ×5, first 2 shown]
	s_or_b32 exec_lo, exec_lo, s43
                                        ; implicit-def: $vgpr6_vgpr7
	s_and_saveexec_b32 s43, s0
	s_cbranch_execz .LBB177_31
.LBB177_28:                             ;   in Loop: Header=BB177_4 Depth=1
	s_wait_dscnt 0x0
	s_delay_alu instid0(VALU_DEP_1) | instskip(SKIP_2) | instid1(VALU_DEP_2)
	v_mul_f64_e32 v[4:5], s[30:31], v[10:11]
	v_mul_f64_e32 v[6:7], s[28:29], v[10:11]
	s_and_not1_b32 vcc_lo, exec_lo, s40
	v_fma_f64 v[4:5], s[28:29], v[8:9], -v[4:5]
	s_delay_alu instid0(VALU_DEP_2)
	v_fmac_f64_e32 v[6:7], s[30:31], v[8:9]
	s_cbranch_vccnz .LBB177_30
; %bb.29:                               ;   in Loop: Header=BB177_4 Depth=1
	s_add_nc_u64 s[44:45], s[24:25], s[22:23]
	global_load_b128 v[8:11], v2, s[44:45]
	s_wait_loadcnt 0x0
	v_mul_f64_e32 v[22:23], s[38:39], v[10:11]
	v_mul_f64_e32 v[10:11], s[36:37], v[10:11]
	s_delay_alu instid0(VALU_DEP_2) | instskip(NEXT) | instid1(VALU_DEP_2)
	v_fma_f64 v[22:23], s[36:37], v[8:9], -v[22:23]
	v_fmac_f64_e32 v[10:11], s[38:39], v[8:9]
	s_delay_alu instid0(VALU_DEP_2) | instskip(NEXT) | instid1(VALU_DEP_2)
	v_add_f64_e32 v[4:5], v[4:5], v[22:23]
	v_add_f64_e32 v[6:7], v[6:7], v[10:11]
.LBB177_30:                             ;   in Loop: Header=BB177_4 Depth=1
	s_or_b32 s42, s42, exec_lo
.LBB177_31:                             ;   in Loop: Header=BB177_4 Depth=1
	s_wait_xcnt 0x0
	s_or_b32 exec_lo, exec_lo, s43
.LBB177_32:                             ;   in Loop: Header=BB177_4 Depth=1
	s_and_saveexec_b32 s43, s42
	s_cbranch_execz .LBB177_2
; %bb.33:                               ;   in Loop: Header=BB177_4 Depth=1
	s_add_nc_u64 s[24:25], s[24:25], s[22:23]
	global_store_b128 v2, v[4:7], s[24:25]
	s_branch .LBB177_2
.LBB177_34:
	s_endpgm
	.section	.rodata,"a",@progbits
	.p2align	6, 0x0
	.amdhsa_kernel _ZL32rocblas_gemvt_warp_reduce_kernelILb0ELi1024El19rocblas_complex_numIdES1_S1_EviiT3_lPKT2_lT1_lS5_lS6_lS2_lPT4_lS6_li
		.amdhsa_group_segment_fixed_size 512
		.amdhsa_private_segment_fixed_size 0
		.amdhsa_kernarg_size 156
		.amdhsa_user_sgpr_count 2
		.amdhsa_user_sgpr_dispatch_ptr 0
		.amdhsa_user_sgpr_queue_ptr 0
		.amdhsa_user_sgpr_kernarg_segment_ptr 1
		.amdhsa_user_sgpr_dispatch_id 0
		.amdhsa_user_sgpr_kernarg_preload_length 0
		.amdhsa_user_sgpr_kernarg_preload_offset 0
		.amdhsa_user_sgpr_private_segment_size 0
		.amdhsa_wavefront_size32 1
		.amdhsa_uses_dynamic_stack 0
		.amdhsa_enable_private_segment 0
		.amdhsa_system_sgpr_workgroup_id_x 1
		.amdhsa_system_sgpr_workgroup_id_y 0
		.amdhsa_system_sgpr_workgroup_id_z 1
		.amdhsa_system_sgpr_workgroup_info 0
		.amdhsa_system_vgpr_workitem_id 0
		.amdhsa_next_free_vgpr 32
		.amdhsa_next_free_sgpr 48
		.amdhsa_named_barrier_count 0
		.amdhsa_reserve_vcc 1
		.amdhsa_float_round_mode_32 0
		.amdhsa_float_round_mode_16_64 0
		.amdhsa_float_denorm_mode_32 3
		.amdhsa_float_denorm_mode_16_64 3
		.amdhsa_fp16_overflow 0
		.amdhsa_memory_ordered 1
		.amdhsa_forward_progress 1
		.amdhsa_inst_pref_size 15
		.amdhsa_round_robin_scheduling 0
		.amdhsa_exception_fp_ieee_invalid_op 0
		.amdhsa_exception_fp_denorm_src 0
		.amdhsa_exception_fp_ieee_div_zero 0
		.amdhsa_exception_fp_ieee_overflow 0
		.amdhsa_exception_fp_ieee_underflow 0
		.amdhsa_exception_fp_ieee_inexact 0
		.amdhsa_exception_int_div_zero 0
	.end_amdhsa_kernel
	.section	.text._ZL32rocblas_gemvt_warp_reduce_kernelILb0ELi1024El19rocblas_complex_numIdES1_S1_EviiT3_lPKT2_lT1_lS5_lS6_lS2_lPT4_lS6_li,"axG",@progbits,_ZL32rocblas_gemvt_warp_reduce_kernelILb0ELi1024El19rocblas_complex_numIdES1_S1_EviiT3_lPKT2_lT1_lS5_lS6_lS2_lPT4_lS6_li,comdat
.Lfunc_end177:
	.size	_ZL32rocblas_gemvt_warp_reduce_kernelILb0ELi1024El19rocblas_complex_numIdES1_S1_EviiT3_lPKT2_lT1_lS5_lS6_lS2_lPT4_lS6_li, .Lfunc_end177-_ZL32rocblas_gemvt_warp_reduce_kernelILb0ELi1024El19rocblas_complex_numIdES1_S1_EviiT3_lPKT2_lT1_lS5_lS6_lS2_lPT4_lS6_li
                                        ; -- End function
	.set _ZL32rocblas_gemvt_warp_reduce_kernelILb0ELi1024El19rocblas_complex_numIdES1_S1_EviiT3_lPKT2_lT1_lS5_lS6_lS2_lPT4_lS6_li.num_vgpr, 32
	.set _ZL32rocblas_gemvt_warp_reduce_kernelILb0ELi1024El19rocblas_complex_numIdES1_S1_EviiT3_lPKT2_lT1_lS5_lS6_lS2_lPT4_lS6_li.num_agpr, 0
	.set _ZL32rocblas_gemvt_warp_reduce_kernelILb0ELi1024El19rocblas_complex_numIdES1_S1_EviiT3_lPKT2_lT1_lS5_lS6_lS2_lPT4_lS6_li.numbered_sgpr, 48
	.set _ZL32rocblas_gemvt_warp_reduce_kernelILb0ELi1024El19rocblas_complex_numIdES1_S1_EviiT3_lPKT2_lT1_lS5_lS6_lS2_lPT4_lS6_li.num_named_barrier, 0
	.set _ZL32rocblas_gemvt_warp_reduce_kernelILb0ELi1024El19rocblas_complex_numIdES1_S1_EviiT3_lPKT2_lT1_lS5_lS6_lS2_lPT4_lS6_li.private_seg_size, 0
	.set _ZL32rocblas_gemvt_warp_reduce_kernelILb0ELi1024El19rocblas_complex_numIdES1_S1_EviiT3_lPKT2_lT1_lS5_lS6_lS2_lPT4_lS6_li.uses_vcc, 1
	.set _ZL32rocblas_gemvt_warp_reduce_kernelILb0ELi1024El19rocblas_complex_numIdES1_S1_EviiT3_lPKT2_lT1_lS5_lS6_lS2_lPT4_lS6_li.uses_flat_scratch, 0
	.set _ZL32rocblas_gemvt_warp_reduce_kernelILb0ELi1024El19rocblas_complex_numIdES1_S1_EviiT3_lPKT2_lT1_lS5_lS6_lS2_lPT4_lS6_li.has_dyn_sized_stack, 0
	.set _ZL32rocblas_gemvt_warp_reduce_kernelILb0ELi1024El19rocblas_complex_numIdES1_S1_EviiT3_lPKT2_lT1_lS5_lS6_lS2_lPT4_lS6_li.has_recursion, 0
	.set _ZL32rocblas_gemvt_warp_reduce_kernelILb0ELi1024El19rocblas_complex_numIdES1_S1_EviiT3_lPKT2_lT1_lS5_lS6_lS2_lPT4_lS6_li.has_indirect_call, 0
	.section	.AMDGPU.csdata,"",@progbits
; Kernel info:
; codeLenInByte = 1876
; TotalNumSgprs: 50
; NumVgprs: 32
; ScratchSize: 0
; MemoryBound: 0
; FloatMode: 240
; IeeeMode: 1
; LDSByteSize: 512 bytes/workgroup (compile time only)
; SGPRBlocks: 0
; VGPRBlocks: 1
; NumSGPRsForWavesPerEU: 50
; NumVGPRsForWavesPerEU: 32
; NamedBarCnt: 0
; Occupancy: 16
; WaveLimiterHint : 1
; COMPUTE_PGM_RSRC2:SCRATCH_EN: 0
; COMPUTE_PGM_RSRC2:USER_SGPR: 2
; COMPUTE_PGM_RSRC2:TRAP_HANDLER: 0
; COMPUTE_PGM_RSRC2:TGID_X_EN: 1
; COMPUTE_PGM_RSRC2:TGID_Y_EN: 0
; COMPUTE_PGM_RSRC2:TGID_Z_EN: 1
; COMPUTE_PGM_RSRC2:TIDIG_COMP_CNT: 0
	.section	.text._ZL22rocblas_gemvtsm_kernelILb1ELi256E19rocblas_complex_numIdEPKS1_S1_EviiT2_lPKT1_lilS7_lilS4_lPT3_lil,"axG",@progbits,_ZL22rocblas_gemvtsm_kernelILb1ELi256E19rocblas_complex_numIdEPKS1_S1_EviiT2_lPKT1_lilS7_lilS4_lPT3_lil,comdat
	.globl	_ZL22rocblas_gemvtsm_kernelILb1ELi256E19rocblas_complex_numIdEPKS1_S1_EviiT2_lPKT1_lilS7_lilS4_lPT3_lil ; -- Begin function _ZL22rocblas_gemvtsm_kernelILb1ELi256E19rocblas_complex_numIdEPKS1_S1_EviiT2_lPKT1_lilS7_lilS4_lPT3_lil
	.p2align	8
	.type	_ZL22rocblas_gemvtsm_kernelILb1ELi256E19rocblas_complex_numIdEPKS1_S1_EviiT2_lPKT1_lilS7_lilS4_lPT3_lil,@function
_ZL22rocblas_gemvtsm_kernelILb1ELi256E19rocblas_complex_numIdEPKS1_S1_EviiT2_lPKT1_lilS7_lilS4_lPT3_lil: ; @_ZL22rocblas_gemvtsm_kernelILb1ELi256E19rocblas_complex_numIdEPKS1_S1_EviiT2_lPKT1_lilS7_lilS4_lPT3_lil
; %bb.0:
	s_load_b256 s[4:11], s[0:1], 0x8
	s_bfe_u32 s2, ttmp6, 0x4000c
	s_and_b32 s3, ttmp6, 15
	s_add_co_i32 s2, s2, 1
	s_getreg_b32 s12, hwreg(HW_REG_IB_STS2, 6, 4)
	s_mul_i32 s2, ttmp9, s2
	s_mov_b32 s35, 0
	s_add_co_i32 s3, s3, s2
	s_cmp_eq_u32 s12, 0
	s_cselect_b32 s34, ttmp9, s3
	s_wait_kmcnt 0x0
	s_mul_u64 s[2:3], s[6:7], s[34:35]
	s_delay_alu instid0(SALU_CYCLE_1) | instskip(NEXT) | instid1(SALU_CYCLE_1)
	s_lshl_b64 s[2:3], s[2:3], 4
	s_add_nc_u64 s[2:3], s[4:5], s[2:3]
	s_load_b128 s[20:23], s[2:3], 0x0
	s_load_b256 s[12:19], s[0:1], 0x50
	s_wait_kmcnt 0x0
	v_cmp_neq_f64_e64 s24, s[20:21], 0
	v_cmp_neq_f64_e64 s25, s[22:23], 0
	s_mul_u64 s[2:3], s[16:17], s[34:35]
	s_delay_alu instid0(SALU_CYCLE_1) | instskip(NEXT) | instid1(SALU_CYCLE_1)
	s_lshl_b64 s[2:3], s[2:3], 4
	s_add_nc_u64 s[2:3], s[14:15], s[2:3]
	s_load_b128 s[4:7], s[2:3], 0x0
	s_wait_xcnt 0x0
	s_mov_b32 s2, -1
	s_or_b32 s14, s24, s25
	s_delay_alu instid0(SALU_CYCLE_1)
	s_and_b32 vcc_lo, exec_lo, s14
	s_cbranch_vccnz .LBB178_2
; %bb.1:
	s_wait_kmcnt 0x0
	v_cmp_neq_f64_e64 s2, s[4:5], 1.0
	v_cmp_neq_f64_e64 s3, s[6:7], 0
	s_or_b32 s2, s2, s3
.LBB178_2:
	s_delay_alu instid0(SALU_CYCLE_1)
	s_and_not1_b32 vcc_lo, exec_lo, s2
	s_cbranch_vccnz .LBB178_36
; %bb.3:
	s_clause 0x2
	s_load_b64 s[16:17], s[0:1], 0x80
	s_load_b96 s[28:30], s[0:1], 0x70
	s_load_b64 s[2:3], s[0:1], 0x0
	s_xor_b32 s14, s14, -1
	s_delay_alu instid0(SALU_CYCLE_1)
	s_and_not1_b32 vcc_lo, exec_lo, s14
	s_wait_kmcnt 0x0
	s_mul_u64 s[14:15], s[16:17], s[34:35]
	s_mov_b32 s16, -1
	s_cbranch_vccnz .LBB178_18
; %bb.4:
	v_cmp_neq_f64_e64 s16, s[4:5], 0
	v_cmp_neq_f64_e64 s17, s[6:7], 0
	s_or_b32 s16, s16, s17
	s_cmp_gt_i32 s3, 0
	s_cselect_b32 s24, -1, 0
	s_and_b32 vcc_lo, exec_lo, s16
	s_mov_b32 s16, -1
	s_cbranch_vccnz .LBB178_11
; %bb.5:
	s_and_not1_b32 vcc_lo, exec_lo, s24
	s_cbranch_vccnz .LBB178_10
; %bb.6:
	v_mov_b32_e32 v2, 0
	s_ashr_i32 s17, s30, 31
	s_mov_b32 s16, s30
	s_lshl_b64 s[26:27], s[28:29], 4
	s_lshl_b64 s[36:37], s[14:15], 4
	v_mov_b32_e32 v1, v2
	s_add_nc_u64 s[26:27], s[18:19], s[26:27]
	s_mov_b32 s25, 0
	s_add_nc_u64 s[26:27], s[26:27], s[36:37]
	s_delay_alu instid0(VALU_DEP_1) | instskip(SKIP_1) | instid1(VALU_DEP_1)
	v_mul_u64_e32 v[4:5], s[16:17], v[0:1]
	s_lshl_b64 s[16:17], s[16:17], 12
	v_lshl_add_u64 v[4:5], v[4:5], 4, s[26:27]
	s_delay_alu instid0(VALU_DEP_1)
	v_add_nc_u64_e32 v[6:7], 8, v[4:5]
	s_branch .LBB178_8
.LBB178_7:                              ;   in Loop: Header=BB178_8 Depth=1
	s_wait_xcnt 0x0
	s_or_b32 exec_lo, exec_lo, s26
	v_add_nc_u64_e32 v[6:7], s[16:17], v[6:7]
	s_addk_co_i32 s25, 0x100
	s_delay_alu instid0(SALU_CYCLE_1)
	s_cmp_ge_i32 s25, s3
	s_cbranch_scc1 .LBB178_10
.LBB178_8:                              ; =>This Inner Loop Header: Depth=1
	v_add_nc_u32_e32 v1, s25, v0
	s_mov_b32 s26, exec_lo
	s_delay_alu instid0(VALU_DEP_1)
	v_cmpx_gt_i32_e64 s3, v1
	s_cbranch_execz .LBB178_7
; %bb.9:                                ;   in Loop: Header=BB178_8 Depth=1
	v_dual_mov_b32 v3, v2 :: v_dual_mov_b32 v4, v2
	v_mov_b32_e32 v5, v2
	global_store_b128 v[6:7], v[2:5], off offset:-8
	s_branch .LBB178_7
.LBB178_10:
	s_mov_b32 s16, 0
.LBB178_11:
	s_delay_alu instid0(SALU_CYCLE_1)
	s_and_not1_b32 vcc_lo, exec_lo, s16
	s_cbranch_vccnz .LBB178_17
; %bb.12:
	s_and_not1_b32 vcc_lo, exec_lo, s24
	s_cbranch_vccnz .LBB178_17
; %bb.13:
	v_mov_b32_e32 v1, 0
	s_ashr_i32 s17, s30, 31
	s_mov_b32 s16, s30
	s_lshl_b64 s[24:25], s[28:29], 4
	s_lshl_b64 s[26:27], s[14:15], 4
	v_mul_u64_e32 v[2:3], s[16:17], v[0:1]
	s_add_nc_u64 s[24:25], s[18:19], s[24:25]
	s_lshl_b64 s[16:17], s[16:17], 12
	s_add_nc_u64 s[24:25], s[24:25], s[26:27]
	s_delay_alu instid0(VALU_DEP_1) | instid1(SALU_CYCLE_1)
	v_lshl_add_u64 v[2:3], v[2:3], 4, s[24:25]
	s_mov_b32 s24, 0
	s_delay_alu instid0(VALU_DEP_1)
	v_add_nc_u64_e32 v[2:3], 8, v[2:3]
	s_branch .LBB178_15
.LBB178_14:                             ;   in Loop: Header=BB178_15 Depth=1
	s_wait_xcnt 0x0
	s_or_b32 exec_lo, exec_lo, s25
	v_add_nc_u64_e32 v[2:3], s[16:17], v[2:3]
	s_addk_co_i32 s24, 0x100
	s_delay_alu instid0(SALU_CYCLE_1)
	s_cmp_ge_i32 s24, s3
	s_cbranch_scc1 .LBB178_17
.LBB178_15:                             ; =>This Inner Loop Header: Depth=1
	v_add_nc_u32_e32 v1, s24, v0
	s_mov_b32 s25, exec_lo
	s_delay_alu instid0(VALU_DEP_1)
	v_cmpx_gt_i32_e64 s3, v1
	s_cbranch_execz .LBB178_14
; %bb.16:                               ;   in Loop: Header=BB178_15 Depth=1
	global_load_b128 v[4:7], v[2:3], off offset:-8
	s_wait_loadcnt 0x0
	v_mul_f64_e32 v[10:11], s[6:7], v[6:7]
	v_mul_f64_e32 v[8:9], s[4:5], v[6:7]
	s_delay_alu instid0(VALU_DEP_2) | instskip(NEXT) | instid1(VALU_DEP_2)
	v_fma_f64 v[6:7], s[4:5], v[4:5], -v[10:11]
	v_fmac_f64_e32 v[8:9], s[6:7], v[4:5]
	global_store_b128 v[2:3], v[6:9], off offset:-8
	s_branch .LBB178_14
.LBB178_17:
	s_mov_b32 s16, 0
.LBB178_18:
	s_delay_alu instid0(SALU_CYCLE_1)
	s_and_not1_b32 vcc_lo, exec_lo, s16
	s_cbranch_vccnz .LBB178_36
; %bb.19:
	s_clause 0x1
	s_load_b128 s[24:27], s[0:1], 0x30
	s_load_b64 s[16:17], s[0:1], 0x40
	s_mov_b32 s31, exec_lo
	v_cmpx_gt_i32_e64 s2, v0
	s_cbranch_execz .LBB178_21
; %bb.20:
	s_load_b32 s36, s[0:1], 0x48
	v_mov_b32_e32 v1, 0
	s_mul_u64 s[12:13], s[12:13], s[34:35]
	s_wait_kmcnt 0x0
	s_lshl_b64 s[16:17], s[16:17], 4
	s_lshl_b64 s[12:13], s[12:13], 4
	s_delay_alu instid0(SALU_CYCLE_1) | instskip(NEXT) | instid1(SALU_CYCLE_1)
	s_add_nc_u64 s[12:13], s[26:27], s[12:13]
	s_add_nc_u64 s[12:13], s[12:13], s[16:17]
	s_ashr_i32 s37, s36, 31
	s_delay_alu instid0(SALU_CYCLE_1) | instskip(SKIP_1) | instid1(VALU_DEP_2)
	v_mul_u64_e32 v[2:3], s[36:37], v[0:1]
	v_lshlrev_b32_e32 v1, 4, v0
	v_lshl_add_u64 v[2:3], v[2:3], 4, s[12:13]
	global_load_b128 v[2:5], v[2:3], off
	s_wait_loadcnt 0x0
	v_mul_f64_e32 v[8:9], s[22:23], v[4:5]
	v_mul_f64_e32 v[6:7], s[20:21], v[4:5]
	s_delay_alu instid0(VALU_DEP_2) | instskip(NEXT) | instid1(VALU_DEP_2)
	v_fma_f64 v[4:5], s[20:21], v[2:3], -v[8:9]
	v_fmac_f64_e32 v[6:7], s[22:23], v[2:3]
	ds_store_b128 v1, v[4:7]
.LBB178_21:
	s_wait_xcnt 0x0
	s_or_b32 exec_lo, exec_lo, s31
	s_cmp_lt_i32 s3, 1
	s_wait_storecnt_dscnt 0x0
	s_barrier_signal -1
	s_barrier_wait -1
	s_cbranch_scc1 .LBB178_36
; %bb.22:
	s_load_b32 s12, s[0:1], 0x28
	s_wait_xcnt 0x0
	v_cmp_neq_f64_e64 s0, s[4:5], 0
	s_wait_kmcnt 0x0
	v_cmp_neq_f64_e64 s16, s[6:7], 0
	v_mov_b32_e32 v7, 0
	s_lshl_b64 s[22:23], s[14:15], 4
	s_lshl_b64 s[26:27], s[28:29], 4
	s_ashr_i32 s1, s30, 31
	s_mul_u64 s[24:25], s[24:25], s[34:35]
	v_mov_b32_e32 v1, v7
	s_ashr_i32 s13, s12, 31
	s_delay_alu instid0(VALU_DEP_1) | instid1(SALU_CYCLE_1)
	v_mul_u64_e32 v[2:3], s[12:13], v[0:1]
	s_or_b32 s14, s0, s16
	s_cmp_gt_i32 s2, 0
	s_mov_b32 s0, s30
	s_cselect_b32 s15, -1, 0
	s_and_b32 s16, s2, 7
	s_cmp_gt_u32 s2, 7
	s_cselect_b32 s17, -1, 0
	s_and_b32 s2, s2, 0x7ffffff8
	s_cmp_lg_u32 s16, 0
	s_cselect_b32 s20, -1, 0
	s_lshl_b64 s[10:11], s[10:11], 4
	s_lshl_b64 s[24:25], s[24:25], 4
	s_add_nc_u64 s[8:9], s[8:9], s[10:11]
	s_mov_b32 s11, 0
	s_add_nc_u64 s[8:9], s[8:9], s[24:25]
	s_lshl_b64 s[12:13], s[12:13], 12
	s_delay_alu instid0(VALU_DEP_1) | instskip(SKIP_3) | instid1(VALU_DEP_1)
	v_lshl_add_u64 v[8:9], v[2:3], 4, s[8:9]
	s_add_nc_u64 s[8:9], s[18:19], s[22:23]
	s_mov_b32 s18, 0
	s_add_nc_u64 s[8:9], s[8:9], s[26:27]
	v_add_nc_u64_e32 v[10:11], 0x78, v[8:9]
	s_branch .LBB178_25
.LBB178_23:                             ;   in Loop: Header=BB178_25 Depth=1
	global_store_b128 v[12:13], v[2:5], off
.LBB178_24:                             ;   in Loop: Header=BB178_25 Depth=1
	s_wait_xcnt 0x0
	s_or_b32 exec_lo, exec_lo, s19
	v_add_nc_u64_e32 v[10:11], s[12:13], v[10:11]
	v_add_nc_u64_e32 v[8:9], s[12:13], v[8:9]
	s_addk_co_i32 s18, 0x100
	s_delay_alu instid0(SALU_CYCLE_1)
	s_cmp_ge_i32 s18, s3
	s_cbranch_scc1 .LBB178_36
.LBB178_25:                             ; =>This Loop Header: Depth=1
                                        ;     Child Loop BB178_31 Depth 2
                                        ;     Child Loop BB178_35 Depth 2
	v_add_nc_u32_e32 v6, s18, v0
	s_mov_b32 s19, exec_lo
	s_delay_alu instid0(VALU_DEP_1)
	v_cmpx_gt_i32_e64 s3, v6
	s_cbranch_execz .LBB178_24
; %bb.26:                               ;   in Loop: Header=BB178_25 Depth=1
	v_mul_u64_e32 v[12:13], s[0:1], v[6:7]
	v_mov_b64_e32 v[2:3], 0
	v_mov_b64_e32 v[4:5], 0
	s_and_not1_b32 vcc_lo, exec_lo, s14
	s_delay_alu instid0(VALU_DEP_3)
	v_lshl_add_u64 v[12:13], v[12:13], 4, s[8:9]
	s_cbranch_vccnz .LBB178_28
; %bb.27:                               ;   in Loop: Header=BB178_25 Depth=1
	global_load_b128 v[14:17], v[12:13], off
	s_wait_loadcnt 0x0
	v_mul_f64_e32 v[2:3], s[6:7], v[16:17]
	v_mul_f64_e32 v[4:5], s[4:5], v[16:17]
	s_delay_alu instid0(VALU_DEP_2) | instskip(NEXT) | instid1(VALU_DEP_2)
	v_fma_f64 v[2:3], s[4:5], v[14:15], -v[2:3]
	v_fmac_f64_e32 v[4:5], s[6:7], v[14:15]
.LBB178_28:                             ;   in Loop: Header=BB178_25 Depth=1
	s_and_not1_b32 vcc_lo, exec_lo, s15
	s_cbranch_vccnz .LBB178_23
; %bb.29:                               ;   in Loop: Header=BB178_25 Depth=1
	s_and_not1_b32 vcc_lo, exec_lo, s17
	s_mov_b32 s10, 0
	s_cbranch_vccnz .LBB178_33
; %bb.30:                               ;   in Loop: Header=BB178_25 Depth=1
	v_mov_b64_e32 v[14:15], v[10:11]
	s_mov_b32 s21, 0
.LBB178_31:                             ;   Parent Loop BB178_25 Depth=1
                                        ; =>  This Inner Loop Header: Depth=2
	s_clause 0x7
	global_load_b128 v[16:19], v[14:15], off offset:-120
	global_load_b128 v[20:23], v[14:15], off offset:-104
	;; [unrolled: 1-line block ×8, first 2 shown]
	v_mov_b32_e32 v1, s10
	s_wait_xcnt 0x0
	v_add_nc_u64_e32 v[14:15], 0x80, v[14:15]
	s_add_co_i32 s21, s21, 8
	s_addk_co_i32 s10, 0x80
	ds_load_b128 v[48:51], v1
	ds_load_b128 v[52:55], v1 offset:16
	s_cmp_eq_u32 s2, s21
	s_wait_loadcnt_dscnt 0x701
	v_mul_f64_e32 v[56:57], v[18:19], v[50:51]
	v_mul_f64_e32 v[18:19], v[18:19], v[48:49]
	s_wait_loadcnt_dscnt 0x600
	v_mul_f64_e32 v[58:59], v[22:23], v[54:55]
	v_mul_f64_e32 v[22:23], v[22:23], v[52:53]
	s_delay_alu instid0(VALU_DEP_4) | instskip(NEXT) | instid1(VALU_DEP_4)
	v_fmac_f64_e32 v[56:57], v[16:17], v[48:49]
	v_fma_f64 v[60:61], v[16:17], v[50:51], -v[18:19]
	ds_load_b128 v[16:19], v1 offset:32
	ds_load_b128 v[48:51], v1 offset:48
	v_fmac_f64_e32 v[58:59], v[20:21], v[52:53]
	v_fma_f64 v[20:21], v[20:21], v[54:55], -v[22:23]
	s_wait_loadcnt_dscnt 0x501
	v_mul_f64_e32 v[62:63], v[26:27], v[18:19]
	v_mul_f64_e32 v[26:27], v[26:27], v[16:17]
	s_wait_loadcnt_dscnt 0x400
	v_mul_f64_e32 v[22:23], v[30:31], v[50:51]
	v_mul_f64_e32 v[30:31], v[30:31], v[48:49]
	v_add_f64_e32 v[2:3], v[2:3], v[56:57]
	v_add_f64_e32 v[4:5], v[4:5], v[60:61]
	v_fmac_f64_e32 v[62:63], v[24:25], v[16:17]
	v_fma_f64 v[24:25], v[24:25], v[18:19], -v[26:27]
	v_fmac_f64_e32 v[22:23], v[28:29], v[48:49]
	v_fma_f64 v[28:29], v[28:29], v[50:51], -v[30:31]
	v_add_f64_e32 v[26:27], v[2:3], v[58:59]
	v_add_f64_e32 v[20:21], v[4:5], v[20:21]
	ds_load_b128 v[2:5], v1 offset:64
	ds_load_b128 v[16:19], v1 offset:80
	s_wait_loadcnt_dscnt 0x301
	v_mul_f64_e32 v[52:53], v[34:35], v[4:5]
	v_mul_f64_e32 v[34:35], v[34:35], v[2:3]
	s_wait_loadcnt_dscnt 0x200
	v_mul_f64_e32 v[30:31], v[38:39], v[16:17]
	v_add_f64_e32 v[26:27], v[26:27], v[62:63]
	v_add_f64_e32 v[20:21], v[20:21], v[24:25]
	v_mul_f64_e32 v[24:25], v[38:39], v[18:19]
	v_fmac_f64_e32 v[52:53], v[32:33], v[2:3]
	v_fma_f64 v[32:33], v[32:33], v[4:5], -v[34:35]
	v_add_f64_e32 v[26:27], v[26:27], v[22:23]
	v_add_f64_e32 v[28:29], v[20:21], v[28:29]
	ds_load_b128 v[2:5], v1 offset:96
	ds_load_b128 v[20:23], v1 offset:112
	v_fmac_f64_e32 v[24:25], v[36:37], v[16:17]
	v_fma_f64 v[16:17], v[36:37], v[18:19], -v[30:31]
	s_wait_loadcnt_dscnt 0x101
	v_mul_f64_e32 v[34:35], v[42:43], v[4:5]
	v_mul_f64_e32 v[38:39], v[42:43], v[2:3]
	s_wait_loadcnt_dscnt 0x0
	v_mul_f64_e32 v[30:31], v[46:47], v[20:21]
	v_add_f64_e32 v[18:19], v[26:27], v[52:53]
	v_add_f64_e32 v[26:27], v[28:29], v[32:33]
	v_mul_f64_e32 v[28:29], v[46:47], v[22:23]
	v_fmac_f64_e32 v[34:35], v[40:41], v[2:3]
	v_fma_f64 v[2:3], v[40:41], v[4:5], -v[38:39]
	v_add_f64_e32 v[4:5], v[18:19], v[24:25]
	v_add_f64_e32 v[16:17], v[26:27], v[16:17]
	v_fmac_f64_e32 v[28:29], v[44:45], v[20:21]
	v_fma_f64 v[18:19], v[44:45], v[22:23], -v[30:31]
	s_delay_alu instid0(VALU_DEP_4) | instskip(NEXT) | instid1(VALU_DEP_4)
	v_add_f64_e32 v[4:5], v[4:5], v[34:35]
	v_add_f64_e32 v[16:17], v[16:17], v[2:3]
	s_delay_alu instid0(VALU_DEP_2) | instskip(NEXT) | instid1(VALU_DEP_2)
	v_add_f64_e32 v[2:3], v[4:5], v[28:29]
	v_add_f64_e32 v[4:5], v[16:17], v[18:19]
	s_cbranch_scc0 .LBB178_31
; %bb.32:                               ;   in Loop: Header=BB178_25 Depth=1
	s_mov_b32 s10, s2
.LBB178_33:                             ;   in Loop: Header=BB178_25 Depth=1
	s_and_not1_b32 vcc_lo, exec_lo, s20
	s_cbranch_vccnz .LBB178_23
; %bb.34:                               ;   in Loop: Header=BB178_25 Depth=1
	v_lshl_add_u64 v[14:15], s[10:11], 4, v[8:9]
	s_lshl_b32 s10, s10, 4
	s_mov_b32 s21, s16
.LBB178_35:                             ;   Parent Loop BB178_25 Depth=1
                                        ; =>  This Inner Loop Header: Depth=2
	global_load_b128 v[16:19], v[14:15], off
	v_mov_b32_e32 v1, s10
	s_wait_xcnt 0x0
	v_add_nc_u64_e32 v[14:15], 16, v[14:15]
	s_add_co_i32 s21, s21, -1
	s_add_co_i32 s10, s10, 16
	s_cmp_lg_u32 s21, 0
	ds_load_b128 v[20:23], v1
	s_wait_loadcnt_dscnt 0x0
	v_mul_f64_e32 v[24:25], v[18:19], v[22:23]
	v_mul_f64_e32 v[18:19], v[18:19], v[20:21]
	s_delay_alu instid0(VALU_DEP_2) | instskip(NEXT) | instid1(VALU_DEP_2)
	v_fmac_f64_e32 v[24:25], v[16:17], v[20:21]
	v_fma_f64 v[16:17], v[16:17], v[22:23], -v[18:19]
	s_delay_alu instid0(VALU_DEP_2) | instskip(NEXT) | instid1(VALU_DEP_2)
	v_add_f64_e32 v[2:3], v[2:3], v[24:25]
	v_add_f64_e32 v[4:5], v[4:5], v[16:17]
	s_cbranch_scc1 .LBB178_35
	s_branch .LBB178_23
.LBB178_36:
	s_endpgm
	.section	.rodata,"a",@progbits
	.p2align	6, 0x0
	.amdhsa_kernel _ZL22rocblas_gemvtsm_kernelILb1ELi256E19rocblas_complex_numIdEPKS1_S1_EviiT2_lPKT1_lilS7_lilS4_lPT3_lil
		.amdhsa_group_segment_fixed_size 1024
		.amdhsa_private_segment_fixed_size 0
		.amdhsa_kernarg_size 136
		.amdhsa_user_sgpr_count 2
		.amdhsa_user_sgpr_dispatch_ptr 0
		.amdhsa_user_sgpr_queue_ptr 0
		.amdhsa_user_sgpr_kernarg_segment_ptr 1
		.amdhsa_user_sgpr_dispatch_id 0
		.amdhsa_user_sgpr_kernarg_preload_length 0
		.amdhsa_user_sgpr_kernarg_preload_offset 0
		.amdhsa_user_sgpr_private_segment_size 0
		.amdhsa_wavefront_size32 1
		.amdhsa_uses_dynamic_stack 0
		.amdhsa_enable_private_segment 0
		.amdhsa_system_sgpr_workgroup_id_x 1
		.amdhsa_system_sgpr_workgroup_id_y 0
		.amdhsa_system_sgpr_workgroup_id_z 0
		.amdhsa_system_sgpr_workgroup_info 0
		.amdhsa_system_vgpr_workitem_id 0
		.amdhsa_next_free_vgpr 64
		.amdhsa_next_free_sgpr 38
		.amdhsa_named_barrier_count 0
		.amdhsa_reserve_vcc 1
		.amdhsa_float_round_mode_32 0
		.amdhsa_float_round_mode_16_64 0
		.amdhsa_float_denorm_mode_32 3
		.amdhsa_float_denorm_mode_16_64 3
		.amdhsa_fp16_overflow 0
		.amdhsa_memory_ordered 1
		.amdhsa_forward_progress 1
		.amdhsa_inst_pref_size 14
		.amdhsa_round_robin_scheduling 0
		.amdhsa_exception_fp_ieee_invalid_op 0
		.amdhsa_exception_fp_denorm_src 0
		.amdhsa_exception_fp_ieee_div_zero 0
		.amdhsa_exception_fp_ieee_overflow 0
		.amdhsa_exception_fp_ieee_underflow 0
		.amdhsa_exception_fp_ieee_inexact 0
		.amdhsa_exception_int_div_zero 0
	.end_amdhsa_kernel
	.section	.text._ZL22rocblas_gemvtsm_kernelILb1ELi256E19rocblas_complex_numIdEPKS1_S1_EviiT2_lPKT1_lilS7_lilS4_lPT3_lil,"axG",@progbits,_ZL22rocblas_gemvtsm_kernelILb1ELi256E19rocblas_complex_numIdEPKS1_S1_EviiT2_lPKT1_lilS7_lilS4_lPT3_lil,comdat
.Lfunc_end178:
	.size	_ZL22rocblas_gemvtsm_kernelILb1ELi256E19rocblas_complex_numIdEPKS1_S1_EviiT2_lPKT1_lilS7_lilS4_lPT3_lil, .Lfunc_end178-_ZL22rocblas_gemvtsm_kernelILb1ELi256E19rocblas_complex_numIdEPKS1_S1_EviiT2_lPKT1_lilS7_lilS4_lPT3_lil
                                        ; -- End function
	.set _ZL22rocblas_gemvtsm_kernelILb1ELi256E19rocblas_complex_numIdEPKS1_S1_EviiT2_lPKT1_lilS7_lilS4_lPT3_lil.num_vgpr, 64
	.set _ZL22rocblas_gemvtsm_kernelILb1ELi256E19rocblas_complex_numIdEPKS1_S1_EviiT2_lPKT1_lilS7_lilS4_lPT3_lil.num_agpr, 0
	.set _ZL22rocblas_gemvtsm_kernelILb1ELi256E19rocblas_complex_numIdEPKS1_S1_EviiT2_lPKT1_lilS7_lilS4_lPT3_lil.numbered_sgpr, 38
	.set _ZL22rocblas_gemvtsm_kernelILb1ELi256E19rocblas_complex_numIdEPKS1_S1_EviiT2_lPKT1_lilS7_lilS4_lPT3_lil.num_named_barrier, 0
	.set _ZL22rocblas_gemvtsm_kernelILb1ELi256E19rocblas_complex_numIdEPKS1_S1_EviiT2_lPKT1_lilS7_lilS4_lPT3_lil.private_seg_size, 0
	.set _ZL22rocblas_gemvtsm_kernelILb1ELi256E19rocblas_complex_numIdEPKS1_S1_EviiT2_lPKT1_lilS7_lilS4_lPT3_lil.uses_vcc, 1
	.set _ZL22rocblas_gemvtsm_kernelILb1ELi256E19rocblas_complex_numIdEPKS1_S1_EviiT2_lPKT1_lilS7_lilS4_lPT3_lil.uses_flat_scratch, 0
	.set _ZL22rocblas_gemvtsm_kernelILb1ELi256E19rocblas_complex_numIdEPKS1_S1_EviiT2_lPKT1_lilS7_lilS4_lPT3_lil.has_dyn_sized_stack, 0
	.set _ZL22rocblas_gemvtsm_kernelILb1ELi256E19rocblas_complex_numIdEPKS1_S1_EviiT2_lPKT1_lilS7_lilS4_lPT3_lil.has_recursion, 0
	.set _ZL22rocblas_gemvtsm_kernelILb1ELi256E19rocblas_complex_numIdEPKS1_S1_EviiT2_lPKT1_lilS7_lilS4_lPT3_lil.has_indirect_call, 0
	.section	.AMDGPU.csdata,"",@progbits
; Kernel info:
; codeLenInByte = 1756
; TotalNumSgprs: 40
; NumVgprs: 64
; ScratchSize: 0
; MemoryBound: 0
; FloatMode: 240
; IeeeMode: 1
; LDSByteSize: 1024 bytes/workgroup (compile time only)
; SGPRBlocks: 0
; VGPRBlocks: 3
; NumSGPRsForWavesPerEU: 40
; NumVGPRsForWavesPerEU: 64
; NamedBarCnt: 0
; Occupancy: 16
; WaveLimiterHint : 1
; COMPUTE_PGM_RSRC2:SCRATCH_EN: 0
; COMPUTE_PGM_RSRC2:USER_SGPR: 2
; COMPUTE_PGM_RSRC2:TRAP_HANDLER: 0
; COMPUTE_PGM_RSRC2:TGID_X_EN: 1
; COMPUTE_PGM_RSRC2:TGID_Y_EN: 0
; COMPUTE_PGM_RSRC2:TGID_Z_EN: 0
; COMPUTE_PGM_RSRC2:TIDIG_COMP_CNT: 0
	.section	.text._ZL22rocblas_gemvtsm_kernelILb1ELi256E19rocblas_complex_numIdES1_S1_EviiT2_lPKT1_lilS5_lilS2_lPT3_lil,"axG",@progbits,_ZL22rocblas_gemvtsm_kernelILb1ELi256E19rocblas_complex_numIdES1_S1_EviiT2_lPKT1_lilS5_lilS2_lPT3_lil,comdat
	.globl	_ZL22rocblas_gemvtsm_kernelILb1ELi256E19rocblas_complex_numIdES1_S1_EviiT2_lPKT1_lilS5_lilS2_lPT3_lil ; -- Begin function _ZL22rocblas_gemvtsm_kernelILb1ELi256E19rocblas_complex_numIdES1_S1_EviiT2_lPKT1_lilS5_lilS2_lPT3_lil
	.p2align	8
	.type	_ZL22rocblas_gemvtsm_kernelILb1ELi256E19rocblas_complex_numIdES1_S1_EviiT2_lPKT1_lilS5_lilS2_lPT3_lil,@function
_ZL22rocblas_gemvtsm_kernelILb1ELi256E19rocblas_complex_numIdES1_S1_EviiT2_lPKT1_lilS5_lilS2_lPT3_lil: ; @_ZL22rocblas_gemvtsm_kernelILb1ELi256E19rocblas_complex_numIdES1_S1_EviiT2_lPKT1_lilS5_lilS2_lPT3_lil
; %bb.0:
	s_clause 0x2
	s_load_b128 s[12:15], s[0:1], 0x8
	s_load_b128 s[4:7], s[0:1], 0x58
	s_load_b64 s[2:3], s[0:1], 0x68
	s_wait_kmcnt 0x0
	v_cmp_neq_f64_e64 s8, s[12:13], 0
	v_cmp_neq_f64_e64 s9, s[14:15], 0
	s_or_b32 s16, s8, s9
	s_mov_b32 s8, -1
	s_and_b32 vcc_lo, exec_lo, s16
	s_cbranch_vccnz .LBB179_2
; %bb.1:
	v_cmp_neq_f64_e64 s8, s[6:7], 1.0
	v_cmp_neq_f64_e64 s9, s[2:3], 0
	s_or_b32 s8, s8, s9
.LBB179_2:
	s_delay_alu instid0(SALU_CYCLE_1)
	s_and_not1_b32 vcc_lo, exec_lo, s8
	s_cbranch_vccnz .LBB179_36
; %bb.3:
	s_clause 0x3
	s_load_b64 s[18:19], s[0:1], 0x90
	s_load_b32 s20, s[0:1], 0x88
	s_load_b64 s[22:23], s[0:1], 0x0
	s_load_b128 s[8:11], s[0:1], 0x78
	s_bfe_u32 s17, ttmp6, 0x4000c
	s_and_b32 s21, ttmp6, 15
	s_add_co_i32 s17, s17, 1
	s_getreg_b32 s24, hwreg(HW_REG_IB_STS2, 6, 4)
	s_mul_i32 s17, ttmp9, s17
	s_xor_b32 s16, s16, -1
	s_add_co_i32 s21, s21, s17
	s_cmp_eq_u32 s24, 0
	s_mov_b32 s25, 0
	s_cselect_b32 s24, ttmp9, s21
	s_and_not1_b32 vcc_lo, exec_lo, s16
	s_mov_b32 s16, -1
	s_wait_kmcnt 0x0
	s_mul_u64 s[26:27], s[18:19], s[24:25]
	s_cbranch_vccnz .LBB179_18
; %bb.4:
	v_cmp_neq_f64_e64 s16, s[6:7], 0
	v_cmp_neq_f64_e64 s17, s[2:3], 0
	s_or_b32 s16, s16, s17
	s_cmp_gt_i32 s23, 0
	s_cselect_b32 s18, -1, 0
	s_and_b32 vcc_lo, exec_lo, s16
	s_mov_b32 s16, -1
	s_cbranch_vccnz .LBB179_11
; %bb.5:
	s_and_not1_b32 vcc_lo, exec_lo, s18
	s_cbranch_vccnz .LBB179_10
; %bb.6:
	v_mov_b32_e32 v2, 0
	s_ashr_i32 s21, s20, 31
	s_lshl_b64 s[16:17], s[10:11], 4
	s_lshl_b64 s[28:29], s[26:27], 4
	s_add_nc_u64 s[16:17], s[8:9], s[16:17]
	v_mov_b32_e32 v1, v2
	s_add_nc_u64 s[16:17], s[16:17], s[28:29]
	s_mov_b32 s19, 0
	s_delay_alu instid0(VALU_DEP_1) | instskip(NEXT) | instid1(VALU_DEP_1)
	v_mul_u64_e32 v[4:5], s[20:21], v[0:1]
	v_lshl_add_u64 v[4:5], v[4:5], 4, s[16:17]
	s_lshl_b64 s[16:17], s[20:21], 12
	s_delay_alu instid0(VALU_DEP_1)
	v_add_nc_u64_e32 v[6:7], 8, v[4:5]
	s_branch .LBB179_8
.LBB179_7:                              ;   in Loop: Header=BB179_8 Depth=1
	s_wait_xcnt 0x0
	s_or_b32 exec_lo, exec_lo, s21
	v_add_nc_u64_e32 v[6:7], s[16:17], v[6:7]
	s_addk_co_i32 s19, 0x100
	s_delay_alu instid0(SALU_CYCLE_1)
	s_cmp_ge_i32 s19, s23
	s_cbranch_scc1 .LBB179_10
.LBB179_8:                              ; =>This Inner Loop Header: Depth=1
	v_add_nc_u32_e32 v1, s19, v0
	s_mov_b32 s21, exec_lo
	s_delay_alu instid0(VALU_DEP_1)
	v_cmpx_gt_i32_e64 s23, v1
	s_cbranch_execz .LBB179_7
; %bb.9:                                ;   in Loop: Header=BB179_8 Depth=1
	v_dual_mov_b32 v3, v2 :: v_dual_mov_b32 v4, v2
	v_mov_b32_e32 v5, v2
	global_store_b128 v[6:7], v[2:5], off offset:-8
	s_branch .LBB179_7
.LBB179_10:
	s_mov_b32 s16, 0
.LBB179_11:
	s_delay_alu instid0(SALU_CYCLE_1)
	s_and_not1_b32 vcc_lo, exec_lo, s16
	s_cbranch_vccnz .LBB179_17
; %bb.12:
	s_and_not1_b32 vcc_lo, exec_lo, s18
	s_cbranch_vccnz .LBB179_17
; %bb.13:
	v_mov_b32_e32 v1, 0
	s_ashr_i32 s21, s20, 31
	s_lshl_b64 s[16:17], s[10:11], 4
	s_lshl_b64 s[18:19], s[26:27], 4
	s_add_nc_u64 s[16:17], s[8:9], s[16:17]
	v_mul_u64_e32 v[2:3], s[20:21], v[0:1]
	s_add_nc_u64 s[16:17], s[16:17], s[18:19]
	s_mov_b32 s18, 0
	s_delay_alu instid0(VALU_DEP_1) | instskip(SKIP_1) | instid1(VALU_DEP_1)
	v_lshl_add_u64 v[2:3], v[2:3], 4, s[16:17]
	s_lshl_b64 s[16:17], s[20:21], 12
	v_add_nc_u64_e32 v[2:3], 8, v[2:3]
	s_branch .LBB179_15
.LBB179_14:                             ;   in Loop: Header=BB179_15 Depth=1
	s_wait_xcnt 0x0
	s_or_b32 exec_lo, exec_lo, s19
	v_add_nc_u64_e32 v[2:3], s[16:17], v[2:3]
	s_addk_co_i32 s18, 0x100
	s_delay_alu instid0(SALU_CYCLE_1)
	s_cmp_ge_i32 s18, s23
	s_cbranch_scc1 .LBB179_17
.LBB179_15:                             ; =>This Inner Loop Header: Depth=1
	v_add_nc_u32_e32 v1, s18, v0
	s_mov_b32 s19, exec_lo
	s_delay_alu instid0(VALU_DEP_1)
	v_cmpx_gt_i32_e64 s23, v1
	s_cbranch_execz .LBB179_14
; %bb.16:                               ;   in Loop: Header=BB179_15 Depth=1
	global_load_b128 v[4:7], v[2:3], off offset:-8
	s_wait_loadcnt 0x0
	v_mul_f64_e32 v[10:11], s[2:3], v[6:7]
	v_mul_f64_e32 v[8:9], s[6:7], v[6:7]
	s_delay_alu instid0(VALU_DEP_2) | instskip(NEXT) | instid1(VALU_DEP_2)
	v_fma_f64 v[6:7], s[6:7], v[4:5], -v[10:11]
	v_fmac_f64_e32 v[8:9], s[2:3], v[4:5]
	global_store_b128 v[2:3], v[6:9], off offset:-8
	s_branch .LBB179_14
.LBB179_17:
	s_mov_b32 s16, 0
.LBB179_18:
	s_delay_alu instid0(SALU_CYCLE_1)
	s_and_not1_b32 vcc_lo, exec_lo, s16
	s_cbranch_vccnz .LBB179_36
; %bb.19:
	s_clause 0x1
	s_load_b128 s[16:19], s[0:1], 0x38
	s_load_b64 s[28:29], s[0:1], 0x48
	s_mov_b32 s21, exec_lo
	v_cmpx_gt_i32_e64 s22, v0
	s_cbranch_execz .LBB179_21
; %bb.20:
	s_load_b32 s30, s[0:1], 0x50
	v_mov_b32_e32 v1, 0
	s_mul_u64 s[4:5], s[4:5], s[24:25]
	s_wait_kmcnt 0x0
	s_lshl_b64 s[28:29], s[28:29], 4
	s_lshl_b64 s[4:5], s[4:5], 4
	s_delay_alu instid0(SALU_CYCLE_1) | instskip(NEXT) | instid1(SALU_CYCLE_1)
	s_add_nc_u64 s[4:5], s[18:19], s[4:5]
	s_add_nc_u64 s[4:5], s[4:5], s[28:29]
	s_ashr_i32 s31, s30, 31
	s_delay_alu instid0(SALU_CYCLE_1) | instskip(SKIP_1) | instid1(VALU_DEP_2)
	v_mul_u64_e32 v[2:3], s[30:31], v[0:1]
	v_lshlrev_b32_e32 v1, 4, v0
	v_lshl_add_u64 v[2:3], v[2:3], 4, s[4:5]
	global_load_b128 v[2:5], v[2:3], off
	s_wait_loadcnt 0x0
	v_mul_f64_e32 v[8:9], s[14:15], v[4:5]
	v_mul_f64_e32 v[6:7], s[12:13], v[4:5]
	s_delay_alu instid0(VALU_DEP_2) | instskip(NEXT) | instid1(VALU_DEP_2)
	v_fma_f64 v[4:5], s[12:13], v[2:3], -v[8:9]
	v_fmac_f64_e32 v[6:7], s[14:15], v[2:3]
	ds_store_b128 v1, v[4:7]
.LBB179_21:
	s_wait_xcnt 0x0
	s_or_b32 exec_lo, exec_lo, s21
	s_cmp_lt_i32 s23, 1
	s_wait_storecnt_dscnt 0x0
	s_barrier_signal -1
	s_barrier_wait -1
	s_cbranch_scc1 .LBB179_36
; %bb.22:
	s_wait_kmcnt 0x0
	s_clause 0x1
	s_load_b32 s18, s[0:1], 0x30
	s_load_b128 s[28:31], s[0:1], 0x20
	v_cmp_neq_f64_e64 s12, s[6:7], 0
	v_cmp_neq_f64_e64 s13, s[2:3], 0
	v_mov_b32_e32 v7, 0
	s_wait_xcnt 0x0
	s_lshl_b64 s[0:1], s[26:27], 4
	s_lshl_b64 s[4:5], s[10:11], 4
	s_ashr_i32 s21, s20, 31
	s_mul_u64 s[16:17], s[16:17], s[24:25]
	v_mov_b32_e32 v1, v7
	s_add_nc_u64 s[0:1], s[8:9], s[0:1]
	s_delay_alu instid0(SALU_CYCLE_1) | instskip(SKIP_3) | instid1(SALU_CYCLE_1)
	s_add_nc_u64 s[0:1], s[0:1], s[4:5]
	s_mov_b32 s5, 0
	s_wait_kmcnt 0x0
	s_ashr_i32 s19, s18, 31
	v_mul_u64_e32 v[2:3], s[18:19], v[0:1]
	s_or_b32 s10, s12, s13
	s_cmp_gt_i32 s22, 0
	s_cselect_b32 s11, -1, 0
	s_and_b32 s12, s22, 7
	s_cmp_gt_u32 s22, 7
	s_cselect_b32 s13, -1, 0
	s_and_b32 s14, s22, 0x7ffffff8
	s_cmp_lg_u32 s12, 0
	s_cselect_b32 s15, -1, 0
	s_lshl_b64 s[24:25], s[30:31], 4
	s_lshl_b64 s[16:17], s[16:17], 4
	s_add_nc_u64 s[24:25], s[28:29], s[24:25]
	s_lshl_b64 s[8:9], s[18:19], 12
	s_add_nc_u64 s[16:17], s[24:25], s[16:17]
	s_delay_alu instid0(VALU_DEP_1) | instid1(SALU_CYCLE_1)
	v_lshl_add_u64 v[8:9], v[2:3], 4, s[16:17]
	s_mov_b32 s16, 0
	s_delay_alu instid0(VALU_DEP_1)
	v_add_nc_u64_e32 v[10:11], 0x78, v[8:9]
	s_branch .LBB179_25
.LBB179_23:                             ;   in Loop: Header=BB179_25 Depth=1
	global_store_b128 v[12:13], v[2:5], off
.LBB179_24:                             ;   in Loop: Header=BB179_25 Depth=1
	s_wait_xcnt 0x0
	s_or_b32 exec_lo, exec_lo, s17
	v_add_nc_u64_e32 v[10:11], s[8:9], v[10:11]
	v_add_nc_u64_e32 v[8:9], s[8:9], v[8:9]
	s_addk_co_i32 s16, 0x100
	s_delay_alu instid0(SALU_CYCLE_1)
	s_cmp_ge_i32 s16, s23
	s_cbranch_scc1 .LBB179_36
.LBB179_25:                             ; =>This Loop Header: Depth=1
                                        ;     Child Loop BB179_31 Depth 2
                                        ;     Child Loop BB179_35 Depth 2
	v_add_nc_u32_e32 v6, s16, v0
	s_mov_b32 s17, exec_lo
	s_delay_alu instid0(VALU_DEP_1)
	v_cmpx_gt_i32_e64 s23, v6
	s_cbranch_execz .LBB179_24
; %bb.26:                               ;   in Loop: Header=BB179_25 Depth=1
	v_mul_u64_e32 v[12:13], s[20:21], v[6:7]
	v_mov_b64_e32 v[2:3], 0
	v_mov_b64_e32 v[4:5], 0
	s_and_not1_b32 vcc_lo, exec_lo, s10
	s_delay_alu instid0(VALU_DEP_3)
	v_lshl_add_u64 v[12:13], v[12:13], 4, s[0:1]
	s_cbranch_vccnz .LBB179_28
; %bb.27:                               ;   in Loop: Header=BB179_25 Depth=1
	global_load_b128 v[14:17], v[12:13], off
	s_wait_loadcnt 0x0
	v_mul_f64_e32 v[2:3], s[2:3], v[16:17]
	v_mul_f64_e32 v[4:5], s[6:7], v[16:17]
	s_delay_alu instid0(VALU_DEP_2) | instskip(NEXT) | instid1(VALU_DEP_2)
	v_fma_f64 v[2:3], s[6:7], v[14:15], -v[2:3]
	v_fmac_f64_e32 v[4:5], s[2:3], v[14:15]
.LBB179_28:                             ;   in Loop: Header=BB179_25 Depth=1
	s_and_not1_b32 vcc_lo, exec_lo, s11
	s_cbranch_vccnz .LBB179_23
; %bb.29:                               ;   in Loop: Header=BB179_25 Depth=1
	s_and_not1_b32 vcc_lo, exec_lo, s13
	s_mov_b32 s4, 0
	s_cbranch_vccnz .LBB179_33
; %bb.30:                               ;   in Loop: Header=BB179_25 Depth=1
	v_mov_b64_e32 v[14:15], v[10:11]
	s_mov_b32 s18, 0
.LBB179_31:                             ;   Parent Loop BB179_25 Depth=1
                                        ; =>  This Inner Loop Header: Depth=2
	s_clause 0x7
	global_load_b128 v[16:19], v[14:15], off offset:-120
	global_load_b128 v[20:23], v[14:15], off offset:-104
	;; [unrolled: 1-line block ×8, first 2 shown]
	v_mov_b32_e32 v1, s4
	s_wait_xcnt 0x0
	v_add_nc_u64_e32 v[14:15], 0x80, v[14:15]
	s_add_co_i32 s18, s18, 8
	s_addk_co_i32 s4, 0x80
	ds_load_b128 v[48:51], v1
	ds_load_b128 v[52:55], v1 offset:16
	s_cmp_eq_u32 s14, s18
	s_wait_loadcnt_dscnt 0x701
	v_mul_f64_e32 v[56:57], v[18:19], v[50:51]
	v_mul_f64_e32 v[18:19], v[18:19], v[48:49]
	s_wait_loadcnt_dscnt 0x600
	v_mul_f64_e32 v[58:59], v[22:23], v[54:55]
	v_mul_f64_e32 v[22:23], v[22:23], v[52:53]
	s_delay_alu instid0(VALU_DEP_4) | instskip(NEXT) | instid1(VALU_DEP_4)
	v_fmac_f64_e32 v[56:57], v[16:17], v[48:49]
	v_fma_f64 v[60:61], v[16:17], v[50:51], -v[18:19]
	ds_load_b128 v[16:19], v1 offset:32
	ds_load_b128 v[48:51], v1 offset:48
	v_fmac_f64_e32 v[58:59], v[20:21], v[52:53]
	v_fma_f64 v[20:21], v[20:21], v[54:55], -v[22:23]
	s_wait_loadcnt_dscnt 0x501
	v_mul_f64_e32 v[62:63], v[26:27], v[18:19]
	v_mul_f64_e32 v[26:27], v[26:27], v[16:17]
	s_wait_loadcnt_dscnt 0x400
	v_mul_f64_e32 v[22:23], v[30:31], v[50:51]
	v_mul_f64_e32 v[30:31], v[30:31], v[48:49]
	v_add_f64_e32 v[2:3], v[2:3], v[56:57]
	v_add_f64_e32 v[4:5], v[4:5], v[60:61]
	v_fmac_f64_e32 v[62:63], v[24:25], v[16:17]
	v_fma_f64 v[24:25], v[24:25], v[18:19], -v[26:27]
	v_fmac_f64_e32 v[22:23], v[28:29], v[48:49]
	v_fma_f64 v[28:29], v[28:29], v[50:51], -v[30:31]
	v_add_f64_e32 v[26:27], v[2:3], v[58:59]
	v_add_f64_e32 v[20:21], v[4:5], v[20:21]
	ds_load_b128 v[2:5], v1 offset:64
	ds_load_b128 v[16:19], v1 offset:80
	s_wait_loadcnt_dscnt 0x301
	v_mul_f64_e32 v[52:53], v[34:35], v[4:5]
	v_mul_f64_e32 v[34:35], v[34:35], v[2:3]
	s_wait_loadcnt_dscnt 0x200
	v_mul_f64_e32 v[30:31], v[38:39], v[16:17]
	v_add_f64_e32 v[26:27], v[26:27], v[62:63]
	v_add_f64_e32 v[20:21], v[20:21], v[24:25]
	v_mul_f64_e32 v[24:25], v[38:39], v[18:19]
	v_fmac_f64_e32 v[52:53], v[32:33], v[2:3]
	v_fma_f64 v[32:33], v[32:33], v[4:5], -v[34:35]
	v_add_f64_e32 v[26:27], v[26:27], v[22:23]
	v_add_f64_e32 v[28:29], v[20:21], v[28:29]
	ds_load_b128 v[2:5], v1 offset:96
	ds_load_b128 v[20:23], v1 offset:112
	v_fmac_f64_e32 v[24:25], v[36:37], v[16:17]
	v_fma_f64 v[16:17], v[36:37], v[18:19], -v[30:31]
	s_wait_loadcnt_dscnt 0x101
	v_mul_f64_e32 v[34:35], v[42:43], v[4:5]
	v_mul_f64_e32 v[38:39], v[42:43], v[2:3]
	s_wait_loadcnt_dscnt 0x0
	v_mul_f64_e32 v[30:31], v[46:47], v[20:21]
	v_add_f64_e32 v[18:19], v[26:27], v[52:53]
	v_add_f64_e32 v[26:27], v[28:29], v[32:33]
	v_mul_f64_e32 v[28:29], v[46:47], v[22:23]
	v_fmac_f64_e32 v[34:35], v[40:41], v[2:3]
	v_fma_f64 v[2:3], v[40:41], v[4:5], -v[38:39]
	v_add_f64_e32 v[4:5], v[18:19], v[24:25]
	v_add_f64_e32 v[16:17], v[26:27], v[16:17]
	v_fmac_f64_e32 v[28:29], v[44:45], v[20:21]
	v_fma_f64 v[18:19], v[44:45], v[22:23], -v[30:31]
	s_delay_alu instid0(VALU_DEP_4) | instskip(NEXT) | instid1(VALU_DEP_4)
	v_add_f64_e32 v[4:5], v[4:5], v[34:35]
	v_add_f64_e32 v[16:17], v[16:17], v[2:3]
	s_delay_alu instid0(VALU_DEP_2) | instskip(NEXT) | instid1(VALU_DEP_2)
	v_add_f64_e32 v[2:3], v[4:5], v[28:29]
	v_add_f64_e32 v[4:5], v[16:17], v[18:19]
	s_cbranch_scc0 .LBB179_31
; %bb.32:                               ;   in Loop: Header=BB179_25 Depth=1
	s_mov_b32 s4, s14
.LBB179_33:                             ;   in Loop: Header=BB179_25 Depth=1
	s_and_not1_b32 vcc_lo, exec_lo, s15
	s_cbranch_vccnz .LBB179_23
; %bb.34:                               ;   in Loop: Header=BB179_25 Depth=1
	v_lshl_add_u64 v[14:15], s[4:5], 4, v[8:9]
	s_lshl_b32 s4, s4, 4
	s_mov_b32 s18, s12
.LBB179_35:                             ;   Parent Loop BB179_25 Depth=1
                                        ; =>  This Inner Loop Header: Depth=2
	global_load_b128 v[16:19], v[14:15], off
	v_mov_b32_e32 v1, s4
	s_wait_xcnt 0x0
	v_add_nc_u64_e32 v[14:15], 16, v[14:15]
	s_add_co_i32 s18, s18, -1
	s_add_co_i32 s4, s4, 16
	s_cmp_lg_u32 s18, 0
	ds_load_b128 v[20:23], v1
	s_wait_loadcnt_dscnt 0x0
	v_mul_f64_e32 v[24:25], v[18:19], v[22:23]
	v_mul_f64_e32 v[18:19], v[18:19], v[20:21]
	s_delay_alu instid0(VALU_DEP_2) | instskip(NEXT) | instid1(VALU_DEP_2)
	v_fmac_f64_e32 v[24:25], v[16:17], v[20:21]
	v_fma_f64 v[16:17], v[16:17], v[22:23], -v[18:19]
	s_delay_alu instid0(VALU_DEP_2) | instskip(NEXT) | instid1(VALU_DEP_2)
	v_add_f64_e32 v[2:3], v[2:3], v[24:25]
	v_add_f64_e32 v[4:5], v[4:5], v[16:17]
	s_cbranch_scc1 .LBB179_35
	s_branch .LBB179_23
.LBB179_36:
	s_endpgm
	.section	.rodata,"a",@progbits
	.p2align	6, 0x0
	.amdhsa_kernel _ZL22rocblas_gemvtsm_kernelILb1ELi256E19rocblas_complex_numIdES1_S1_EviiT2_lPKT1_lilS5_lilS2_lPT3_lil
		.amdhsa_group_segment_fixed_size 1024
		.amdhsa_private_segment_fixed_size 0
		.amdhsa_kernarg_size 152
		.amdhsa_user_sgpr_count 2
		.amdhsa_user_sgpr_dispatch_ptr 0
		.amdhsa_user_sgpr_queue_ptr 0
		.amdhsa_user_sgpr_kernarg_segment_ptr 1
		.amdhsa_user_sgpr_dispatch_id 0
		.amdhsa_user_sgpr_kernarg_preload_length 0
		.amdhsa_user_sgpr_kernarg_preload_offset 0
		.amdhsa_user_sgpr_private_segment_size 0
		.amdhsa_wavefront_size32 1
		.amdhsa_uses_dynamic_stack 0
		.amdhsa_enable_private_segment 0
		.amdhsa_system_sgpr_workgroup_id_x 1
		.amdhsa_system_sgpr_workgroup_id_y 0
		.amdhsa_system_sgpr_workgroup_id_z 0
		.amdhsa_system_sgpr_workgroup_info 0
		.amdhsa_system_vgpr_workitem_id 0
		.amdhsa_next_free_vgpr 64
		.amdhsa_next_free_sgpr 32
		.amdhsa_named_barrier_count 0
		.amdhsa_reserve_vcc 1
		.amdhsa_float_round_mode_32 0
		.amdhsa_float_round_mode_16_64 0
		.amdhsa_float_denorm_mode_32 3
		.amdhsa_float_denorm_mode_16_64 3
		.amdhsa_fp16_overflow 0
		.amdhsa_memory_ordered 1
		.amdhsa_forward_progress 1
		.amdhsa_inst_pref_size 14
		.amdhsa_round_robin_scheduling 0
		.amdhsa_exception_fp_ieee_invalid_op 0
		.amdhsa_exception_fp_denorm_src 0
		.amdhsa_exception_fp_ieee_div_zero 0
		.amdhsa_exception_fp_ieee_overflow 0
		.amdhsa_exception_fp_ieee_underflow 0
		.amdhsa_exception_fp_ieee_inexact 0
		.amdhsa_exception_int_div_zero 0
	.end_amdhsa_kernel
	.section	.text._ZL22rocblas_gemvtsm_kernelILb1ELi256E19rocblas_complex_numIdES1_S1_EviiT2_lPKT1_lilS5_lilS2_lPT3_lil,"axG",@progbits,_ZL22rocblas_gemvtsm_kernelILb1ELi256E19rocblas_complex_numIdES1_S1_EviiT2_lPKT1_lilS5_lilS2_lPT3_lil,comdat
.Lfunc_end179:
	.size	_ZL22rocblas_gemvtsm_kernelILb1ELi256E19rocblas_complex_numIdES1_S1_EviiT2_lPKT1_lilS5_lilS2_lPT3_lil, .Lfunc_end179-_ZL22rocblas_gemvtsm_kernelILb1ELi256E19rocblas_complex_numIdES1_S1_EviiT2_lPKT1_lilS5_lilS2_lPT3_lil
                                        ; -- End function
	.set _ZL22rocblas_gemvtsm_kernelILb1ELi256E19rocblas_complex_numIdES1_S1_EviiT2_lPKT1_lilS5_lilS2_lPT3_lil.num_vgpr, 64
	.set _ZL22rocblas_gemvtsm_kernelILb1ELi256E19rocblas_complex_numIdES1_S1_EviiT2_lPKT1_lilS5_lilS2_lPT3_lil.num_agpr, 0
	.set _ZL22rocblas_gemvtsm_kernelILb1ELi256E19rocblas_complex_numIdES1_S1_EviiT2_lPKT1_lilS5_lilS2_lPT3_lil.numbered_sgpr, 32
	.set _ZL22rocblas_gemvtsm_kernelILb1ELi256E19rocblas_complex_numIdES1_S1_EviiT2_lPKT1_lilS5_lilS2_lPT3_lil.num_named_barrier, 0
	.set _ZL22rocblas_gemvtsm_kernelILb1ELi256E19rocblas_complex_numIdES1_S1_EviiT2_lPKT1_lilS5_lilS2_lPT3_lil.private_seg_size, 0
	.set _ZL22rocblas_gemvtsm_kernelILb1ELi256E19rocblas_complex_numIdES1_S1_EviiT2_lPKT1_lilS5_lilS2_lPT3_lil.uses_vcc, 1
	.set _ZL22rocblas_gemvtsm_kernelILb1ELi256E19rocblas_complex_numIdES1_S1_EviiT2_lPKT1_lilS5_lilS2_lPT3_lil.uses_flat_scratch, 0
	.set _ZL22rocblas_gemvtsm_kernelILb1ELi256E19rocblas_complex_numIdES1_S1_EviiT2_lPKT1_lilS5_lilS2_lPT3_lil.has_dyn_sized_stack, 0
	.set _ZL22rocblas_gemvtsm_kernelILb1ELi256E19rocblas_complex_numIdES1_S1_EviiT2_lPKT1_lilS5_lilS2_lPT3_lil.has_recursion, 0
	.set _ZL22rocblas_gemvtsm_kernelILb1ELi256E19rocblas_complex_numIdES1_S1_EviiT2_lPKT1_lilS5_lilS2_lPT3_lil.has_indirect_call, 0
	.section	.AMDGPU.csdata,"",@progbits
; Kernel info:
; codeLenInByte = 1712
; TotalNumSgprs: 34
; NumVgprs: 64
; ScratchSize: 0
; MemoryBound: 0
; FloatMode: 240
; IeeeMode: 1
; LDSByteSize: 1024 bytes/workgroup (compile time only)
; SGPRBlocks: 0
; VGPRBlocks: 3
; NumSGPRsForWavesPerEU: 34
; NumVGPRsForWavesPerEU: 64
; NamedBarCnt: 0
; Occupancy: 16
; WaveLimiterHint : 1
; COMPUTE_PGM_RSRC2:SCRATCH_EN: 0
; COMPUTE_PGM_RSRC2:USER_SGPR: 2
; COMPUTE_PGM_RSRC2:TRAP_HANDLER: 0
; COMPUTE_PGM_RSRC2:TGID_X_EN: 1
; COMPUTE_PGM_RSRC2:TGID_Y_EN: 0
; COMPUTE_PGM_RSRC2:TGID_Z_EN: 0
; COMPUTE_PGM_RSRC2:TIDIG_COMP_CNT: 0
	.section	.text._ZL23rocblas_gemvt_sn_kernelILb1ELi256ELi4Ei19rocblas_complex_numIdEPKS1_S1_EviiT4_lPKT3_lilS7_lilPT5_i,"axG",@progbits,_ZL23rocblas_gemvt_sn_kernelILb1ELi256ELi4Ei19rocblas_complex_numIdEPKS1_S1_EviiT4_lPKT3_lilS7_lilPT5_i,comdat
	.globl	_ZL23rocblas_gemvt_sn_kernelILb1ELi256ELi4Ei19rocblas_complex_numIdEPKS1_S1_EviiT4_lPKT3_lilS7_lilPT5_i ; -- Begin function _ZL23rocblas_gemvt_sn_kernelILb1ELi256ELi4Ei19rocblas_complex_numIdEPKS1_S1_EviiT4_lPKT3_lilS7_lilPT5_i
	.p2align	8
	.type	_ZL23rocblas_gemvt_sn_kernelILb1ELi256ELi4Ei19rocblas_complex_numIdEPKS1_S1_EviiT4_lPKT3_lilS7_lilPT5_i,@function
_ZL23rocblas_gemvt_sn_kernelILb1ELi256ELi4Ei19rocblas_complex_numIdEPKS1_S1_EviiT4_lPKT3_lilS7_lilPT5_i: ; @_ZL23rocblas_gemvt_sn_kernelILb1ELi256ELi4Ei19rocblas_complex_numIdEPKS1_S1_EviiT4_lPKT3_lilS7_lilPT5_i
; %bb.0:
	s_load_b32 s11, s[0:1], 0x60
	s_bfe_u32 s2, ttmp6, 0x40014
	s_lshr_b32 s3, ttmp7, 16
	s_add_co_i32 s2, s2, 1
	s_bfe_u32 s5, ttmp6, 0x40008
	s_mul_i32 s2, s3, s2
	s_getreg_b32 s4, hwreg(HW_REG_IB_STS2, 6, 4)
	s_add_co_i32 s5, s5, s2
	s_cmp_eq_u32 s4, 0
	s_mov_b32 s31, 0
	s_cselect_b32 s28, s3, s5
	s_wait_kmcnt 0x0
	s_cmp_ge_u32 s28, s11
	s_cbranch_scc1 .LBB180_80
; %bb.1:
	s_clause 0x6
	s_load_b96 s[8:10], s[0:1], 0x40
	s_load_b256 s[12:19], s[0:1], 0x8
	s_load_b64 s[34:35], s[0:1], 0x0
	s_load_b32 s33, s[0:1], 0x28
	s_load_b128 s[20:23], s[0:1], 0x30
	s_load_b128 s[24:27], s[0:1], 0x50
	s_load_b32 s36, s[0:1], 0x68
	s_wait_xcnt 0x0
	v_cmp_eq_u32_e64 s0, 0, v0
	v_dual_lshrrev_b32 v2, 1, v0 :: v_dual_bitop2_b32 v1, 31, v0 bitop3:0x40
	v_cmp_gt_u32_e64 s1, 32, v0
	v_cmp_gt_u32_e64 s2, 8, v0
	v_mbcnt_lo_u32_b32 v52, -1, 0
	s_delay_alu instid0(VALU_DEP_4)
	v_cmp_eq_u32_e64 s3, 0, v1
	v_and_b32_e32 v51, 0x70, v2
	s_mov_b32 s39, s31
	s_mov_b32 s37, s31
	v_lshl_or_b32 v53, v52, 2, 64
	s_mov_b32 s61, 16
	s_mov_b32 s62, 32
	s_wait_kmcnt 0x0
	s_lshl_b64 s[6:7], s[8:9], 4
	s_lshl_b64 s[8:9], s[18:19], 4
	s_ashr_i32 s41, s35, 31
	s_cmp_gt_i32 s35, 0
	s_add_nc_u64 s[18:19], s[22:23], s[6:7]
	s_cselect_b32 s5, -1, 0
	s_bfe_u32 s29, ttmp6, 0x4000c
	s_and_b32 s6, ttmp6, 15
	s_add_co_i32 s29, s29, 1
	s_and_b32 s56, s0, s5
	s_mul_i32 s7, ttmp9, s29
	s_mov_b32 s40, s35
	s_add_co_i32 s6, s6, s7
	s_cmp_eq_u32 s4, 0
	s_add_nc_u64 s[4:5], s[16:17], s[8:9]
	s_cselect_b32 s38, ttmp9, s6
	s_ashr_i32 s7, s34, 31
	s_lshl_b32 s6, s38, 10
	s_lshr_b32 s7, s7, 30
	v_lshl_or_b32 v0, v0, 2, s6
	s_add_co_i32 s7, s34, s7
	v_lshlrev_b32_e32 v50, 4, v1
	s_lshr_b32 s6, s41, 30
	s_and_b32 s7, s7, -4
	v_mul_lo_u32 v24, s10, v0
	v_ashrrev_i32_e32 v1, 31, v0
	s_add_co_i32 s6, s35, s6
	s_sub_co_i32 s58, s34, s7
	s_and_b32 s57, s6, -4
	v_dual_add_nc_u32 v2, 4, v0 :: v_dual_add_nc_u32 v3, s58, v0
	v_lshl_add_u64 v[30:31], v[0:1], 4, s[4:5]
	s_cmp_gt_i32 s57, 0
	s_mul_u64 s[16:17], s[40:41], s[36:37]
	s_cselect_b32 s59, -1, 0
	s_delay_alu instid0(VALU_DEP_4) | instskip(SKIP_3) | instid1(VALU_DEP_3)
	v_dual_add_nc_u32 v26, s10, v24 :: v_dual_ashrrev_i32 v25, 31, v24
	s_cmp_gt_i32 s58, 0
	v_cmp_ge_i32_e64 s5, s34, v3
	v_add_nc_u64_e32 v[34:35], 8, v[30:31]
	v_dual_add_nc_u32 v28, s10, v26 :: v_dual_ashrrev_i32 v27, 31, v26
	s_cselect_b32 s60, -1, 0
	s_lshl_b64 s[22:23], s[38:39], 4
	v_cmp_ge_i32_e64 s4, s34, v2
	s_delay_alu instid0(VALU_DEP_2) | instskip(SKIP_2) | instid1(VALU_DEP_1)
	v_dual_add_nc_u32 v32, s10, v28 :: v_dual_ashrrev_i32 v29, 31, v28
	s_add_nc_u64 s[6:7], s[26:27], s[22:23]
	s_mov_b32 s63, 48
	v_dual_mov_b32 v0, 0 :: v_dual_ashrrev_i32 v33, 31, v32
	s_or_b32 s64, 0, 8
	s_and_b32 s34, s60, s5
	s_add_nc_u64 s[40:41], s[6:7], 8
	s_lshl_b64 s[42:43], s[16:17], 4
	s_lshl_b64 s[44:45], s[36:37], 4
	s_lshl_b32 s39, s33, 2
	s_lshl_b32 s65, s33, 1
	s_mul_i32 s66, s33, 3
	s_lshl_b64 s[46:47], s[20:21], 4
	s_branch .LBB180_3
.LBB180_2:                              ;   in Loop: Header=BB180_3 Depth=1
	s_add_co_i32 s28, s28, 0x10000
	s_delay_alu instid0(SALU_CYCLE_1)
	s_cmp_lt_u32 s28, s11
	s_cbranch_scc0 .LBB180_80
.LBB180_3:                              ; =>This Loop Header: Depth=1
                                        ;     Child Loop BB180_6 Depth 2
                                        ;     Child Loop BB180_12 Depth 2
                                        ;       Child Loop BB180_43 Depth 3
                                        ;       Child Loop BB180_45 Depth 3
                                        ;     Child Loop BB180_61 Depth 2
                                        ;       Child Loop BB180_73 Depth 3
                                        ;       Child Loop BB180_75 Depth 3
	s_mov_b32 s29, s31
	s_delay_alu instid0(SALU_CYCLE_1) | instskip(NEXT) | instid1(SALU_CYCLE_1)
	s_mul_u64 s[6:7], s[14:15], s[28:29]
	s_lshl_b64 s[6:7], s[6:7], 4
	s_delay_alu instid0(SALU_CYCLE_1)
	s_add_nc_u64 s[6:7], s[12:13], s[6:7]
	global_load_b128 v[4:7], v0, s[6:7]
	s_wait_loadcnt 0x0
	v_cmp_neq_f64_e32 vcc_lo, 0, v[4:5]
	s_wait_xcnt 0x0
	v_cmp_neq_f64_e64 s6, 0, v[6:7]
	s_or_b32 s6, vcc_lo, s6
	s_delay_alu instid0(SALU_CYCLE_1)
	s_and_b32 vcc_lo, exec_lo, s6
	s_mov_b32 s6, -1
	s_cbranch_vccnz .LBB180_8
; %bb.4:                                ;   in Loop: Header=BB180_3 Depth=1
	s_and_saveexec_b32 s8, s56
	s_cbranch_execz .LBB180_7
; %bb.5:                                ;   in Loop: Header=BB180_3 Depth=1
	s_mul_u64 s[6:7], s[42:43], s[28:29]
	s_mov_b32 s9, s35
	s_add_nc_u64 s[6:7], s[40:41], s[6:7]
.LBB180_6:                              ;   Parent Loop BB180_3 Depth=1
                                        ; =>  This Inner Loop Header: Depth=2
	v_dual_mov_b32 v1, v0 :: v_dual_mov_b32 v2, v0
	v_mov_b32_e32 v3, v0
	s_add_co_i32 s9, s9, -1
	s_delay_alu instid0(SALU_CYCLE_1)
	s_cmp_eq_u32 s9, 0
	global_store_b128 v0, v[0:3], s[6:7] offset:-8
	s_wait_xcnt 0x0
	s_add_nc_u64 s[6:7], s[6:7], s[44:45]
	s_cbranch_scc0 .LBB180_6
.LBB180_7:                              ;   in Loop: Header=BB180_3 Depth=1
	s_or_b32 exec_lo, exec_lo, s8
	s_mov_b32 s6, 0
.LBB180_8:                              ;   in Loop: Header=BB180_3 Depth=1
	s_delay_alu instid0(SALU_CYCLE_1)
	s_and_not1_b32 vcc_lo, exec_lo, s6
	s_cbranch_vccnz .LBB180_2
; %bb.9:                                ;   in Loop: Header=BB180_3 Depth=1
	s_mul_u64 s[6:7], s[24:25], s[28:29]
	s_mul_u64 s[8:9], s[46:47], s[28:29]
	s_lshl_b64 s[6:7], s[6:7], 4
	s_mul_u64 s[50:51], s[20:21], s[28:29]
	s_add_nc_u64 s[48:49], s[18:19], s[6:7]
	v_add_nc_u64_e32 v[46:47], s[8:9], v[34:35]
	s_mul_u64 s[52:53], s[16:17], s[28:29]
	v_lshl_add_u64 v[36:37], s[50:51], 4, v[30:31]
	v_lshl_add_u64 v[38:39], v[24:25], 4, s[48:49]
	;; [unrolled: 1-line block ×5, first 2 shown]
	v_cmp_gt_u32_e64 s9, 24, v52
	v_cmp_gt_u32_e64 s8, 28, v52
	;; [unrolled: 1-line block ×3, first 2 shown]
	v_cmp_ne_u32_e64 s6, 31, v52
	s_lshl_b64 s[50:51], s[52:53], 4
	s_and_not1_b32 vcc_lo, exec_lo, s59
	s_add_nc_u64 s[50:51], s[26:27], s[50:51]
	s_cbranch_vccnz .LBB180_57
; %bb.10:                               ;   in Loop: Header=BB180_3 Depth=1
	v_cndmask_b32_e64 v1, 0, 8, s9
	v_cndmask_b32_e64 v2, 0, 4, s8
	;; [unrolled: 1-line block ×3, first 2 shown]
	s_wait_dscnt 0x0
	v_add_co_ci_u32_e64 v8, null, 0, v52, s6
	v_add_lshl_u32 v54, v1, v52, 2
	v_add_lshl_u32 v55, v2, v52, 2
	;; [unrolled: 1-line block ×3, first 2 shown]
	s_delay_alu instid0(VALU_DEP_4)
	v_lshlrev_b32_e32 v57, 2, v8
	s_mov_b32 s6, 0
	s_mov_b32 s29, s66
	;; [unrolled: 1-line block ×5, first 2 shown]
	s_branch .LBB180_12
.LBB180_11:                             ;   in Loop: Header=BB180_12 Depth=2
	s_wait_xcnt 0x0
	s_or_b32 exec_lo, exec_lo, s7
	s_add_co_i32 s30, s30, 4
	s_add_co_i32 s68, s68, s39
	;; [unrolled: 1-line block ×5, first 2 shown]
	s_cmp_ge_i32 s30, s57
	s_cbranch_scc1 .LBB180_58
.LBB180_12:                             ;   Parent Loop BB180_3 Depth=1
                                        ; =>  This Loop Header: Depth=2
                                        ;       Child Loop BB180_43 Depth 3
                                        ;       Child Loop BB180_45 Depth 3
                                        ; implicit-def: $vgpr20_vgpr21
                                        ; implicit-def: $vgpr22_vgpr23
                                        ; implicit-def: $vgpr16_vgpr17
                                        ; implicit-def: $vgpr18_vgpr19
                                        ; implicit-def: $vgpr12_vgpr13
                                        ; implicit-def: $vgpr14_vgpr15
                                        ; implicit-def: $vgpr10_vgpr11
                                        ; implicit-def: $vgpr8_vgpr9
	s_and_saveexec_b32 s7, s4
	s_delay_alu instid0(SALU_CYCLE_1)
	s_xor_b32 s7, exec_lo, s7
	s_cbranch_execnz .LBB180_39
; %bb.13:                               ;   in Loop: Header=BB180_12 Depth=2
	s_and_not1_saveexec_b32 s69, s7
	s_cbranch_execnz .LBB180_40
.LBB180_14:                             ;   in Loop: Header=BB180_12 Depth=2
	s_or_b32 exec_lo, exec_lo, s69
	s_and_saveexec_b32 s7, s1
.LBB180_15:                             ;   in Loop: Header=BB180_12 Depth=2
	v_dual_mov_b32 v1, v0 :: v_dual_mov_b32 v2, v0
	v_mov_b32_e32 v3, v0
	ds_store_b128 v50, v[0:3]
.LBB180_16:                             ;   in Loop: Header=BB180_12 Depth=2
	s_or_b32 exec_lo, exec_lo, s7
	ds_bpermute_b32 v2, v53, v10
	ds_bpermute_b32 v3, v53, v11
	;; [unrolled: 1-line block ×4, first 2 shown]
	s_wait_storecnt_dscnt 0x0
	s_barrier_signal -1
	s_barrier_wait -1
	v_add_f64_e32 v[2:3], v[10:11], v[2:3]
	v_add_f64_e32 v[8:9], v[8:9], v[48:49]
	ds_bpermute_b32 v10, v54, v2
	ds_bpermute_b32 v11, v54, v3
	ds_bpermute_b32 v48, v54, v8
	ds_bpermute_b32 v49, v54, v9
	s_wait_dscnt 0x2
	v_add_f64_e32 v[2:3], v[2:3], v[10:11]
	s_wait_dscnt 0x0
	v_add_f64_e32 v[8:9], v[8:9], v[48:49]
	ds_bpermute_b32 v10, v55, v2
	ds_bpermute_b32 v11, v55, v3
	ds_bpermute_b32 v48, v55, v8
	ds_bpermute_b32 v49, v55, v9
	s_wait_dscnt 0x2
	v_add_f64_e32 v[2:3], v[2:3], v[10:11]
	s_wait_dscnt 0x0
	;; [unrolled: 8-line block ×3, first 2 shown]
	v_add_f64_e32 v[10:11], v[8:9], v[48:49]
	ds_bpermute_b32 v8, v57, v2
	ds_bpermute_b32 v9, v57, v3
	;; [unrolled: 1-line block ×4, first 2 shown]
	s_and_saveexec_b32 s7, s3
	s_cbranch_execz .LBB180_18
; %bb.17:                               ;   in Loop: Header=BB180_12 Depth=2
	s_wait_dscnt 0x0
	v_add_f64_e32 v[10:11], v[10:11], v[48:49]
	v_add_f64_e32 v[8:9], v[2:3], v[8:9]
	ds_store_b128 v51, v[8:11]
.LBB180_18:                             ;   in Loop: Header=BB180_12 Depth=2
	s_or_b32 exec_lo, exec_lo, s7
	v_mov_b64_e32 v[10:11], 0
	s_wait_dscnt 0x2
	v_mov_b64_e32 v[8:9], 0
	s_wait_dscnt 0x0
	s_barrier_signal -1
	s_barrier_wait -1
	s_and_saveexec_b32 s7, s2
	s_cbranch_execnz .LBB180_46
; %bb.19:                               ;   in Loop: Header=BB180_12 Depth=2
	s_or_b32 exec_lo, exec_lo, s7
	s_and_saveexec_b32 s7, s1
	s_cbranch_execnz .LBB180_47
.LBB180_20:                             ;   in Loop: Header=BB180_12 Depth=2
	s_or_b32 exec_lo, exec_lo, s7
	s_and_saveexec_b32 s7, s1
.LBB180_21:                             ;   in Loop: Header=BB180_12 Depth=2
	v_dual_mov_b32 v1, v0 :: v_dual_mov_b32 v2, v0
	v_mov_b32_e32 v3, v0
	ds_store_b128 v50, v[0:3]
.LBB180_22:                             ;   in Loop: Header=BB180_12 Depth=2
	s_or_b32 exec_lo, exec_lo, s7
	ds_bpermute_b32 v2, v53, v12
	ds_bpermute_b32 v3, v53, v13
	ds_bpermute_b32 v48, v53, v14
	ds_bpermute_b32 v49, v53, v15
	s_wait_dscnt 0x0
	s_barrier_signal -1
	s_barrier_wait -1
	v_add_f64_e32 v[2:3], v[12:13], v[2:3]
	v_add_f64_e32 v[12:13], v[14:15], v[48:49]
	ds_bpermute_b32 v14, v54, v2
	ds_bpermute_b32 v15, v54, v3
	ds_bpermute_b32 v48, v54, v12
	ds_bpermute_b32 v49, v54, v13
	s_wait_dscnt 0x2
	v_add_f64_e32 v[2:3], v[2:3], v[14:15]
	s_wait_dscnt 0x0
	v_add_f64_e32 v[12:13], v[12:13], v[48:49]
	ds_bpermute_b32 v14, v55, v2
	ds_bpermute_b32 v15, v55, v3
	ds_bpermute_b32 v48, v55, v12
	ds_bpermute_b32 v49, v55, v13
	s_wait_dscnt 0x2
	v_add_f64_e32 v[2:3], v[2:3], v[14:15]
	s_wait_dscnt 0x0
	;; [unrolled: 8-line block ×3, first 2 shown]
	v_add_f64_e32 v[14:15], v[12:13], v[48:49]
	ds_bpermute_b32 v12, v57, v2
	ds_bpermute_b32 v13, v57, v3
	;; [unrolled: 1-line block ×4, first 2 shown]
	s_and_saveexec_b32 s7, s3
	s_cbranch_execz .LBB180_24
; %bb.23:                               ;   in Loop: Header=BB180_12 Depth=2
	s_wait_dscnt 0x0
	v_add_f64_e32 v[14:15], v[14:15], v[48:49]
	v_add_f64_e32 v[12:13], v[2:3], v[12:13]
	ds_store_b128 v51, v[12:15]
.LBB180_24:                             ;   in Loop: Header=BB180_12 Depth=2
	s_or_b32 exec_lo, exec_lo, s7
	v_mov_b64_e32 v[14:15], 0
	s_wait_dscnt 0x2
	v_mov_b64_e32 v[12:13], 0
	s_wait_dscnt 0x0
	s_barrier_signal -1
	s_barrier_wait -1
	s_and_saveexec_b32 s7, s2
	s_cbranch_execnz .LBB180_48
; %bb.25:                               ;   in Loop: Header=BB180_12 Depth=2
	s_or_b32 exec_lo, exec_lo, s7
	s_and_saveexec_b32 s7, s1
	s_cbranch_execnz .LBB180_49
.LBB180_26:                             ;   in Loop: Header=BB180_12 Depth=2
	s_or_b32 exec_lo, exec_lo, s7
	s_and_saveexec_b32 s7, s1
.LBB180_27:                             ;   in Loop: Header=BB180_12 Depth=2
	v_dual_mov_b32 v1, v0 :: v_dual_mov_b32 v2, v0
	v_mov_b32_e32 v3, v0
	ds_store_b128 v50, v[0:3]
.LBB180_28:                             ;   in Loop: Header=BB180_12 Depth=2
	s_or_b32 exec_lo, exec_lo, s7
	ds_bpermute_b32 v2, v53, v16
	ds_bpermute_b32 v3, v53, v17
	;; [unrolled: 1-line block ×4, first 2 shown]
	s_wait_dscnt 0x0
	s_barrier_signal -1
	s_barrier_wait -1
	v_add_f64_e32 v[2:3], v[16:17], v[2:3]
	v_add_f64_e32 v[16:17], v[18:19], v[48:49]
	ds_bpermute_b32 v18, v54, v2
	ds_bpermute_b32 v19, v54, v3
	ds_bpermute_b32 v48, v54, v16
	ds_bpermute_b32 v49, v54, v17
	s_wait_dscnt 0x2
	v_add_f64_e32 v[2:3], v[2:3], v[18:19]
	s_wait_dscnt 0x0
	v_add_f64_e32 v[16:17], v[16:17], v[48:49]
	ds_bpermute_b32 v18, v55, v2
	ds_bpermute_b32 v19, v55, v3
	ds_bpermute_b32 v48, v55, v16
	ds_bpermute_b32 v49, v55, v17
	s_wait_dscnt 0x2
	v_add_f64_e32 v[2:3], v[2:3], v[18:19]
	s_wait_dscnt 0x0
	;; [unrolled: 8-line block ×3, first 2 shown]
	v_add_f64_e32 v[18:19], v[16:17], v[48:49]
	ds_bpermute_b32 v16, v57, v2
	ds_bpermute_b32 v17, v57, v3
	;; [unrolled: 1-line block ×4, first 2 shown]
	s_and_saveexec_b32 s7, s3
	s_cbranch_execz .LBB180_30
; %bb.29:                               ;   in Loop: Header=BB180_12 Depth=2
	s_wait_dscnt 0x0
	v_add_f64_e32 v[18:19], v[18:19], v[48:49]
	v_add_f64_e32 v[16:17], v[2:3], v[16:17]
	ds_store_b128 v51, v[16:19]
.LBB180_30:                             ;   in Loop: Header=BB180_12 Depth=2
	s_or_b32 exec_lo, exec_lo, s7
	v_mov_b64_e32 v[18:19], 0
	s_wait_dscnt 0x2
	v_mov_b64_e32 v[16:17], 0
	s_wait_dscnt 0x0
	s_barrier_signal -1
	s_barrier_wait -1
	s_and_saveexec_b32 s7, s2
	s_cbranch_execnz .LBB180_50
; %bb.31:                               ;   in Loop: Header=BB180_12 Depth=2
	s_or_b32 exec_lo, exec_lo, s7
	s_and_saveexec_b32 s7, s1
	s_cbranch_execnz .LBB180_51
.LBB180_32:                             ;   in Loop: Header=BB180_12 Depth=2
	s_or_b32 exec_lo, exec_lo, s7
	s_and_saveexec_b32 s7, s1
.LBB180_33:                             ;   in Loop: Header=BB180_12 Depth=2
	v_dual_mov_b32 v1, v0 :: v_dual_mov_b32 v2, v0
	v_mov_b32_e32 v3, v0
	ds_store_b128 v50, v[0:3]
.LBB180_34:                             ;   in Loop: Header=BB180_12 Depth=2
	s_or_b32 exec_lo, exec_lo, s7
	ds_bpermute_b32 v2, v53, v20
	ds_bpermute_b32 v3, v53, v21
	;; [unrolled: 1-line block ×4, first 2 shown]
	s_wait_dscnt 0x0
	s_barrier_signal -1
	s_barrier_wait -1
	v_add_f64_e32 v[2:3], v[20:21], v[2:3]
	v_add_f64_e32 v[20:21], v[22:23], v[48:49]
	ds_bpermute_b32 v22, v54, v2
	ds_bpermute_b32 v23, v54, v3
	ds_bpermute_b32 v48, v54, v20
	ds_bpermute_b32 v49, v54, v21
	s_wait_dscnt 0x2
	v_add_f64_e32 v[2:3], v[2:3], v[22:23]
	s_wait_dscnt 0x0
	v_add_f64_e32 v[20:21], v[20:21], v[48:49]
	ds_bpermute_b32 v22, v55, v2
	ds_bpermute_b32 v23, v55, v3
	ds_bpermute_b32 v48, v55, v20
	ds_bpermute_b32 v49, v55, v21
	s_wait_dscnt 0x2
	v_add_f64_e32 v[2:3], v[2:3], v[22:23]
	s_wait_dscnt 0x0
	;; [unrolled: 8-line block ×3, first 2 shown]
	v_add_f64_e32 v[22:23], v[20:21], v[48:49]
	ds_bpermute_b32 v20, v57, v2
	ds_bpermute_b32 v21, v57, v3
	;; [unrolled: 1-line block ×4, first 2 shown]
	s_and_saveexec_b32 s7, s3
	s_cbranch_execz .LBB180_36
; %bb.35:                               ;   in Loop: Header=BB180_12 Depth=2
	s_wait_dscnt 0x0
	v_add_f64_e32 v[22:23], v[22:23], v[48:49]
	v_add_f64_e32 v[20:21], v[2:3], v[20:21]
	ds_store_b128 v51, v[20:23]
.LBB180_36:                             ;   in Loop: Header=BB180_12 Depth=2
	s_or_b32 exec_lo, exec_lo, s7
	v_mov_b64_e32 v[22:23], 0
	s_wait_dscnt 0x2
	v_mov_b64_e32 v[20:21], 0
	s_wait_dscnt 0x0
	s_barrier_signal -1
	s_barrier_wait -1
	s_and_saveexec_b32 s7, s2
	s_cbranch_execnz .LBB180_52
; %bb.37:                               ;   in Loop: Header=BB180_12 Depth=2
	s_or_b32 exec_lo, exec_lo, s7
	s_and_saveexec_b32 s7, s1
	s_cbranch_execnz .LBB180_53
.LBB180_38:                             ;   in Loop: Header=BB180_12 Depth=2
	s_or_b32 exec_lo, exec_lo, s7
	s_and_saveexec_b32 s7, s0
	s_cbranch_execz .LBB180_11
	s_branch .LBB180_54
.LBB180_39:                             ;   in Loop: Header=BB180_12 Depth=2
	global_load_b128 v[8:11], v[40:41], off
	s_mul_i32 s8, s30, s33
	s_delay_alu instid0(SALU_CYCLE_1) | instskip(NEXT) | instid1(SALU_CYCLE_1)
	s_ashr_i32 s9, s8, 31
	v_lshl_add_u64 v[2:3], s[8:9], 4, v[36:37]
	s_add_co_i32 s8, s8, s33
	s_clause 0x1
	global_load_b128 v[12:15], v[42:43], off
	global_load_b128 v[16:19], v[44:45], off
	s_wait_dscnt 0x0
	global_load_b128 v[20:23], v[2:3], off offset:16
	s_add_co_i32 s52, s8, s33
	s_ashr_i32 s9, s8, 31
	s_ashr_i32 s53, s52, 31
	v_lshl_add_u64 v[48:49], s[8:9], 4, v[36:37]
	v_lshl_add_u64 v[78:79], s[52:53], 4, v[36:37]
	s_add_co_i32 s8, s52, s33
	s_delay_alu instid0(SALU_CYCLE_1)
	s_ashr_i32 s9, s8, 31
	s_wait_loadcnt 0x3
	scratch_store_b128 off, v[8:11], s61
	scratch_load_b128 v[8:11], off, off offset:16
	s_clause 0x4
	global_load_b128 v[58:61], v[48:49], off offset:16
	global_load_b128 v[62:65], v[78:79], off offset:16
	global_load_b128 v[66:69], v[2:3], off
	global_load_b128 v[70:73], v[48:49], off
	;; [unrolled: 1-line block ×3, first 2 shown]
	s_wait_loadcnt 0x8
	scratch_store_b128 off, v[12:15], s62
	scratch_load_b128 v[12:15], off, off offset:32
	s_wait_loadcnt 0x6
	v_mul_f64_e32 v[80:81], v[10:11], v[22:23]
	v_mul_f64_e32 v[22:23], v[8:9], v[22:23]
	s_wait_loadcnt 0x5
	v_mul_f64_e32 v[82:83], v[10:11], v[60:61]
	v_mul_f64_e32 v[60:61], v[8:9], v[60:61]
	s_wait_loadcnt 0x4
	v_mul_f64_e32 v[86:87], v[10:11], v[64:65]
	v_fmac_f64_e32 v[80:81], v[8:9], v[20:21]
	v_fma_f64 v[84:85], v[10:11], v[20:21], -v[22:23]
	v_mul_f64_e32 v[20:21], v[8:9], v[64:65]
	v_lshl_add_u64 v[64:65], s[8:9], 4, v[36:37]
	v_fmac_f64_e32 v[82:83], v[8:9], v[58:59]
	v_fma_f64 v[88:89], v[10:11], v[58:59], -v[60:61]
	v_fmac_f64_e32 v[86:87], v[8:9], v[62:63]
	v_fma_f64 v[90:91], v[10:11], v[62:63], -v[20:21]
	s_clause 0x1
	global_load_b128 v[20:23], v[64:65], off offset:16
	global_load_b128 v[58:61], v[64:65], off
	scratch_store_b128 off, v[16:19], s63
	s_wait_loadcnt 0x1
	v_mul_f64_e32 v[92:93], v[10:11], v[22:23]
	s_delay_alu instid0(VALU_DEP_1) | instskip(SKIP_1) | instid1(VALU_DEP_1)
	v_fmac_f64_e32 v[92:93], v[8:9], v[20:21]
	v_mul_f64_e32 v[8:9], v[8:9], v[22:23]
	v_fma_f64 v[20:21], v[10:11], v[20:21], -v[8:9]
	global_load_b128 v[8:11], v[2:3], off offset:32
	s_wait_loadcnt 0x0
	v_mul_f64_e32 v[22:23], v[14:15], v[10:11]
	v_mul_f64_e32 v[10:11], v[12:13], v[10:11]
	s_delay_alu instid0(VALU_DEP_2) | instskip(NEXT) | instid1(VALU_DEP_2)
	v_fmac_f64_e32 v[22:23], v[12:13], v[8:9]
	v_fma_f64 v[94:95], v[14:15], v[8:9], -v[10:11]
	global_load_b128 v[8:11], v[48:49], off offset:32
	s_wait_loadcnt 0x0
	v_mul_f64_e32 v[96:97], v[14:15], v[10:11]
	v_mul_f64_e32 v[10:11], v[12:13], v[10:11]
	s_delay_alu instid0(VALU_DEP_2) | instskip(NEXT) | instid1(VALU_DEP_2)
	v_fmac_f64_e32 v[96:97], v[12:13], v[8:9]
	;; [unrolled: 7-line block ×4, first 2 shown]
	v_fma_f64 v[106:107], v[14:15], v[8:9], -v[10:11]
	global_load_b128 v[8:11], v[2:3], off offset:48
	scratch_load_b128 v[12:15], off, off offset:48
	s_wait_loadcnt 0x0
	s_wait_xcnt 0x1
	v_mul_f64_e32 v[2:3], v[14:15], v[10:11]
	v_mul_f64_e32 v[10:11], v[12:13], v[10:11]
	s_delay_alu instid0(VALU_DEP_2) | instskip(NEXT) | instid1(VALU_DEP_2)
	v_fmac_f64_e32 v[2:3], v[12:13], v[8:9]
	v_fma_f64 v[16:17], v[14:15], v[8:9], -v[10:11]
	global_load_b128 v[8:11], v[48:49], off offset:48
	s_wait_loadcnt 0x0
	v_mul_f64_e32 v[18:19], v[14:15], v[10:11]
	v_mul_f64_e32 v[10:11], v[12:13], v[10:11]
	s_delay_alu instid0(VALU_DEP_2) | instskip(SKIP_1) | instid1(VALU_DEP_2)
	v_fmac_f64_e32 v[18:19], v[12:13], v[8:9]
	s_wait_xcnt 0x0
	v_fma_f64 v[48:49], v[14:15], v[8:9], -v[10:11]
	global_load_b128 v[8:11], v[78:79], off offset:48
	s_wait_loadcnt 0x0
	s_wait_xcnt 0x0
	v_mul_f64_e32 v[78:79], v[14:15], v[10:11]
	v_mul_f64_e32 v[10:11], v[12:13], v[10:11]
	s_delay_alu instid0(VALU_DEP_2) | instskip(NEXT) | instid1(VALU_DEP_2)
	v_fmac_f64_e32 v[78:79], v[12:13], v[8:9]
	v_fma_f64 v[108:109], v[14:15], v[8:9], -v[10:11]
	global_load_b128 v[8:11], v[64:65], off offset:48
	global_load_b128 v[62:65], v[38:39], off
	s_wait_loadcnt 0x1
	v_mul_f64_e32 v[110:111], v[14:15], v[10:11]
	v_mul_f64_e32 v[10:11], v[12:13], v[10:11]
	s_wait_loadcnt 0x0
	scratch_store_b128 off, v[62:65], off
	v_fmac_f64_e32 v[110:111], v[12:13], v[8:9]
	v_fma_f64 v[112:113], v[14:15], v[8:9], -v[10:11]
	v_mul_f64_e32 v[8:9], v[64:65], v[68:69]
	v_mul_f64_e32 v[10:11], v[62:63], v[68:69]
	;; [unrolled: 1-line block ×5, first 2 shown]
	v_fmac_f64_e32 v[8:9], v[62:63], v[66:67]
	v_fma_f64 v[10:11], v[64:65], v[66:67], -v[10:11]
	v_fmac_f64_e32 v[12:13], v[62:63], v[70:71]
	v_fma_f64 v[14:15], v[64:65], v[70:71], -v[14:15]
	v_mul_f64_e32 v[66:67], v[64:65], v[76:77]
	v_mul_f64_e32 v[70:71], v[64:65], v[60:61]
	;; [unrolled: 1-line block ×3, first 2 shown]
	v_fma_f64 v[68:69], v[64:65], v[74:75], -v[68:69]
	v_add_f64_e32 v[8:9], 0, v[8:9]
	v_add_f64_e32 v[10:11], 0, v[10:11]
	v_add_f64_e32 v[12:13], 0, v[12:13]
	v_add_f64_e32 v[14:15], 0, v[14:15]
	v_fmac_f64_e32 v[66:67], v[62:63], v[74:75]
	v_fmac_f64_e32 v[70:71], v[62:63], v[58:59]
	v_fma_f64 v[58:59], v[64:65], v[58:59], -v[60:61]
	v_add_f64_e32 v[8:9], v[8:9], v[80:81]
	v_add_f64_e32 v[10:11], v[10:11], v[84:85]
	;; [unrolled: 1-line block ×24, first 2 shown]
	s_delay_alu instid0(VALU_DEP_4) | instskip(NEXT) | instid1(VALU_DEP_4)
	v_add_f64_e32 v[16:17], v[58:59], v[78:79]
	v_add_f64_e32 v[18:19], v[60:61], v[108:109]
	s_delay_alu instid0(VALU_DEP_4) | instskip(NEXT) | instid1(VALU_DEP_4)
	v_add_f64_e32 v[20:21], v[66:67], v[110:111]
	v_add_f64_e32 v[22:23], v[68:69], v[112:113]
	s_wait_xcnt 0x0
	s_and_not1_saveexec_b32 s69, s7
	s_cbranch_execz .LBB180_14
.LBB180_40:                             ;   in Loop: Header=BB180_12 Depth=2
	s_wait_dscnt 0x0
	v_mov_b64_e32 v[20:21], 0
	v_mov_b64_e32 v[22:23], 0
	v_mov_b64_e32 v[16:17], 0
	v_mov_b64_e32 v[18:19], 0
	v_mov_b64_e32 v[12:13], 0
	v_mov_b64_e32 v[14:15], 0
	v_mov_b64_e32 v[10:11], 0
	v_mov_b64_e32 v[8:9], 0
	s_and_saveexec_b32 s70, s5
	s_cbranch_execz .LBB180_56
; %bb.41:                               ;   in Loop: Header=BB180_12 Depth=2
	s_and_not1_b32 vcc_lo, exec_lo, s60
	s_cbranch_vccnz .LBB180_55
; %bb.42:                               ;   in Loop: Header=BB180_12 Depth=2
	v_mov_b32_e32 v1, v24
	s_mov_b32 s7, 0
	s_mov_b32 s8, s58
.LBB180_43:                             ;   Parent Loop BB180_3 Depth=1
                                        ;     Parent Loop BB180_12 Depth=2
                                        ; =>    This Inner Loop Header: Depth=3
	global_load_b128 v[8:11], v1, s[48:49] scale_offset
	s_wait_xcnt 0x0
	v_add_nc_u32_e32 v1, s10, v1
	s_add_co_i32 s8, s8, -1
	s_wait_loadcnt 0x0
	scratch_store_b128 off, v[8:11], s7
	s_wait_xcnt 0x0
	s_add_co_i32 s7, s7, 16
	s_cmp_eq_u32 s8, 0
	s_cbranch_scc0 .LBB180_43
; %bb.44:                               ;   in Loop: Header=BB180_12 Depth=2
	s_ashr_i32 s7, s6, 31
	v_mov_b64_e32 v[8:9], 0
	v_mov_b64_e32 v[10:11], 0
	;; [unrolled: 1-line block ×8, first 2 shown]
	v_lshl_add_u64 v[2:3], s[6:7], 4, v[46:47]
	s_mov_b32 s7, s64
	s_mov_b32 s8, s29
	;; [unrolled: 1-line block ×5, first 2 shown]
.LBB180_45:                             ;   Parent Loop BB180_3 Depth=1
                                        ;     Parent Loop BB180_12 Depth=2
                                        ; =>    This Inner Loop Header: Depth=3
	s_ashr_i32 s55, s54, 31
	s_ashr_i32 s53, s52, 31
	;; [unrolled: 1-line block ×3, first 2 shown]
	v_lshl_add_u64 v[48:49], s[54:55], 4, v[36:37]
	s_wait_xcnt 0x1
	v_lshl_add_u64 v[70:71], s[52:53], 4, v[36:37]
	s_wait_xcnt 0x0
	v_lshl_add_u64 v[74:75], s[8:9], 4, v[36:37]
	scratch_load_b128 v[58:61], off, s7 offset:-8
	global_load_b128 v[62:65], v[2:3], off offset:-8
	s_clause 0x2
	global_load_b128 v[66:69], v[48:49], off
	global_load_b128 v[70:73], v[70:71], off
	global_load_b128 v[74:77], v[74:75], off
	s_wait_xcnt 0x3
	v_add_nc_u64_e32 v[2:3], 16, v[2:3]
	s_add_co_i32 s71, s71, -1
	s_add_co_i32 s7, s7, 16
	s_add_co_i32 s54, s54, 1
	;; [unrolled: 1-line block ×4, first 2 shown]
	s_cmp_lg_u32 s71, 0
	s_wait_loadcnt 0x3
	s_wait_xcnt 0x2
	v_mul_f64_e32 v[48:49], v[60:61], v[64:65]
	v_mul_f64_e32 v[64:65], v[58:59], v[64:65]
	s_wait_loadcnt 0x2
	v_mul_f64_e32 v[78:79], v[60:61], v[68:69]
	v_mul_f64_e32 v[68:69], v[58:59], v[68:69]
	s_wait_loadcnt 0x1
	;; [unrolled: 3-line block ×3, first 2 shown]
	v_mul_f64_e32 v[82:83], v[60:61], v[76:77]
	v_mul_f64_e32 v[76:77], v[58:59], v[76:77]
	v_fmac_f64_e32 v[48:49], v[58:59], v[62:63]
	v_fma_f64 v[62:63], v[60:61], v[62:63], -v[64:65]
	v_fmac_f64_e32 v[78:79], v[58:59], v[66:67]
	v_fma_f64 v[64:65], v[60:61], v[66:67], -v[68:69]
	;; [unrolled: 2-line block ×4, first 2 shown]
	v_add_f64_e32 v[10:11], v[10:11], v[48:49]
	v_add_f64_e32 v[8:9], v[8:9], v[62:63]
	;; [unrolled: 1-line block ×8, first 2 shown]
	s_cbranch_scc1 .LBB180_45
	s_branch .LBB180_56
.LBB180_46:                             ;   in Loop: Header=BB180_12 Depth=2
	ds_load_b128 v[8:11], v50
	s_or_b32 exec_lo, exec_lo, s7
	s_and_saveexec_b32 s7, s1
	s_cbranch_execz .LBB180_20
.LBB180_47:                             ;   in Loop: Header=BB180_12 Depth=2
	s_wait_dscnt 0x0
	ds_bpermute_b32 v2, v55, v8
	ds_bpermute_b32 v3, v55, v9
	ds_bpermute_b32 v48, v55, v10
	ds_bpermute_b32 v49, v55, v11
	s_wait_dscnt 0x2
	v_add_f64_e32 v[2:3], v[8:9], v[2:3]
	s_wait_dscnt 0x0
	v_add_f64_e32 v[8:9], v[10:11], v[48:49]
	ds_bpermute_b32 v10, v56, v2
	ds_bpermute_b32 v11, v56, v3
	ds_bpermute_b32 v48, v56, v8
	ds_bpermute_b32 v49, v56, v9
	s_wait_dscnt 0x2
	v_add_f64_e32 v[2:3], v[2:3], v[10:11]
	s_wait_dscnt 0x0
	v_add_f64_e32 v[10:11], v[8:9], v[48:49]
	;; [unrolled: 8-line block ×3, first 2 shown]
	s_or_b32 exec_lo, exec_lo, s7
	s_and_saveexec_b32 s7, s1
	s_cbranch_execnz .LBB180_21
	s_branch .LBB180_22
.LBB180_48:                             ;   in Loop: Header=BB180_12 Depth=2
	ds_load_b128 v[12:15], v50
	s_or_b32 exec_lo, exec_lo, s7
	s_and_saveexec_b32 s7, s1
	s_cbranch_execz .LBB180_26
.LBB180_49:                             ;   in Loop: Header=BB180_12 Depth=2
	s_wait_dscnt 0x0
	ds_bpermute_b32 v2, v55, v12
	ds_bpermute_b32 v3, v55, v13
	ds_bpermute_b32 v48, v55, v14
	ds_bpermute_b32 v49, v55, v15
	s_wait_dscnt 0x2
	v_add_f64_e32 v[2:3], v[12:13], v[2:3]
	s_wait_dscnt 0x0
	v_add_f64_e32 v[12:13], v[14:15], v[48:49]
	ds_bpermute_b32 v14, v56, v2
	ds_bpermute_b32 v15, v56, v3
	ds_bpermute_b32 v48, v56, v12
	ds_bpermute_b32 v49, v56, v13
	s_wait_dscnt 0x2
	v_add_f64_e32 v[2:3], v[2:3], v[14:15]
	s_wait_dscnt 0x0
	v_add_f64_e32 v[14:15], v[12:13], v[48:49]
	;; [unrolled: 8-line block ×3, first 2 shown]
	s_or_b32 exec_lo, exec_lo, s7
	s_and_saveexec_b32 s7, s1
	s_cbranch_execnz .LBB180_27
	s_branch .LBB180_28
.LBB180_50:                             ;   in Loop: Header=BB180_12 Depth=2
	ds_load_b128 v[16:19], v50
	s_or_b32 exec_lo, exec_lo, s7
	s_and_saveexec_b32 s7, s1
	s_cbranch_execz .LBB180_32
.LBB180_51:                             ;   in Loop: Header=BB180_12 Depth=2
	s_wait_dscnt 0x0
	ds_bpermute_b32 v2, v55, v16
	ds_bpermute_b32 v3, v55, v17
	ds_bpermute_b32 v48, v55, v18
	ds_bpermute_b32 v49, v55, v19
	s_wait_dscnt 0x2
	v_add_f64_e32 v[2:3], v[16:17], v[2:3]
	s_wait_dscnt 0x0
	v_add_f64_e32 v[16:17], v[18:19], v[48:49]
	ds_bpermute_b32 v18, v56, v2
	ds_bpermute_b32 v19, v56, v3
	ds_bpermute_b32 v48, v56, v16
	ds_bpermute_b32 v49, v56, v17
	s_wait_dscnt 0x2
	v_add_f64_e32 v[2:3], v[2:3], v[18:19]
	s_wait_dscnt 0x0
	v_add_f64_e32 v[18:19], v[16:17], v[48:49]
	;; [unrolled: 8-line block ×3, first 2 shown]
	s_or_b32 exec_lo, exec_lo, s7
	s_and_saveexec_b32 s7, s1
	s_cbranch_execnz .LBB180_33
	s_branch .LBB180_34
.LBB180_52:                             ;   in Loop: Header=BB180_12 Depth=2
	ds_load_b128 v[20:23], v50
	s_or_b32 exec_lo, exec_lo, s7
	s_and_saveexec_b32 s7, s1
	s_cbranch_execz .LBB180_38
.LBB180_53:                             ;   in Loop: Header=BB180_12 Depth=2
	s_wait_dscnt 0x0
	ds_bpermute_b32 v2, v55, v20
	ds_bpermute_b32 v3, v55, v21
	ds_bpermute_b32 v48, v55, v22
	ds_bpermute_b32 v49, v55, v23
	s_wait_dscnt 0x2
	v_add_f64_e32 v[2:3], v[20:21], v[2:3]
	s_wait_dscnt 0x0
	v_add_f64_e32 v[20:21], v[22:23], v[48:49]
	ds_bpermute_b32 v22, v56, v2
	ds_bpermute_b32 v23, v56, v3
	ds_bpermute_b32 v48, v56, v20
	ds_bpermute_b32 v49, v56, v21
	s_wait_dscnt 0x2
	v_add_f64_e32 v[2:3], v[2:3], v[22:23]
	s_wait_dscnt 0x0
	v_add_f64_e32 v[22:23], v[20:21], v[48:49]
	;; [unrolled: 8-line block ×3, first 2 shown]
	s_or_b32 exec_lo, exec_lo, s7
	s_and_saveexec_b32 s7, s0
	s_cbranch_execz .LBB180_11
.LBB180_54:                             ;   in Loop: Header=BB180_12 Depth=2
	s_mul_i32 s8, s30, s36
	v_mul_f64_e32 v[62:63], v[6:7], v[18:19]
	s_add_co_i32 s8, s8, s38
	s_delay_alu instid0(SALU_CYCLE_1)
	v_dual_mul_f64 v[2:3], v[6:7], v[10:11] :: v_dual_mov_b32 v1, s8
	s_add_co_i32 s9, s8, s36
	v_mul_f64_e32 v[60:61], v[4:5], v[10:11]
	s_add_co_i32 s8, s9, s36
	v_mul_f64_e32 v[48:49], v[6:7], v[14:15]
	s_wait_dscnt 0x0
	v_mul_f64_e32 v[64:65], v[6:7], v[22:23]
	s_delay_alu instid0(VALU_DEP_4)
	v_dual_fma_f64 v[58:59], v[4:5], v[8:9], -v[2:3] :: v_dual_mov_b32 v2, s9
	s_add_co_i32 s9, s8, s36
	v_mul_f64_e32 v[10:11], v[4:5], v[14:15]
	v_mul_f64_e32 v[14:15], v[4:5], v[18:19]
	;; [unrolled: 1-line block ×3, first 2 shown]
	v_fmac_f64_e32 v[60:61], v[6:7], v[8:9]
	v_dual_fma_f64 v[8:9], v[4:5], v[12:13], -v[48:49] :: v_dual_mov_b32 v3, s8
	v_fmac_f64_e32 v[10:11], v[6:7], v[12:13]
	v_fma_f64 v[12:13], v[4:5], v[16:17], -v[62:63]
	v_fmac_f64_e32 v[14:15], v[6:7], v[16:17]
	v_fma_f64 v[16:17], v[4:5], v[20:21], -v[64:65]
	v_fmac_f64_e32 v[18:19], v[6:7], v[20:21]
	v_mov_b32_e32 v20, s9
	s_clause 0x3
	global_store_b128 v1, v[58:61], s[50:51] scale_offset
	global_store_b128 v2, v[8:11], s[50:51] scale_offset
	global_store_b128 v3, v[12:15], s[50:51] scale_offset
	global_store_b128 v20, v[16:19], s[50:51] scale_offset
	s_branch .LBB180_11
.LBB180_55:                             ;   in Loop: Header=BB180_12 Depth=2
	v_mov_b64_e32 v[20:21], 0
	v_mov_b64_e32 v[22:23], 0
	;; [unrolled: 1-line block ×8, first 2 shown]
.LBB180_56:                             ;   in Loop: Header=BB180_12 Depth=2
	s_wait_xcnt 0x0
	s_or_b32 exec_lo, exec_lo, s70
	s_delay_alu instid0(SALU_CYCLE_1)
	s_or_b32 exec_lo, exec_lo, s69
	s_and_saveexec_b32 s7, s1
	s_cbranch_execnz .LBB180_15
	s_branch .LBB180_16
.LBB180_57:                             ;   in Loop: Header=BB180_3 Depth=1
	s_mov_b32 s30, 0
.LBB180_58:                             ;   in Loop: Header=BB180_3 Depth=1
	s_delay_alu instid0(SALU_CYCLE_1)
	s_cmp_ge_i32 s30, s35
	s_cbranch_scc1 .LBB180_2
; %bb.59:                               ;   in Loop: Header=BB180_3 Depth=1
	v_cmp_gt_u32_e32 vcc_lo, 24, v52
	s_add_nc_u64 s[6:7], s[50:51], s[22:23]
	s_mul_i32 s8, s33, s30
	v_cndmask_b32_e64 v1, 0, 8, vcc_lo
	v_cmp_gt_u32_e32 vcc_lo, 28, v52
	s_delay_alu instid0(VALU_DEP_2) | instskip(SKIP_2) | instid1(VALU_DEP_2)
	v_add_lshl_u32 v14, v1, v52, 2
	v_cndmask_b32_e64 v2, 0, 4, vcc_lo
	v_cmp_gt_u32_e32 vcc_lo, 30, v52
	v_add_lshl_u32 v15, v2, v52, 2
	v_cndmask_b32_e64 v3, 0, 2, vcc_lo
	v_cmp_ne_u32_e32 vcc_lo, 31, v52
	s_delay_alu instid0(VALU_DEP_2) | instskip(SKIP_2) | instid1(VALU_DEP_1)
	v_add_lshl_u32 v16, v3, v52, 2
	s_wait_dscnt 0x0
	v_add_co_ci_u32_e64 v8, null, 0, v52, vcc_lo
	v_lshlrev_b32_e32 v17, 2, v8
	s_branch .LBB180_61
.LBB180_60:                             ;   in Loop: Header=BB180_61 Depth=2
	s_wait_xcnt 0x0
	s_or_b32 exec_lo, exec_lo, s9
	s_add_co_i32 s30, s30, 1
	s_add_co_i32 s8, s8, s33
	s_cmp_lt_i32 s30, s35
	s_cbranch_scc0 .LBB180_2
.LBB180_61:                             ;   Parent Loop BB180_3 Depth=1
                                        ; =>  This Loop Header: Depth=2
                                        ;       Child Loop BB180_73 Depth 3
                                        ;       Child Loop BB180_75 Depth 3
                                        ; implicit-def: $vgpr8_vgpr9
                                        ; implicit-def: $vgpr10_vgpr11
	s_and_saveexec_b32 s9, s4
	s_delay_alu instid0(SALU_CYCLE_1)
	s_xor_b32 s9, exec_lo, s9
	s_cbranch_execnz .LBB180_70
; %bb.62:                               ;   in Loop: Header=BB180_61 Depth=2
	s_and_not1_saveexec_b32 s29, s9
	s_cbranch_execnz .LBB180_71
.LBB180_63:                             ;   in Loop: Header=BB180_61 Depth=2
	s_or_b32 exec_lo, exec_lo, s29
	s_and_saveexec_b32 s9, s1
.LBB180_64:                             ;   in Loop: Header=BB180_61 Depth=2
	v_dual_mov_b32 v1, v0 :: v_dual_mov_b32 v2, v0
	v_mov_b32_e32 v3, v0
	ds_store_b128 v50, v[0:3]
.LBB180_65:                             ;   in Loop: Header=BB180_61 Depth=2
	s_or_b32 exec_lo, exec_lo, s9
	s_wait_dscnt 0x0
	ds_bpermute_b32 v2, v53, v8
	ds_bpermute_b32 v3, v53, v9
	;; [unrolled: 1-line block ×4, first 2 shown]
	s_wait_storecnt_dscnt 0x0
	s_barrier_signal -1
	s_barrier_wait -1
	v_add_f64_e32 v[2:3], v[8:9], v[2:3]
	v_add_f64_e32 v[8:9], v[10:11], v[12:13]
	ds_bpermute_b32 v10, v14, v2
	ds_bpermute_b32 v11, v14, v3
	ds_bpermute_b32 v12, v14, v8
	ds_bpermute_b32 v13, v14, v9
	s_wait_dscnt 0x2
	v_add_f64_e32 v[2:3], v[2:3], v[10:11]
	s_wait_dscnt 0x0
	v_add_f64_e32 v[8:9], v[8:9], v[12:13]
	ds_bpermute_b32 v10, v15, v2
	ds_bpermute_b32 v11, v15, v3
	ds_bpermute_b32 v12, v15, v8
	ds_bpermute_b32 v13, v15, v9
	s_wait_dscnt 0x2
	v_add_f64_e32 v[2:3], v[2:3], v[10:11]
	s_wait_dscnt 0x0
	;; [unrolled: 8-line block ×3, first 2 shown]
	v_add_f64_e32 v[10:11], v[8:9], v[12:13]
	ds_bpermute_b32 v8, v17, v2
	ds_bpermute_b32 v9, v17, v3
	;; [unrolled: 1-line block ×4, first 2 shown]
	s_and_saveexec_b32 s9, s3
	s_cbranch_execz .LBB180_67
; %bb.66:                               ;   in Loop: Header=BB180_61 Depth=2
	s_wait_dscnt 0x0
	v_add_f64_e32 v[10:11], v[10:11], v[12:13]
	v_add_f64_e32 v[8:9], v[2:3], v[8:9]
	ds_store_b128 v51, v[8:11]
.LBB180_67:                             ;   in Loop: Header=BB180_61 Depth=2
	s_or_b32 exec_lo, exec_lo, s9
	v_mov_b64_e32 v[10:11], 0
	s_wait_dscnt 0x2
	v_mov_b64_e32 v[8:9], 0
	s_wait_dscnt 0x0
	s_barrier_signal -1
	s_barrier_wait -1
	s_and_saveexec_b32 s9, s2
	s_cbranch_execnz .LBB180_77
; %bb.68:                               ;   in Loop: Header=BB180_61 Depth=2
	s_or_b32 exec_lo, exec_lo, s9
	s_and_saveexec_b32 s9, s1
	s_cbranch_execnz .LBB180_78
.LBB180_69:                             ;   in Loop: Header=BB180_61 Depth=2
	s_or_b32 exec_lo, exec_lo, s9
	s_and_saveexec_b32 s9, s0
	s_cbranch_execz .LBB180_60
	s_branch .LBB180_79
.LBB180_70:                             ;   in Loop: Header=BB180_61 Depth=2
	s_wait_dscnt 0x0
	global_load_b128 v[8:11], v[40:41], off
	s_wait_dscnt 0x0
	s_clause 0x1
	global_load_b128 v[18:21], v[42:43], off
	global_load_b128 v[54:57], v[44:45], off
	s_mul_i32 s50, s30, s33
	s_delay_alu instid0(SALU_CYCLE_1) | instskip(NEXT) | instid1(SALU_CYCLE_1)
	s_ashr_i32 s51, s50, 31
	v_lshl_add_u64 v[2:3], s[50:51], 4, v[36:37]
	global_load_b128 v[58:61], v[38:39], off
	s_clause 0x1
	global_load_b128 v[62:65], v[2:3], off
	global_load_b128 v[66:69], v[2:3], off offset:16
	s_wait_loadcnt 0x5
	scratch_store_b128 off, v[8:11], s61
	s_wait_loadcnt 0x4
	scratch_store_b128 off, v[18:21], s62
	s_clause 0x1
	scratch_load_b128 v[8:11], off, off offset:16
	scratch_load_b128 v[18:21], off, off offset:32
	s_clause 0x1
	global_load_b128 v[70:73], v[2:3], off offset:32
	global_load_b128 v[74:77], v[2:3], off offset:48
	s_wait_loadcnt 0x7
	scratch_store_b128 off, v[54:57], s63
	scratch_load_b128 v[54:57], off, off offset:48
	s_wait_loadcnt 0x7
	scratch_store_b128 off, v[58:61], off
	s_wait_loadcnt 0x6
	v_mul_f64_e32 v[2:3], v[64:65], v[60:61]
	v_mul_f64_e32 v[12:13], v[64:65], v[58:59]
	s_delay_alu instid0(VALU_DEP_2) | instskip(NEXT) | instid1(VALU_DEP_2)
	v_fmac_f64_e32 v[2:3], v[62:63], v[58:59]
	v_fma_f64 v[12:13], v[62:63], v[60:61], -v[12:13]
	s_delay_alu instid0(VALU_DEP_2) | instskip(NEXT) | instid1(VALU_DEP_2)
	v_add_f64_e32 v[2:3], 0, v[2:3]
	v_add_f64_e32 v[12:13], 0, v[12:13]
	s_wait_loadcnt 0x4
	v_mul_f64_e32 v[22:23], v[68:69], v[10:11]
	v_mul_f64_e32 v[48:49], v[68:69], v[8:9]
	s_wait_loadcnt 0x2
	v_mul_f64_e32 v[62:63], v[72:73], v[20:21]
	v_mul_f64_e32 v[64:65], v[72:73], v[18:19]
	s_delay_alu instid0(VALU_DEP_4) | instskip(NEXT) | instid1(VALU_DEP_4)
	v_fmac_f64_e32 v[22:23], v[66:67], v[8:9]
	v_fma_f64 v[8:9], v[66:67], v[10:11], -v[48:49]
	s_wait_loadcnt 0x0
	v_mul_f64_e32 v[10:11], v[76:77], v[56:57]
	v_mul_f64_e32 v[48:49], v[76:77], v[54:55]
	v_fmac_f64_e32 v[62:63], v[70:71], v[18:19]
	v_fma_f64 v[18:19], v[70:71], v[20:21], -v[64:65]
	v_add_f64_e32 v[2:3], v[2:3], v[22:23]
	v_add_f64_e32 v[8:9], v[12:13], v[8:9]
	v_fmac_f64_e32 v[10:11], v[74:75], v[54:55]
	v_fma_f64 v[12:13], v[74:75], v[56:57], -v[48:49]
	s_delay_alu instid0(VALU_DEP_4) | instskip(NEXT) | instid1(VALU_DEP_4)
	v_add_f64_e32 v[2:3], v[2:3], v[62:63]
	v_add_f64_e32 v[18:19], v[8:9], v[18:19]
	s_delay_alu instid0(VALU_DEP_2) | instskip(NEXT) | instid1(VALU_DEP_2)
	v_add_f64_e32 v[8:9], v[2:3], v[10:11]
	v_add_f64_e32 v[10:11], v[18:19], v[12:13]
	s_wait_xcnt 0x0
	s_and_not1_saveexec_b32 s29, s9
	s_cbranch_execz .LBB180_63
.LBB180_71:                             ;   in Loop: Header=BB180_61 Depth=2
	s_wait_dscnt 0x0
	v_mov_b64_e32 v[8:9], 0
	v_mov_b64_e32 v[10:11], 0
	s_and_saveexec_b32 s50, s34
	s_cbranch_execz .LBB180_76
; %bb.72:                               ;   in Loop: Header=BB180_61 Depth=2
	v_mov_b32_e32 v1, v24
	s_mov_b32 s9, 0
	s_mov_b32 s51, s58
.LBB180_73:                             ;   Parent Loop BB180_3 Depth=1
                                        ;     Parent Loop BB180_61 Depth=2
                                        ; =>    This Inner Loop Header: Depth=3
	global_load_b128 v[8:11], v1, s[48:49] scale_offset
	s_wait_xcnt 0x0
	v_add_nc_u32_e32 v1, s10, v1
	s_add_co_i32 s51, s51, -1
	s_wait_loadcnt 0x0
	scratch_store_b128 off, v[8:11], s9
	s_wait_xcnt 0x0
	s_add_co_i32 s9, s9, 16
	s_cmp_eq_u32 s51, 0
	s_cbranch_scc0 .LBB180_73
; %bb.74:                               ;   in Loop: Header=BB180_61 Depth=2
	s_ashr_i32 s9, s8, 31
	v_mov_b64_e32 v[8:9], 0
	v_mov_b64_e32 v[10:11], 0
	v_lshl_add_u64 v[2:3], s[8:9], 4, v[46:47]
	s_mov_b32 s9, s64
	s_mov_b32 s51, s58
.LBB180_75:                             ;   Parent Loop BB180_3 Depth=1
                                        ;     Parent Loop BB180_61 Depth=2
                                        ; =>    This Inner Loop Header: Depth=3
	s_wait_dscnt 0x0
	global_load_b128 v[18:21], v[2:3], off offset:-8
	scratch_load_b128 v[54:57], off, s9 offset:-8
	s_wait_xcnt 0x1
	v_add_nc_u64_e32 v[2:3], 16, v[2:3]
	s_add_co_i32 s51, s51, -1
	s_wait_xcnt 0x0
	s_add_co_i32 s9, s9, 16
	s_cmp_lg_u32 s51, 0
	s_wait_loadcnt 0x0
	v_mul_f64_e32 v[12:13], v[20:21], v[56:57]
	v_mul_f64_e32 v[20:21], v[20:21], v[54:55]
	s_delay_alu instid0(VALU_DEP_2) | instskip(NEXT) | instid1(VALU_DEP_2)
	v_fmac_f64_e32 v[12:13], v[18:19], v[54:55]
	v_fma_f64 v[18:19], v[18:19], v[56:57], -v[20:21]
	s_delay_alu instid0(VALU_DEP_2) | instskip(NEXT) | instid1(VALU_DEP_2)
	v_add_f64_e32 v[8:9], v[8:9], v[12:13]
	v_add_f64_e32 v[10:11], v[10:11], v[18:19]
	s_cbranch_scc1 .LBB180_75
.LBB180_76:                             ;   in Loop: Header=BB180_61 Depth=2
	s_or_b32 exec_lo, exec_lo, s50
	s_delay_alu instid0(SALU_CYCLE_1)
	s_or_b32 exec_lo, exec_lo, s29
	s_and_saveexec_b32 s9, s1
	s_cbranch_execnz .LBB180_64
	s_branch .LBB180_65
.LBB180_77:                             ;   in Loop: Header=BB180_61 Depth=2
	ds_load_b128 v[8:11], v50
	s_or_b32 exec_lo, exec_lo, s9
	s_and_saveexec_b32 s9, s1
	s_cbranch_execz .LBB180_69
.LBB180_78:                             ;   in Loop: Header=BB180_61 Depth=2
	s_wait_dscnt 0x0
	ds_bpermute_b32 v2, v15, v8
	ds_bpermute_b32 v3, v15, v9
	ds_bpermute_b32 v12, v15, v10
	ds_bpermute_b32 v13, v15, v11
	s_wait_dscnt 0x2
	v_add_f64_e32 v[2:3], v[8:9], v[2:3]
	s_wait_dscnt 0x0
	v_add_f64_e32 v[8:9], v[10:11], v[12:13]
	ds_bpermute_b32 v10, v16, v2
	ds_bpermute_b32 v11, v16, v3
	ds_bpermute_b32 v12, v16, v8
	ds_bpermute_b32 v13, v16, v9
	s_wait_dscnt 0x2
	v_add_f64_e32 v[2:3], v[2:3], v[10:11]
	s_wait_dscnt 0x0
	v_add_f64_e32 v[10:11], v[8:9], v[12:13]
	;; [unrolled: 8-line block ×3, first 2 shown]
	s_or_b32 exec_lo, exec_lo, s9
	s_and_saveexec_b32 s9, s0
	s_cbranch_execz .LBB180_60
.LBB180_79:                             ;   in Loop: Header=BB180_61 Depth=2
	s_wait_dscnt 0x0
	s_delay_alu instid0(VALU_DEP_1) | instskip(SKIP_2) | instid1(SALU_CYCLE_1)
	v_mul_f64_e32 v[2:3], v[6:7], v[10:11]
	v_mul_f64_e32 v[12:13], v[4:5], v[10:11]
	s_mul_u64 s[50:51], s[30:31], s[36:37]
	s_lshl_b64 s[50:51], s[50:51], 4
	s_delay_alu instid0(SALU_CYCLE_1) | instskip(NEXT) | instid1(VALU_DEP_2)
	s_add_nc_u64 s[50:51], s[6:7], s[50:51]
	v_fma_f64 v[10:11], v[4:5], v[8:9], -v[2:3]
	s_delay_alu instid0(VALU_DEP_2)
	v_fmac_f64_e32 v[12:13], v[6:7], v[8:9]
	global_store_b128 v0, v[10:13], s[50:51]
	s_branch .LBB180_60
.LBB180_80:
	s_sendmsg sendmsg(MSG_DEALLOC_VGPRS)
	s_endpgm
	.section	.rodata,"a",@progbits
	.p2align	6, 0x0
	.amdhsa_kernel _ZL23rocblas_gemvt_sn_kernelILb1ELi256ELi4Ei19rocblas_complex_numIdEPKS1_S1_EviiT4_lPKT3_lilS7_lilPT5_i
		.amdhsa_group_segment_fixed_size 512
		.amdhsa_private_segment_fixed_size 80
		.amdhsa_kernarg_size 360
		.amdhsa_user_sgpr_count 2
		.amdhsa_user_sgpr_dispatch_ptr 0
		.amdhsa_user_sgpr_queue_ptr 0
		.amdhsa_user_sgpr_kernarg_segment_ptr 1
		.amdhsa_user_sgpr_dispatch_id 0
		.amdhsa_user_sgpr_kernarg_preload_length 0
		.amdhsa_user_sgpr_kernarg_preload_offset 0
		.amdhsa_user_sgpr_private_segment_size 0
		.amdhsa_wavefront_size32 1
		.amdhsa_uses_dynamic_stack 0
		.amdhsa_enable_private_segment 1
		.amdhsa_system_sgpr_workgroup_id_x 1
		.amdhsa_system_sgpr_workgroup_id_y 0
		.amdhsa_system_sgpr_workgroup_id_z 1
		.amdhsa_system_sgpr_workgroup_info 0
		.amdhsa_system_vgpr_workitem_id 0
		.amdhsa_next_free_vgpr 114
		.amdhsa_next_free_sgpr 72
		.amdhsa_named_barrier_count 0
		.amdhsa_reserve_vcc 1
		.amdhsa_float_round_mode_32 0
		.amdhsa_float_round_mode_16_64 0
		.amdhsa_float_denorm_mode_32 3
		.amdhsa_float_denorm_mode_16_64 3
		.amdhsa_fp16_overflow 0
		.amdhsa_memory_ordered 1
		.amdhsa_forward_progress 1
		.amdhsa_inst_pref_size 49
		.amdhsa_round_robin_scheduling 0
		.amdhsa_exception_fp_ieee_invalid_op 0
		.amdhsa_exception_fp_denorm_src 0
		.amdhsa_exception_fp_ieee_div_zero 0
		.amdhsa_exception_fp_ieee_overflow 0
		.amdhsa_exception_fp_ieee_underflow 0
		.amdhsa_exception_fp_ieee_inexact 0
		.amdhsa_exception_int_div_zero 0
	.end_amdhsa_kernel
	.section	.text._ZL23rocblas_gemvt_sn_kernelILb1ELi256ELi4Ei19rocblas_complex_numIdEPKS1_S1_EviiT4_lPKT3_lilS7_lilPT5_i,"axG",@progbits,_ZL23rocblas_gemvt_sn_kernelILb1ELi256ELi4Ei19rocblas_complex_numIdEPKS1_S1_EviiT4_lPKT3_lilS7_lilPT5_i,comdat
.Lfunc_end180:
	.size	_ZL23rocblas_gemvt_sn_kernelILb1ELi256ELi4Ei19rocblas_complex_numIdEPKS1_S1_EviiT4_lPKT3_lilS7_lilPT5_i, .Lfunc_end180-_ZL23rocblas_gemvt_sn_kernelILb1ELi256ELi4Ei19rocblas_complex_numIdEPKS1_S1_EviiT4_lPKT3_lilS7_lilPT5_i
                                        ; -- End function
	.set _ZL23rocblas_gemvt_sn_kernelILb1ELi256ELi4Ei19rocblas_complex_numIdEPKS1_S1_EviiT4_lPKT3_lilS7_lilPT5_i.num_vgpr, 114
	.set _ZL23rocblas_gemvt_sn_kernelILb1ELi256ELi4Ei19rocblas_complex_numIdEPKS1_S1_EviiT4_lPKT3_lilS7_lilPT5_i.num_agpr, 0
	.set _ZL23rocblas_gemvt_sn_kernelILb1ELi256ELi4Ei19rocblas_complex_numIdEPKS1_S1_EviiT4_lPKT3_lilS7_lilPT5_i.numbered_sgpr, 72
	.set _ZL23rocblas_gemvt_sn_kernelILb1ELi256ELi4Ei19rocblas_complex_numIdEPKS1_S1_EviiT4_lPKT3_lilS7_lilPT5_i.num_named_barrier, 0
	.set _ZL23rocblas_gemvt_sn_kernelILb1ELi256ELi4Ei19rocblas_complex_numIdEPKS1_S1_EviiT4_lPKT3_lilS7_lilPT5_i.private_seg_size, 80
	.set _ZL23rocblas_gemvt_sn_kernelILb1ELi256ELi4Ei19rocblas_complex_numIdEPKS1_S1_EviiT4_lPKT3_lilS7_lilPT5_i.uses_vcc, 1
	.set _ZL23rocblas_gemvt_sn_kernelILb1ELi256ELi4Ei19rocblas_complex_numIdEPKS1_S1_EviiT4_lPKT3_lilS7_lilPT5_i.uses_flat_scratch, 1
	.set _ZL23rocblas_gemvt_sn_kernelILb1ELi256ELi4Ei19rocblas_complex_numIdEPKS1_S1_EviiT4_lPKT3_lilS7_lilPT5_i.has_dyn_sized_stack, 0
	.set _ZL23rocblas_gemvt_sn_kernelILb1ELi256ELi4Ei19rocblas_complex_numIdEPKS1_S1_EviiT4_lPKT3_lilS7_lilPT5_i.has_recursion, 0
	.set _ZL23rocblas_gemvt_sn_kernelILb1ELi256ELi4Ei19rocblas_complex_numIdEPKS1_S1_EviiT4_lPKT3_lilS7_lilPT5_i.has_indirect_call, 0
	.section	.AMDGPU.csdata,"",@progbits
; Kernel info:
; codeLenInByte = 6164
; TotalNumSgprs: 74
; NumVgprs: 114
; ScratchSize: 80
; MemoryBound: 0
; FloatMode: 240
; IeeeMode: 1
; LDSByteSize: 512 bytes/workgroup (compile time only)
; SGPRBlocks: 0
; VGPRBlocks: 7
; NumSGPRsForWavesPerEU: 74
; NumVGPRsForWavesPerEU: 114
; NamedBarCnt: 0
; Occupancy: 8
; WaveLimiterHint : 0
; COMPUTE_PGM_RSRC2:SCRATCH_EN: 1
; COMPUTE_PGM_RSRC2:USER_SGPR: 2
; COMPUTE_PGM_RSRC2:TRAP_HANDLER: 0
; COMPUTE_PGM_RSRC2:TGID_X_EN: 1
; COMPUTE_PGM_RSRC2:TGID_Y_EN: 0
; COMPUTE_PGM_RSRC2:TGID_Z_EN: 1
; COMPUTE_PGM_RSRC2:TIDIG_COMP_CNT: 0
	.section	.text._ZL23rocblas_gemvt_sn_kernelILb1ELi256ELi4El19rocblas_complex_numIdEPKS1_S1_EviiT4_lPKT3_lilS7_lilPT5_i,"axG",@progbits,_ZL23rocblas_gemvt_sn_kernelILb1ELi256ELi4El19rocblas_complex_numIdEPKS1_S1_EviiT4_lPKT3_lilS7_lilPT5_i,comdat
	.globl	_ZL23rocblas_gemvt_sn_kernelILb1ELi256ELi4El19rocblas_complex_numIdEPKS1_S1_EviiT4_lPKT3_lilS7_lilPT5_i ; -- Begin function _ZL23rocblas_gemvt_sn_kernelILb1ELi256ELi4El19rocblas_complex_numIdEPKS1_S1_EviiT4_lPKT3_lilS7_lilPT5_i
	.p2align	8
	.type	_ZL23rocblas_gemvt_sn_kernelILb1ELi256ELi4El19rocblas_complex_numIdEPKS1_S1_EviiT4_lPKT3_lilS7_lilPT5_i,@function
_ZL23rocblas_gemvt_sn_kernelILb1ELi256ELi4El19rocblas_complex_numIdEPKS1_S1_EviiT4_lPKT3_lilS7_lilPT5_i: ; @_ZL23rocblas_gemvt_sn_kernelILb1ELi256ELi4El19rocblas_complex_numIdEPKS1_S1_EviiT4_lPKT3_lilS7_lilPT5_i
; %bb.0:
	s_load_b32 s33, s[0:1], 0x60
	s_bfe_u32 s2, ttmp6, 0x40014
	s_lshr_b32 s3, ttmp7, 16
	s_add_co_i32 s2, s2, 1
	s_bfe_u32 s4, ttmp6, 0x40008
	s_mul_i32 s2, s3, s2
	s_getreg_b32 s7, hwreg(HW_REG_IB_STS2, 6, 4)
	s_add_co_i32 s4, s4, s2
	s_cmp_eq_u32 s7, 0
	s_mov_b32 s29, 0
	s_cselect_b32 s10, s3, s4
	s_wait_kmcnt 0x0
	s_cmp_ge_u32 s10, s33
	s_cbranch_scc1 .LBB181_80
; %bb.1:
	s_clause 0x6
	s_load_b32 s30, s[0:1], 0x28
	s_load_b96 s[4:6], s[0:1], 0x40
	s_load_b256 s[12:19], s[0:1], 0x8
	s_load_b64 s[34:35], s[0:1], 0x0
	s_load_b128 s[20:23], s[0:1], 0x30
	s_load_b128 s[24:27], s[0:1], 0x50
	s_load_b32 s36, s[0:1], 0x68
	s_wait_xcnt 0x0
	v_cmp_eq_u32_e64 s0, 0, v0
	v_dual_lshrrev_b32 v2, 1, v0 :: v_dual_bitop2_b32 v1, 31, v0 bitop3:0x40
	v_cmp_gt_u32_e64 s1, 32, v0
	v_cmp_gt_u32_e64 s2, 8, v0
	v_mbcnt_lo_u32_b32 v96, -1, 0
	s_delay_alu instid0(VALU_DEP_4)
	v_cmp_eq_u32_e64 s3, 0, v1
	v_and_b32_e32 v98, 0x70, v2
	s_mov_b32 s37, s29
	s_mov_b32 s63, 16
	v_lshl_or_b32 v99, v96, 2, 64
	s_mov_b32 s64, 32
	s_mov_b32 s65, 48
	s_wait_kmcnt 0x0
	s_ashr_i32 s31, s30, 31
	s_ashr_i32 s9, s6, 31
	s_lshl_b64 s[4:5], s[4:5], 4
	s_lshl_b64 s[38:39], s[18:19], 4
	s_ashr_i32 s41, s35, 31
	s_cmp_gt_i32 s35, 0
	s_mov_b32 s40, s35
	s_cselect_b32 s8, -1, 0
	s_bfe_u32 s11, ttmp6, 0x4000c
	s_and_b32 s18, ttmp6, 15
	s_add_co_i32 s11, s11, 1
	s_and_b32 s58, s0, s8
	s_mul_i32 s11, ttmp9, s11
	s_mov_b32 s8, s6
	s_add_co_i32 s18, s18, s11
	s_cmp_eq_u32 s7, 0
	s_cselect_b32 s28, ttmp9, s18
	s_add_nc_u64 s[18:19], s[22:23], s[4:5]
	s_lshl_b32 s6, s28, 10
	s_ashr_i32 s5, s34, 31
	v_lshl_or_b32 v0, v0, 2, s6
	v_lshlrev_b32_e32 v97, 4, v1
	s_lshr_b32 s5, s5, 30
	s_add_nc_u64 s[6:7], s[16:17], s[38:39]
	s_add_co_i32 s5, s34, s5
	v_dual_ashrrev_i32 v1, 31, v0 :: v_dual_bitop2_b32 v6, 3, v0 bitop3:0x54
	v_or_b32_e32 v2, 1, v0
	s_and_b32 s5, s5, -4
	s_lshr_b32 s4, s41, 30
	s_delay_alu instid0(VALU_DEP_2) | instskip(NEXT) | instid1(VALU_DEP_2)
	v_dual_ashrrev_i32 v7, 31, v6 :: v_dual_bitop2_b32 v4, 2, v0 bitop3:0x54
	v_ashrrev_i32_e32 v3, 31, v2
	v_mul_u64_e32 v[24:25], s[8:9], v[0:1]
	s_sub_co_i32 s60, s34, s5
	v_lshl_add_u64 v[32:33], v[0:1], 4, s[6:7]
	v_ashrrev_i32_e32 v5, 31, v4
	v_mul_u64_e32 v[26:27], s[8:9], v[2:3]
	v_add_nc_u32_e32 v2, 4, v0
	v_mul_u64_e32 v[30:31], s[8:9], v[6:7]
	v_dual_mov_b32 v0, 0 :: v_dual_add_nc_u32 v3, s60, v0
	v_mul_u64_e32 v[28:29], s[8:9], v[4:5]
	s_add_co_i32 s4, s35, s4
	v_cmp_ge_i32_e64 s5, s34, v2
	s_and_b32 s59, s4, -4
	v_cmp_ge_i32_e64 s4, s34, v3
	s_cmp_gt_i32 s59, 0
	s_mul_u64 s[16:17], s[40:41], s[36:37]
	s_cselect_b32 s61, -1, 0
	s_cmp_gt_i32 s60, 0
	s_cselect_b32 s62, -1, 0
	s_lshl_b64 s[22:23], s[28:29], 4
	s_or_b32 s66, 0, 8
	s_add_nc_u64 s[6:7], s[26:27], s[22:23]
	s_lshl_b64 s[38:39], s[16:17], 4
	s_lshl_b64 s[40:41], s[36:37], 4
	;; [unrolled: 1-line block ×3, first 2 shown]
	s_add_nc_u64 s[44:45], s[6:7], 8
	s_and_b32 s34, s62, s4
	s_lshl_b64 s[46:47], s[8:9], 4
	s_lshl_b64 s[48:49], s[20:21], 4
	;; [unrolled: 1-line block ×4, first 2 shown]
	v_lshl_add_u64 v[34:35], v[24:25], 4, s[18:19]
	s_branch .LBB181_3
.LBB181_2:                              ;   in Loop: Header=BB181_3 Depth=1
	s_add_co_i32 s10, s10, 0x10000
	s_delay_alu instid0(SALU_CYCLE_1)
	s_cmp_lt_u32 s10, s33
	s_cbranch_scc0 .LBB181_80
.LBB181_3:                              ; =>This Loop Header: Depth=1
                                        ;     Child Loop BB181_6 Depth 2
                                        ;     Child Loop BB181_12 Depth 2
                                        ;       Child Loop BB181_43 Depth 3
                                        ;       Child Loop BB181_45 Depth 3
                                        ;     Child Loop BB181_61 Depth 2
                                        ;       Child Loop BB181_73 Depth 3
                                        ;       Child Loop BB181_75 Depth 3
	s_mov_b32 s11, s29
	s_delay_alu instid0(SALU_CYCLE_1) | instskip(NEXT) | instid1(SALU_CYCLE_1)
	s_mul_u64 s[6:7], s[14:15], s[10:11]
	s_lshl_b64 s[6:7], s[6:7], 4
	s_delay_alu instid0(SALU_CYCLE_1)
	s_add_nc_u64 s[6:7], s[12:13], s[6:7]
	global_load_b128 v[4:7], v0, s[6:7]
	s_wait_loadcnt 0x0
	v_cmp_neq_f64_e32 vcc_lo, 0, v[4:5]
	s_wait_xcnt 0x0
	v_cmp_neq_f64_e64 s6, 0, v[6:7]
	s_or_b32 s6, vcc_lo, s6
	s_delay_alu instid0(SALU_CYCLE_1)
	s_and_b32 vcc_lo, exec_lo, s6
	s_mov_b32 s6, -1
	s_cbranch_vccnz .LBB181_8
; %bb.4:                                ;   in Loop: Header=BB181_3 Depth=1
	s_and_saveexec_b32 s8, s58
	s_cbranch_execz .LBB181_7
; %bb.5:                                ;   in Loop: Header=BB181_3 Depth=1
	s_mul_u64 s[6:7], s[38:39], s[10:11]
	s_mov_b32 s9, s35
	s_add_nc_u64 s[6:7], s[44:45], s[6:7]
.LBB181_6:                              ;   Parent Loop BB181_3 Depth=1
                                        ; =>  This Inner Loop Header: Depth=2
	v_dual_mov_b32 v1, v0 :: v_dual_mov_b32 v2, v0
	v_mov_b32_e32 v3, v0
	s_add_co_i32 s9, s9, -1
	s_delay_alu instid0(SALU_CYCLE_1)
	s_cmp_eq_u32 s9, 0
	global_store_b128 v0, v[0:3], s[6:7] offset:-8
	s_wait_xcnt 0x0
	s_add_nc_u64 s[6:7], s[6:7], s[40:41]
	s_cbranch_scc0 .LBB181_6
.LBB181_7:                              ;   in Loop: Header=BB181_3 Depth=1
	s_or_b32 exec_lo, exec_lo, s8
	s_mov_b32 s6, 0
.LBB181_8:                              ;   in Loop: Header=BB181_3 Depth=1
	s_delay_alu instid0(SALU_CYCLE_1)
	s_and_not1_b32 vcc_lo, exec_lo, s6
	s_cbranch_vccnz .LBB181_2
; %bb.9:                                ;   in Loop: Header=BB181_3 Depth=1
	v_mad_nc_u64_u32 v[36:37], s42, s10, v[34:35]
	s_mul_u64 s[6:7], s[24:25], s[10:11]
	s_mul_u64 s[8:9], s[16:17], s[10:11]
	s_lshl_b64 s[6:7], s[6:7], 4
	s_mul_u64 s[54:55], s[20:21], s[10:11]
	s_add_nc_u64 s[6:7], s[18:19], s[6:7]
	s_lshl_b64 s[68:69], s[8:9], 4
	v_lshl_add_u64 v[38:39], s[54:55], 4, v[32:33]
	v_lshl_add_u64 v[40:41], v[24:25], 4, s[6:7]
	;; [unrolled: 1-line block ×4, first 2 shown]
	v_mad_u32 v37, s43, s10, v37
	v_lshl_add_u64 v[46:47], v[30:31], 4, s[6:7]
	v_cmp_gt_u32_e64 s9, 24, v96
	v_cmp_gt_u32_e64 s8, 28, v96
	;; [unrolled: 1-line block ×3, first 2 shown]
	v_cmp_ne_u32_e64 s6, 31, v96
	s_add_nc_u64 s[54:55], s[26:27], s[68:69]
	s_mul_u64 s[56:57], s[48:49], s[10:11]
	s_and_not1_b32 vcc_lo, exec_lo, s61
	s_add_nc_u64 s[54:55], s[54:55], s[22:23]
	s_cbranch_vccnz .LBB181_57
; %bb.10:                               ;   in Loop: Header=BB181_3 Depth=1
	v_cndmask_b32_e64 v1, 0, 8, s9
	v_cndmask_b32_e64 v2, 0, 4, s8
	;; [unrolled: 1-line block ×3, first 2 shown]
	s_wait_dscnt 0x0
	v_add_co_ci_u32_e64 v8, null, 0, v96, s6
	v_add_nc_u64_e32 v[48:49], s[56:57], v[32:33]
	v_add_lshl_u32 v100, v1, v96, 2
	v_add_lshl_u32 v101, v2, v96, 2
	;; [unrolled: 1-line block ×3, first 2 shown]
	v_lshlrev_b32_e32 v103, 2, v8
	s_mov_b32 s28, 0
	s_branch .LBB181_12
.LBB181_11:                             ;   in Loop: Header=BB181_12 Depth=2
	s_wait_xcnt 0x0
	s_or_b32 exec_lo, exec_lo, s6
	v_add_nc_u64_e32 v[48:49], s[50:51], v[48:49]
	s_add_co_i32 s28, s28, 4
	s_delay_alu instid0(SALU_CYCLE_1)
	s_cmp_ge_i32 s28, s59
	s_cbranch_scc1 .LBB181_58
.LBB181_12:                             ;   Parent Loop BB181_3 Depth=1
                                        ; =>  This Loop Header: Depth=2
                                        ;       Child Loop BB181_43 Depth 3
                                        ;       Child Loop BB181_45 Depth 3
                                        ; implicit-def: $vgpr20_vgpr21
                                        ; implicit-def: $vgpr22_vgpr23
                                        ; implicit-def: $vgpr16_vgpr17
                                        ; implicit-def: $vgpr18_vgpr19
                                        ; implicit-def: $vgpr12_vgpr13
                                        ; implicit-def: $vgpr14_vgpr15
                                        ; implicit-def: $vgpr10_vgpr11
                                        ; implicit-def: $vgpr8_vgpr9
	s_and_saveexec_b32 s6, s5
	s_delay_alu instid0(SALU_CYCLE_1)
	s_xor_b32 s6, exec_lo, s6
	s_cbranch_execnz .LBB181_39
; %bb.13:                               ;   in Loop: Header=BB181_12 Depth=2
	s_and_not1_saveexec_b32 s6, s6
	s_cbranch_execnz .LBB181_40
.LBB181_14:                             ;   in Loop: Header=BB181_12 Depth=2
	s_or_b32 exec_lo, exec_lo, s6
	s_and_saveexec_b32 s6, s1
.LBB181_15:                             ;   in Loop: Header=BB181_12 Depth=2
	v_dual_mov_b32 v1, v0 :: v_dual_mov_b32 v2, v0
	v_mov_b32_e32 v3, v0
	ds_store_b128 v97, v[0:3]
.LBB181_16:                             ;   in Loop: Header=BB181_12 Depth=2
	s_or_b32 exec_lo, exec_lo, s6
	ds_bpermute_b32 v2, v99, v10
	ds_bpermute_b32 v3, v99, v11
	;; [unrolled: 1-line block ×4, first 2 shown]
	s_wait_storecnt_dscnt 0x0
	s_barrier_signal -1
	s_barrier_wait -1
	v_add_f64_e32 v[2:3], v[10:11], v[2:3]
	v_add_f64_e32 v[8:9], v[8:9], v[50:51]
	ds_bpermute_b32 v10, v100, v2
	ds_bpermute_b32 v11, v100, v3
	ds_bpermute_b32 v50, v100, v8
	ds_bpermute_b32 v51, v100, v9
	s_wait_dscnt 0x2
	v_add_f64_e32 v[2:3], v[2:3], v[10:11]
	s_wait_dscnt 0x0
	v_add_f64_e32 v[8:9], v[8:9], v[50:51]
	ds_bpermute_b32 v10, v101, v2
	ds_bpermute_b32 v11, v101, v3
	ds_bpermute_b32 v50, v101, v8
	ds_bpermute_b32 v51, v101, v9
	s_wait_dscnt 0x2
	v_add_f64_e32 v[2:3], v[2:3], v[10:11]
	s_wait_dscnt 0x0
	;; [unrolled: 8-line block ×3, first 2 shown]
	v_add_f64_e32 v[10:11], v[8:9], v[50:51]
	ds_bpermute_b32 v8, v103, v2
	ds_bpermute_b32 v9, v103, v3
	;; [unrolled: 1-line block ×4, first 2 shown]
	s_and_saveexec_b32 s6, s3
	s_cbranch_execz .LBB181_18
; %bb.17:                               ;   in Loop: Header=BB181_12 Depth=2
	s_wait_dscnt 0x0
	v_add_f64_e32 v[10:11], v[10:11], v[50:51]
	v_add_f64_e32 v[8:9], v[2:3], v[8:9]
	ds_store_b128 v98, v[8:11]
.LBB181_18:                             ;   in Loop: Header=BB181_12 Depth=2
	s_or_b32 exec_lo, exec_lo, s6
	v_mov_b64_e32 v[10:11], 0
	s_wait_dscnt 0x2
	v_mov_b64_e32 v[8:9], 0
	s_wait_dscnt 0x0
	s_barrier_signal -1
	s_barrier_wait -1
	s_and_saveexec_b32 s6, s2
	s_cbranch_execnz .LBB181_46
; %bb.19:                               ;   in Loop: Header=BB181_12 Depth=2
	s_or_b32 exec_lo, exec_lo, s6
	s_and_saveexec_b32 s6, s1
	s_cbranch_execnz .LBB181_47
.LBB181_20:                             ;   in Loop: Header=BB181_12 Depth=2
	s_or_b32 exec_lo, exec_lo, s6
	s_and_saveexec_b32 s6, s1
.LBB181_21:                             ;   in Loop: Header=BB181_12 Depth=2
	v_dual_mov_b32 v1, v0 :: v_dual_mov_b32 v2, v0
	v_mov_b32_e32 v3, v0
	ds_store_b128 v97, v[0:3]
.LBB181_22:                             ;   in Loop: Header=BB181_12 Depth=2
	s_or_b32 exec_lo, exec_lo, s6
	ds_bpermute_b32 v2, v99, v12
	ds_bpermute_b32 v3, v99, v13
	;; [unrolled: 1-line block ×4, first 2 shown]
	s_wait_dscnt 0x0
	s_barrier_signal -1
	s_barrier_wait -1
	v_add_f64_e32 v[2:3], v[12:13], v[2:3]
	v_add_f64_e32 v[12:13], v[14:15], v[50:51]
	ds_bpermute_b32 v14, v100, v2
	ds_bpermute_b32 v15, v100, v3
	ds_bpermute_b32 v50, v100, v12
	ds_bpermute_b32 v51, v100, v13
	s_wait_dscnt 0x2
	v_add_f64_e32 v[2:3], v[2:3], v[14:15]
	s_wait_dscnt 0x0
	v_add_f64_e32 v[12:13], v[12:13], v[50:51]
	ds_bpermute_b32 v14, v101, v2
	ds_bpermute_b32 v15, v101, v3
	ds_bpermute_b32 v50, v101, v12
	ds_bpermute_b32 v51, v101, v13
	s_wait_dscnt 0x2
	v_add_f64_e32 v[2:3], v[2:3], v[14:15]
	s_wait_dscnt 0x0
	;; [unrolled: 8-line block ×3, first 2 shown]
	v_add_f64_e32 v[14:15], v[12:13], v[50:51]
	ds_bpermute_b32 v12, v103, v2
	ds_bpermute_b32 v13, v103, v3
	;; [unrolled: 1-line block ×4, first 2 shown]
	s_and_saveexec_b32 s6, s3
	s_cbranch_execz .LBB181_24
; %bb.23:                               ;   in Loop: Header=BB181_12 Depth=2
	s_wait_dscnt 0x0
	v_add_f64_e32 v[14:15], v[14:15], v[50:51]
	v_add_f64_e32 v[12:13], v[2:3], v[12:13]
	ds_store_b128 v98, v[12:15]
.LBB181_24:                             ;   in Loop: Header=BB181_12 Depth=2
	s_or_b32 exec_lo, exec_lo, s6
	v_mov_b64_e32 v[14:15], 0
	s_wait_dscnt 0x2
	v_mov_b64_e32 v[12:13], 0
	s_wait_dscnt 0x0
	s_barrier_signal -1
	s_barrier_wait -1
	s_and_saveexec_b32 s6, s2
	s_cbranch_execnz .LBB181_48
; %bb.25:                               ;   in Loop: Header=BB181_12 Depth=2
	s_or_b32 exec_lo, exec_lo, s6
	s_and_saveexec_b32 s6, s1
	s_cbranch_execnz .LBB181_49
.LBB181_26:                             ;   in Loop: Header=BB181_12 Depth=2
	s_or_b32 exec_lo, exec_lo, s6
	s_and_saveexec_b32 s6, s1
.LBB181_27:                             ;   in Loop: Header=BB181_12 Depth=2
	v_dual_mov_b32 v1, v0 :: v_dual_mov_b32 v2, v0
	v_mov_b32_e32 v3, v0
	ds_store_b128 v97, v[0:3]
.LBB181_28:                             ;   in Loop: Header=BB181_12 Depth=2
	s_or_b32 exec_lo, exec_lo, s6
	ds_bpermute_b32 v2, v99, v16
	ds_bpermute_b32 v3, v99, v17
	;; [unrolled: 1-line block ×4, first 2 shown]
	s_wait_dscnt 0x0
	s_barrier_signal -1
	s_barrier_wait -1
	v_add_f64_e32 v[2:3], v[16:17], v[2:3]
	v_add_f64_e32 v[16:17], v[18:19], v[50:51]
	ds_bpermute_b32 v18, v100, v2
	ds_bpermute_b32 v19, v100, v3
	ds_bpermute_b32 v50, v100, v16
	ds_bpermute_b32 v51, v100, v17
	s_wait_dscnt 0x2
	v_add_f64_e32 v[2:3], v[2:3], v[18:19]
	s_wait_dscnt 0x0
	v_add_f64_e32 v[16:17], v[16:17], v[50:51]
	ds_bpermute_b32 v18, v101, v2
	ds_bpermute_b32 v19, v101, v3
	ds_bpermute_b32 v50, v101, v16
	ds_bpermute_b32 v51, v101, v17
	s_wait_dscnt 0x2
	v_add_f64_e32 v[2:3], v[2:3], v[18:19]
	s_wait_dscnt 0x0
	;; [unrolled: 8-line block ×3, first 2 shown]
	v_add_f64_e32 v[18:19], v[16:17], v[50:51]
	ds_bpermute_b32 v16, v103, v2
	ds_bpermute_b32 v17, v103, v3
	;; [unrolled: 1-line block ×4, first 2 shown]
	s_and_saveexec_b32 s6, s3
	s_cbranch_execz .LBB181_30
; %bb.29:                               ;   in Loop: Header=BB181_12 Depth=2
	s_wait_dscnt 0x0
	v_add_f64_e32 v[18:19], v[18:19], v[50:51]
	v_add_f64_e32 v[16:17], v[2:3], v[16:17]
	ds_store_b128 v98, v[16:19]
.LBB181_30:                             ;   in Loop: Header=BB181_12 Depth=2
	s_or_b32 exec_lo, exec_lo, s6
	v_mov_b64_e32 v[18:19], 0
	s_wait_dscnt 0x2
	v_mov_b64_e32 v[16:17], 0
	s_wait_dscnt 0x0
	s_barrier_signal -1
	s_barrier_wait -1
	s_and_saveexec_b32 s6, s2
	s_cbranch_execnz .LBB181_50
; %bb.31:                               ;   in Loop: Header=BB181_12 Depth=2
	s_or_b32 exec_lo, exec_lo, s6
	s_and_saveexec_b32 s6, s1
	s_cbranch_execnz .LBB181_51
.LBB181_32:                             ;   in Loop: Header=BB181_12 Depth=2
	s_or_b32 exec_lo, exec_lo, s6
	s_and_saveexec_b32 s6, s1
.LBB181_33:                             ;   in Loop: Header=BB181_12 Depth=2
	v_dual_mov_b32 v1, v0 :: v_dual_mov_b32 v2, v0
	v_mov_b32_e32 v3, v0
	ds_store_b128 v97, v[0:3]
.LBB181_34:                             ;   in Loop: Header=BB181_12 Depth=2
	s_or_b32 exec_lo, exec_lo, s6
	ds_bpermute_b32 v2, v99, v20
	ds_bpermute_b32 v3, v99, v21
	;; [unrolled: 1-line block ×4, first 2 shown]
	s_wait_dscnt 0x0
	s_barrier_signal -1
	s_barrier_wait -1
	v_add_f64_e32 v[2:3], v[20:21], v[2:3]
	v_add_f64_e32 v[20:21], v[22:23], v[50:51]
	ds_bpermute_b32 v22, v100, v2
	ds_bpermute_b32 v23, v100, v3
	ds_bpermute_b32 v50, v100, v20
	ds_bpermute_b32 v51, v100, v21
	s_wait_dscnt 0x2
	v_add_f64_e32 v[2:3], v[2:3], v[22:23]
	s_wait_dscnt 0x0
	v_add_f64_e32 v[20:21], v[20:21], v[50:51]
	ds_bpermute_b32 v22, v101, v2
	ds_bpermute_b32 v23, v101, v3
	ds_bpermute_b32 v50, v101, v20
	ds_bpermute_b32 v51, v101, v21
	s_wait_dscnt 0x2
	v_add_f64_e32 v[2:3], v[2:3], v[22:23]
	s_wait_dscnt 0x0
	;; [unrolled: 8-line block ×3, first 2 shown]
	v_add_f64_e32 v[22:23], v[20:21], v[50:51]
	ds_bpermute_b32 v20, v103, v2
	ds_bpermute_b32 v21, v103, v3
	;; [unrolled: 1-line block ×4, first 2 shown]
	s_and_saveexec_b32 s6, s3
	s_cbranch_execz .LBB181_36
; %bb.35:                               ;   in Loop: Header=BB181_12 Depth=2
	s_wait_dscnt 0x0
	v_add_f64_e32 v[22:23], v[22:23], v[50:51]
	v_add_f64_e32 v[20:21], v[2:3], v[20:21]
	ds_store_b128 v98, v[20:23]
.LBB181_36:                             ;   in Loop: Header=BB181_12 Depth=2
	s_or_b32 exec_lo, exec_lo, s6
	v_mov_b64_e32 v[22:23], 0
	s_wait_dscnt 0x2
	v_mov_b64_e32 v[20:21], 0
	s_wait_dscnt 0x0
	s_barrier_signal -1
	s_barrier_wait -1
	s_and_saveexec_b32 s6, s2
	s_cbranch_execnz .LBB181_52
; %bb.37:                               ;   in Loop: Header=BB181_12 Depth=2
	s_or_b32 exec_lo, exec_lo, s6
	s_and_saveexec_b32 s6, s1
	s_cbranch_execnz .LBB181_53
.LBB181_38:                             ;   in Loop: Header=BB181_12 Depth=2
	s_or_b32 exec_lo, exec_lo, s6
	s_and_saveexec_b32 s6, s0
	s_cbranch_execz .LBB181_11
	s_branch .LBB181_54
.LBB181_39:                             ;   in Loop: Header=BB181_12 Depth=2
	global_load_b128 v[8:11], v[42:43], off
	s_mul_u64 s[8:9], s[28:29], s[30:31]
	s_or_b32 s68, s28, 2
	v_lshl_add_u64 v[76:77], s[8:9], 4, v[38:39]
	s_or_b32 s8, s28, 1
	s_mov_b32 s9, s29
	s_mov_b32 s69, s29
	s_mul_u64 s[8:9], s[8:9], s[30:31]
	s_clause 0x1
	global_load_b128 v[12:15], v[44:45], off
	global_load_b128 v[68:71], v[46:47], off
	global_load_b128 v[50:53], v[76:77], off offset:16
	v_lshl_add_u64 v[78:79], s[8:9], 4, v[38:39]
	s_mul_u64 s[8:9], s[68:69], s[30:31]
	s_delay_alu instid0(SALU_CYCLE_1) | instskip(SKIP_2) | instid1(SALU_CYCLE_1)
	v_lshl_add_u64 v[80:81], s[8:9], 4, v[38:39]
	s_or_b32 s8, s28, 3
	s_mov_b32 s9, s29
	s_mul_u64 s[8:9], s[8:9], s[30:31]
	s_delay_alu instid0(SALU_CYCLE_1)
	v_lshl_add_u64 v[108:109], s[8:9], 4, v[38:39]
	s_wait_loadcnt 0x3
	scratch_store_b128 off, v[8:11], s63
	scratch_load_b128 v[54:57], off, off offset:16
	s_clause 0x1
	global_load_b128 v[8:11], v[78:79], off offset:16
	global_load_b128 v[58:61], v[80:81], off offset:16
	s_wait_dscnt 0x0
	s_clause 0x1
	global_load_b128 v[20:23], v[76:77], off
	global_load_b128 v[16:19], v[78:79], off
	s_wait_loadcnt 0x7
	scratch_store_b128 off, v[12:15], s64
	scratch_load_b128 v[62:65], off, off offset:32
	global_load_b128 v[12:15], v[80:81], off
	s_wait_loadcnt 0x6
	v_mul_f64_e32 v[90:91], v[56:57], v[52:53]
	v_mul_f64_e32 v[2:3], v[54:55], v[52:53]
	s_wait_loadcnt 0x5
	v_mul_f64_e32 v[84:85], v[56:57], v[10:11]
	v_mul_f64_e32 v[10:11], v[54:55], v[10:11]
	s_wait_loadcnt 0x4
	v_mul_f64_e32 v[82:83], v[56:57], v[60:61]
	v_fmac_f64_e32 v[90:91], v[54:55], v[50:51]
	v_fma_f64 v[94:95], v[56:57], v[50:51], -v[2:3]
	v_fmac_f64_e32 v[84:85], v[54:55], v[8:9]
	v_fma_f64 v[92:93], v[56:57], v[8:9], -v[10:11]
	s_clause 0x1
	global_load_b128 v[50:53], v[108:109], off offset:16
	global_load_b128 v[8:11], v[108:109], off
	v_mul_f64_e32 v[2:3], v[54:55], v[60:61]
	v_fmac_f64_e32 v[82:83], v[54:55], v[58:59]
	scratch_store_b128 off, v[68:71], s65
	global_load_b128 v[72:75], v[108:109], off offset:32
	v_fma_f64 v[88:89], v[56:57], v[58:59], -v[2:3]
	global_load_b128 v[58:61], v[80:81], off offset:32
	s_wait_loadcnt 0x3
	v_mul_f64_e32 v[86:87], v[56:57], v[52:53]
	v_mul_f64_e32 v[2:3], v[54:55], v[52:53]
	s_delay_alu instid0(VALU_DEP_2) | instskip(NEXT) | instid1(VALU_DEP_2)
	v_fmac_f64_e32 v[86:87], v[54:55], v[50:51]
	v_fma_f64 v[66:67], v[56:57], v[50:51], -v[2:3]
	s_clause 0x2
	global_load_b128 v[50:53], v[76:77], off offset:32
	global_load_b128 v[54:57], v[78:79], off offset:32
	;; [unrolled: 1-line block ×3, first 2 shown]
	scratch_load_b128 v[104:107], off, off offset:48
	global_load_b128 v[108:111], v[108:109], off offset:48
	s_wait_loadcnt 0x4
	v_mul_f64_e32 v[2:3], v[64:65], v[52:53]
	v_mul_f64_e32 v[52:53], v[62:63], v[52:53]
	s_delay_alu instid0(VALU_DEP_2) | instskip(NEXT) | instid1(VALU_DEP_2)
	v_fmac_f64_e32 v[2:3], v[62:63], v[50:51]
	v_fma_f64 v[50:51], v[64:65], v[50:51], -v[52:53]
	s_wait_loadcnt 0x3
	v_mul_f64_e32 v[52:53], v[64:65], v[56:57]
	v_mul_f64_e32 v[56:57], v[62:63], v[56:57]
	s_delay_alu instid0(VALU_DEP_2) | instskip(NEXT) | instid1(VALU_DEP_2)
	v_fmac_f64_e32 v[52:53], v[62:63], v[54:55]
	v_fma_f64 v[54:55], v[64:65], v[54:55], -v[56:57]
	v_mul_f64_e32 v[56:57], v[64:65], v[60:61]
	v_mul_f64_e32 v[60:61], v[62:63], v[60:61]
	s_delay_alu instid0(VALU_DEP_2) | instskip(NEXT) | instid1(VALU_DEP_2)
	v_fmac_f64_e32 v[56:57], v[62:63], v[58:59]
	v_fma_f64 v[58:59], v[64:65], v[58:59], -v[60:61]
	v_mul_f64_e32 v[60:61], v[64:65], v[74:75]
	s_delay_alu instid0(VALU_DEP_1) | instskip(SKIP_1) | instid1(VALU_DEP_1)
	v_fmac_f64_e32 v[60:61], v[62:63], v[72:73]
	v_mul_f64_e32 v[62:63], v[62:63], v[74:75]
	v_fma_f64 v[62:63], v[64:65], v[72:73], -v[62:63]
	s_clause 0x1
	global_load_b128 v[72:75], v[78:79], off offset:48
	global_load_b128 v[76:79], v[80:81], off offset:48
	s_wait_loadcnt 0x3
	v_mul_f64_e32 v[64:65], v[106:107], v[70:71]
	v_mul_f64_e32 v[70:71], v[104:105], v[70:71]
	s_wait_loadcnt 0x2
	s_wait_xcnt 0x0
	v_mul_f64_e32 v[80:81], v[104:105], v[110:111]
	s_delay_alu instid0(VALU_DEP_3) | instskip(NEXT) | instid1(VALU_DEP_3)
	v_fmac_f64_e32 v[64:65], v[104:105], v[68:69]
	v_fma_f64 v[68:69], v[106:107], v[68:69], -v[70:71]
	s_delay_alu instid0(VALU_DEP_3) | instskip(SKIP_3) | instid1(VALU_DEP_2)
	v_fma_f64 v[80:81], v[106:107], v[108:109], -v[80:81]
	s_wait_loadcnt 0x1
	v_mul_f64_e32 v[70:71], v[106:107], v[74:75]
	v_mul_f64_e32 v[74:75], v[104:105], v[74:75]
	v_fmac_f64_e32 v[70:71], v[104:105], v[72:73]
	s_delay_alu instid0(VALU_DEP_2) | instskip(SKIP_3) | instid1(VALU_DEP_2)
	v_fma_f64 v[72:73], v[106:107], v[72:73], -v[74:75]
	s_wait_loadcnt 0x0
	v_mul_f64_e32 v[74:75], v[106:107], v[78:79]
	v_mul_f64_e32 v[78:79], v[104:105], v[78:79]
	v_fmac_f64_e32 v[74:75], v[104:105], v[76:77]
	s_delay_alu instid0(VALU_DEP_2) | instskip(SKIP_1) | instid1(VALU_DEP_1)
	v_fma_f64 v[76:77], v[106:107], v[76:77], -v[78:79]
	v_mul_f64_e32 v[78:79], v[106:107], v[110:111]
	v_fmac_f64_e32 v[78:79], v[104:105], v[108:109]
	global_load_b128 v[104:107], v[40:41], off
	s_wait_loadcnt 0x0
	v_mul_f64_e32 v[108:109], v[106:107], v[22:23]
	v_mul_f64_e32 v[22:23], v[104:105], v[22:23]
	scratch_store_b128 off, v[104:107], off
	v_fmac_f64_e32 v[108:109], v[104:105], v[20:21]
	v_fma_f64 v[20:21], v[106:107], v[20:21], -v[22:23]
	v_mul_f64_e32 v[22:23], v[106:107], v[18:19]
	v_mul_f64_e32 v[18:19], v[104:105], v[18:19]
	s_delay_alu instid0(VALU_DEP_3) | instskip(NEXT) | instid1(VALU_DEP_3)
	v_add_f64_e32 v[20:21], 0, v[20:21]
	v_fmac_f64_e32 v[22:23], v[104:105], v[16:17]
	s_delay_alu instid0(VALU_DEP_3)
	v_fma_f64 v[16:17], v[106:107], v[16:17], -v[18:19]
	v_mul_f64_e32 v[18:19], v[106:107], v[14:15]
	v_mul_f64_e32 v[14:15], v[104:105], v[14:15]
	v_add_f64_e32 v[20:21], v[20:21], v[94:95]
	v_add_f64_e32 v[22:23], 0, v[22:23]
	;; [unrolled: 1-line block ×3, first 2 shown]
	v_fmac_f64_e32 v[18:19], v[104:105], v[12:13]
	v_fma_f64 v[12:13], v[106:107], v[12:13], -v[14:15]
	v_mul_f64_e32 v[14:15], v[106:107], v[10:11]
	v_mul_f64_e32 v[10:11], v[104:105], v[10:11]
	v_add_f64_e32 v[20:21], v[20:21], v[50:51]
	v_add_f64_e32 v[22:23], v[22:23], v[84:85]
	;; [unrolled: 1-line block ×5, first 2 shown]
	v_fmac_f64_e32 v[14:15], v[104:105], v[8:9]
	v_fma_f64 v[8:9], v[106:107], v[8:9], -v[10:11]
	v_add_f64_e32 v[10:11], 0, v[108:109]
	v_add_f64_e32 v[22:23], v[22:23], v[52:53]
	;; [unrolled: 1-line block ×14, first 2 shown]
	s_delay_alu instid0(VALU_DEP_4) | instskip(NEXT) | instid1(VALU_DEP_4)
	v_add_f64_e32 v[52:53], v[14:15], v[60:61]
	v_add_f64_e32 v[54:55], v[8:9], v[62:63]
	s_delay_alu instid0(VALU_DEP_4)
	v_add_f64_e32 v[10:11], v[2:3], v[64:65]
	v_add_f64_e32 v[8:9], v[20:21], v[68:69]
	;; [unrolled: 1-line block ×7, first 2 shown]
	s_wait_xcnt 0x0
	s_and_not1_saveexec_b32 s6, s6
	s_cbranch_execz .LBB181_14
.LBB181_40:                             ;   in Loop: Header=BB181_12 Depth=2
	s_wait_dscnt 0x0
	v_mov_b64_e32 v[20:21], 0
	v_mov_b64_e32 v[22:23], 0
	v_mov_b64_e32 v[16:17], 0
	v_mov_b64_e32 v[18:19], 0
	v_mov_b64_e32 v[12:13], 0
	v_mov_b64_e32 v[14:15], 0
	v_mov_b64_e32 v[10:11], 0
	v_mov_b64_e32 v[8:9], 0
	s_and_saveexec_b32 s7, s4
	s_cbranch_execz .LBB181_56
; %bb.41:                               ;   in Loop: Header=BB181_12 Depth=2
	s_and_not1_b32 vcc_lo, exec_lo, s62
	s_cbranch_vccnz .LBB181_55
; %bb.42:                               ;   in Loop: Header=BB181_12 Depth=2
	v_mov_b64_e32 v[2:3], v[36:37]
	s_mov_b32 s8, 0
	s_mov_b32 s9, s60
.LBB181_43:                             ;   Parent Loop BB181_3 Depth=1
                                        ;     Parent Loop BB181_12 Depth=2
                                        ; =>    This Inner Loop Header: Depth=3
	global_load_b128 v[8:11], v[2:3], off
	s_wait_xcnt 0x0
	v_add_nc_u64_e32 v[2:3], s[46:47], v[2:3]
	s_add_co_i32 s9, s9, -1
	s_wait_loadcnt 0x0
	scratch_store_b128 off, v[8:11], s8
	s_wait_xcnt 0x0
	s_add_co_i32 s8, s8, 16
	s_cmp_eq_u32 s9, 0
	s_cbranch_scc0 .LBB181_43
; %bb.44:                               ;   in Loop: Header=BB181_12 Depth=2
	v_mov_b64_e32 v[8:9], 0
	v_mov_b64_e32 v[10:11], 0
	;; [unrolled: 1-line block ×9, first 2 shown]
	s_mov_b32 s8, s66
	s_mov_b32 s9, s60
.LBB181_45:                             ;   Parent Loop BB181_3 Depth=1
                                        ;     Parent Loop BB181_12 Depth=2
                                        ; =>    This Inner Loop Header: Depth=3
	s_delay_alu instid0(VALU_DEP_1)
	v_add_nc_u64_e32 v[58:59], s[52:53], v[2:3]
	scratch_load_b128 v[50:53], off, s8 offset:-8
	s_add_co_i32 s9, s9, -1
	s_wait_xcnt 0x0
	s_add_co_i32 s8, s8, 16
	s_cmp_lg_u32 s9, 0
	v_add_nc_u64_e32 v[62:63], s[52:53], v[58:59]
	s_delay_alu instid0(VALU_DEP_1)
	v_add_nc_u64_e32 v[66:67], s[52:53], v[62:63]
	s_clause 0x3
	global_load_b128 v[54:57], v[2:3], off
	global_load_b128 v[58:61], v[58:59], off
	;; [unrolled: 1-line block ×4, first 2 shown]
	s_wait_xcnt 0x3
	v_add_nc_u64_e32 v[2:3], 16, v[2:3]
	s_wait_loadcnt 0x3
	v_mul_f64_e32 v[70:71], v[52:53], v[56:57]
	v_mul_f64_e32 v[56:57], v[50:51], v[56:57]
	s_wait_loadcnt 0x2
	v_mul_f64_e32 v[72:73], v[52:53], v[60:61]
	v_mul_f64_e32 v[60:61], v[50:51], v[60:61]
	;; [unrolled: 3-line block ×4, first 2 shown]
	v_fmac_f64_e32 v[70:71], v[50:51], v[54:55]
	v_fma_f64 v[54:55], v[52:53], v[54:55], -v[56:57]
	v_fmac_f64_e32 v[72:73], v[50:51], v[58:59]
	v_fma_f64 v[56:57], v[52:53], v[58:59], -v[60:61]
	v_fmac_f64_e32 v[74:75], v[50:51], v[62:63]
	s_wait_xcnt 0x2
	v_fma_f64 v[58:59], v[52:53], v[62:63], -v[64:65]
	v_fmac_f64_e32 v[76:77], v[50:51], v[66:67]
	v_fma_f64 v[50:51], v[52:53], v[66:67], -v[68:69]
	v_add_f64_e32 v[10:11], v[10:11], v[70:71]
	v_add_f64_e32 v[8:9], v[8:9], v[54:55]
	;; [unrolled: 1-line block ×8, first 2 shown]
	s_cbranch_scc1 .LBB181_45
	s_branch .LBB181_56
.LBB181_46:                             ;   in Loop: Header=BB181_12 Depth=2
	ds_load_b128 v[8:11], v97
	s_or_b32 exec_lo, exec_lo, s6
	s_and_saveexec_b32 s6, s1
	s_cbranch_execz .LBB181_20
.LBB181_47:                             ;   in Loop: Header=BB181_12 Depth=2
	s_wait_dscnt 0x0
	ds_bpermute_b32 v2, v101, v8
	ds_bpermute_b32 v3, v101, v9
	ds_bpermute_b32 v50, v101, v10
	ds_bpermute_b32 v51, v101, v11
	s_wait_dscnt 0x2
	v_add_f64_e32 v[2:3], v[8:9], v[2:3]
	s_wait_dscnt 0x0
	v_add_f64_e32 v[8:9], v[10:11], v[50:51]
	ds_bpermute_b32 v10, v102, v2
	ds_bpermute_b32 v11, v102, v3
	ds_bpermute_b32 v50, v102, v8
	ds_bpermute_b32 v51, v102, v9
	s_wait_dscnt 0x2
	v_add_f64_e32 v[2:3], v[2:3], v[10:11]
	s_wait_dscnt 0x0
	v_add_f64_e32 v[10:11], v[8:9], v[50:51]
	;; [unrolled: 8-line block ×3, first 2 shown]
	s_or_b32 exec_lo, exec_lo, s6
	s_and_saveexec_b32 s6, s1
	s_cbranch_execnz .LBB181_21
	s_branch .LBB181_22
.LBB181_48:                             ;   in Loop: Header=BB181_12 Depth=2
	ds_load_b128 v[12:15], v97
	s_or_b32 exec_lo, exec_lo, s6
	s_and_saveexec_b32 s6, s1
	s_cbranch_execz .LBB181_26
.LBB181_49:                             ;   in Loop: Header=BB181_12 Depth=2
	s_wait_dscnt 0x0
	ds_bpermute_b32 v2, v101, v12
	ds_bpermute_b32 v3, v101, v13
	ds_bpermute_b32 v50, v101, v14
	ds_bpermute_b32 v51, v101, v15
	s_wait_dscnt 0x2
	v_add_f64_e32 v[2:3], v[12:13], v[2:3]
	s_wait_dscnt 0x0
	v_add_f64_e32 v[12:13], v[14:15], v[50:51]
	ds_bpermute_b32 v14, v102, v2
	ds_bpermute_b32 v15, v102, v3
	ds_bpermute_b32 v50, v102, v12
	ds_bpermute_b32 v51, v102, v13
	s_wait_dscnt 0x2
	v_add_f64_e32 v[2:3], v[2:3], v[14:15]
	s_wait_dscnt 0x0
	v_add_f64_e32 v[14:15], v[12:13], v[50:51]
	;; [unrolled: 8-line block ×3, first 2 shown]
	s_or_b32 exec_lo, exec_lo, s6
	s_and_saveexec_b32 s6, s1
	s_cbranch_execnz .LBB181_27
	s_branch .LBB181_28
.LBB181_50:                             ;   in Loop: Header=BB181_12 Depth=2
	ds_load_b128 v[16:19], v97
	s_or_b32 exec_lo, exec_lo, s6
	s_and_saveexec_b32 s6, s1
	s_cbranch_execz .LBB181_32
.LBB181_51:                             ;   in Loop: Header=BB181_12 Depth=2
	s_wait_dscnt 0x0
	ds_bpermute_b32 v2, v101, v16
	ds_bpermute_b32 v3, v101, v17
	ds_bpermute_b32 v50, v101, v18
	ds_bpermute_b32 v51, v101, v19
	s_wait_dscnt 0x2
	v_add_f64_e32 v[2:3], v[16:17], v[2:3]
	s_wait_dscnt 0x0
	v_add_f64_e32 v[16:17], v[18:19], v[50:51]
	ds_bpermute_b32 v18, v102, v2
	ds_bpermute_b32 v19, v102, v3
	ds_bpermute_b32 v50, v102, v16
	ds_bpermute_b32 v51, v102, v17
	s_wait_dscnt 0x2
	v_add_f64_e32 v[2:3], v[2:3], v[18:19]
	s_wait_dscnt 0x0
	v_add_f64_e32 v[18:19], v[16:17], v[50:51]
	;; [unrolled: 8-line block ×3, first 2 shown]
	s_or_b32 exec_lo, exec_lo, s6
	s_and_saveexec_b32 s6, s1
	s_cbranch_execnz .LBB181_33
	s_branch .LBB181_34
.LBB181_52:                             ;   in Loop: Header=BB181_12 Depth=2
	ds_load_b128 v[20:23], v97
	s_or_b32 exec_lo, exec_lo, s6
	s_and_saveexec_b32 s6, s1
	s_cbranch_execz .LBB181_38
.LBB181_53:                             ;   in Loop: Header=BB181_12 Depth=2
	s_wait_dscnt 0x0
	ds_bpermute_b32 v2, v101, v20
	ds_bpermute_b32 v3, v101, v21
	ds_bpermute_b32 v50, v101, v22
	ds_bpermute_b32 v51, v101, v23
	s_wait_dscnt 0x2
	v_add_f64_e32 v[2:3], v[20:21], v[2:3]
	s_wait_dscnt 0x0
	v_add_f64_e32 v[20:21], v[22:23], v[50:51]
	ds_bpermute_b32 v22, v102, v2
	ds_bpermute_b32 v23, v102, v3
	ds_bpermute_b32 v50, v102, v20
	ds_bpermute_b32 v51, v102, v21
	s_wait_dscnt 0x2
	v_add_f64_e32 v[2:3], v[2:3], v[22:23]
	s_wait_dscnt 0x0
	v_add_f64_e32 v[22:23], v[20:21], v[50:51]
	ds_bpermute_b32 v20, v103, v2
	ds_bpermute_b32 v21, v103, v3
	ds_bpermute_b32 v50, v103, v22
	ds_bpermute_b32 v51, v103, v23
	s_wait_dscnt 0x2
	v_add_f64_e32 v[20:21], v[2:3], v[20:21]
	s_wait_dscnt 0x0
	v_add_f64_e32 v[22:23], v[22:23], v[50:51]
	s_or_b32 exec_lo, exec_lo, s6
	s_and_saveexec_b32 s6, s0
	s_cbranch_execz .LBB181_11
.LBB181_54:                             ;   in Loop: Header=BB181_12 Depth=2
	v_mul_f64_e32 v[2:3], v[6:7], v[10:11]
	v_mul_f64_e32 v[52:53], v[4:5], v[10:11]
	;; [unrolled: 1-line block ×6, first 2 shown]
	s_wait_dscnt 0x0
	v_mul_f64_e32 v[58:59], v[6:7], v[22:23]
	v_mul_f64_e32 v[18:19], v[4:5], v[22:23]
	s_or_b32 s68, s28, 1
	s_mov_b32 s69, s29
	s_mul_u64 s[8:9], s[28:29], s[36:37]
	s_or_b32 s70, s28, 2
	s_mov_b32 s71, s29
	s_or_b32 s72, s28, 3
	s_mov_b32 s73, s29
	s_mul_u64 s[68:69], s[68:69], s[36:37]
	s_lshl_b64 s[8:9], s[8:9], 4
	s_mul_u64 s[70:71], s[70:71], s[36:37]
	s_mul_u64 s[72:73], s[72:73], s[36:37]
	s_lshl_b64 s[68:69], s[68:69], 4
	s_add_nc_u64 s[8:9], s[54:55], s[8:9]
	s_lshl_b64 s[70:71], s[70:71], 4
	s_lshl_b64 s[72:73], s[72:73], 4
	s_add_nc_u64 s[68:69], s[54:55], s[68:69]
	s_add_nc_u64 s[70:71], s[54:55], s[70:71]
	;; [unrolled: 1-line block ×3, first 2 shown]
	v_fma_f64 v[50:51], v[4:5], v[8:9], -v[2:3]
	v_fmac_f64_e32 v[52:53], v[6:7], v[8:9]
	v_fma_f64 v[8:9], v[4:5], v[12:13], -v[54:55]
	v_fmac_f64_e32 v[10:11], v[6:7], v[12:13]
	v_fma_f64 v[12:13], v[4:5], v[16:17], -v[56:57]
	v_fmac_f64_e32 v[14:15], v[6:7], v[16:17]
	v_fma_f64 v[16:17], v[4:5], v[20:21], -v[58:59]
	v_fmac_f64_e32 v[18:19], v[6:7], v[20:21]
	s_clause 0x3
	global_store_b128 v0, v[50:53], s[8:9]
	global_store_b128 v0, v[8:11], s[68:69]
	;; [unrolled: 1-line block ×4, first 2 shown]
	s_branch .LBB181_11
.LBB181_55:                             ;   in Loop: Header=BB181_12 Depth=2
	v_mov_b64_e32 v[20:21], 0
	v_mov_b64_e32 v[22:23], 0
	;; [unrolled: 1-line block ×8, first 2 shown]
.LBB181_56:                             ;   in Loop: Header=BB181_12 Depth=2
	s_wait_xcnt 0x0
	s_or_b32 exec_lo, exec_lo, s7
	s_delay_alu instid0(SALU_CYCLE_1)
	s_or_b32 exec_lo, exec_lo, s6
	s_and_saveexec_b32 s6, s1
	s_cbranch_execnz .LBB181_15
	s_branch .LBB181_16
.LBB181_57:                             ;   in Loop: Header=BB181_3 Depth=1
	s_mov_b32 s28, 0
.LBB181_58:                             ;   in Loop: Header=BB181_3 Depth=1
	s_delay_alu instid0(SALU_CYCLE_1)
	s_cmp_ge_i32 s28, s35
	s_cbranch_scc1 .LBB181_2
; %bb.59:                               ;   in Loop: Header=BB181_3 Depth=1
	v_cmp_gt_u32_e32 vcc_lo, 24, v96
	v_add_nc_u64_e32 v[2:3], 8, v[32:33]
	s_mul_u64 s[6:7], s[52:53], s[28:29]
	s_delay_alu instid0(SALU_CYCLE_1) | instskip(SKIP_2) | instid1(VALU_DEP_3)
	s_add_nc_u64 s[6:7], s[6:7], s[56:57]
	v_cndmask_b32_e64 v1, 0, 8, vcc_lo
	v_cmp_gt_u32_e32 vcc_lo, 28, v96
	v_add_nc_u64_e32 v[12:13], s[6:7], v[2:3]
	s_delay_alu instid0(VALU_DEP_3) | instskip(SKIP_3) | instid1(VALU_DEP_2)
	v_add_lshl_u32 v16, v1, v96, 2
	s_wait_dscnt 0x0
	v_cndmask_b32_e64 v8, 0, 4, vcc_lo
	v_cmp_gt_u32_e32 vcc_lo, 30, v96
	v_add_lshl_u32 v17, v8, v96, 2
	v_cndmask_b32_e64 v1, 0, 2, vcc_lo
	v_cmp_ne_u32_e32 vcc_lo, 31, v96
	s_delay_alu instid0(VALU_DEP_2) | instskip(SKIP_1) | instid1(VALU_DEP_1)
	v_add_lshl_u32 v18, v1, v96, 2
	v_add_co_ci_u32_e64 v9, null, 0, v96, vcc_lo
	v_lshlrev_b32_e32 v19, 2, v9
	s_branch .LBB181_61
.LBB181_60:                             ;   in Loop: Header=BB181_61 Depth=2
	s_wait_xcnt 0x0
	s_or_b32 exec_lo, exec_lo, s6
	v_add_nc_u64_e32 v[12:13], s[52:53], v[12:13]
	s_add_co_i32 s28, s28, 1
	s_delay_alu instid0(SALU_CYCLE_1)
	s_cmp_lt_i32 s28, s35
	s_cbranch_scc0 .LBB181_2
.LBB181_61:                             ;   Parent Loop BB181_3 Depth=1
                                        ; =>  This Loop Header: Depth=2
                                        ;       Child Loop BB181_73 Depth 3
                                        ;       Child Loop BB181_75 Depth 3
                                        ; implicit-def: $vgpr8_vgpr9
                                        ; implicit-def: $vgpr10_vgpr11
	s_and_saveexec_b32 s6, s5
	s_delay_alu instid0(SALU_CYCLE_1)
	s_xor_b32 s6, exec_lo, s6
	s_cbranch_execnz .LBB181_70
; %bb.62:                               ;   in Loop: Header=BB181_61 Depth=2
	s_and_not1_saveexec_b32 s6, s6
	s_cbranch_execnz .LBB181_71
.LBB181_63:                             ;   in Loop: Header=BB181_61 Depth=2
	s_or_b32 exec_lo, exec_lo, s6
	s_and_saveexec_b32 s6, s1
.LBB181_64:                             ;   in Loop: Header=BB181_61 Depth=2
	v_dual_mov_b32 v1, v0 :: v_dual_mov_b32 v2, v0
	v_mov_b32_e32 v3, v0
	ds_store_b128 v97, v[0:3]
.LBB181_65:                             ;   in Loop: Header=BB181_61 Depth=2
	s_or_b32 exec_lo, exec_lo, s6
	s_wait_dscnt 0x0
	ds_bpermute_b32 v2, v99, v8
	ds_bpermute_b32 v3, v99, v9
	ds_bpermute_b32 v14, v99, v10
	ds_bpermute_b32 v15, v99, v11
	s_wait_storecnt_dscnt 0x0
	s_barrier_signal -1
	s_barrier_wait -1
	v_add_f64_e32 v[2:3], v[8:9], v[2:3]
	v_add_f64_e32 v[8:9], v[10:11], v[14:15]
	ds_bpermute_b32 v10, v16, v2
	ds_bpermute_b32 v11, v16, v3
	ds_bpermute_b32 v14, v16, v8
	ds_bpermute_b32 v15, v16, v9
	s_wait_dscnt 0x2
	v_add_f64_e32 v[2:3], v[2:3], v[10:11]
	s_wait_dscnt 0x0
	v_add_f64_e32 v[8:9], v[8:9], v[14:15]
	ds_bpermute_b32 v10, v17, v2
	ds_bpermute_b32 v11, v17, v3
	ds_bpermute_b32 v14, v17, v8
	ds_bpermute_b32 v15, v17, v9
	s_wait_dscnt 0x2
	v_add_f64_e32 v[2:3], v[2:3], v[10:11]
	s_wait_dscnt 0x0
	;; [unrolled: 8-line block ×3, first 2 shown]
	v_add_f64_e32 v[10:11], v[8:9], v[14:15]
	ds_bpermute_b32 v8, v19, v2
	ds_bpermute_b32 v9, v19, v3
	;; [unrolled: 1-line block ×4, first 2 shown]
	s_and_saveexec_b32 s6, s3
	s_cbranch_execz .LBB181_67
; %bb.66:                               ;   in Loop: Header=BB181_61 Depth=2
	s_wait_dscnt 0x0
	v_add_f64_e32 v[10:11], v[10:11], v[14:15]
	v_add_f64_e32 v[8:9], v[2:3], v[8:9]
	ds_store_b128 v98, v[8:11]
.LBB181_67:                             ;   in Loop: Header=BB181_61 Depth=2
	s_or_b32 exec_lo, exec_lo, s6
	v_mov_b64_e32 v[10:11], 0
	s_wait_dscnt 0x2
	v_mov_b64_e32 v[8:9], 0
	s_wait_dscnt 0x0
	s_barrier_signal -1
	s_barrier_wait -1
	s_and_saveexec_b32 s6, s2
	s_cbranch_execnz .LBB181_77
; %bb.68:                               ;   in Loop: Header=BB181_61 Depth=2
	s_or_b32 exec_lo, exec_lo, s6
	s_and_saveexec_b32 s6, s1
	s_cbranch_execnz .LBB181_78
.LBB181_69:                             ;   in Loop: Header=BB181_61 Depth=2
	s_or_b32 exec_lo, exec_lo, s6
	s_and_saveexec_b32 s6, s0
	s_cbranch_execz .LBB181_60
	s_branch .LBB181_79
.LBB181_70:                             ;   in Loop: Header=BB181_61 Depth=2
	s_wait_dscnt 0x0
	global_load_b128 v[8:11], v[42:43], off
	s_wait_dscnt 0x0
	s_clause 0x1
	global_load_b128 v[20:23], v[44:45], off
	global_load_b128 v[48:51], v[46:47], off
	s_mul_u64 s[8:9], s[28:29], s[30:31]
	s_delay_alu instid0(SALU_CYCLE_1)
	v_lshl_add_u64 v[2:3], s[8:9], 4, v[38:39]
	global_load_b128 v[52:55], v[40:41], off
	s_clause 0x1
	global_load_b128 v[56:59], v[2:3], off
	global_load_b128 v[60:63], v[2:3], off offset:16
	s_wait_loadcnt 0x5
	scratch_store_b128 off, v[8:11], s63
	s_wait_loadcnt 0x4
	scratch_store_b128 off, v[20:23], s64
	s_clause 0x1
	scratch_load_b128 v[8:11], off, off offset:16
	scratch_load_b128 v[20:23], off, off offset:32
	s_clause 0x1
	global_load_b128 v[64:67], v[2:3], off offset:32
	global_load_b128 v[68:71], v[2:3], off offset:48
	s_wait_loadcnt 0x7
	scratch_store_b128 off, v[48:51], s65
	scratch_load_b128 v[48:51], off, off offset:48
	s_wait_loadcnt 0x7
	scratch_store_b128 off, v[52:55], off
	s_wait_loadcnt 0x6
	v_mul_f64_e32 v[2:3], v[58:59], v[54:55]
	v_mul_f64_e32 v[14:15], v[58:59], v[52:53]
	s_delay_alu instid0(VALU_DEP_2) | instskip(NEXT) | instid1(VALU_DEP_2)
	v_fmac_f64_e32 v[2:3], v[56:57], v[52:53]
	v_fma_f64 v[14:15], v[56:57], v[54:55], -v[14:15]
	s_delay_alu instid0(VALU_DEP_2) | instskip(NEXT) | instid1(VALU_DEP_2)
	v_add_f64_e32 v[2:3], 0, v[2:3]
	v_add_f64_e32 v[14:15], 0, v[14:15]
	s_wait_loadcnt 0x4
	v_mul_f64_e32 v[56:57], v[62:63], v[10:11]
	v_mul_f64_e32 v[58:59], v[62:63], v[8:9]
	s_wait_loadcnt 0x2
	v_mul_f64_e32 v[62:63], v[66:67], v[22:23]
	v_mul_f64_e32 v[66:67], v[66:67], v[20:21]
	s_delay_alu instid0(VALU_DEP_4) | instskip(NEXT) | instid1(VALU_DEP_4)
	v_fmac_f64_e32 v[56:57], v[60:61], v[8:9]
	v_fma_f64 v[8:9], v[60:61], v[10:11], -v[58:59]
	s_wait_loadcnt 0x0
	v_mul_f64_e32 v[10:11], v[70:71], v[50:51]
	v_mul_f64_e32 v[58:59], v[70:71], v[48:49]
	v_fmac_f64_e32 v[62:63], v[64:65], v[20:21]
	v_fma_f64 v[20:21], v[64:65], v[22:23], -v[66:67]
	v_add_f64_e32 v[2:3], v[2:3], v[56:57]
	v_add_f64_e32 v[8:9], v[14:15], v[8:9]
	v_fmac_f64_e32 v[10:11], v[68:69], v[48:49]
	v_fma_f64 v[14:15], v[68:69], v[50:51], -v[58:59]
	s_delay_alu instid0(VALU_DEP_4) | instskip(NEXT) | instid1(VALU_DEP_4)
	v_add_f64_e32 v[2:3], v[2:3], v[62:63]
	v_add_f64_e32 v[20:21], v[8:9], v[20:21]
	s_delay_alu instid0(VALU_DEP_2) | instskip(NEXT) | instid1(VALU_DEP_2)
	v_add_f64_e32 v[8:9], v[2:3], v[10:11]
	v_add_f64_e32 v[10:11], v[20:21], v[14:15]
	s_wait_xcnt 0x0
	s_and_not1_saveexec_b32 s6, s6
	s_cbranch_execz .LBB181_63
.LBB181_71:                             ;   in Loop: Header=BB181_61 Depth=2
	s_wait_dscnt 0x0
	v_mov_b64_e32 v[8:9], 0
	v_mov_b64_e32 v[10:11], 0
	s_and_saveexec_b32 s7, s34
	s_cbranch_execz .LBB181_76
; %bb.72:                               ;   in Loop: Header=BB181_61 Depth=2
	v_mov_b64_e32 v[2:3], v[36:37]
	s_mov_b32 s8, 0
	s_mov_b32 s9, s60
.LBB181_73:                             ;   Parent Loop BB181_3 Depth=1
                                        ;     Parent Loop BB181_61 Depth=2
                                        ; =>    This Inner Loop Header: Depth=3
	global_load_b128 v[8:11], v[2:3], off
	s_wait_xcnt 0x0
	v_add_nc_u64_e32 v[2:3], s[46:47], v[2:3]
	s_add_co_i32 s9, s9, -1
	s_wait_loadcnt 0x0
	scratch_store_b128 off, v[8:11], s8
	s_wait_xcnt 0x0
	s_add_co_i32 s8, s8, 16
	s_cmp_eq_u32 s9, 0
	s_cbranch_scc0 .LBB181_73
; %bb.74:                               ;   in Loop: Header=BB181_61 Depth=2
	v_mov_b64_e32 v[8:9], 0
	v_mov_b64_e32 v[10:11], 0
	;; [unrolled: 1-line block ×3, first 2 shown]
	s_mov_b32 s8, s66
	s_mov_b32 s9, s60
.LBB181_75:                             ;   Parent Loop BB181_3 Depth=1
                                        ;     Parent Loop BB181_61 Depth=2
                                        ; =>    This Inner Loop Header: Depth=3
	s_wait_dscnt 0x0
	global_load_b128 v[20:23], v[2:3], off offset:-8
	scratch_load_b128 v[48:51], off, s8 offset:-8
	s_wait_xcnt 0x1
	v_add_nc_u64_e32 v[2:3], 16, v[2:3]
	s_add_co_i32 s9, s9, -1
	s_wait_xcnt 0x0
	s_add_co_i32 s8, s8, 16
	s_cmp_lg_u32 s9, 0
	s_wait_loadcnt 0x0
	v_mul_f64_e32 v[14:15], v[22:23], v[50:51]
	v_mul_f64_e32 v[22:23], v[22:23], v[48:49]
	s_delay_alu instid0(VALU_DEP_2) | instskip(NEXT) | instid1(VALU_DEP_2)
	v_fmac_f64_e32 v[14:15], v[20:21], v[48:49]
	v_fma_f64 v[20:21], v[20:21], v[50:51], -v[22:23]
	s_delay_alu instid0(VALU_DEP_2) | instskip(NEXT) | instid1(VALU_DEP_2)
	v_add_f64_e32 v[8:9], v[8:9], v[14:15]
	v_add_f64_e32 v[10:11], v[10:11], v[20:21]
	s_cbranch_scc1 .LBB181_75
.LBB181_76:                             ;   in Loop: Header=BB181_61 Depth=2
	s_or_b32 exec_lo, exec_lo, s7
	s_delay_alu instid0(SALU_CYCLE_1)
	s_or_b32 exec_lo, exec_lo, s6
	s_and_saveexec_b32 s6, s1
	s_cbranch_execnz .LBB181_64
	s_branch .LBB181_65
.LBB181_77:                             ;   in Loop: Header=BB181_61 Depth=2
	ds_load_b128 v[8:11], v97
	s_or_b32 exec_lo, exec_lo, s6
	s_and_saveexec_b32 s6, s1
	s_cbranch_execz .LBB181_69
.LBB181_78:                             ;   in Loop: Header=BB181_61 Depth=2
	s_wait_dscnt 0x0
	ds_bpermute_b32 v2, v17, v8
	ds_bpermute_b32 v3, v17, v9
	ds_bpermute_b32 v14, v17, v10
	ds_bpermute_b32 v15, v17, v11
	s_wait_dscnt 0x2
	v_add_f64_e32 v[2:3], v[8:9], v[2:3]
	s_wait_dscnt 0x0
	v_add_f64_e32 v[8:9], v[10:11], v[14:15]
	ds_bpermute_b32 v10, v18, v2
	ds_bpermute_b32 v11, v18, v3
	ds_bpermute_b32 v14, v18, v8
	ds_bpermute_b32 v15, v18, v9
	s_wait_dscnt 0x2
	v_add_f64_e32 v[2:3], v[2:3], v[10:11]
	s_wait_dscnt 0x0
	v_add_f64_e32 v[10:11], v[8:9], v[14:15]
	;; [unrolled: 8-line block ×3, first 2 shown]
	s_or_b32 exec_lo, exec_lo, s6
	s_and_saveexec_b32 s6, s0
	s_cbranch_execz .LBB181_60
.LBB181_79:                             ;   in Loop: Header=BB181_61 Depth=2
	s_wait_dscnt 0x0
	s_delay_alu instid0(VALU_DEP_1) | instskip(SKIP_2) | instid1(SALU_CYCLE_1)
	v_mul_f64_e32 v[2:3], v[6:7], v[10:11]
	v_mul_f64_e32 v[22:23], v[4:5], v[10:11]
	s_mul_u64 s[8:9], s[28:29], s[36:37]
	s_lshl_b64 s[8:9], s[8:9], 4
	s_delay_alu instid0(SALU_CYCLE_1) | instskip(NEXT) | instid1(VALU_DEP_2)
	s_add_nc_u64 s[8:9], s[54:55], s[8:9]
	v_fma_f64 v[20:21], v[4:5], v[8:9], -v[2:3]
	s_delay_alu instid0(VALU_DEP_2)
	v_fmac_f64_e32 v[22:23], v[6:7], v[8:9]
	global_store_b128 v0, v[20:23], s[8:9]
	s_branch .LBB181_60
.LBB181_80:
	s_sendmsg sendmsg(MSG_DEALLOC_VGPRS)
	s_endpgm
	.section	.rodata,"a",@progbits
	.p2align	6, 0x0
	.amdhsa_kernel _ZL23rocblas_gemvt_sn_kernelILb1ELi256ELi4El19rocblas_complex_numIdEPKS1_S1_EviiT4_lPKT3_lilS7_lilPT5_i
		.amdhsa_group_segment_fixed_size 512
		.amdhsa_private_segment_fixed_size 80
		.amdhsa_kernarg_size 360
		.amdhsa_user_sgpr_count 2
		.amdhsa_user_sgpr_dispatch_ptr 0
		.amdhsa_user_sgpr_queue_ptr 0
		.amdhsa_user_sgpr_kernarg_segment_ptr 1
		.amdhsa_user_sgpr_dispatch_id 0
		.amdhsa_user_sgpr_kernarg_preload_length 0
		.amdhsa_user_sgpr_kernarg_preload_offset 0
		.amdhsa_user_sgpr_private_segment_size 0
		.amdhsa_wavefront_size32 1
		.amdhsa_uses_dynamic_stack 0
		.amdhsa_enable_private_segment 1
		.amdhsa_system_sgpr_workgroup_id_x 1
		.amdhsa_system_sgpr_workgroup_id_y 0
		.amdhsa_system_sgpr_workgroup_id_z 1
		.amdhsa_system_sgpr_workgroup_info 0
		.amdhsa_system_vgpr_workitem_id 0
		.amdhsa_next_free_vgpr 112
		.amdhsa_next_free_sgpr 74
		.amdhsa_named_barrier_count 0
		.amdhsa_reserve_vcc 1
		.amdhsa_float_round_mode_32 0
		.amdhsa_float_round_mode_16_64 0
		.amdhsa_float_denorm_mode_32 3
		.amdhsa_float_denorm_mode_16_64 3
		.amdhsa_fp16_overflow 0
		.amdhsa_memory_ordered 1
		.amdhsa_forward_progress 1
		.amdhsa_inst_pref_size 49
		.amdhsa_round_robin_scheduling 0
		.amdhsa_exception_fp_ieee_invalid_op 0
		.amdhsa_exception_fp_denorm_src 0
		.amdhsa_exception_fp_ieee_div_zero 0
		.amdhsa_exception_fp_ieee_overflow 0
		.amdhsa_exception_fp_ieee_underflow 0
		.amdhsa_exception_fp_ieee_inexact 0
		.amdhsa_exception_int_div_zero 0
	.end_amdhsa_kernel
	.section	.text._ZL23rocblas_gemvt_sn_kernelILb1ELi256ELi4El19rocblas_complex_numIdEPKS1_S1_EviiT4_lPKT3_lilS7_lilPT5_i,"axG",@progbits,_ZL23rocblas_gemvt_sn_kernelILb1ELi256ELi4El19rocblas_complex_numIdEPKS1_S1_EviiT4_lPKT3_lilS7_lilPT5_i,comdat
.Lfunc_end181:
	.size	_ZL23rocblas_gemvt_sn_kernelILb1ELi256ELi4El19rocblas_complex_numIdEPKS1_S1_EviiT4_lPKT3_lilS7_lilPT5_i, .Lfunc_end181-_ZL23rocblas_gemvt_sn_kernelILb1ELi256ELi4El19rocblas_complex_numIdEPKS1_S1_EviiT4_lPKT3_lilS7_lilPT5_i
                                        ; -- End function
	.set _ZL23rocblas_gemvt_sn_kernelILb1ELi256ELi4El19rocblas_complex_numIdEPKS1_S1_EviiT4_lPKT3_lilS7_lilPT5_i.num_vgpr, 112
	.set _ZL23rocblas_gemvt_sn_kernelILb1ELi256ELi4El19rocblas_complex_numIdEPKS1_S1_EviiT4_lPKT3_lilS7_lilPT5_i.num_agpr, 0
	.set _ZL23rocblas_gemvt_sn_kernelILb1ELi256ELi4El19rocblas_complex_numIdEPKS1_S1_EviiT4_lPKT3_lilS7_lilPT5_i.numbered_sgpr, 74
	.set _ZL23rocblas_gemvt_sn_kernelILb1ELi256ELi4El19rocblas_complex_numIdEPKS1_S1_EviiT4_lPKT3_lilS7_lilPT5_i.num_named_barrier, 0
	.set _ZL23rocblas_gemvt_sn_kernelILb1ELi256ELi4El19rocblas_complex_numIdEPKS1_S1_EviiT4_lPKT3_lilS7_lilPT5_i.private_seg_size, 80
	.set _ZL23rocblas_gemvt_sn_kernelILb1ELi256ELi4El19rocblas_complex_numIdEPKS1_S1_EviiT4_lPKT3_lilS7_lilPT5_i.uses_vcc, 1
	.set _ZL23rocblas_gemvt_sn_kernelILb1ELi256ELi4El19rocblas_complex_numIdEPKS1_S1_EviiT4_lPKT3_lilS7_lilPT5_i.uses_flat_scratch, 1
	.set _ZL23rocblas_gemvt_sn_kernelILb1ELi256ELi4El19rocblas_complex_numIdEPKS1_S1_EviiT4_lPKT3_lilS7_lilPT5_i.has_dyn_sized_stack, 0
	.set _ZL23rocblas_gemvt_sn_kernelILb1ELi256ELi4El19rocblas_complex_numIdEPKS1_S1_EviiT4_lPKT3_lilS7_lilPT5_i.has_recursion, 0
	.set _ZL23rocblas_gemvt_sn_kernelILb1ELi256ELi4El19rocblas_complex_numIdEPKS1_S1_EviiT4_lPKT3_lilS7_lilPT5_i.has_indirect_call, 0
	.section	.AMDGPU.csdata,"",@progbits
; Kernel info:
; codeLenInByte = 6156
; TotalNumSgprs: 76
; NumVgprs: 112
; ScratchSize: 80
; MemoryBound: 0
; FloatMode: 240
; IeeeMode: 1
; LDSByteSize: 512 bytes/workgroup (compile time only)
; SGPRBlocks: 0
; VGPRBlocks: 6
; NumSGPRsForWavesPerEU: 76
; NumVGPRsForWavesPerEU: 112
; NamedBarCnt: 0
; Occupancy: 9
; WaveLimiterHint : 0
; COMPUTE_PGM_RSRC2:SCRATCH_EN: 1
; COMPUTE_PGM_RSRC2:USER_SGPR: 2
; COMPUTE_PGM_RSRC2:TRAP_HANDLER: 0
; COMPUTE_PGM_RSRC2:TGID_X_EN: 1
; COMPUTE_PGM_RSRC2:TGID_Y_EN: 0
; COMPUTE_PGM_RSRC2:TGID_Z_EN: 1
; COMPUTE_PGM_RSRC2:TIDIG_COMP_CNT: 0
	.section	.text._ZL23rocblas_gemvt_sn_kernelILb1ELi256ELi4Ei19rocblas_complex_numIdES1_S1_EviiT4_lPKT3_lilS5_lilPT5_i,"axG",@progbits,_ZL23rocblas_gemvt_sn_kernelILb1ELi256ELi4Ei19rocblas_complex_numIdES1_S1_EviiT4_lPKT3_lilS5_lilPT5_i,comdat
	.globl	_ZL23rocblas_gemvt_sn_kernelILb1ELi256ELi4Ei19rocblas_complex_numIdES1_S1_EviiT4_lPKT3_lilS5_lilPT5_i ; -- Begin function _ZL23rocblas_gemvt_sn_kernelILb1ELi256ELi4Ei19rocblas_complex_numIdES1_S1_EviiT4_lPKT3_lilS5_lilPT5_i
	.p2align	8
	.type	_ZL23rocblas_gemvt_sn_kernelILb1ELi256ELi4Ei19rocblas_complex_numIdES1_S1_EviiT4_lPKT3_lilS5_lilPT5_i,@function
_ZL23rocblas_gemvt_sn_kernelILb1ELi256ELi4Ei19rocblas_complex_numIdES1_S1_EviiT4_lPKT3_lilS5_lilPT5_i: ; @_ZL23rocblas_gemvt_sn_kernelILb1ELi256ELi4Ei19rocblas_complex_numIdES1_S1_EviiT4_lPKT3_lilS5_lilPT5_i
; %bb.0:
	s_load_b32 s11, s[0:1], 0x68
	s_bfe_u32 s2, ttmp6, 0x40014
	s_lshr_b32 s3, ttmp7, 16
	s_add_co_i32 s2, s2, 1
	s_bfe_u32 s4, ttmp6, 0x40008
	s_mul_i32 s2, s3, s2
	s_getreg_b32 s25, hwreg(HW_REG_IB_STS2, 6, 4)
	s_add_co_i32 s4, s4, s2
	s_cmp_eq_u32 s25, 0
	s_mov_b32 s27, 0
	s_cselect_b32 s24, s3, s4
	s_wait_kmcnt 0x0
	s_cmp_ge_u32 s24, s11
	s_cbranch_scc1 .LBB182_80
; %bb.1:
	s_clause 0x7
	s_load_b128 s[12:15], s[0:1], 0x8
	s_load_b96 s[8:10], s[0:1], 0x48
	s_load_b128 s[4:7], s[0:1], 0x20
	s_load_b64 s[28:29], s[0:1], 0x0
	s_load_b128 s[16:19], s[0:1], 0x38
	s_load_b32 s33, s[0:1], 0x30
	s_load_b128 s[20:23], s[0:1], 0x58
	s_load_b32 s30, s[0:1], 0x70
	s_wait_xcnt 0x0
	v_cmp_eq_u32_e64 s0, 0, v0
	v_dual_lshrrev_b32 v3, 1, v0 :: v_dual_bitop2_b32 v1, 31, v0 bitop3:0x40
	v_cmp_gt_u32_e64 s1, 32, v0
	v_cmp_gt_u32_e64 s2, 8, v0
	s_delay_alu instid0(VALU_DEP_3) | instskip(NEXT) | instid1(VALU_DEP_4)
	v_dual_mov_b32 v2, 0 :: v_dual_lshlrev_b32 v47, 4, v1
	v_and_b32_e32 v48, 0x70, v3
	v_cmp_eq_u32_e64 s3, 0, v1
	v_mbcnt_lo_u32_b32 v46, -1, 0
	s_mov_b32 s31, s27
	s_mov_b32 s35, s27
	;; [unrolled: 1-line block ×3, first 2 shown]
	s_wait_kmcnt 0x0
	s_lshl_b64 s[8:9], s[8:9], 4
	s_lshl_b64 s[6:7], s[6:7], 4
	s_ashr_i32 s39, s29, 31
	s_add_nc_u64 s[4:5], s[4:5], s[6:7]
	s_add_nc_u64 s[18:19], s[18:19], s[8:9]
	v_cmp_eq_f64_e64 s26, s[12:13], 0
	v_cmp_eq_f64_e64 s34, s[14:15], 0
	s_mov_b32 s38, s29
	v_lshl_or_b32 v49, v46, 2, 64
	s_mul_u64 s[36:37], s[38:39], s[30:31]
	s_mov_b32 s63, 32
	s_mov_b32 s64, 48
	s_mul_i32 s67, s33, 3
	s_and_b32 s56, s26, s34
	s_cmp_gt_i32 s29, 0
	s_cselect_b32 s6, -1, 0
	s_bfe_u32 s7, ttmp6, 0x4000c
	s_and_b32 s8, ttmp6, 15
	s_add_co_i32 s7, s7, 1
	s_and_b32 s57, s0, s6
	s_mul_i32 s7, ttmp9, s7
	s_delay_alu instid0(SALU_CYCLE_1)
	s_add_co_i32 s8, s8, s7
	s_cmp_eq_u32 s25, 0
	s_cselect_b32 s34, ttmp9, s8
	s_ashr_i32 s7, s28, 31
	s_lshl_b32 s8, s34, 10
	s_lshr_b32 s7, s7, 30
	v_lshl_or_b32 v4, v0, 2, s8
	s_add_co_i32 s7, s28, s7
	s_lshr_b32 s6, s39, 30
	s_and_b32 s7, s7, -4
	s_add_co_i32 s6, s29, s6
	v_mul_lo_u32 v0, s10, v4
	s_sub_co_i32 s59, s28, s7
	v_dual_ashrrev_i32 v5, 31, v4 :: v_dual_add_nc_u32 v1, 4, v4
	s_and_b32 s58, s6, -4
	s_delay_alu instid0(SALU_CYCLE_1) | instskip(NEXT) | instid1(VALU_DEP_1)
	s_cmp_gt_i32 s58, 0
	v_lshl_add_u64 v[24:25], v[4:5], 4, s[4:5]
	s_cselect_b32 s60, -1, 0
	s_cmp_gt_i32 s59, 0
	v_cmp_ge_i32_e64 s4, s28, v1
	s_delay_alu instid0(VALU_DEP_4)
	v_add_nc_u32_e32 v22, s10, v0
	v_add_nc_u32_e32 v3, s59, v4
	v_add_nc_u64_e32 v[28:29], 8, v[24:25]
	s_cselect_b32 s61, -1, 0
	s_lshl_b64 s[38:39], s[34:35], 4
	v_add_nc_u32_e32 v26, s10, v22
	v_cmp_ge_i32_e64 s5, s28, v3
	s_add_nc_u64 s[6:7], s[22:23], s[38:39]
	s_or_b32 s65, 0, 8
	s_lshl_b64 s[40:41], s[36:37], 4
	v_dual_add_nc_u32 v30, s10, v26 :: v_dual_ashrrev_i32 v1, 31, v0
	v_ashrrev_i32_e32 v23, 31, v22
	v_ashrrev_i32_e32 v27, 31, v26
	s_lshl_b64 s[42:43], s[30:31], 4
	s_delay_alu instid0(VALU_DEP_3)
	v_ashrrev_i32_e32 v31, 31, v30
	s_lshl_b32 s35, s33, 2
	s_add_nc_u64 s[44:45], s[6:7], 8
	s_and_b32 s28, s61, s5
	s_lshl_b32 s66, s33, 1
	s_lshl_b64 s[46:47], s[16:17], 4
	s_branch .LBB182_3
.LBB182_2:                              ;   in Loop: Header=BB182_3 Depth=1
	s_add_co_i32 s24, s24, 0x10000
	s_delay_alu instid0(SALU_CYCLE_1)
	s_cmp_lt_u32 s24, s11
	s_cbranch_scc0 .LBB182_80
.LBB182_3:                              ; =>This Loop Header: Depth=1
                                        ;     Child Loop BB182_6 Depth 2
                                        ;     Child Loop BB182_12 Depth 2
                                        ;       Child Loop BB182_43 Depth 3
                                        ;       Child Loop BB182_45 Depth 3
                                        ;     Child Loop BB182_61 Depth 2
                                        ;       Child Loop BB182_73 Depth 3
                                        ;       Child Loop BB182_75 Depth 3
	s_mov_b32 s25, s27
	s_and_not1_b32 vcc_lo, exec_lo, s56
	s_mov_b32 s6, -1
	s_cbranch_vccnz .LBB182_8
; %bb.4:                                ;   in Loop: Header=BB182_3 Depth=1
	s_and_saveexec_b32 s8, s57
	s_cbranch_execz .LBB182_7
; %bb.5:                                ;   in Loop: Header=BB182_3 Depth=1
	s_mul_u64 s[6:7], s[40:41], s[24:25]
	s_mov_b32 s9, s29
	s_add_nc_u64 s[6:7], s[44:45], s[6:7]
.LBB182_6:                              ;   Parent Loop BB182_3 Depth=1
                                        ; =>  This Inner Loop Header: Depth=2
	s_wait_dscnt 0x0
	v_dual_mov_b32 v3, v2 :: v_dual_mov_b32 v4, v2
	v_mov_b32_e32 v5, v2
	s_add_co_i32 s9, s9, -1
	s_delay_alu instid0(SALU_CYCLE_1)
	s_cmp_eq_u32 s9, 0
	global_store_b128 v2, v[2:5], s[6:7] offset:-8
	s_wait_xcnt 0x0
	s_add_nc_u64 s[6:7], s[6:7], s[42:43]
	s_cbranch_scc0 .LBB182_6
.LBB182_7:                              ;   in Loop: Header=BB182_3 Depth=1
	s_or_b32 exec_lo, exec_lo, s8
	s_mov_b32 s6, 0
.LBB182_8:                              ;   in Loop: Header=BB182_3 Depth=1
	s_delay_alu instid0(SALU_CYCLE_1)
	s_and_not1_b32 vcc_lo, exec_lo, s6
	s_cbranch_vccnz .LBB182_2
; %bb.9:                                ;   in Loop: Header=BB182_3 Depth=1
	s_mul_u64 s[6:7], s[20:21], s[24:25]
	s_mul_u64 s[8:9], s[46:47], s[24:25]
	s_lshl_b64 s[6:7], s[6:7], 4
	s_mul_u64 s[50:51], s[16:17], s[24:25]
	s_add_nc_u64 s[48:49], s[18:19], s[6:7]
	v_add_nc_u64_e32 v[42:43], s[8:9], v[28:29]
	s_mul_u64 s[52:53], s[36:37], s[24:25]
	v_lshl_add_u64 v[32:33], s[50:51], 4, v[24:25]
	v_lshl_add_u64 v[34:35], v[0:1], 4, s[48:49]
	;; [unrolled: 1-line block ×5, first 2 shown]
	v_cmp_gt_u32_e64 s9, 24, v46
	v_cmp_gt_u32_e64 s8, 28, v46
	;; [unrolled: 1-line block ×3, first 2 shown]
	v_cmp_ne_u32_e64 s6, 31, v46
	s_lshl_b64 s[50:51], s[52:53], 4
	s_and_not1_b32 vcc_lo, exec_lo, s60
	s_add_nc_u64 s[50:51], s[22:23], s[50:51]
	s_cbranch_vccnz .LBB182_57
; %bb.10:                               ;   in Loop: Header=BB182_3 Depth=1
	v_cndmask_b32_e64 v3, 0, 8, s9
	s_wait_dscnt 0x0
	v_cndmask_b32_e64 v4, 0, 4, s8
	v_cndmask_b32_e64 v5, 0, 2, s7
	v_add_co_ci_u32_e64 v6, null, 0, v46, s6
	v_add_lshl_u32 v50, v3, v46, 2
	s_delay_alu instid0(VALU_DEP_4) | instskip(NEXT) | instid1(VALU_DEP_4)
	v_add_lshl_u32 v51, v4, v46, 2
	v_add_lshl_u32 v52, v5, v46, 2
	s_delay_alu instid0(VALU_DEP_4)
	v_lshlrev_b32_e32 v53, 2, v6
	s_mov_b32 s6, 0
	s_mov_b32 s25, s67
	;; [unrolled: 1-line block ×5, first 2 shown]
	s_branch .LBB182_12
.LBB182_11:                             ;   in Loop: Header=BB182_12 Depth=2
	s_wait_xcnt 0x0
	s_or_b32 exec_lo, exec_lo, s7
	s_add_co_i32 s26, s26, 4
	s_add_co_i32 s69, s69, s35
	;; [unrolled: 1-line block ×5, first 2 shown]
	s_cmp_ge_i32 s26, s58
	s_cbranch_scc1 .LBB182_58
.LBB182_12:                             ;   Parent Loop BB182_3 Depth=1
                                        ; =>  This Loop Header: Depth=2
                                        ;       Child Loop BB182_43 Depth 3
                                        ;       Child Loop BB182_45 Depth 3
                                        ; implicit-def: $vgpr18_vgpr19
                                        ; implicit-def: $vgpr20_vgpr21
                                        ; implicit-def: $vgpr14_vgpr15
                                        ; implicit-def: $vgpr16_vgpr17
                                        ; implicit-def: $vgpr10_vgpr11
                                        ; implicit-def: $vgpr12_vgpr13
                                        ; implicit-def: $vgpr8_vgpr9
                                        ; implicit-def: $vgpr6_vgpr7
	s_and_saveexec_b32 s7, s4
	s_delay_alu instid0(SALU_CYCLE_1)
	s_xor_b32 s7, exec_lo, s7
	s_cbranch_execnz .LBB182_39
; %bb.13:                               ;   in Loop: Header=BB182_12 Depth=2
	s_and_not1_saveexec_b32 s70, s7
	s_cbranch_execnz .LBB182_40
.LBB182_14:                             ;   in Loop: Header=BB182_12 Depth=2
	s_or_b32 exec_lo, exec_lo, s70
	s_and_saveexec_b32 s7, s1
.LBB182_15:                             ;   in Loop: Header=BB182_12 Depth=2
	v_dual_mov_b32 v3, v2 :: v_dual_mov_b32 v4, v2
	v_mov_b32_e32 v5, v2
	ds_store_b128 v47, v[2:5]
.LBB182_16:                             ;   in Loop: Header=BB182_12 Depth=2
	s_or_b32 exec_lo, exec_lo, s7
	ds_bpermute_b32 v4, v49, v8
	ds_bpermute_b32 v5, v49, v9
	;; [unrolled: 1-line block ×4, first 2 shown]
	s_wait_storecnt_dscnt 0x0
	s_barrier_signal -1
	s_barrier_wait -1
	v_add_f64_e32 v[4:5], v[8:9], v[4:5]
	v_add_f64_e32 v[6:7], v[6:7], v[44:45]
	ds_bpermute_b32 v8, v50, v4
	ds_bpermute_b32 v9, v50, v5
	ds_bpermute_b32 v44, v50, v6
	ds_bpermute_b32 v45, v50, v7
	s_wait_dscnt 0x2
	v_add_f64_e32 v[4:5], v[4:5], v[8:9]
	s_wait_dscnt 0x0
	v_add_f64_e32 v[6:7], v[6:7], v[44:45]
	ds_bpermute_b32 v8, v51, v4
	ds_bpermute_b32 v9, v51, v5
	ds_bpermute_b32 v44, v51, v6
	ds_bpermute_b32 v45, v51, v7
	s_wait_dscnt 0x2
	v_add_f64_e32 v[4:5], v[4:5], v[8:9]
	s_wait_dscnt 0x0
	;; [unrolled: 8-line block ×3, first 2 shown]
	v_add_f64_e32 v[8:9], v[6:7], v[44:45]
	ds_bpermute_b32 v6, v53, v4
	ds_bpermute_b32 v7, v53, v5
	;; [unrolled: 1-line block ×4, first 2 shown]
	s_and_saveexec_b32 s7, s3
	s_cbranch_execz .LBB182_18
; %bb.17:                               ;   in Loop: Header=BB182_12 Depth=2
	s_wait_dscnt 0x0
	v_add_f64_e32 v[8:9], v[8:9], v[44:45]
	v_add_f64_e32 v[6:7], v[4:5], v[6:7]
	ds_store_b128 v48, v[6:9]
.LBB182_18:                             ;   in Loop: Header=BB182_12 Depth=2
	s_or_b32 exec_lo, exec_lo, s7
	v_mov_b64_e32 v[8:9], 0
	s_wait_dscnt 0x2
	v_mov_b64_e32 v[6:7], 0
	s_wait_dscnt 0x0
	s_barrier_signal -1
	s_barrier_wait -1
	s_and_saveexec_b32 s7, s2
	s_cbranch_execnz .LBB182_46
; %bb.19:                               ;   in Loop: Header=BB182_12 Depth=2
	s_or_b32 exec_lo, exec_lo, s7
	s_and_saveexec_b32 s7, s1
	s_cbranch_execnz .LBB182_47
.LBB182_20:                             ;   in Loop: Header=BB182_12 Depth=2
	s_or_b32 exec_lo, exec_lo, s7
	s_and_saveexec_b32 s7, s1
.LBB182_21:                             ;   in Loop: Header=BB182_12 Depth=2
	v_dual_mov_b32 v3, v2 :: v_dual_mov_b32 v4, v2
	v_mov_b32_e32 v5, v2
	ds_store_b128 v47, v[2:5]
.LBB182_22:                             ;   in Loop: Header=BB182_12 Depth=2
	s_or_b32 exec_lo, exec_lo, s7
	ds_bpermute_b32 v4, v49, v10
	ds_bpermute_b32 v5, v49, v11
	ds_bpermute_b32 v44, v49, v12
	ds_bpermute_b32 v45, v49, v13
	s_wait_dscnt 0x0
	s_barrier_signal -1
	s_barrier_wait -1
	v_add_f64_e32 v[4:5], v[10:11], v[4:5]
	v_add_f64_e32 v[10:11], v[12:13], v[44:45]
	ds_bpermute_b32 v12, v50, v4
	ds_bpermute_b32 v13, v50, v5
	ds_bpermute_b32 v44, v50, v10
	ds_bpermute_b32 v45, v50, v11
	s_wait_dscnt 0x2
	v_add_f64_e32 v[4:5], v[4:5], v[12:13]
	s_wait_dscnt 0x0
	v_add_f64_e32 v[10:11], v[10:11], v[44:45]
	ds_bpermute_b32 v12, v51, v4
	ds_bpermute_b32 v13, v51, v5
	ds_bpermute_b32 v44, v51, v10
	ds_bpermute_b32 v45, v51, v11
	s_wait_dscnt 0x2
	v_add_f64_e32 v[4:5], v[4:5], v[12:13]
	s_wait_dscnt 0x0
	;; [unrolled: 8-line block ×3, first 2 shown]
	v_add_f64_e32 v[12:13], v[10:11], v[44:45]
	ds_bpermute_b32 v10, v53, v4
	ds_bpermute_b32 v11, v53, v5
	;; [unrolled: 1-line block ×4, first 2 shown]
	s_and_saveexec_b32 s7, s3
	s_cbranch_execz .LBB182_24
; %bb.23:                               ;   in Loop: Header=BB182_12 Depth=2
	s_wait_dscnt 0x0
	v_add_f64_e32 v[12:13], v[12:13], v[44:45]
	v_add_f64_e32 v[10:11], v[4:5], v[10:11]
	ds_store_b128 v48, v[10:13]
.LBB182_24:                             ;   in Loop: Header=BB182_12 Depth=2
	s_or_b32 exec_lo, exec_lo, s7
	v_mov_b64_e32 v[12:13], 0
	s_wait_dscnt 0x2
	v_mov_b64_e32 v[10:11], 0
	s_wait_dscnt 0x0
	s_barrier_signal -1
	s_barrier_wait -1
	s_and_saveexec_b32 s7, s2
	s_cbranch_execnz .LBB182_48
; %bb.25:                               ;   in Loop: Header=BB182_12 Depth=2
	s_or_b32 exec_lo, exec_lo, s7
	s_and_saveexec_b32 s7, s1
	s_cbranch_execnz .LBB182_49
.LBB182_26:                             ;   in Loop: Header=BB182_12 Depth=2
	s_or_b32 exec_lo, exec_lo, s7
	s_and_saveexec_b32 s7, s1
.LBB182_27:                             ;   in Loop: Header=BB182_12 Depth=2
	v_dual_mov_b32 v3, v2 :: v_dual_mov_b32 v4, v2
	v_mov_b32_e32 v5, v2
	ds_store_b128 v47, v[2:5]
.LBB182_28:                             ;   in Loop: Header=BB182_12 Depth=2
	s_or_b32 exec_lo, exec_lo, s7
	ds_bpermute_b32 v4, v49, v14
	ds_bpermute_b32 v5, v49, v15
	;; [unrolled: 1-line block ×4, first 2 shown]
	s_wait_dscnt 0x0
	s_barrier_signal -1
	s_barrier_wait -1
	v_add_f64_e32 v[4:5], v[14:15], v[4:5]
	v_add_f64_e32 v[14:15], v[16:17], v[44:45]
	ds_bpermute_b32 v16, v50, v4
	ds_bpermute_b32 v17, v50, v5
	ds_bpermute_b32 v44, v50, v14
	ds_bpermute_b32 v45, v50, v15
	s_wait_dscnt 0x2
	v_add_f64_e32 v[4:5], v[4:5], v[16:17]
	s_wait_dscnt 0x0
	v_add_f64_e32 v[14:15], v[14:15], v[44:45]
	ds_bpermute_b32 v16, v51, v4
	ds_bpermute_b32 v17, v51, v5
	ds_bpermute_b32 v44, v51, v14
	ds_bpermute_b32 v45, v51, v15
	s_wait_dscnt 0x2
	v_add_f64_e32 v[4:5], v[4:5], v[16:17]
	s_wait_dscnt 0x0
	;; [unrolled: 8-line block ×3, first 2 shown]
	v_add_f64_e32 v[16:17], v[14:15], v[44:45]
	ds_bpermute_b32 v14, v53, v4
	ds_bpermute_b32 v15, v53, v5
	;; [unrolled: 1-line block ×4, first 2 shown]
	s_and_saveexec_b32 s7, s3
	s_cbranch_execz .LBB182_30
; %bb.29:                               ;   in Loop: Header=BB182_12 Depth=2
	s_wait_dscnt 0x0
	v_add_f64_e32 v[16:17], v[16:17], v[44:45]
	v_add_f64_e32 v[14:15], v[4:5], v[14:15]
	ds_store_b128 v48, v[14:17]
.LBB182_30:                             ;   in Loop: Header=BB182_12 Depth=2
	s_or_b32 exec_lo, exec_lo, s7
	v_mov_b64_e32 v[16:17], 0
	s_wait_dscnt 0x2
	v_mov_b64_e32 v[14:15], 0
	s_wait_dscnt 0x0
	s_barrier_signal -1
	s_barrier_wait -1
	s_and_saveexec_b32 s7, s2
	s_cbranch_execnz .LBB182_50
; %bb.31:                               ;   in Loop: Header=BB182_12 Depth=2
	s_or_b32 exec_lo, exec_lo, s7
	s_and_saveexec_b32 s7, s1
	s_cbranch_execnz .LBB182_51
.LBB182_32:                             ;   in Loop: Header=BB182_12 Depth=2
	s_or_b32 exec_lo, exec_lo, s7
	s_and_saveexec_b32 s7, s1
.LBB182_33:                             ;   in Loop: Header=BB182_12 Depth=2
	v_dual_mov_b32 v3, v2 :: v_dual_mov_b32 v4, v2
	v_mov_b32_e32 v5, v2
	ds_store_b128 v47, v[2:5]
.LBB182_34:                             ;   in Loop: Header=BB182_12 Depth=2
	s_or_b32 exec_lo, exec_lo, s7
	ds_bpermute_b32 v4, v49, v18
	ds_bpermute_b32 v5, v49, v19
	;; [unrolled: 1-line block ×4, first 2 shown]
	s_wait_dscnt 0x0
	s_barrier_signal -1
	s_barrier_wait -1
	v_add_f64_e32 v[4:5], v[18:19], v[4:5]
	v_add_f64_e32 v[18:19], v[20:21], v[44:45]
	ds_bpermute_b32 v20, v50, v4
	ds_bpermute_b32 v21, v50, v5
	ds_bpermute_b32 v44, v50, v18
	ds_bpermute_b32 v45, v50, v19
	s_wait_dscnt 0x2
	v_add_f64_e32 v[4:5], v[4:5], v[20:21]
	s_wait_dscnt 0x0
	v_add_f64_e32 v[18:19], v[18:19], v[44:45]
	ds_bpermute_b32 v20, v51, v4
	ds_bpermute_b32 v21, v51, v5
	ds_bpermute_b32 v44, v51, v18
	ds_bpermute_b32 v45, v51, v19
	s_wait_dscnt 0x2
	v_add_f64_e32 v[4:5], v[4:5], v[20:21]
	s_wait_dscnt 0x0
	;; [unrolled: 8-line block ×3, first 2 shown]
	v_add_f64_e32 v[20:21], v[18:19], v[44:45]
	ds_bpermute_b32 v18, v53, v4
	ds_bpermute_b32 v19, v53, v5
	;; [unrolled: 1-line block ×4, first 2 shown]
	s_and_saveexec_b32 s7, s3
	s_cbranch_execz .LBB182_36
; %bb.35:                               ;   in Loop: Header=BB182_12 Depth=2
	s_wait_dscnt 0x0
	v_add_f64_e32 v[20:21], v[20:21], v[44:45]
	v_add_f64_e32 v[18:19], v[4:5], v[18:19]
	ds_store_b128 v48, v[18:21]
.LBB182_36:                             ;   in Loop: Header=BB182_12 Depth=2
	s_or_b32 exec_lo, exec_lo, s7
	v_mov_b64_e32 v[20:21], 0
	s_wait_dscnt 0x2
	v_mov_b64_e32 v[18:19], 0
	s_wait_dscnt 0x0
	s_barrier_signal -1
	s_barrier_wait -1
	s_and_saveexec_b32 s7, s2
	s_cbranch_execnz .LBB182_52
; %bb.37:                               ;   in Loop: Header=BB182_12 Depth=2
	s_or_b32 exec_lo, exec_lo, s7
	s_and_saveexec_b32 s7, s1
	s_cbranch_execnz .LBB182_53
.LBB182_38:                             ;   in Loop: Header=BB182_12 Depth=2
	s_or_b32 exec_lo, exec_lo, s7
	s_and_saveexec_b32 s7, s0
	s_cbranch_execz .LBB182_11
	s_branch .LBB182_54
.LBB182_39:                             ;   in Loop: Header=BB182_12 Depth=2
	s_clause 0x2
	global_load_b128 v[4:7], v[36:37], off
	global_load_b128 v[8:11], v[38:39], off
	;; [unrolled: 1-line block ×3, first 2 shown]
	s_mul_i32 s8, s26, s33
	global_load_b128 v[54:57], v[34:35], off
	s_ashr_i32 s9, s8, 31
	s_add_co_i32 s52, s8, s33
	s_wait_dscnt 0x0
	v_lshl_add_u64 v[20:21], s[8:9], 4, v[32:33]
	s_ashr_i32 s53, s52, 31
	s_add_co_i32 s8, s52, s33
	v_lshl_add_u64 v[44:45], s[52:53], 4, v[32:33]
	s_add_co_i32 s52, s8, s33
	s_ashr_i32 s9, s8, 31
	s_ashr_i32 s53, s52, 31
	v_lshl_add_u64 v[110:111], s[8:9], 4, v[32:33]
	v_lshl_add_u64 v[114:115], s[52:53], 4, v[32:33]
	s_clause 0x4
	global_load_b128 v[16:19], v[20:21], off
	global_load_b128 v[58:61], v[44:45], off
	global_load_b128 v[62:65], v[110:111], off
	global_load_b128 v[66:69], v[114:115], off
	global_load_b128 v[70:73], v[20:21], off offset:16
	s_wait_loadcnt 0x8
	scratch_store_b128 off, v[4:7], s62
	scratch_load_b128 v[4:7], off, off offset:16
	s_clause 0x3
	global_load_b128 v[74:77], v[44:45], off offset:16
	global_load_b128 v[78:81], v[110:111], off offset:16
	global_load_b128 v[82:85], v[114:115], off offset:16
	global_load_b128 v[86:89], v[20:21], off offset:32
	s_wait_loadcnt 0xc
	scratch_store_b128 off, v[8:11], s63
	scratch_load_b128 v[8:11], off, off offset:32
	s_clause 0x3
	global_load_b128 v[90:93], v[44:45], off offset:32
	global_load_b128 v[94:97], v[110:111], off offset:32
	global_load_b128 v[98:101], v[114:115], off offset:32
	;; [unrolled: 8-line block ×3, first 2 shown]
	s_wait_loadcnt 0x13
	scratch_store_b128 off, v[54:57], off
	s_wait_loadcnt 0x12
	v_mul_f64_e32 v[20:21], v[56:57], v[18:19]
	v_mul_f64_e32 v[18:19], v[54:55], v[18:19]
	s_wait_loadcnt 0x11
	s_wait_xcnt 0x3
	v_mul_f64_e32 v[44:45], v[56:57], v[60:61]
	v_mul_f64_e32 v[60:61], v[54:55], v[60:61]
	s_wait_loadcnt 0x10
	v_mul_f64_e32 v[118:119], v[56:57], v[64:65]
	v_mul_f64_e32 v[64:65], v[54:55], v[64:65]
	s_wait_loadcnt 0xf
	v_mul_f64_e32 v[120:121], v[56:57], v[68:69]
	v_mul_f64_e32 v[68:69], v[54:55], v[68:69]
	v_fmac_f64_e32 v[20:21], v[54:55], v[16:17]
	v_fma_f64 v[16:17], v[56:57], v[16:17], -v[18:19]
	v_fmac_f64_e32 v[44:45], v[54:55], v[58:59]
	v_fma_f64 v[58:59], v[56:57], v[58:59], -v[60:61]
	;; [unrolled: 2-line block ×4, first 2 shown]
	v_add_f64_e32 v[20:21], 0, v[20:21]
	v_add_f64_e32 v[16:17], 0, v[16:17]
	;; [unrolled: 1-line block ×6, first 2 shown]
	s_wait_loadcnt 0xd
	v_mul_f64_e32 v[18:19], v[6:7], v[72:73]
	v_mul_f64_e32 v[72:73], v[4:5], v[72:73]
	s_wait_loadcnt 0xc
	v_mul_f64_e32 v[60:61], v[6:7], v[76:77]
	v_mul_f64_e32 v[76:77], v[4:5], v[76:77]
	;; [unrolled: 3-line block ×4, first 2 shown]
	s_wait_loadcnt 0x8
	v_mul_f64_e32 v[122:123], v[10:11], v[88:89]
	v_fmac_f64_e32 v[18:19], v[4:5], v[70:71]
	v_fma_f64 v[70:71], v[6:7], v[70:71], -v[72:73]
	v_mul_f64_e32 v[72:73], v[8:9], v[88:89]
	s_wait_loadcnt 0x7
	v_mul_f64_e32 v[88:89], v[10:11], v[92:93]
	v_fmac_f64_e32 v[60:61], v[4:5], v[74:75]
	v_fma_f64 v[74:75], v[6:7], v[74:75], -v[76:77]
	v_mul_f64_e32 v[76:77], v[8:9], v[92:93]
	;; [unrolled: 5-line block ×4, first 2 shown]
	v_add_f64_e32 v[82:83], 0, v[118:119]
	v_add_f64_e32 v[84:85], 0, v[120:121]
	s_wait_loadcnt 0x3
	v_mul_f64_e32 v[100:101], v[14:15], v[104:105]
	v_mul_f64_e32 v[104:105], v[12:13], v[104:105]
	s_wait_loadcnt 0x2
	v_mul_f64_e32 v[118:119], v[14:15], v[108:109]
	v_fmac_f64_e32 v[122:123], v[8:9], v[86:87]
	v_fma_f64 v[72:73], v[10:11], v[86:87], -v[72:73]
	v_mul_f64_e32 v[86:87], v[12:13], v[108:109]
	s_wait_loadcnt 0x1
	v_mul_f64_e32 v[108:109], v[14:15], v[112:113]
	v_fmac_f64_e32 v[88:89], v[8:9], v[90:91]
	v_fma_f64 v[76:77], v[10:11], v[90:91], -v[76:77]
	;; [unrolled: 5-line block ×3, first 2 shown]
	v_mul_f64_e32 v[94:95], v[12:13], v[116:117]
	v_fmac_f64_e32 v[96:97], v[8:9], v[98:99]
	v_add_f64_e32 v[8:9], v[20:21], v[18:19]
	v_fma_f64 v[6:7], v[10:11], v[98:99], -v[6:7]
	v_add_f64_e32 v[10:11], v[16:17], v[70:71]
	v_add_f64_e32 v[16:17], v[44:45], v[60:61]
	;; [unrolled: 1-line block ×7, first 2 shown]
	v_fmac_f64_e32 v[100:101], v[12:13], v[102:103]
	v_fma_f64 v[60:61], v[14:15], v[102:103], -v[104:105]
	v_fmac_f64_e32 v[118:119], v[12:13], v[106:107]
	v_fma_f64 v[62:63], v[14:15], v[106:107], -v[86:87]
	;; [unrolled: 2-line block ×4, first 2 shown]
	v_add_f64_e32 v[8:9], v[8:9], v[122:123]
	v_add_f64_e32 v[10:11], v[10:11], v[72:73]
	;; [unrolled: 1-line block ×16, first 2 shown]
	s_wait_xcnt 0x0
	s_and_not1_saveexec_b32 s70, s7
	s_cbranch_execz .LBB182_14
.LBB182_40:                             ;   in Loop: Header=BB182_12 Depth=2
	s_wait_dscnt 0x0
	v_mov_b64_e32 v[18:19], 0
	v_mov_b64_e32 v[20:21], 0
	;; [unrolled: 1-line block ×8, first 2 shown]
	s_and_saveexec_b32 s71, s5
	s_cbranch_execz .LBB182_56
; %bb.41:                               ;   in Loop: Header=BB182_12 Depth=2
	s_and_not1_b32 vcc_lo, exec_lo, s61
	s_cbranch_vccnz .LBB182_55
; %bb.42:                               ;   in Loop: Header=BB182_12 Depth=2
	v_mov_b32_e32 v3, v0
	s_mov_b32 s7, 0
	s_mov_b32 s8, s59
.LBB182_43:                             ;   Parent Loop BB182_3 Depth=1
                                        ;     Parent Loop BB182_12 Depth=2
                                        ; =>    This Inner Loop Header: Depth=3
	global_load_b128 v[4:7], v3, s[48:49] scale_offset
	s_wait_xcnt 0x0
	v_add_nc_u32_e32 v3, s10, v3
	s_add_co_i32 s8, s8, -1
	s_wait_loadcnt 0x0
	scratch_store_b128 off, v[4:7], s7
	s_wait_xcnt 0x0
	s_add_co_i32 s7, s7, 16
	s_cmp_eq_u32 s8, 0
	s_cbranch_scc0 .LBB182_43
; %bb.44:                               ;   in Loop: Header=BB182_12 Depth=2
	s_ashr_i32 s7, s6, 31
	v_mov_b64_e32 v[6:7], 0
	v_mov_b64_e32 v[8:9], 0
	;; [unrolled: 1-line block ×8, first 2 shown]
	v_lshl_add_u64 v[4:5], s[6:7], 4, v[42:43]
	s_mov_b32 s7, s65
	s_mov_b32 s8, s25
	;; [unrolled: 1-line block ×5, first 2 shown]
.LBB182_45:                             ;   Parent Loop BB182_3 Depth=1
                                        ;     Parent Loop BB182_12 Depth=2
                                        ; =>    This Inner Loop Header: Depth=3
	s_ashr_i32 s55, s54, 31
	s_ashr_i32 s53, s52, 31
	;; [unrolled: 1-line block ×3, first 2 shown]
	v_lshl_add_u64 v[44:45], s[54:55], 4, v[32:33]
	s_wait_xcnt 0x1
	v_lshl_add_u64 v[66:67], s[52:53], 4, v[32:33]
	s_wait_xcnt 0x0
	v_lshl_add_u64 v[70:71], s[8:9], 4, v[32:33]
	scratch_load_b128 v[54:57], off, s7 offset:-8
	global_load_b128 v[58:61], v[4:5], off offset:-8
	s_clause 0x2
	global_load_b128 v[62:65], v[44:45], off
	global_load_b128 v[66:69], v[66:67], off
	;; [unrolled: 1-line block ×3, first 2 shown]
	s_wait_xcnt 0x3
	v_add_nc_u64_e32 v[4:5], 16, v[4:5]
	s_add_co_i32 s72, s72, -1
	s_add_co_i32 s7, s7, 16
	s_add_co_i32 s54, s54, 1
	;; [unrolled: 1-line block ×4, first 2 shown]
	s_cmp_lg_u32 s72, 0
	s_wait_loadcnt 0x3
	s_wait_xcnt 0x2
	v_mul_f64_e32 v[44:45], v[56:57], v[60:61]
	v_mul_f64_e32 v[60:61], v[54:55], v[60:61]
	s_wait_loadcnt 0x2
	v_mul_f64_e32 v[74:75], v[56:57], v[64:65]
	v_mul_f64_e32 v[64:65], v[54:55], v[64:65]
	s_wait_loadcnt 0x1
	;; [unrolled: 3-line block ×3, first 2 shown]
	v_mul_f64_e32 v[78:79], v[56:57], v[72:73]
	v_mul_f64_e32 v[72:73], v[54:55], v[72:73]
	v_fmac_f64_e32 v[44:45], v[54:55], v[58:59]
	v_fma_f64 v[58:59], v[56:57], v[58:59], -v[60:61]
	v_fmac_f64_e32 v[74:75], v[54:55], v[62:63]
	v_fma_f64 v[60:61], v[56:57], v[62:63], -v[64:65]
	;; [unrolled: 2-line block ×4, first 2 shown]
	v_add_f64_e32 v[8:9], v[8:9], v[44:45]
	v_add_f64_e32 v[6:7], v[6:7], v[58:59]
	;; [unrolled: 1-line block ×8, first 2 shown]
	s_cbranch_scc1 .LBB182_45
	s_branch .LBB182_56
.LBB182_46:                             ;   in Loop: Header=BB182_12 Depth=2
	ds_load_b128 v[6:9], v47
	s_or_b32 exec_lo, exec_lo, s7
	s_and_saveexec_b32 s7, s1
	s_cbranch_execz .LBB182_20
.LBB182_47:                             ;   in Loop: Header=BB182_12 Depth=2
	s_wait_dscnt 0x0
	ds_bpermute_b32 v4, v51, v6
	ds_bpermute_b32 v5, v51, v7
	ds_bpermute_b32 v44, v51, v8
	ds_bpermute_b32 v45, v51, v9
	s_wait_dscnt 0x2
	v_add_f64_e32 v[4:5], v[6:7], v[4:5]
	s_wait_dscnt 0x0
	v_add_f64_e32 v[6:7], v[8:9], v[44:45]
	ds_bpermute_b32 v8, v52, v4
	ds_bpermute_b32 v9, v52, v5
	ds_bpermute_b32 v44, v52, v6
	ds_bpermute_b32 v45, v52, v7
	s_wait_dscnt 0x2
	v_add_f64_e32 v[4:5], v[4:5], v[8:9]
	s_wait_dscnt 0x0
	v_add_f64_e32 v[8:9], v[6:7], v[44:45]
	ds_bpermute_b32 v6, v53, v4
	ds_bpermute_b32 v7, v53, v5
	ds_bpermute_b32 v44, v53, v8
	ds_bpermute_b32 v45, v53, v9
	s_wait_dscnt 0x2
	v_add_f64_e32 v[6:7], v[4:5], v[6:7]
	s_wait_dscnt 0x0
	v_add_f64_e32 v[8:9], v[8:9], v[44:45]
	s_or_b32 exec_lo, exec_lo, s7
	s_and_saveexec_b32 s7, s1
	s_cbranch_execnz .LBB182_21
	s_branch .LBB182_22
.LBB182_48:                             ;   in Loop: Header=BB182_12 Depth=2
	ds_load_b128 v[10:13], v47
	s_or_b32 exec_lo, exec_lo, s7
	s_and_saveexec_b32 s7, s1
	s_cbranch_execz .LBB182_26
.LBB182_49:                             ;   in Loop: Header=BB182_12 Depth=2
	s_wait_dscnt 0x0
	ds_bpermute_b32 v4, v51, v10
	ds_bpermute_b32 v5, v51, v11
	ds_bpermute_b32 v44, v51, v12
	ds_bpermute_b32 v45, v51, v13
	s_wait_dscnt 0x2
	v_add_f64_e32 v[4:5], v[10:11], v[4:5]
	s_wait_dscnt 0x0
	v_add_f64_e32 v[10:11], v[12:13], v[44:45]
	ds_bpermute_b32 v12, v52, v4
	ds_bpermute_b32 v13, v52, v5
	ds_bpermute_b32 v44, v52, v10
	ds_bpermute_b32 v45, v52, v11
	s_wait_dscnt 0x2
	v_add_f64_e32 v[4:5], v[4:5], v[12:13]
	s_wait_dscnt 0x0
	v_add_f64_e32 v[12:13], v[10:11], v[44:45]
	;; [unrolled: 8-line block ×3, first 2 shown]
	s_or_b32 exec_lo, exec_lo, s7
	s_and_saveexec_b32 s7, s1
	s_cbranch_execnz .LBB182_27
	s_branch .LBB182_28
.LBB182_50:                             ;   in Loop: Header=BB182_12 Depth=2
	ds_load_b128 v[14:17], v47
	s_or_b32 exec_lo, exec_lo, s7
	s_and_saveexec_b32 s7, s1
	s_cbranch_execz .LBB182_32
.LBB182_51:                             ;   in Loop: Header=BB182_12 Depth=2
	s_wait_dscnt 0x0
	ds_bpermute_b32 v4, v51, v14
	ds_bpermute_b32 v5, v51, v15
	ds_bpermute_b32 v44, v51, v16
	ds_bpermute_b32 v45, v51, v17
	s_wait_dscnt 0x2
	v_add_f64_e32 v[4:5], v[14:15], v[4:5]
	s_wait_dscnt 0x0
	v_add_f64_e32 v[14:15], v[16:17], v[44:45]
	ds_bpermute_b32 v16, v52, v4
	ds_bpermute_b32 v17, v52, v5
	ds_bpermute_b32 v44, v52, v14
	ds_bpermute_b32 v45, v52, v15
	s_wait_dscnt 0x2
	v_add_f64_e32 v[4:5], v[4:5], v[16:17]
	s_wait_dscnt 0x0
	v_add_f64_e32 v[16:17], v[14:15], v[44:45]
	;; [unrolled: 8-line block ×3, first 2 shown]
	s_or_b32 exec_lo, exec_lo, s7
	s_and_saveexec_b32 s7, s1
	s_cbranch_execnz .LBB182_33
	s_branch .LBB182_34
.LBB182_52:                             ;   in Loop: Header=BB182_12 Depth=2
	ds_load_b128 v[18:21], v47
	s_or_b32 exec_lo, exec_lo, s7
	s_and_saveexec_b32 s7, s1
	s_cbranch_execz .LBB182_38
.LBB182_53:                             ;   in Loop: Header=BB182_12 Depth=2
	s_wait_dscnt 0x0
	ds_bpermute_b32 v4, v51, v18
	ds_bpermute_b32 v5, v51, v19
	ds_bpermute_b32 v44, v51, v20
	ds_bpermute_b32 v45, v51, v21
	s_wait_dscnt 0x2
	v_add_f64_e32 v[4:5], v[18:19], v[4:5]
	s_wait_dscnt 0x0
	v_add_f64_e32 v[18:19], v[20:21], v[44:45]
	ds_bpermute_b32 v20, v52, v4
	ds_bpermute_b32 v21, v52, v5
	ds_bpermute_b32 v44, v52, v18
	ds_bpermute_b32 v45, v52, v19
	s_wait_dscnt 0x2
	v_add_f64_e32 v[4:5], v[4:5], v[20:21]
	s_wait_dscnt 0x0
	v_add_f64_e32 v[20:21], v[18:19], v[44:45]
	;; [unrolled: 8-line block ×3, first 2 shown]
	s_or_b32 exec_lo, exec_lo, s7
	s_and_saveexec_b32 s7, s0
	s_cbranch_execz .LBB182_11
.LBB182_54:                             ;   in Loop: Header=BB182_12 Depth=2
	s_mul_i32 s8, s26, s30
	v_mul_f64_e32 v[58:59], s[14:15], v[16:17]
	s_add_co_i32 s8, s8, s34
	s_delay_alu instid0(SALU_CYCLE_1)
	v_dual_mul_f64 v[4:5], s[14:15], v[8:9] :: v_dual_mov_b32 v3, s8
	s_add_co_i32 s9, s8, s30
	v_mul_f64_e32 v[56:57], s[12:13], v[8:9]
	s_add_co_i32 s8, s9, s30
	v_mul_f64_e32 v[44:45], s[14:15], v[12:13]
	s_wait_dscnt 0x0
	v_mul_f64_e32 v[60:61], s[14:15], v[20:21]
	s_delay_alu instid0(VALU_DEP_4)
	v_dual_fma_f64 v[54:55], s[12:13], v[6:7], -v[4:5] :: v_dual_mov_b32 v4, s9
	s_add_co_i32 s9, s8, s30
	v_mul_f64_e32 v[8:9], s[12:13], v[12:13]
	v_mul_f64_e32 v[12:13], s[12:13], v[16:17]
	;; [unrolled: 1-line block ×3, first 2 shown]
	v_fmac_f64_e32 v[56:57], s[14:15], v[6:7]
	v_dual_fma_f64 v[6:7], s[12:13], v[10:11], -v[44:45] :: v_dual_mov_b32 v5, s8
	v_fmac_f64_e32 v[8:9], s[14:15], v[10:11]
	v_fma_f64 v[10:11], s[12:13], v[14:15], -v[58:59]
	v_fmac_f64_e32 v[12:13], s[14:15], v[14:15]
	v_fma_f64 v[14:15], s[12:13], v[18:19], -v[60:61]
	v_fmac_f64_e32 v[16:17], s[14:15], v[18:19]
	v_mov_b32_e32 v18, s9
	s_clause 0x3
	global_store_b128 v3, v[54:57], s[50:51] scale_offset
	global_store_b128 v4, v[6:9], s[50:51] scale_offset
	;; [unrolled: 1-line block ×4, first 2 shown]
	s_branch .LBB182_11
.LBB182_55:                             ;   in Loop: Header=BB182_12 Depth=2
	v_mov_b64_e32 v[18:19], 0
	v_mov_b64_e32 v[20:21], 0
	;; [unrolled: 1-line block ×8, first 2 shown]
.LBB182_56:                             ;   in Loop: Header=BB182_12 Depth=2
	s_wait_xcnt 0x0
	s_or_b32 exec_lo, exec_lo, s71
	s_delay_alu instid0(SALU_CYCLE_1)
	s_or_b32 exec_lo, exec_lo, s70
	s_and_saveexec_b32 s7, s1
	s_cbranch_execnz .LBB182_15
	s_branch .LBB182_16
.LBB182_57:                             ;   in Loop: Header=BB182_3 Depth=1
	s_mov_b32 s26, 0
.LBB182_58:                             ;   in Loop: Header=BB182_3 Depth=1
	s_delay_alu instid0(SALU_CYCLE_1)
	s_cmp_ge_i32 s26, s29
	s_cbranch_scc1 .LBB182_2
; %bb.59:                               ;   in Loop: Header=BB182_3 Depth=1
	v_cmp_gt_u32_e32 vcc_lo, 24, v46
	s_add_nc_u64 s[6:7], s[50:51], s[38:39]
	s_mul_i32 s8, s33, s26
	v_cndmask_b32_e64 v3, 0, 8, vcc_lo
	v_cmp_gt_u32_e32 vcc_lo, 28, v46
	s_delay_alu instid0(VALU_DEP_2) | instskip(SKIP_3) | instid1(VALU_DEP_2)
	v_add_lshl_u32 v12, v3, v46, 2
	s_wait_dscnt 0x0
	v_cndmask_b32_e64 v4, 0, 4, vcc_lo
	v_cmp_gt_u32_e32 vcc_lo, 30, v46
	v_add_lshl_u32 v13, v4, v46, 2
	v_cndmask_b32_e64 v5, 0, 2, vcc_lo
	v_cmp_ne_u32_e32 vcc_lo, 31, v46
	s_delay_alu instid0(VALU_DEP_2) | instskip(SKIP_1) | instid1(VALU_DEP_1)
	v_add_lshl_u32 v14, v5, v46, 2
	v_add_co_ci_u32_e64 v6, null, 0, v46, vcc_lo
	v_lshlrev_b32_e32 v15, 2, v6
	s_branch .LBB182_61
.LBB182_60:                             ;   in Loop: Header=BB182_61 Depth=2
	s_wait_xcnt 0x0
	s_or_b32 exec_lo, exec_lo, s9
	s_add_co_i32 s26, s26, 1
	s_add_co_i32 s8, s8, s33
	s_cmp_lt_i32 s26, s29
	s_cbranch_scc0 .LBB182_2
.LBB182_61:                             ;   Parent Loop BB182_3 Depth=1
                                        ; =>  This Loop Header: Depth=2
                                        ;       Child Loop BB182_73 Depth 3
                                        ;       Child Loop BB182_75 Depth 3
                                        ; implicit-def: $vgpr6_vgpr7
                                        ; implicit-def: $vgpr8_vgpr9
	s_and_saveexec_b32 s9, s4
	s_delay_alu instid0(SALU_CYCLE_1)
	s_xor_b32 s9, exec_lo, s9
	s_cbranch_execnz .LBB182_70
; %bb.62:                               ;   in Loop: Header=BB182_61 Depth=2
	s_and_not1_saveexec_b32 s25, s9
	s_cbranch_execnz .LBB182_71
.LBB182_63:                             ;   in Loop: Header=BB182_61 Depth=2
	s_or_b32 exec_lo, exec_lo, s25
	s_and_saveexec_b32 s9, s1
	s_cbranch_execz .LBB182_65
.LBB182_64:                             ;   in Loop: Header=BB182_61 Depth=2
	s_wait_dscnt 0x0
	v_dual_mov_b32 v3, v2 :: v_dual_mov_b32 v4, v2
	v_mov_b32_e32 v5, v2
	ds_store_b128 v47, v[2:5]
.LBB182_65:                             ;   in Loop: Header=BB182_61 Depth=2
	s_or_b32 exec_lo, exec_lo, s9
	s_wait_dscnt 0x0
	ds_bpermute_b32 v4, v49, v6
	ds_bpermute_b32 v5, v49, v7
	;; [unrolled: 1-line block ×4, first 2 shown]
	s_wait_storecnt_dscnt 0x0
	s_barrier_signal -1
	s_barrier_wait -1
	v_add_f64_e32 v[4:5], v[6:7], v[4:5]
	v_add_f64_e32 v[6:7], v[8:9], v[10:11]
	ds_bpermute_b32 v8, v12, v4
	ds_bpermute_b32 v9, v12, v5
	ds_bpermute_b32 v10, v12, v6
	ds_bpermute_b32 v11, v12, v7
	s_wait_dscnt 0x2
	v_add_f64_e32 v[4:5], v[4:5], v[8:9]
	s_wait_dscnt 0x0
	v_add_f64_e32 v[6:7], v[6:7], v[10:11]
	ds_bpermute_b32 v8, v13, v4
	ds_bpermute_b32 v9, v13, v5
	ds_bpermute_b32 v10, v13, v6
	ds_bpermute_b32 v11, v13, v7
	s_wait_dscnt 0x2
	v_add_f64_e32 v[4:5], v[4:5], v[8:9]
	s_wait_dscnt 0x0
	;; [unrolled: 8-line block ×3, first 2 shown]
	v_add_f64_e32 v[8:9], v[6:7], v[10:11]
	ds_bpermute_b32 v6, v15, v4
	ds_bpermute_b32 v7, v15, v5
	;; [unrolled: 1-line block ×4, first 2 shown]
	s_and_saveexec_b32 s9, s3
	s_cbranch_execz .LBB182_67
; %bb.66:                               ;   in Loop: Header=BB182_61 Depth=2
	s_wait_dscnt 0x0
	v_add_f64_e32 v[8:9], v[8:9], v[10:11]
	v_add_f64_e32 v[6:7], v[4:5], v[6:7]
	ds_store_b128 v48, v[6:9]
.LBB182_67:                             ;   in Loop: Header=BB182_61 Depth=2
	s_or_b32 exec_lo, exec_lo, s9
	s_wait_dscnt 0x2
	v_mov_b64_e32 v[6:7], 0
	v_mov_b64_e32 v[4:5], 0
	s_wait_dscnt 0x0
	s_barrier_signal -1
	s_barrier_wait -1
	s_and_saveexec_b32 s9, s2
	s_cbranch_execnz .LBB182_77
; %bb.68:                               ;   in Loop: Header=BB182_61 Depth=2
	s_or_b32 exec_lo, exec_lo, s9
	s_and_saveexec_b32 s9, s1
	s_cbranch_execnz .LBB182_78
.LBB182_69:                             ;   in Loop: Header=BB182_61 Depth=2
	s_or_b32 exec_lo, exec_lo, s9
	s_and_saveexec_b32 s9, s0
	s_cbranch_execz .LBB182_60
	s_branch .LBB182_79
.LBB182_70:                             ;   in Loop: Header=BB182_61 Depth=2
	s_wait_dscnt 0x0
	s_clause 0x1
	global_load_b128 v[4:7], v[36:37], off
	global_load_b128 v[8:11], v[38:39], off
	s_wait_dscnt 0x0
	global_load_b128 v[16:19], v[40:41], off
	s_mul_i32 s50, s26, s33
	s_delay_alu instid0(SALU_CYCLE_1) | instskip(NEXT) | instid1(SALU_CYCLE_1)
	s_ashr_i32 s51, s50, 31
	v_lshl_add_u64 v[20:21], s[50:51], 4, v[32:33]
	global_load_b128 v[50:53], v[34:35], off
	s_clause 0x1
	global_load_b128 v[54:57], v[20:21], off
	global_load_b128 v[58:61], v[20:21], off offset:16
	s_wait_loadcnt 0x5
	scratch_store_b128 off, v[4:7], s62
	s_wait_loadcnt 0x4
	scratch_store_b128 off, v[8:11], s63
	s_clause 0x1
	scratch_load_b128 v[4:7], off, off offset:16
	scratch_load_b128 v[8:11], off, off offset:32
	s_clause 0x1
	global_load_b128 v[62:65], v[20:21], off offset:32
	global_load_b128 v[66:69], v[20:21], off offset:48
	s_wait_loadcnt 0x7
	scratch_store_b128 off, v[16:19], s64
	scratch_load_b128 v[16:19], off, off offset:48
	s_wait_loadcnt 0x7
	scratch_store_b128 off, v[50:53], off
	s_wait_loadcnt 0x6
	v_mul_f64_e32 v[20:21], v[56:57], v[52:53]
	v_mul_f64_e32 v[44:45], v[56:57], v[50:51]
	s_delay_alu instid0(VALU_DEP_2) | instskip(NEXT) | instid1(VALU_DEP_2)
	v_fmac_f64_e32 v[20:21], v[54:55], v[50:51]
	v_fma_f64 v[44:45], v[54:55], v[52:53], -v[44:45]
	s_delay_alu instid0(VALU_DEP_2) | instskip(NEXT) | instid1(VALU_DEP_2)
	v_add_f64_e32 v[20:21], 0, v[20:21]
	v_add_f64_e32 v[44:45], 0, v[44:45]
	s_wait_loadcnt 0x4
	v_mul_f64_e32 v[54:55], v[60:61], v[6:7]
	v_mul_f64_e32 v[56:57], v[60:61], v[4:5]
	s_wait_loadcnt 0x2
	v_mul_f64_e32 v[60:61], v[64:65], v[10:11]
	v_mul_f64_e32 v[64:65], v[64:65], v[8:9]
	s_delay_alu instid0(VALU_DEP_4) | instskip(NEXT) | instid1(VALU_DEP_4)
	v_fmac_f64_e32 v[54:55], v[58:59], v[4:5]
	v_fma_f64 v[4:5], v[58:59], v[6:7], -v[56:57]
	s_wait_loadcnt 0x0
	v_mul_f64_e32 v[6:7], v[68:69], v[18:19]
	v_mul_f64_e32 v[56:57], v[68:69], v[16:17]
	v_fmac_f64_e32 v[60:61], v[62:63], v[8:9]
	v_fma_f64 v[8:9], v[62:63], v[10:11], -v[64:65]
	v_add_f64_e32 v[10:11], v[20:21], v[54:55]
	v_add_f64_e32 v[4:5], v[44:45], v[4:5]
	v_fmac_f64_e32 v[6:7], v[66:67], v[16:17]
	v_fma_f64 v[16:17], v[66:67], v[18:19], -v[56:57]
	s_delay_alu instid0(VALU_DEP_4) | instskip(NEXT) | instid1(VALU_DEP_4)
	v_add_f64_e32 v[10:11], v[10:11], v[60:61]
	v_add_f64_e32 v[4:5], v[4:5], v[8:9]
	s_delay_alu instid0(VALU_DEP_2) | instskip(NEXT) | instid1(VALU_DEP_2)
	v_add_f64_e32 v[6:7], v[10:11], v[6:7]
	v_add_f64_e32 v[8:9], v[4:5], v[16:17]
	s_wait_xcnt 0x0
	s_and_not1_saveexec_b32 s25, s9
	s_cbranch_execz .LBB182_63
.LBB182_71:                             ;   in Loop: Header=BB182_61 Depth=2
	s_wait_dscnt 0x0
	v_mov_b64_e32 v[6:7], 0
	v_mov_b64_e32 v[8:9], 0
	s_and_saveexec_b32 s50, s28
	s_cbranch_execz .LBB182_76
; %bb.72:                               ;   in Loop: Header=BB182_61 Depth=2
	v_mov_b32_e32 v3, v0
	s_mov_b32 s9, 0
	s_mov_b32 s51, s59
.LBB182_73:                             ;   Parent Loop BB182_3 Depth=1
                                        ;     Parent Loop BB182_61 Depth=2
                                        ; =>    This Inner Loop Header: Depth=3
	global_load_b128 v[4:7], v3, s[48:49] scale_offset
	s_wait_xcnt 0x0
	v_add_nc_u32_e32 v3, s10, v3
	s_add_co_i32 s51, s51, -1
	s_wait_loadcnt 0x0
	scratch_store_b128 off, v[4:7], s9
	s_wait_xcnt 0x0
	s_add_co_i32 s9, s9, 16
	s_cmp_eq_u32 s51, 0
	s_cbranch_scc0 .LBB182_73
; %bb.74:                               ;   in Loop: Header=BB182_61 Depth=2
	s_ashr_i32 s9, s8, 31
	v_mov_b64_e32 v[6:7], 0
	v_mov_b64_e32 v[8:9], 0
	v_lshl_add_u64 v[4:5], s[8:9], 4, v[42:43]
	s_mov_b32 s9, s65
	s_mov_b32 s51, s59
.LBB182_75:                             ;   Parent Loop BB182_3 Depth=1
                                        ;     Parent Loop BB182_61 Depth=2
                                        ; =>    This Inner Loop Header: Depth=3
	s_wait_dscnt 0x0
	global_load_b128 v[16:19], v[4:5], off offset:-8
	scratch_load_b128 v[50:53], off, s9 offset:-8
	s_wait_xcnt 0x1
	v_add_nc_u64_e32 v[4:5], 16, v[4:5]
	s_add_co_i32 s51, s51, -1
	s_wait_xcnt 0x0
	s_add_co_i32 s9, s9, 16
	s_cmp_lg_u32 s51, 0
	s_wait_loadcnt 0x0
	v_mul_f64_e32 v[10:11], v[18:19], v[52:53]
	v_mul_f64_e32 v[18:19], v[18:19], v[50:51]
	s_delay_alu instid0(VALU_DEP_2) | instskip(NEXT) | instid1(VALU_DEP_2)
	v_fmac_f64_e32 v[10:11], v[16:17], v[50:51]
	v_fma_f64 v[16:17], v[16:17], v[52:53], -v[18:19]
	s_delay_alu instid0(VALU_DEP_2) | instskip(NEXT) | instid1(VALU_DEP_2)
	v_add_f64_e32 v[6:7], v[6:7], v[10:11]
	v_add_f64_e32 v[8:9], v[8:9], v[16:17]
	s_cbranch_scc1 .LBB182_75
.LBB182_76:                             ;   in Loop: Header=BB182_61 Depth=2
	s_or_b32 exec_lo, exec_lo, s50
	s_delay_alu instid0(SALU_CYCLE_1)
	s_or_b32 exec_lo, exec_lo, s25
	s_and_saveexec_b32 s9, s1
	s_cbranch_execnz .LBB182_64
	s_branch .LBB182_65
.LBB182_77:                             ;   in Loop: Header=BB182_61 Depth=2
	ds_load_b128 v[4:7], v47
	s_or_b32 exec_lo, exec_lo, s9
	s_and_saveexec_b32 s9, s1
	s_cbranch_execz .LBB182_69
.LBB182_78:                             ;   in Loop: Header=BB182_61 Depth=2
	s_wait_dscnt 0x0
	ds_bpermute_b32 v8, v13, v4
	ds_bpermute_b32 v9, v13, v5
	ds_bpermute_b32 v10, v13, v6
	ds_bpermute_b32 v11, v13, v7
	s_wait_dscnt 0x2
	v_add_f64_e32 v[4:5], v[4:5], v[8:9]
	s_wait_dscnt 0x0
	v_add_f64_e32 v[6:7], v[6:7], v[10:11]
	ds_bpermute_b32 v8, v14, v4
	ds_bpermute_b32 v9, v14, v5
	ds_bpermute_b32 v10, v14, v6
	ds_bpermute_b32 v11, v14, v7
	s_wait_dscnt 0x2
	v_add_f64_e32 v[4:5], v[4:5], v[8:9]
	s_wait_dscnt 0x0
	v_add_f64_e32 v[6:7], v[6:7], v[10:11]
	;; [unrolled: 8-line block ×3, first 2 shown]
	s_or_b32 exec_lo, exec_lo, s9
	s_and_saveexec_b32 s9, s0
	s_cbranch_execz .LBB182_60
.LBB182_79:                             ;   in Loop: Header=BB182_61 Depth=2
	s_wait_dscnt 0x0
	s_delay_alu instid0(VALU_DEP_1) | instskip(SKIP_2) | instid1(SALU_CYCLE_1)
	v_mul_f64_e32 v[10:11], s[14:15], v[6:7]
	v_mul_f64_e32 v[8:9], s[12:13], v[6:7]
	s_mul_u64 s[50:51], s[26:27], s[30:31]
	s_lshl_b64 s[50:51], s[50:51], 4
	s_delay_alu instid0(SALU_CYCLE_1) | instskip(NEXT) | instid1(VALU_DEP_2)
	s_add_nc_u64 s[50:51], s[6:7], s[50:51]
	v_fma_f64 v[6:7], s[12:13], v[4:5], -v[10:11]
	s_delay_alu instid0(VALU_DEP_2)
	v_fmac_f64_e32 v[8:9], s[14:15], v[4:5]
	global_store_b128 v2, v[6:9], s[50:51]
	s_branch .LBB182_60
.LBB182_80:
	s_sendmsg sendmsg(MSG_DEALLOC_VGPRS)
	s_endpgm
	.section	.rodata,"a",@progbits
	.p2align	6, 0x0
	.amdhsa_kernel _ZL23rocblas_gemvt_sn_kernelILb1ELi256ELi4Ei19rocblas_complex_numIdES1_S1_EviiT4_lPKT3_lilS5_lilPT5_i
		.amdhsa_group_segment_fixed_size 512
		.amdhsa_private_segment_fixed_size 80
		.amdhsa_kernarg_size 368
		.amdhsa_user_sgpr_count 2
		.amdhsa_user_sgpr_dispatch_ptr 0
		.amdhsa_user_sgpr_queue_ptr 0
		.amdhsa_user_sgpr_kernarg_segment_ptr 1
		.amdhsa_user_sgpr_dispatch_id 0
		.amdhsa_user_sgpr_kernarg_preload_length 0
		.amdhsa_user_sgpr_kernarg_preload_offset 0
		.amdhsa_user_sgpr_private_segment_size 0
		.amdhsa_wavefront_size32 1
		.amdhsa_uses_dynamic_stack 0
		.amdhsa_enable_private_segment 1
		.amdhsa_system_sgpr_workgroup_id_x 1
		.amdhsa_system_sgpr_workgroup_id_y 0
		.amdhsa_system_sgpr_workgroup_id_z 1
		.amdhsa_system_sgpr_workgroup_info 0
		.amdhsa_system_vgpr_workitem_id 0
		.amdhsa_next_free_vgpr 124
		.amdhsa_next_free_sgpr 73
		.amdhsa_named_barrier_count 0
		.amdhsa_reserve_vcc 1
		.amdhsa_float_round_mode_32 0
		.amdhsa_float_round_mode_16_64 0
		.amdhsa_float_denorm_mode_32 3
		.amdhsa_float_denorm_mode_16_64 3
		.amdhsa_fp16_overflow 0
		.amdhsa_memory_ordered 1
		.amdhsa_forward_progress 1
		.amdhsa_inst_pref_size 48
		.amdhsa_round_robin_scheduling 0
		.amdhsa_exception_fp_ieee_invalid_op 0
		.amdhsa_exception_fp_denorm_src 0
		.amdhsa_exception_fp_ieee_div_zero 0
		.amdhsa_exception_fp_ieee_overflow 0
		.amdhsa_exception_fp_ieee_underflow 0
		.amdhsa_exception_fp_ieee_inexact 0
		.amdhsa_exception_int_div_zero 0
	.end_amdhsa_kernel
	.section	.text._ZL23rocblas_gemvt_sn_kernelILb1ELi256ELi4Ei19rocblas_complex_numIdES1_S1_EviiT4_lPKT3_lilS5_lilPT5_i,"axG",@progbits,_ZL23rocblas_gemvt_sn_kernelILb1ELi256ELi4Ei19rocblas_complex_numIdES1_S1_EviiT4_lPKT3_lilS5_lilPT5_i,comdat
.Lfunc_end182:
	.size	_ZL23rocblas_gemvt_sn_kernelILb1ELi256ELi4Ei19rocblas_complex_numIdES1_S1_EviiT4_lPKT3_lilS5_lilPT5_i, .Lfunc_end182-_ZL23rocblas_gemvt_sn_kernelILb1ELi256ELi4Ei19rocblas_complex_numIdES1_S1_EviiT4_lPKT3_lilS5_lilPT5_i
                                        ; -- End function
	.set _ZL23rocblas_gemvt_sn_kernelILb1ELi256ELi4Ei19rocblas_complex_numIdES1_S1_EviiT4_lPKT3_lilS5_lilPT5_i.num_vgpr, 124
	.set _ZL23rocblas_gemvt_sn_kernelILb1ELi256ELi4Ei19rocblas_complex_numIdES1_S1_EviiT4_lPKT3_lilS5_lilPT5_i.num_agpr, 0
	.set _ZL23rocblas_gemvt_sn_kernelILb1ELi256ELi4Ei19rocblas_complex_numIdES1_S1_EviiT4_lPKT3_lilS5_lilPT5_i.numbered_sgpr, 73
	.set _ZL23rocblas_gemvt_sn_kernelILb1ELi256ELi4Ei19rocblas_complex_numIdES1_S1_EviiT4_lPKT3_lilS5_lilPT5_i.num_named_barrier, 0
	.set _ZL23rocblas_gemvt_sn_kernelILb1ELi256ELi4Ei19rocblas_complex_numIdES1_S1_EviiT4_lPKT3_lilS5_lilPT5_i.private_seg_size, 80
	.set _ZL23rocblas_gemvt_sn_kernelILb1ELi256ELi4Ei19rocblas_complex_numIdES1_S1_EviiT4_lPKT3_lilS5_lilPT5_i.uses_vcc, 1
	.set _ZL23rocblas_gemvt_sn_kernelILb1ELi256ELi4Ei19rocblas_complex_numIdES1_S1_EviiT4_lPKT3_lilS5_lilPT5_i.uses_flat_scratch, 1
	.set _ZL23rocblas_gemvt_sn_kernelILb1ELi256ELi4Ei19rocblas_complex_numIdES1_S1_EviiT4_lPKT3_lilS5_lilPT5_i.has_dyn_sized_stack, 0
	.set _ZL23rocblas_gemvt_sn_kernelILb1ELi256ELi4Ei19rocblas_complex_numIdES1_S1_EviiT4_lPKT3_lilS5_lilPT5_i.has_recursion, 0
	.set _ZL23rocblas_gemvt_sn_kernelILb1ELi256ELi4Ei19rocblas_complex_numIdES1_S1_EviiT4_lPKT3_lilS5_lilPT5_i.has_indirect_call, 0
	.section	.AMDGPU.csdata,"",@progbits
; Kernel info:
; codeLenInByte = 6120
; TotalNumSgprs: 75
; NumVgprs: 124
; ScratchSize: 80
; MemoryBound: 0
; FloatMode: 240
; IeeeMode: 1
; LDSByteSize: 512 bytes/workgroup (compile time only)
; SGPRBlocks: 0
; VGPRBlocks: 7
; NumSGPRsForWavesPerEU: 75
; NumVGPRsForWavesPerEU: 124
; NamedBarCnt: 0
; Occupancy: 8
; WaveLimiterHint : 1
; COMPUTE_PGM_RSRC2:SCRATCH_EN: 1
; COMPUTE_PGM_RSRC2:USER_SGPR: 2
; COMPUTE_PGM_RSRC2:TRAP_HANDLER: 0
; COMPUTE_PGM_RSRC2:TGID_X_EN: 1
; COMPUTE_PGM_RSRC2:TGID_Y_EN: 0
; COMPUTE_PGM_RSRC2:TGID_Z_EN: 1
; COMPUTE_PGM_RSRC2:TIDIG_COMP_CNT: 0
	.section	.text._ZL23rocblas_gemvt_sn_kernelILb1ELi256ELi4El19rocblas_complex_numIdES1_S1_EviiT4_lPKT3_lilS5_lilPT5_i,"axG",@progbits,_ZL23rocblas_gemvt_sn_kernelILb1ELi256ELi4El19rocblas_complex_numIdES1_S1_EviiT4_lPKT3_lilS5_lilPT5_i,comdat
	.globl	_ZL23rocblas_gemvt_sn_kernelILb1ELi256ELi4El19rocblas_complex_numIdES1_S1_EviiT4_lPKT3_lilS5_lilPT5_i ; -- Begin function _ZL23rocblas_gemvt_sn_kernelILb1ELi256ELi4El19rocblas_complex_numIdES1_S1_EviiT4_lPKT3_lilS5_lilPT5_i
	.p2align	8
	.type	_ZL23rocblas_gemvt_sn_kernelILb1ELi256ELi4El19rocblas_complex_numIdES1_S1_EviiT4_lPKT3_lilS5_lilPT5_i,@function
_ZL23rocblas_gemvt_sn_kernelILb1ELi256ELi4El19rocblas_complex_numIdES1_S1_EviiT4_lPKT3_lilS5_lilPT5_i: ; @_ZL23rocblas_gemvt_sn_kernelILb1ELi256ELi4El19rocblas_complex_numIdES1_S1_EviiT4_lPKT3_lilS5_lilPT5_i
; %bb.0:
	s_load_b32 s33, s[0:1], 0x68
	s_bfe_u32 s2, ttmp6, 0x40014
	s_lshr_b32 s3, ttmp7, 16
	s_add_co_i32 s2, s2, 1
	s_bfe_u32 s4, ttmp6, 0x40008
	s_mul_i32 s2, s3, s2
	s_getreg_b32 s25, hwreg(HW_REG_IB_STS2, 6, 4)
	s_add_co_i32 s4, s4, s2
	s_cmp_eq_u32 s25, 0
	s_mov_b32 s11, 0
	s_cselect_b32 s24, s3, s4
	s_wait_kmcnt 0x0
	s_cmp_ge_u32 s24, s33
	s_cbranch_scc1 .LBB183_80
; %bb.1:
	s_clause 0x7
	s_load_b128 s[12:15], s[0:1], 0x8
	s_load_b32 s26, s[0:1], 0x30
	s_load_b96 s[8:10], s[0:1], 0x48
	s_load_b128 s[4:7], s[0:1], 0x20
	s_load_b64 s[28:29], s[0:1], 0x0
	s_load_b128 s[16:19], s[0:1], 0x38
	s_load_b128 s[20:23], s[0:1], 0x58
	s_load_b32 s30, s[0:1], 0x70
	s_wait_xcnt 0x0
	v_cmp_eq_u32_e64 s0, 0, v0
	v_dual_lshrrev_b32 v3, 1, v0 :: v_dual_bitop2_b32 v1, 31, v0 bitop3:0x40
	v_cmp_gt_u32_e64 s1, 32, v0
	v_cmp_gt_u32_e64 s2, 8, v0
	s_delay_alu instid0(VALU_DEP_3)
	v_dual_mov_b32 v2, 0 :: v_dual_lshlrev_b32 v51, 4, v1
	v_cmp_eq_u32_e64 s3, 0, v1
	v_and_b32_e32 v52, 0x70, v3
	v_mbcnt_lo_u32_b32 v50, -1, 0
	s_mov_b32 s31, s11
	s_mov_b32 s64, 16
	;; [unrolled: 1-line block ×3, first 2 shown]
	s_wait_kmcnt 0x0
	s_ashr_i32 s27, s26, 31
	s_ashr_i32 s45, s10, 31
	s_lshl_b64 s[8:9], s[8:9], 4
	s_lshl_b64 s[6:7], s[6:7], 4
	s_ashr_i32 s37, s29, 31
	v_cmp_eq_f64_e64 s34, s[12:13], 0
	v_cmp_eq_f64_e64 s35, s[14:15], 0
	s_mov_b32 s44, s10
	s_add_nc_u64 s[4:5], s[4:5], s[6:7]
	s_mov_b32 s36, s29
	s_add_nc_u64 s[18:19], s[18:19], s[8:9]
	v_lshl_or_b32 v53, v50, 2, 64
	s_mov_b32 s66, 48
	s_and_b32 s58, s34, s35
	s_cmp_gt_i32 s29, 0
	s_cselect_b32 s10, -1, 0
	s_bfe_u32 s34, ttmp6, 0x4000c
	s_and_b32 s35, ttmp6, 15
	s_add_co_i32 s34, s34, 1
	s_and_b32 s59, s0, s10
	s_mul_i32 s34, ttmp9, s34
	s_delay_alu instid0(SALU_CYCLE_1)
	s_add_co_i32 s35, s35, s34
	s_cmp_eq_u32 s25, 0
	s_cselect_b32 s10, ttmp9, s35
	s_lshr_b32 s7, s37, 30
	s_lshl_b32 s6, s10, 10
	s_add_co_i32 s7, s29, s7
	v_lshl_or_b32 v4, v0, 2, s6
	s_ashr_i32 s6, s28, 31
	s_and_b32 s60, s7, -4
	s_lshr_b32 s6, s6, 30
	s_mul_u64 s[34:35], s[36:37], s[30:31]
	v_dual_ashrrev_i32 v5, 31, v4 :: v_dual_bitop2_b32 v6, 1, v4 bitop3:0x54
	v_or_b32_e32 v8, 2, v4
	v_dual_add_nc_u32 v3, 4, v4 :: v_dual_bitop2_b32 v10, 3, v4 bitop3:0x54
	s_delay_alu instid0(VALU_DEP_3) | instskip(NEXT) | instid1(VALU_DEP_3)
	v_mul_u64_e32 v[0:1], s[44:45], v[4:5]
	v_dual_ashrrev_i32 v7, 31, v6 :: v_dual_ashrrev_i32 v9, 31, v8
	s_delay_alu instid0(VALU_DEP_3) | instskip(SKIP_2) | instid1(VALU_DEP_3)
	v_ashrrev_i32_e32 v11, 31, v10
	s_add_co_i32 s6, s28, s6
	v_lshl_add_u64 v[28:29], v[4:5], 4, s[4:5]
	v_mul_u64_e32 v[22:23], s[44:45], v[6:7]
	v_mul_u64_e32 v[24:25], s[44:45], v[8:9]
	;; [unrolled: 1-line block ×3, first 2 shown]
	s_and_b32 s6, s6, -4
	v_add_nc_u64_e32 v[30:31], 8, v[28:29]
	s_sub_co_i32 s61, s28, s6
	s_cmp_gt_i32 s60, 0
	v_add_nc_u32_e32 v6, s61, v4
	s_cselect_b32 s62, -1, 0
	s_cmp_gt_i32 s61, 0
	v_cmp_ge_i32_e64 s5, s28, v3
	s_cselect_b32 s63, -1, 0
	v_cmp_ge_i32_e64 s4, s28, v6
	s_lshl_b64 s[36:37], s[10:11], 4
	s_or_b32 s67, 0, 8
	s_add_nc_u64 s[6:7], s[22:23], s[36:37]
	s_lshl_b64 s[38:39], s[34:35], 4
	s_lshl_b64 s[40:41], s[30:31], 4
	;; [unrolled: 1-line block ×4, first 2 shown]
	s_add_nc_u64 s[46:47], s[6:7], 8
	s_and_b32 s28, s63, s4
	s_lshl_b64 s[48:49], s[16:17], 4
	s_lshl_b64 s[50:51], s[26:27], 6
	s_lshl_b64 s[52:53], s[26:27], 4
	v_lshl_add_u64 v[32:33], v[0:1], 4, s[18:19]
	s_branch .LBB183_3
.LBB183_2:                              ;   in Loop: Header=BB183_3 Depth=1
	s_add_co_i32 s24, s24, 0x10000
	s_delay_alu instid0(SALU_CYCLE_1)
	s_cmp_lt_u32 s24, s33
	s_cbranch_scc0 .LBB183_80
.LBB183_3:                              ; =>This Loop Header: Depth=1
                                        ;     Child Loop BB183_6 Depth 2
                                        ;     Child Loop BB183_12 Depth 2
                                        ;       Child Loop BB183_43 Depth 3
                                        ;       Child Loop BB183_45 Depth 3
                                        ;     Child Loop BB183_61 Depth 2
                                        ;       Child Loop BB183_73 Depth 3
                                        ;       Child Loop BB183_75 Depth 3
	s_mov_b32 s25, s11
	s_and_not1_b32 vcc_lo, exec_lo, s58
	s_mov_b32 s6, -1
	s_cbranch_vccnz .LBB183_8
; %bb.4:                                ;   in Loop: Header=BB183_3 Depth=1
	s_and_saveexec_b32 s8, s59
	s_cbranch_execz .LBB183_7
; %bb.5:                                ;   in Loop: Header=BB183_3 Depth=1
	s_mul_u64 s[6:7], s[38:39], s[24:25]
	s_mov_b32 s9, s29
	s_add_nc_u64 s[6:7], s[46:47], s[6:7]
.LBB183_6:                              ;   Parent Loop BB183_3 Depth=1
                                        ; =>  This Inner Loop Header: Depth=2
	s_wait_dscnt 0x0
	v_dual_mov_b32 v3, v2 :: v_dual_mov_b32 v4, v2
	v_mov_b32_e32 v5, v2
	s_add_co_i32 s9, s9, -1
	s_delay_alu instid0(SALU_CYCLE_1)
	s_cmp_eq_u32 s9, 0
	global_store_b128 v2, v[2:5], s[6:7] offset:-8
	s_wait_xcnt 0x0
	s_add_nc_u64 s[6:7], s[6:7], s[40:41]
	s_cbranch_scc0 .LBB183_6
.LBB183_7:                              ;   in Loop: Header=BB183_3 Depth=1
	s_or_b32 exec_lo, exec_lo, s8
	s_mov_b32 s6, 0
.LBB183_8:                              ;   in Loop: Header=BB183_3 Depth=1
	s_delay_alu instid0(SALU_CYCLE_1)
	s_and_not1_b32 vcc_lo, exec_lo, s6
	s_cbranch_vccnz .LBB183_2
; %bb.9:                                ;   in Loop: Header=BB183_3 Depth=1
	v_mad_nc_u64_u32 v[34:35], s42, s24, v[32:33]
	s_mul_u64 s[6:7], s[20:21], s[24:25]
	s_mul_u64 s[8:9], s[34:35], s[24:25]
	s_lshl_b64 s[6:7], s[6:7], 4
	s_mul_u64 s[54:55], s[16:17], s[24:25]
	s_add_nc_u64 s[6:7], s[18:19], s[6:7]
	s_lshl_b64 s[68:69], s[8:9], 4
	v_lshl_add_u64 v[36:37], s[54:55], 4, v[28:29]
	v_lshl_add_u64 v[38:39], v[0:1], 4, s[6:7]
	;; [unrolled: 1-line block ×4, first 2 shown]
	v_mad_u32 v35, s43, s24, v35
	v_lshl_add_u64 v[44:45], v[26:27], 4, s[6:7]
	v_cmp_gt_u32_e64 s9, 24, v50
	v_cmp_gt_u32_e64 s8, 28, v50
	;; [unrolled: 1-line block ×3, first 2 shown]
	v_cmp_ne_u32_e64 s6, 31, v50
	s_add_nc_u64 s[54:55], s[22:23], s[68:69]
	s_mul_u64 s[56:57], s[48:49], s[24:25]
	s_and_not1_b32 vcc_lo, exec_lo, s62
	s_add_nc_u64 s[54:55], s[54:55], s[36:37]
	s_cbranch_vccnz .LBB183_57
; %bb.10:                               ;   in Loop: Header=BB183_3 Depth=1
	v_cndmask_b32_e64 v3, 0, 8, s9
	s_wait_dscnt 0x0
	v_cndmask_b32_e64 v4, 0, 4, s8
	v_cndmask_b32_e64 v5, 0, 2, s7
	v_add_co_ci_u32_e64 v6, null, 0, v50, s6
	v_add_nc_u64_e32 v[46:47], s[56:57], v[28:29]
	v_add_lshl_u32 v54, v3, v50, 2
	v_add_lshl_u32 v55, v4, v50, 2
	;; [unrolled: 1-line block ×3, first 2 shown]
	v_lshlrev_b32_e32 v57, 2, v6
	s_mov_b32 s10, 0
	s_branch .LBB183_12
.LBB183_11:                             ;   in Loop: Header=BB183_12 Depth=2
	s_wait_xcnt 0x0
	s_or_b32 exec_lo, exec_lo, s6
	v_add_nc_u64_e32 v[46:47], s[50:51], v[46:47]
	s_add_co_i32 s10, s10, 4
	s_delay_alu instid0(SALU_CYCLE_1)
	s_cmp_ge_i32 s10, s60
	s_cbranch_scc1 .LBB183_58
.LBB183_12:                             ;   Parent Loop BB183_3 Depth=1
                                        ; =>  This Loop Header: Depth=2
                                        ;       Child Loop BB183_43 Depth 3
                                        ;       Child Loop BB183_45 Depth 3
                                        ; implicit-def: $vgpr18_vgpr19
                                        ; implicit-def: $vgpr20_vgpr21
                                        ; implicit-def: $vgpr14_vgpr15
                                        ; implicit-def: $vgpr16_vgpr17
                                        ; implicit-def: $vgpr10_vgpr11
                                        ; implicit-def: $vgpr12_vgpr13
                                        ; implicit-def: $vgpr8_vgpr9
                                        ; implicit-def: $vgpr6_vgpr7
	s_and_saveexec_b32 s6, s5
	s_delay_alu instid0(SALU_CYCLE_1)
	s_xor_b32 s6, exec_lo, s6
	s_cbranch_execnz .LBB183_39
; %bb.13:                               ;   in Loop: Header=BB183_12 Depth=2
	s_and_not1_saveexec_b32 s6, s6
	s_cbranch_execnz .LBB183_40
.LBB183_14:                             ;   in Loop: Header=BB183_12 Depth=2
	s_or_b32 exec_lo, exec_lo, s6
	s_and_saveexec_b32 s6, s1
.LBB183_15:                             ;   in Loop: Header=BB183_12 Depth=2
	v_dual_mov_b32 v3, v2 :: v_dual_mov_b32 v4, v2
	v_mov_b32_e32 v5, v2
	ds_store_b128 v51, v[2:5]
.LBB183_16:                             ;   in Loop: Header=BB183_12 Depth=2
	s_or_b32 exec_lo, exec_lo, s6
	ds_bpermute_b32 v4, v53, v8
	ds_bpermute_b32 v5, v53, v9
	;; [unrolled: 1-line block ×4, first 2 shown]
	s_wait_storecnt_dscnt 0x0
	s_barrier_signal -1
	s_barrier_wait -1
	v_add_f64_e32 v[4:5], v[8:9], v[4:5]
	v_add_f64_e32 v[6:7], v[6:7], v[48:49]
	ds_bpermute_b32 v8, v54, v4
	ds_bpermute_b32 v9, v54, v5
	ds_bpermute_b32 v48, v54, v6
	ds_bpermute_b32 v49, v54, v7
	s_wait_dscnt 0x2
	v_add_f64_e32 v[4:5], v[4:5], v[8:9]
	s_wait_dscnt 0x0
	v_add_f64_e32 v[6:7], v[6:7], v[48:49]
	ds_bpermute_b32 v8, v55, v4
	ds_bpermute_b32 v9, v55, v5
	ds_bpermute_b32 v48, v55, v6
	ds_bpermute_b32 v49, v55, v7
	s_wait_dscnt 0x2
	v_add_f64_e32 v[4:5], v[4:5], v[8:9]
	s_wait_dscnt 0x0
	;; [unrolled: 8-line block ×3, first 2 shown]
	v_add_f64_e32 v[8:9], v[6:7], v[48:49]
	ds_bpermute_b32 v6, v57, v4
	ds_bpermute_b32 v7, v57, v5
	;; [unrolled: 1-line block ×4, first 2 shown]
	s_and_saveexec_b32 s6, s3
	s_cbranch_execz .LBB183_18
; %bb.17:                               ;   in Loop: Header=BB183_12 Depth=2
	s_wait_dscnt 0x0
	v_add_f64_e32 v[8:9], v[8:9], v[48:49]
	v_add_f64_e32 v[6:7], v[4:5], v[6:7]
	ds_store_b128 v52, v[6:9]
.LBB183_18:                             ;   in Loop: Header=BB183_12 Depth=2
	s_or_b32 exec_lo, exec_lo, s6
	v_mov_b64_e32 v[8:9], 0
	s_wait_dscnt 0x2
	v_mov_b64_e32 v[6:7], 0
	s_wait_dscnt 0x0
	s_barrier_signal -1
	s_barrier_wait -1
	s_and_saveexec_b32 s6, s2
	s_cbranch_execnz .LBB183_46
; %bb.19:                               ;   in Loop: Header=BB183_12 Depth=2
	s_or_b32 exec_lo, exec_lo, s6
	s_and_saveexec_b32 s6, s1
	s_cbranch_execnz .LBB183_47
.LBB183_20:                             ;   in Loop: Header=BB183_12 Depth=2
	s_or_b32 exec_lo, exec_lo, s6
	s_and_saveexec_b32 s6, s1
.LBB183_21:                             ;   in Loop: Header=BB183_12 Depth=2
	v_dual_mov_b32 v3, v2 :: v_dual_mov_b32 v4, v2
	v_mov_b32_e32 v5, v2
	ds_store_b128 v51, v[2:5]
.LBB183_22:                             ;   in Loop: Header=BB183_12 Depth=2
	s_or_b32 exec_lo, exec_lo, s6
	ds_bpermute_b32 v4, v53, v10
	ds_bpermute_b32 v5, v53, v11
	;; [unrolled: 1-line block ×4, first 2 shown]
	s_wait_dscnt 0x0
	s_barrier_signal -1
	s_barrier_wait -1
	v_add_f64_e32 v[4:5], v[10:11], v[4:5]
	v_add_f64_e32 v[10:11], v[12:13], v[48:49]
	ds_bpermute_b32 v12, v54, v4
	ds_bpermute_b32 v13, v54, v5
	ds_bpermute_b32 v48, v54, v10
	ds_bpermute_b32 v49, v54, v11
	s_wait_dscnt 0x2
	v_add_f64_e32 v[4:5], v[4:5], v[12:13]
	s_wait_dscnt 0x0
	v_add_f64_e32 v[10:11], v[10:11], v[48:49]
	ds_bpermute_b32 v12, v55, v4
	ds_bpermute_b32 v13, v55, v5
	ds_bpermute_b32 v48, v55, v10
	ds_bpermute_b32 v49, v55, v11
	s_wait_dscnt 0x2
	v_add_f64_e32 v[4:5], v[4:5], v[12:13]
	s_wait_dscnt 0x0
	v_add_f64_e32 v[10:11], v[10:11], v[48:49]
	ds_bpermute_b32 v12, v56, v4
	ds_bpermute_b32 v13, v56, v5
	ds_bpermute_b32 v48, v56, v10
	ds_bpermute_b32 v49, v56, v11
	s_wait_dscnt 0x2
	v_add_f64_e32 v[4:5], v[4:5], v[12:13]
	s_wait_dscnt 0x0
	v_add_f64_e32 v[12:13], v[10:11], v[48:49]
	ds_bpermute_b32 v10, v57, v4
	ds_bpermute_b32 v11, v57, v5
	;; [unrolled: 1-line block ×4, first 2 shown]
	s_and_saveexec_b32 s6, s3
	s_cbranch_execz .LBB183_24
; %bb.23:                               ;   in Loop: Header=BB183_12 Depth=2
	s_wait_dscnt 0x0
	v_add_f64_e32 v[12:13], v[12:13], v[48:49]
	v_add_f64_e32 v[10:11], v[4:5], v[10:11]
	ds_store_b128 v52, v[10:13]
.LBB183_24:                             ;   in Loop: Header=BB183_12 Depth=2
	s_or_b32 exec_lo, exec_lo, s6
	v_mov_b64_e32 v[12:13], 0
	s_wait_dscnt 0x2
	v_mov_b64_e32 v[10:11], 0
	s_wait_dscnt 0x0
	s_barrier_signal -1
	s_barrier_wait -1
	s_and_saveexec_b32 s6, s2
	s_cbranch_execnz .LBB183_48
; %bb.25:                               ;   in Loop: Header=BB183_12 Depth=2
	s_or_b32 exec_lo, exec_lo, s6
	s_and_saveexec_b32 s6, s1
	s_cbranch_execnz .LBB183_49
.LBB183_26:                             ;   in Loop: Header=BB183_12 Depth=2
	s_or_b32 exec_lo, exec_lo, s6
	s_and_saveexec_b32 s6, s1
.LBB183_27:                             ;   in Loop: Header=BB183_12 Depth=2
	v_dual_mov_b32 v3, v2 :: v_dual_mov_b32 v4, v2
	v_mov_b32_e32 v5, v2
	ds_store_b128 v51, v[2:5]
.LBB183_28:                             ;   in Loop: Header=BB183_12 Depth=2
	s_or_b32 exec_lo, exec_lo, s6
	ds_bpermute_b32 v4, v53, v14
	ds_bpermute_b32 v5, v53, v15
	;; [unrolled: 1-line block ×4, first 2 shown]
	s_wait_dscnt 0x0
	s_barrier_signal -1
	s_barrier_wait -1
	v_add_f64_e32 v[4:5], v[14:15], v[4:5]
	v_add_f64_e32 v[14:15], v[16:17], v[48:49]
	ds_bpermute_b32 v16, v54, v4
	ds_bpermute_b32 v17, v54, v5
	ds_bpermute_b32 v48, v54, v14
	ds_bpermute_b32 v49, v54, v15
	s_wait_dscnt 0x2
	v_add_f64_e32 v[4:5], v[4:5], v[16:17]
	s_wait_dscnt 0x0
	v_add_f64_e32 v[14:15], v[14:15], v[48:49]
	ds_bpermute_b32 v16, v55, v4
	ds_bpermute_b32 v17, v55, v5
	ds_bpermute_b32 v48, v55, v14
	ds_bpermute_b32 v49, v55, v15
	s_wait_dscnt 0x2
	v_add_f64_e32 v[4:5], v[4:5], v[16:17]
	s_wait_dscnt 0x0
	;; [unrolled: 8-line block ×3, first 2 shown]
	v_add_f64_e32 v[16:17], v[14:15], v[48:49]
	ds_bpermute_b32 v14, v57, v4
	ds_bpermute_b32 v15, v57, v5
	;; [unrolled: 1-line block ×4, first 2 shown]
	s_and_saveexec_b32 s6, s3
	s_cbranch_execz .LBB183_30
; %bb.29:                               ;   in Loop: Header=BB183_12 Depth=2
	s_wait_dscnt 0x0
	v_add_f64_e32 v[16:17], v[16:17], v[48:49]
	v_add_f64_e32 v[14:15], v[4:5], v[14:15]
	ds_store_b128 v52, v[14:17]
.LBB183_30:                             ;   in Loop: Header=BB183_12 Depth=2
	s_or_b32 exec_lo, exec_lo, s6
	v_mov_b64_e32 v[16:17], 0
	s_wait_dscnt 0x2
	v_mov_b64_e32 v[14:15], 0
	s_wait_dscnt 0x0
	s_barrier_signal -1
	s_barrier_wait -1
	s_and_saveexec_b32 s6, s2
	s_cbranch_execnz .LBB183_50
; %bb.31:                               ;   in Loop: Header=BB183_12 Depth=2
	s_or_b32 exec_lo, exec_lo, s6
	s_and_saveexec_b32 s6, s1
	s_cbranch_execnz .LBB183_51
.LBB183_32:                             ;   in Loop: Header=BB183_12 Depth=2
	s_or_b32 exec_lo, exec_lo, s6
	s_and_saveexec_b32 s6, s1
.LBB183_33:                             ;   in Loop: Header=BB183_12 Depth=2
	v_dual_mov_b32 v3, v2 :: v_dual_mov_b32 v4, v2
	v_mov_b32_e32 v5, v2
	ds_store_b128 v51, v[2:5]
.LBB183_34:                             ;   in Loop: Header=BB183_12 Depth=2
	s_or_b32 exec_lo, exec_lo, s6
	ds_bpermute_b32 v4, v53, v18
	ds_bpermute_b32 v5, v53, v19
	;; [unrolled: 1-line block ×4, first 2 shown]
	s_wait_dscnt 0x0
	s_barrier_signal -1
	s_barrier_wait -1
	v_add_f64_e32 v[4:5], v[18:19], v[4:5]
	v_add_f64_e32 v[18:19], v[20:21], v[48:49]
	ds_bpermute_b32 v20, v54, v4
	ds_bpermute_b32 v21, v54, v5
	ds_bpermute_b32 v48, v54, v18
	ds_bpermute_b32 v49, v54, v19
	s_wait_dscnt 0x2
	v_add_f64_e32 v[4:5], v[4:5], v[20:21]
	s_wait_dscnt 0x0
	v_add_f64_e32 v[18:19], v[18:19], v[48:49]
	ds_bpermute_b32 v20, v55, v4
	ds_bpermute_b32 v21, v55, v5
	ds_bpermute_b32 v48, v55, v18
	ds_bpermute_b32 v49, v55, v19
	s_wait_dscnt 0x2
	v_add_f64_e32 v[4:5], v[4:5], v[20:21]
	s_wait_dscnt 0x0
	;; [unrolled: 8-line block ×3, first 2 shown]
	v_add_f64_e32 v[20:21], v[18:19], v[48:49]
	ds_bpermute_b32 v18, v57, v4
	ds_bpermute_b32 v19, v57, v5
	;; [unrolled: 1-line block ×4, first 2 shown]
	s_and_saveexec_b32 s6, s3
	s_cbranch_execz .LBB183_36
; %bb.35:                               ;   in Loop: Header=BB183_12 Depth=2
	s_wait_dscnt 0x0
	v_add_f64_e32 v[20:21], v[20:21], v[48:49]
	v_add_f64_e32 v[18:19], v[4:5], v[18:19]
	ds_store_b128 v52, v[18:21]
.LBB183_36:                             ;   in Loop: Header=BB183_12 Depth=2
	s_or_b32 exec_lo, exec_lo, s6
	v_mov_b64_e32 v[20:21], 0
	s_wait_dscnt 0x2
	v_mov_b64_e32 v[18:19], 0
	s_wait_dscnt 0x0
	s_barrier_signal -1
	s_barrier_wait -1
	s_and_saveexec_b32 s6, s2
	s_cbranch_execnz .LBB183_52
; %bb.37:                               ;   in Loop: Header=BB183_12 Depth=2
	s_or_b32 exec_lo, exec_lo, s6
	s_and_saveexec_b32 s6, s1
	s_cbranch_execnz .LBB183_53
.LBB183_38:                             ;   in Loop: Header=BB183_12 Depth=2
	s_or_b32 exec_lo, exec_lo, s6
	s_and_saveexec_b32 s6, s0
	s_cbranch_execz .LBB183_11
	s_branch .LBB183_54
.LBB183_39:                             ;   in Loop: Header=BB183_12 Depth=2
	s_clause 0x2
	global_load_b128 v[4:7], v[40:41], off
	global_load_b128 v[8:11], v[42:43], off
	global_load_b128 v[12:15], v[44:45], off
	s_mul_u64 s[8:9], s[10:11], s[26:27]
	s_or_b32 s68, s10, 1
	s_mov_b32 s69, s11
	s_or_b32 s70, s10, 2
	s_mov_b32 s71, s11
	s_or_b32 s72, s10, 3
	s_mov_b32 s73, s11
	s_wait_dscnt 0x0
	v_lshl_add_u64 v[20:21], s[8:9], 4, v[36:37]
	s_mul_u64 s[8:9], s[68:69], s[26:27]
	s_mul_u64 s[68:69], s[70:71], s[26:27]
	v_lshl_add_u64 v[48:49], s[8:9], 4, v[36:37]
	s_mul_u64 s[8:9], s[72:73], s[26:27]
	v_lshl_add_u64 v[114:115], s[68:69], 4, v[36:37]
	v_lshl_add_u64 v[118:119], s[8:9], 4, v[36:37]
	global_load_b128 v[58:61], v[38:39], off
	s_clause 0x4
	global_load_b128 v[16:19], v[20:21], off
	global_load_b128 v[62:65], v[48:49], off
	;; [unrolled: 1-line block ×4, first 2 shown]
	global_load_b128 v[74:77], v[20:21], off offset:16
	s_wait_loadcnt 0x8
	scratch_store_b128 off, v[4:7], s64
	scratch_load_b128 v[4:7], off, off offset:16
	s_clause 0x3
	global_load_b128 v[78:81], v[48:49], off offset:16
	global_load_b128 v[82:85], v[114:115], off offset:16
	global_load_b128 v[86:89], v[118:119], off offset:16
	global_load_b128 v[90:93], v[20:21], off offset:32
	s_wait_loadcnt 0xc
	scratch_store_b128 off, v[8:11], s65
	scratch_load_b128 v[8:11], off, off offset:32
	s_clause 0x3
	global_load_b128 v[94:97], v[48:49], off offset:32
	global_load_b128 v[98:101], v[114:115], off offset:32
	global_load_b128 v[102:105], v[118:119], off offset:32
	;; [unrolled: 8-line block ×3, first 2 shown]
	s_wait_loadcnt 0x13
	scratch_store_b128 off, v[58:61], off
	s_wait_loadcnt 0x12
	v_mul_f64_e32 v[20:21], v[60:61], v[18:19]
	v_mul_f64_e32 v[18:19], v[58:59], v[18:19]
	s_wait_loadcnt 0x11
	s_wait_xcnt 0x3
	v_mul_f64_e32 v[48:49], v[60:61], v[64:65]
	v_mul_f64_e32 v[64:65], v[58:59], v[64:65]
	s_wait_loadcnt 0x10
	v_mul_f64_e32 v[122:123], v[60:61], v[68:69]
	v_mul_f64_e32 v[68:69], v[58:59], v[68:69]
	s_wait_loadcnt 0xf
	v_mul_f64_e32 v[124:125], v[60:61], v[72:73]
	v_mul_f64_e32 v[72:73], v[58:59], v[72:73]
	v_fmac_f64_e32 v[20:21], v[58:59], v[16:17]
	v_fma_f64 v[16:17], v[60:61], v[16:17], -v[18:19]
	v_fmac_f64_e32 v[48:49], v[58:59], v[62:63]
	v_fma_f64 v[18:19], v[60:61], v[62:63], -v[64:65]
	;; [unrolled: 2-line block ×4, first 2 shown]
	v_add_f64_e32 v[20:21], 0, v[20:21]
	v_add_f64_e32 v[16:17], 0, v[16:17]
	;; [unrolled: 1-line block ×8, first 2 shown]
	s_wait_loadcnt 0xd
	v_mul_f64_e32 v[66:67], v[6:7], v[76:77]
	v_mul_f64_e32 v[68:69], v[4:5], v[76:77]
	s_wait_loadcnt 0xc
	v_mul_f64_e32 v[70:71], v[6:7], v[80:81]
	v_mul_f64_e32 v[72:73], v[4:5], v[80:81]
	;; [unrolled: 3-line block ×8, first 2 shown]
	v_fmac_f64_e32 v[66:67], v[4:5], v[74:75]
	v_fma_f64 v[68:69], v[6:7], v[74:75], -v[68:69]
	v_fmac_f64_e32 v[70:71], v[4:5], v[78:79]
	v_fma_f64 v[72:73], v[6:7], v[78:79], -v[72:73]
	;; [unrolled: 2-line block ×4, first 2 shown]
	s_wait_loadcnt 0x3
	v_mul_f64_e32 v[6:7], v[14:15], v[108:109]
	v_mul_f64_e32 v[78:79], v[12:13], v[108:109]
	s_wait_loadcnt 0x2
	v_mul_f64_e32 v[80:81], v[14:15], v[112:113]
	v_mul_f64_e32 v[82:83], v[12:13], v[112:113]
	;; [unrolled: 3-line block ×4, first 2 shown]
	v_fmac_f64_e32 v[126:127], v[8:9], v[90:91]
	v_fma_f64 v[90:91], v[10:11], v[90:91], -v[92:93]
	v_fmac_f64_e32 v[128:129], v[8:9], v[94:95]
	v_fma_f64 v[92:93], v[10:11], v[94:95], -v[96:97]
	;; [unrolled: 2-line block ×4, first 2 shown]
	v_add_f64_e32 v[10:11], v[20:21], v[66:67]
	v_add_f64_e32 v[16:17], v[16:17], v[68:69]
	;; [unrolled: 1-line block ×8, first 2 shown]
	v_fmac_f64_e32 v[6:7], v[12:13], v[106:107]
	v_fma_f64 v[64:65], v[14:15], v[106:107], -v[78:79]
	v_fmac_f64_e32 v[80:81], v[12:13], v[110:111]
	v_fma_f64 v[68:69], v[14:15], v[110:111], -v[82:83]
	;; [unrolled: 2-line block ×4, first 2 shown]
	v_add_f64_e32 v[10:11], v[10:11], v[126:127]
	v_add_f64_e32 v[12:13], v[16:17], v[90:91]
	v_add_f64_e32 v[14:15], v[20:21], v[128:129]
	v_add_f64_e32 v[16:17], v[18:19], v[92:93]
	v_add_f64_e32 v[18:19], v[48:49], v[130:131]
	v_add_f64_e32 v[20:21], v[62:63], v[94:95]
	v_add_f64_e32 v[48:49], v[66:67], v[132:133]
	v_add_f64_e32 v[4:5], v[4:5], v[8:9]
	v_add_f64_e32 v[8:9], v[10:11], v[6:7]
	v_add_f64_e32 v[6:7], v[12:13], v[64:65]
	v_add_f64_e32 v[10:11], v[14:15], v[80:81]
	v_add_f64_e32 v[12:13], v[16:17], v[68:69]
	v_add_f64_e32 v[14:15], v[18:19], v[86:87]
	v_add_f64_e32 v[16:17], v[20:21], v[70:71]
	v_add_f64_e32 v[18:19], v[48:49], v[108:109]
	v_add_f64_e32 v[20:21], v[4:5], v[72:73]
	s_wait_xcnt 0x0
	s_and_not1_saveexec_b32 s6, s6
	s_cbranch_execz .LBB183_14
.LBB183_40:                             ;   in Loop: Header=BB183_12 Depth=2
	s_wait_dscnt 0x0
	v_mov_b64_e32 v[18:19], 0
	v_mov_b64_e32 v[20:21], 0
	;; [unrolled: 1-line block ×8, first 2 shown]
	s_and_saveexec_b32 s7, s4
	s_cbranch_execz .LBB183_56
; %bb.41:                               ;   in Loop: Header=BB183_12 Depth=2
	s_and_not1_b32 vcc_lo, exec_lo, s63
	s_cbranch_vccnz .LBB183_55
; %bb.42:                               ;   in Loop: Header=BB183_12 Depth=2
	v_mov_b64_e32 v[4:5], v[34:35]
	s_mov_b32 s8, 0
	s_mov_b32 s9, s61
.LBB183_43:                             ;   Parent Loop BB183_3 Depth=1
                                        ;     Parent Loop BB183_12 Depth=2
                                        ; =>    This Inner Loop Header: Depth=3
	global_load_b128 v[6:9], v[4:5], off
	s_wait_xcnt 0x0
	v_add_nc_u64_e32 v[4:5], s[44:45], v[4:5]
	s_add_co_i32 s9, s9, -1
	s_wait_loadcnt 0x0
	scratch_store_b128 off, v[6:9], s8
	s_wait_xcnt 0x0
	s_add_co_i32 s8, s8, 16
	s_cmp_eq_u32 s9, 0
	s_cbranch_scc0 .LBB183_43
; %bb.44:                               ;   in Loop: Header=BB183_12 Depth=2
	v_mov_b64_e32 v[6:7], 0
	v_mov_b64_e32 v[8:9], 0
	;; [unrolled: 1-line block ×9, first 2 shown]
	s_mov_b32 s8, s67
	s_mov_b32 s9, s61
.LBB183_45:                             ;   Parent Loop BB183_3 Depth=1
                                        ;     Parent Loop BB183_12 Depth=2
                                        ; =>    This Inner Loop Header: Depth=3
	s_delay_alu instid0(VALU_DEP_1)
	v_add_nc_u64_e32 v[48:49], s[52:53], v[4:5]
	scratch_load_b128 v[58:61], off, s8 offset:-8
	s_add_co_i32 s9, s9, -1
	s_wait_xcnt 0x0
	s_add_co_i32 s8, s8, 16
	s_cmp_lg_u32 s9, 0
	v_add_nc_u64_e32 v[70:71], s[52:53], v[48:49]
	s_delay_alu instid0(VALU_DEP_1)
	v_add_nc_u64_e32 v[74:75], s[52:53], v[70:71]
	s_clause 0x3
	global_load_b128 v[62:65], v[4:5], off
	global_load_b128 v[66:69], v[48:49], off
	;; [unrolled: 1-line block ×4, first 2 shown]
	s_wait_xcnt 0x3
	v_add_nc_u64_e32 v[4:5], 16, v[4:5]
	s_wait_loadcnt 0x3
	s_wait_xcnt 0x2
	v_mul_f64_e32 v[48:49], v[60:61], v[64:65]
	v_mul_f64_e32 v[64:65], v[58:59], v[64:65]
	s_wait_loadcnt 0x2
	v_mul_f64_e32 v[78:79], v[60:61], v[68:69]
	v_mul_f64_e32 v[68:69], v[58:59], v[68:69]
	s_wait_loadcnt 0x1
	;; [unrolled: 3-line block ×3, first 2 shown]
	v_mul_f64_e32 v[82:83], v[60:61], v[76:77]
	v_mul_f64_e32 v[76:77], v[58:59], v[76:77]
	v_fmac_f64_e32 v[48:49], v[58:59], v[62:63]
	v_fma_f64 v[62:63], v[60:61], v[62:63], -v[64:65]
	v_fmac_f64_e32 v[78:79], v[58:59], v[66:67]
	v_fma_f64 v[64:65], v[60:61], v[66:67], -v[68:69]
	v_fmac_f64_e32 v[80:81], v[58:59], v[70:71]
	v_fma_f64 v[66:67], v[60:61], v[70:71], -v[72:73]
	v_fmac_f64_e32 v[82:83], v[58:59], v[74:75]
	v_fma_f64 v[58:59], v[60:61], v[74:75], -v[76:77]
	v_add_f64_e32 v[8:9], v[8:9], v[48:49]
	v_add_f64_e32 v[6:7], v[6:7], v[62:63]
	;; [unrolled: 1-line block ×8, first 2 shown]
	s_cbranch_scc1 .LBB183_45
	s_branch .LBB183_56
.LBB183_46:                             ;   in Loop: Header=BB183_12 Depth=2
	ds_load_b128 v[6:9], v51
	s_or_b32 exec_lo, exec_lo, s6
	s_and_saveexec_b32 s6, s1
	s_cbranch_execz .LBB183_20
.LBB183_47:                             ;   in Loop: Header=BB183_12 Depth=2
	s_wait_dscnt 0x0
	ds_bpermute_b32 v4, v55, v6
	ds_bpermute_b32 v5, v55, v7
	ds_bpermute_b32 v48, v55, v8
	ds_bpermute_b32 v49, v55, v9
	s_wait_dscnt 0x2
	v_add_f64_e32 v[4:5], v[6:7], v[4:5]
	s_wait_dscnt 0x0
	v_add_f64_e32 v[6:7], v[8:9], v[48:49]
	ds_bpermute_b32 v8, v56, v4
	ds_bpermute_b32 v9, v56, v5
	ds_bpermute_b32 v48, v56, v6
	ds_bpermute_b32 v49, v56, v7
	s_wait_dscnt 0x2
	v_add_f64_e32 v[4:5], v[4:5], v[8:9]
	s_wait_dscnt 0x0
	v_add_f64_e32 v[8:9], v[6:7], v[48:49]
	;; [unrolled: 8-line block ×3, first 2 shown]
	s_or_b32 exec_lo, exec_lo, s6
	s_and_saveexec_b32 s6, s1
	s_cbranch_execnz .LBB183_21
	s_branch .LBB183_22
.LBB183_48:                             ;   in Loop: Header=BB183_12 Depth=2
	ds_load_b128 v[10:13], v51
	s_or_b32 exec_lo, exec_lo, s6
	s_and_saveexec_b32 s6, s1
	s_cbranch_execz .LBB183_26
.LBB183_49:                             ;   in Loop: Header=BB183_12 Depth=2
	s_wait_dscnt 0x0
	ds_bpermute_b32 v4, v55, v10
	ds_bpermute_b32 v5, v55, v11
	ds_bpermute_b32 v48, v55, v12
	ds_bpermute_b32 v49, v55, v13
	s_wait_dscnt 0x2
	v_add_f64_e32 v[4:5], v[10:11], v[4:5]
	s_wait_dscnt 0x0
	v_add_f64_e32 v[10:11], v[12:13], v[48:49]
	ds_bpermute_b32 v12, v56, v4
	ds_bpermute_b32 v13, v56, v5
	ds_bpermute_b32 v48, v56, v10
	ds_bpermute_b32 v49, v56, v11
	s_wait_dscnt 0x2
	v_add_f64_e32 v[4:5], v[4:5], v[12:13]
	s_wait_dscnt 0x0
	v_add_f64_e32 v[12:13], v[10:11], v[48:49]
	;; [unrolled: 8-line block ×3, first 2 shown]
	s_or_b32 exec_lo, exec_lo, s6
	s_and_saveexec_b32 s6, s1
	s_cbranch_execnz .LBB183_27
	s_branch .LBB183_28
.LBB183_50:                             ;   in Loop: Header=BB183_12 Depth=2
	ds_load_b128 v[14:17], v51
	s_or_b32 exec_lo, exec_lo, s6
	s_and_saveexec_b32 s6, s1
	s_cbranch_execz .LBB183_32
.LBB183_51:                             ;   in Loop: Header=BB183_12 Depth=2
	s_wait_dscnt 0x0
	ds_bpermute_b32 v4, v55, v14
	ds_bpermute_b32 v5, v55, v15
	ds_bpermute_b32 v48, v55, v16
	ds_bpermute_b32 v49, v55, v17
	s_wait_dscnt 0x2
	v_add_f64_e32 v[4:5], v[14:15], v[4:5]
	s_wait_dscnt 0x0
	v_add_f64_e32 v[14:15], v[16:17], v[48:49]
	ds_bpermute_b32 v16, v56, v4
	ds_bpermute_b32 v17, v56, v5
	ds_bpermute_b32 v48, v56, v14
	ds_bpermute_b32 v49, v56, v15
	s_wait_dscnt 0x2
	v_add_f64_e32 v[4:5], v[4:5], v[16:17]
	s_wait_dscnt 0x0
	v_add_f64_e32 v[16:17], v[14:15], v[48:49]
	;; [unrolled: 8-line block ×3, first 2 shown]
	s_or_b32 exec_lo, exec_lo, s6
	s_and_saveexec_b32 s6, s1
	s_cbranch_execnz .LBB183_33
	s_branch .LBB183_34
.LBB183_52:                             ;   in Loop: Header=BB183_12 Depth=2
	ds_load_b128 v[18:21], v51
	s_or_b32 exec_lo, exec_lo, s6
	s_and_saveexec_b32 s6, s1
	s_cbranch_execz .LBB183_38
.LBB183_53:                             ;   in Loop: Header=BB183_12 Depth=2
	s_wait_dscnt 0x0
	ds_bpermute_b32 v4, v55, v18
	ds_bpermute_b32 v5, v55, v19
	ds_bpermute_b32 v48, v55, v20
	ds_bpermute_b32 v49, v55, v21
	s_wait_dscnt 0x2
	v_add_f64_e32 v[4:5], v[18:19], v[4:5]
	s_wait_dscnt 0x0
	v_add_f64_e32 v[18:19], v[20:21], v[48:49]
	ds_bpermute_b32 v20, v56, v4
	ds_bpermute_b32 v21, v56, v5
	ds_bpermute_b32 v48, v56, v18
	ds_bpermute_b32 v49, v56, v19
	s_wait_dscnt 0x2
	v_add_f64_e32 v[4:5], v[4:5], v[20:21]
	s_wait_dscnt 0x0
	v_add_f64_e32 v[20:21], v[18:19], v[48:49]
	;; [unrolled: 8-line block ×3, first 2 shown]
	s_or_b32 exec_lo, exec_lo, s6
	s_and_saveexec_b32 s6, s0
	s_cbranch_execz .LBB183_11
.LBB183_54:                             ;   in Loop: Header=BB183_12 Depth=2
	v_mul_f64_e32 v[4:5], s[14:15], v[8:9]
	v_mul_f64_e32 v[60:61], s[12:13], v[8:9]
	;; [unrolled: 1-line block ×6, first 2 shown]
	s_wait_dscnt 0x0
	v_mul_f64_e32 v[64:65], s[14:15], v[20:21]
	v_mul_f64_e32 v[16:17], s[12:13], v[20:21]
	s_or_b32 s68, s10, 1
	s_mov_b32 s69, s11
	s_mul_u64 s[8:9], s[10:11], s[30:31]
	s_or_b32 s70, s10, 2
	s_mov_b32 s71, s11
	s_or_b32 s72, s10, 3
	s_mov_b32 s73, s11
	s_mul_u64 s[68:69], s[68:69], s[30:31]
	s_lshl_b64 s[8:9], s[8:9], 4
	s_mul_u64 s[70:71], s[70:71], s[30:31]
	s_mul_u64 s[72:73], s[72:73], s[30:31]
	s_lshl_b64 s[68:69], s[68:69], 4
	s_add_nc_u64 s[8:9], s[54:55], s[8:9]
	s_lshl_b64 s[70:71], s[70:71], 4
	s_lshl_b64 s[72:73], s[72:73], 4
	s_add_nc_u64 s[68:69], s[54:55], s[68:69]
	s_add_nc_u64 s[70:71], s[54:55], s[70:71]
	;; [unrolled: 1-line block ×3, first 2 shown]
	v_fma_f64 v[58:59], s[12:13], v[6:7], -v[4:5]
	v_fmac_f64_e32 v[60:61], s[14:15], v[6:7]
	v_fma_f64 v[6:7], s[12:13], v[10:11], -v[48:49]
	v_fmac_f64_e32 v[8:9], s[14:15], v[10:11]
	;; [unrolled: 2-line block ×4, first 2 shown]
	s_clause 0x3
	global_store_b128 v2, v[58:61], s[8:9]
	global_store_b128 v2, v[6:9], s[68:69]
	;; [unrolled: 1-line block ×4, first 2 shown]
	s_branch .LBB183_11
.LBB183_55:                             ;   in Loop: Header=BB183_12 Depth=2
	v_mov_b64_e32 v[18:19], 0
	v_mov_b64_e32 v[20:21], 0
	;; [unrolled: 1-line block ×8, first 2 shown]
.LBB183_56:                             ;   in Loop: Header=BB183_12 Depth=2
	s_wait_xcnt 0x0
	s_or_b32 exec_lo, exec_lo, s7
	s_delay_alu instid0(SALU_CYCLE_1)
	s_or_b32 exec_lo, exec_lo, s6
	s_and_saveexec_b32 s6, s1
	s_cbranch_execnz .LBB183_15
	s_branch .LBB183_16
.LBB183_57:                             ;   in Loop: Header=BB183_3 Depth=1
	s_mov_b32 s10, 0
.LBB183_58:                             ;   in Loop: Header=BB183_3 Depth=1
	s_delay_alu instid0(SALU_CYCLE_1)
	s_cmp_ge_i32 s10, s29
	s_cbranch_scc1 .LBB183_2
; %bb.59:                               ;   in Loop: Header=BB183_3 Depth=1
	v_cmp_gt_u32_e32 vcc_lo, 24, v50
	s_mul_u64 s[6:7], s[52:53], s[10:11]
	s_delay_alu instid0(SALU_CYCLE_1) | instskip(NEXT) | instid1(SALU_CYCLE_1)
	s_add_nc_u64 s[6:7], s[6:7], s[56:57]
	v_add_nc_u64_e32 v[8:9], s[6:7], v[30:31]
	v_cndmask_b32_e64 v3, 0, 8, vcc_lo
	v_cmp_gt_u32_e32 vcc_lo, 28, v50
	s_delay_alu instid0(VALU_DEP_2) | instskip(SKIP_3) | instid1(VALU_DEP_2)
	v_add_lshl_u32 v14, v3, v50, 2
	s_wait_dscnt 0x0
	v_cndmask_b32_e64 v4, 0, 4, vcc_lo
	v_cmp_gt_u32_e32 vcc_lo, 30, v50
	v_add_lshl_u32 v15, v4, v50, 2
	v_cndmask_b32_e64 v3, 0, 2, vcc_lo
	v_cmp_ne_u32_e32 vcc_lo, 31, v50
	s_delay_alu instid0(VALU_DEP_2) | instskip(SKIP_1) | instid1(VALU_DEP_1)
	v_add_lshl_u32 v16, v3, v50, 2
	v_add_co_ci_u32_e64 v5, null, 0, v50, vcc_lo
	v_lshlrev_b32_e32 v17, 2, v5
	s_branch .LBB183_61
.LBB183_60:                             ;   in Loop: Header=BB183_61 Depth=2
	s_wait_xcnt 0x0
	s_or_b32 exec_lo, exec_lo, s6
	v_add_nc_u64_e32 v[8:9], s[52:53], v[8:9]
	s_add_co_i32 s10, s10, 1
	s_delay_alu instid0(SALU_CYCLE_1)
	s_cmp_lt_i32 s10, s29
	s_cbranch_scc0 .LBB183_2
.LBB183_61:                             ;   Parent Loop BB183_3 Depth=1
                                        ; =>  This Loop Header: Depth=2
                                        ;       Child Loop BB183_73 Depth 3
                                        ;       Child Loop BB183_75 Depth 3
                                        ; implicit-def: $vgpr6_vgpr7
                                        ; implicit-def: $vgpr10_vgpr11
	s_and_saveexec_b32 s6, s5
	s_delay_alu instid0(SALU_CYCLE_1)
	s_xor_b32 s6, exec_lo, s6
	s_cbranch_execnz .LBB183_70
; %bb.62:                               ;   in Loop: Header=BB183_61 Depth=2
	s_and_not1_saveexec_b32 s6, s6
	s_cbranch_execnz .LBB183_71
.LBB183_63:                             ;   in Loop: Header=BB183_61 Depth=2
	s_or_b32 exec_lo, exec_lo, s6
	s_and_saveexec_b32 s6, s1
	s_cbranch_execz .LBB183_65
.LBB183_64:                             ;   in Loop: Header=BB183_61 Depth=2
	s_wait_dscnt 0x0
	v_dual_mov_b32 v3, v2 :: v_dual_mov_b32 v4, v2
	v_mov_b32_e32 v5, v2
	ds_store_b128 v51, v[2:5]
.LBB183_65:                             ;   in Loop: Header=BB183_61 Depth=2
	s_or_b32 exec_lo, exec_lo, s6
	s_wait_dscnt 0x0
	ds_bpermute_b32 v4, v53, v6
	ds_bpermute_b32 v5, v53, v7
	;; [unrolled: 1-line block ×4, first 2 shown]
	s_wait_storecnt_dscnt 0x0
	s_barrier_signal -1
	s_barrier_wait -1
	v_add_f64_e32 v[4:5], v[6:7], v[4:5]
	v_add_f64_e32 v[6:7], v[10:11], v[12:13]
	ds_bpermute_b32 v10, v14, v4
	ds_bpermute_b32 v11, v14, v5
	ds_bpermute_b32 v12, v14, v6
	ds_bpermute_b32 v13, v14, v7
	s_wait_dscnt 0x2
	v_add_f64_e32 v[4:5], v[4:5], v[10:11]
	s_wait_dscnt 0x0
	v_add_f64_e32 v[6:7], v[6:7], v[12:13]
	ds_bpermute_b32 v10, v15, v4
	ds_bpermute_b32 v11, v15, v5
	ds_bpermute_b32 v12, v15, v6
	ds_bpermute_b32 v13, v15, v7
	s_wait_dscnt 0x2
	v_add_f64_e32 v[4:5], v[4:5], v[10:11]
	s_wait_dscnt 0x0
	;; [unrolled: 8-line block ×3, first 2 shown]
	v_add_f64_e32 v[10:11], v[6:7], v[12:13]
	ds_bpermute_b32 v6, v17, v4
	ds_bpermute_b32 v7, v17, v5
	;; [unrolled: 1-line block ×4, first 2 shown]
	s_and_saveexec_b32 s6, s3
	s_cbranch_execz .LBB183_67
; %bb.66:                               ;   in Loop: Header=BB183_61 Depth=2
	s_wait_dscnt 0x0
	v_add_f64_e32 v[12:13], v[10:11], v[12:13]
	v_add_f64_e32 v[10:11], v[4:5], v[6:7]
	ds_store_b128 v52, v[10:13]
.LBB183_67:                             ;   in Loop: Header=BB183_61 Depth=2
	s_or_b32 exec_lo, exec_lo, s6
	s_wait_dscnt 0x2
	v_mov_b64_e32 v[6:7], 0
	v_mov_b64_e32 v[4:5], 0
	s_wait_dscnt 0x0
	s_barrier_signal -1
	s_barrier_wait -1
	s_and_saveexec_b32 s6, s2
	s_cbranch_execnz .LBB183_77
; %bb.68:                               ;   in Loop: Header=BB183_61 Depth=2
	s_or_b32 exec_lo, exec_lo, s6
	s_and_saveexec_b32 s6, s1
	s_cbranch_execnz .LBB183_78
.LBB183_69:                             ;   in Loop: Header=BB183_61 Depth=2
	s_or_b32 exec_lo, exec_lo, s6
	s_and_saveexec_b32 s6, s0
	s_cbranch_execz .LBB183_60
	s_branch .LBB183_79
.LBB183_70:                             ;   in Loop: Header=BB183_61 Depth=2
	s_wait_dscnt 0x0
	s_clause 0x1
	global_load_b128 v[4:7], v[40:41], off
	global_load_b128 v[10:13], v[42:43], off
	s_wait_dscnt 0x0
	global_load_b128 v[18:21], v[44:45], off
	s_mul_u64 s[8:9], s[10:11], s[26:27]
	s_delay_alu instid0(SALU_CYCLE_1)
	v_lshl_add_u64 v[66:67], s[8:9], 4, v[36:37]
	global_load_b128 v[46:49], v[38:39], off
	s_clause 0x1
	global_load_b128 v[54:57], v[66:67], off
	global_load_b128 v[58:61], v[66:67], off offset:16
	s_wait_loadcnt 0x5
	scratch_store_b128 off, v[4:7], s64
	s_wait_loadcnt 0x4
	scratch_store_b128 off, v[10:13], s65
	s_clause 0x1
	scratch_load_b128 v[4:7], off, off offset:16
	scratch_load_b128 v[10:13], off, off offset:32
	s_clause 0x1
	global_load_b128 v[62:65], v[66:67], off offset:32
	global_load_b128 v[66:69], v[66:67], off offset:48
	s_wait_loadcnt 0x7
	scratch_store_b128 off, v[18:21], s66
	scratch_load_b128 v[18:21], off, off offset:48
	s_wait_loadcnt 0x7
	scratch_store_b128 off, v[46:49], off
	s_wait_loadcnt 0x6
	v_mul_f64_e32 v[70:71], v[56:57], v[48:49]
	v_mul_f64_e32 v[56:57], v[56:57], v[46:47]
	s_delay_alu instid0(VALU_DEP_2) | instskip(NEXT) | instid1(VALU_DEP_2)
	v_fmac_f64_e32 v[70:71], v[54:55], v[46:47]
	v_fma_f64 v[54:55], v[54:55], v[48:49], -v[56:57]
	s_delay_alu instid0(VALU_DEP_2) | instskip(NEXT) | instid1(VALU_DEP_2)
	v_add_f64_e32 v[70:71], 0, v[70:71]
	v_add_f64_e32 v[54:55], 0, v[54:55]
	s_wait_loadcnt 0x4
	v_mul_f64_e32 v[56:57], v[60:61], v[6:7]
	v_mul_f64_e32 v[60:61], v[60:61], v[4:5]
	s_wait_loadcnt 0x2
	v_mul_f64_e32 v[72:73], v[64:65], v[12:13]
	v_mul_f64_e32 v[64:65], v[64:65], v[10:11]
	s_delay_alu instid0(VALU_DEP_4) | instskip(NEXT) | instid1(VALU_DEP_4)
	v_fmac_f64_e32 v[56:57], v[58:59], v[4:5]
	v_fma_f64 v[4:5], v[58:59], v[6:7], -v[60:61]
	s_wait_loadcnt 0x0
	v_mul_f64_e32 v[6:7], v[68:69], v[20:21]
	v_mul_f64_e32 v[58:59], v[68:69], v[18:19]
	v_fmac_f64_e32 v[72:73], v[62:63], v[10:11]
	v_fma_f64 v[10:11], v[62:63], v[12:13], -v[64:65]
	v_add_f64_e32 v[12:13], v[70:71], v[56:57]
	v_add_f64_e32 v[4:5], v[54:55], v[4:5]
	v_fmac_f64_e32 v[6:7], v[66:67], v[18:19]
	v_fma_f64 v[18:19], v[66:67], v[20:21], -v[58:59]
	s_delay_alu instid0(VALU_DEP_4) | instskip(NEXT) | instid1(VALU_DEP_4)
	v_add_f64_e32 v[12:13], v[12:13], v[72:73]
	v_add_f64_e32 v[4:5], v[4:5], v[10:11]
	s_delay_alu instid0(VALU_DEP_2) | instskip(NEXT) | instid1(VALU_DEP_2)
	v_add_f64_e32 v[6:7], v[12:13], v[6:7]
	v_add_f64_e32 v[10:11], v[4:5], v[18:19]
	s_wait_xcnt 0x0
	s_and_not1_saveexec_b32 s6, s6
	s_cbranch_execz .LBB183_63
.LBB183_71:                             ;   in Loop: Header=BB183_61 Depth=2
	s_wait_dscnt 0x0
	v_mov_b64_e32 v[6:7], 0
	v_mov_b64_e32 v[10:11], 0
	s_and_saveexec_b32 s7, s28
	s_cbranch_execz .LBB183_76
; %bb.72:                               ;   in Loop: Header=BB183_61 Depth=2
	v_mov_b64_e32 v[4:5], v[34:35]
	s_mov_b32 s8, 0
	s_mov_b32 s9, s61
.LBB183_73:                             ;   Parent Loop BB183_3 Depth=1
                                        ;     Parent Loop BB183_61 Depth=2
                                        ; =>    This Inner Loop Header: Depth=3
	global_load_b128 v[10:13], v[4:5], off
	s_wait_xcnt 0x0
	v_add_nc_u64_e32 v[4:5], s[44:45], v[4:5]
	s_add_co_i32 s9, s9, -1
	s_wait_loadcnt 0x0
	scratch_store_b128 off, v[10:13], s8
	s_wait_xcnt 0x0
	s_add_co_i32 s8, s8, 16
	s_cmp_eq_u32 s9, 0
	s_cbranch_scc0 .LBB183_73
; %bb.74:                               ;   in Loop: Header=BB183_61 Depth=2
	v_mov_b64_e32 v[6:7], 0
	v_mov_b64_e32 v[10:11], 0
	v_mov_b64_e32 v[4:5], v[8:9]
	s_mov_b32 s8, s67
	s_mov_b32 s9, s61
.LBB183_75:                             ;   Parent Loop BB183_3 Depth=1
                                        ;     Parent Loop BB183_61 Depth=2
                                        ; =>    This Inner Loop Header: Depth=3
	s_wait_dscnt 0x0
	global_load_b128 v[18:21], v[4:5], off offset:-8
	scratch_load_b128 v[46:49], off, s8 offset:-8
	s_wait_xcnt 0x1
	v_add_nc_u64_e32 v[4:5], 16, v[4:5]
	s_add_co_i32 s9, s9, -1
	s_wait_xcnt 0x0
	s_add_co_i32 s8, s8, 16
	s_cmp_lg_u32 s9, 0
	s_wait_loadcnt 0x0
	v_mul_f64_e32 v[12:13], v[20:21], v[48:49]
	v_mul_f64_e32 v[20:21], v[20:21], v[46:47]
	s_delay_alu instid0(VALU_DEP_2) | instskip(NEXT) | instid1(VALU_DEP_2)
	v_fmac_f64_e32 v[12:13], v[18:19], v[46:47]
	v_fma_f64 v[18:19], v[18:19], v[48:49], -v[20:21]
	s_delay_alu instid0(VALU_DEP_2) | instskip(NEXT) | instid1(VALU_DEP_2)
	v_add_f64_e32 v[6:7], v[6:7], v[12:13]
	v_add_f64_e32 v[10:11], v[10:11], v[18:19]
	s_cbranch_scc1 .LBB183_75
.LBB183_76:                             ;   in Loop: Header=BB183_61 Depth=2
	s_or_b32 exec_lo, exec_lo, s7
	s_delay_alu instid0(SALU_CYCLE_1)
	s_or_b32 exec_lo, exec_lo, s6
	s_and_saveexec_b32 s6, s1
	s_cbranch_execnz .LBB183_64
	s_branch .LBB183_65
.LBB183_77:                             ;   in Loop: Header=BB183_61 Depth=2
	ds_load_b128 v[4:7], v51
	s_or_b32 exec_lo, exec_lo, s6
	s_and_saveexec_b32 s6, s1
	s_cbranch_execz .LBB183_69
.LBB183_78:                             ;   in Loop: Header=BB183_61 Depth=2
	s_wait_dscnt 0x0
	ds_bpermute_b32 v10, v15, v4
	ds_bpermute_b32 v11, v15, v5
	ds_bpermute_b32 v12, v15, v6
	ds_bpermute_b32 v13, v15, v7
	s_wait_dscnt 0x2
	v_add_f64_e32 v[4:5], v[4:5], v[10:11]
	s_wait_dscnt 0x0
	v_add_f64_e32 v[6:7], v[6:7], v[12:13]
	ds_bpermute_b32 v10, v16, v4
	ds_bpermute_b32 v11, v16, v5
	ds_bpermute_b32 v12, v16, v6
	ds_bpermute_b32 v13, v16, v7
	s_wait_dscnt 0x2
	v_add_f64_e32 v[4:5], v[4:5], v[10:11]
	s_wait_dscnt 0x0
	v_add_f64_e32 v[6:7], v[6:7], v[12:13]
	;; [unrolled: 8-line block ×3, first 2 shown]
	s_or_b32 exec_lo, exec_lo, s6
	s_and_saveexec_b32 s6, s0
	s_cbranch_execz .LBB183_60
.LBB183_79:                             ;   in Loop: Header=BB183_61 Depth=2
	s_wait_dscnt 0x0
	s_delay_alu instid0(VALU_DEP_1) | instskip(SKIP_2) | instid1(SALU_CYCLE_1)
	v_mul_f64_e32 v[10:11], s[14:15], v[6:7]
	v_mul_f64_e32 v[12:13], s[12:13], v[6:7]
	s_mul_u64 s[8:9], s[10:11], s[30:31]
	s_lshl_b64 s[8:9], s[8:9], 4
	s_delay_alu instid0(SALU_CYCLE_1) | instskip(NEXT) | instid1(VALU_DEP_2)
	s_add_nc_u64 s[8:9], s[54:55], s[8:9]
	v_fma_f64 v[10:11], s[12:13], v[4:5], -v[10:11]
	s_delay_alu instid0(VALU_DEP_2)
	v_fmac_f64_e32 v[12:13], s[14:15], v[4:5]
	global_store_b128 v2, v[10:13], s[8:9]
	s_branch .LBB183_60
.LBB183_80:
	s_sendmsg sendmsg(MSG_DEALLOC_VGPRS)
	s_endpgm
	.section	.rodata,"a",@progbits
	.p2align	6, 0x0
	.amdhsa_kernel _ZL23rocblas_gemvt_sn_kernelILb1ELi256ELi4El19rocblas_complex_numIdES1_S1_EviiT4_lPKT3_lilS5_lilPT5_i
		.amdhsa_group_segment_fixed_size 512
		.amdhsa_private_segment_fixed_size 80
		.amdhsa_kernarg_size 368
		.amdhsa_user_sgpr_count 2
		.amdhsa_user_sgpr_dispatch_ptr 0
		.amdhsa_user_sgpr_queue_ptr 0
		.amdhsa_user_sgpr_kernarg_segment_ptr 1
		.amdhsa_user_sgpr_dispatch_id 0
		.amdhsa_user_sgpr_kernarg_preload_length 0
		.amdhsa_user_sgpr_kernarg_preload_offset 0
		.amdhsa_user_sgpr_private_segment_size 0
		.amdhsa_wavefront_size32 1
		.amdhsa_uses_dynamic_stack 0
		.amdhsa_enable_private_segment 1
		.amdhsa_system_sgpr_workgroup_id_x 1
		.amdhsa_system_sgpr_workgroup_id_y 0
		.amdhsa_system_sgpr_workgroup_id_z 1
		.amdhsa_system_sgpr_workgroup_info 0
		.amdhsa_system_vgpr_workitem_id 0
		.amdhsa_next_free_vgpr 134
		.amdhsa_next_free_sgpr 74
		.amdhsa_named_barrier_count 0
		.amdhsa_reserve_vcc 1
		.amdhsa_float_round_mode_32 0
		.amdhsa_float_round_mode_16_64 0
		.amdhsa_float_denorm_mode_32 3
		.amdhsa_float_denorm_mode_16_64 3
		.amdhsa_fp16_overflow 0
		.amdhsa_memory_ordered 1
		.amdhsa_forward_progress 1
		.amdhsa_inst_pref_size 48
		.amdhsa_round_robin_scheduling 0
		.amdhsa_exception_fp_ieee_invalid_op 0
		.amdhsa_exception_fp_denorm_src 0
		.amdhsa_exception_fp_ieee_div_zero 0
		.amdhsa_exception_fp_ieee_overflow 0
		.amdhsa_exception_fp_ieee_underflow 0
		.amdhsa_exception_fp_ieee_inexact 0
		.amdhsa_exception_int_div_zero 0
	.end_amdhsa_kernel
	.section	.text._ZL23rocblas_gemvt_sn_kernelILb1ELi256ELi4El19rocblas_complex_numIdES1_S1_EviiT4_lPKT3_lilS5_lilPT5_i,"axG",@progbits,_ZL23rocblas_gemvt_sn_kernelILb1ELi256ELi4El19rocblas_complex_numIdES1_S1_EviiT4_lPKT3_lilS5_lilPT5_i,comdat
.Lfunc_end183:
	.size	_ZL23rocblas_gemvt_sn_kernelILb1ELi256ELi4El19rocblas_complex_numIdES1_S1_EviiT4_lPKT3_lilS5_lilPT5_i, .Lfunc_end183-_ZL23rocblas_gemvt_sn_kernelILb1ELi256ELi4El19rocblas_complex_numIdES1_S1_EviiT4_lPKT3_lilS5_lilPT5_i
                                        ; -- End function
	.set _ZL23rocblas_gemvt_sn_kernelILb1ELi256ELi4El19rocblas_complex_numIdES1_S1_EviiT4_lPKT3_lilS5_lilPT5_i.num_vgpr, 134
	.set _ZL23rocblas_gemvt_sn_kernelILb1ELi256ELi4El19rocblas_complex_numIdES1_S1_EviiT4_lPKT3_lilS5_lilPT5_i.num_agpr, 0
	.set _ZL23rocblas_gemvt_sn_kernelILb1ELi256ELi4El19rocblas_complex_numIdES1_S1_EviiT4_lPKT3_lilS5_lilPT5_i.numbered_sgpr, 74
	.set _ZL23rocblas_gemvt_sn_kernelILb1ELi256ELi4El19rocblas_complex_numIdES1_S1_EviiT4_lPKT3_lilS5_lilPT5_i.num_named_barrier, 0
	.set _ZL23rocblas_gemvt_sn_kernelILb1ELi256ELi4El19rocblas_complex_numIdES1_S1_EviiT4_lPKT3_lilS5_lilPT5_i.private_seg_size, 80
	.set _ZL23rocblas_gemvt_sn_kernelILb1ELi256ELi4El19rocblas_complex_numIdES1_S1_EviiT4_lPKT3_lilS5_lilPT5_i.uses_vcc, 1
	.set _ZL23rocblas_gemvt_sn_kernelILb1ELi256ELi4El19rocblas_complex_numIdES1_S1_EviiT4_lPKT3_lilS5_lilPT5_i.uses_flat_scratch, 1
	.set _ZL23rocblas_gemvt_sn_kernelILb1ELi256ELi4El19rocblas_complex_numIdES1_S1_EviiT4_lPKT3_lilS5_lilPT5_i.has_dyn_sized_stack, 0
	.set _ZL23rocblas_gemvt_sn_kernelILb1ELi256ELi4El19rocblas_complex_numIdES1_S1_EviiT4_lPKT3_lilS5_lilPT5_i.has_recursion, 0
	.set _ZL23rocblas_gemvt_sn_kernelILb1ELi256ELi4El19rocblas_complex_numIdES1_S1_EviiT4_lPKT3_lilS5_lilPT5_i.has_indirect_call, 0
	.section	.AMDGPU.csdata,"",@progbits
; Kernel info:
; codeLenInByte = 6112
; TotalNumSgprs: 76
; NumVgprs: 134
; ScratchSize: 80
; MemoryBound: 0
; FloatMode: 240
; IeeeMode: 1
; LDSByteSize: 512 bytes/workgroup (compile time only)
; SGPRBlocks: 0
; VGPRBlocks: 8
; NumSGPRsForWavesPerEU: 76
; NumVGPRsForWavesPerEU: 134
; NamedBarCnt: 0
; Occupancy: 7
; WaveLimiterHint : 1
; COMPUTE_PGM_RSRC2:SCRATCH_EN: 1
; COMPUTE_PGM_RSRC2:USER_SGPR: 2
; COMPUTE_PGM_RSRC2:TRAP_HANDLER: 0
; COMPUTE_PGM_RSRC2:TGID_X_EN: 1
; COMPUTE_PGM_RSRC2:TGID_Y_EN: 0
; COMPUTE_PGM_RSRC2:TGID_Z_EN: 1
; COMPUTE_PGM_RSRC2:TIDIG_COMP_CNT: 0
	.section	.text._ZL20rocblas_gemvt_kernelILb1ELi256E19rocblas_complex_numIdEPKS1_S1_EviiT2_lPKT1_lilS7_lilS4_lPT3_lili,"axG",@progbits,_ZL20rocblas_gemvt_kernelILb1ELi256E19rocblas_complex_numIdEPKS1_S1_EviiT2_lPKT1_lilS7_lilS4_lPT3_lili,comdat
	.globl	_ZL20rocblas_gemvt_kernelILb1ELi256E19rocblas_complex_numIdEPKS1_S1_EviiT2_lPKT1_lilS7_lilS4_lPT3_lili ; -- Begin function _ZL20rocblas_gemvt_kernelILb1ELi256E19rocblas_complex_numIdEPKS1_S1_EviiT2_lPKT1_lilS7_lilS4_lPT3_lili
	.p2align	8
	.type	_ZL20rocblas_gemvt_kernelILb1ELi256E19rocblas_complex_numIdEPKS1_S1_EviiT2_lPKT1_lilS7_lilS4_lPT3_lili,@function
_ZL20rocblas_gemvt_kernelILb1ELi256E19rocblas_complex_numIdEPKS1_S1_EviiT2_lPKT1_lilS7_lilS4_lPT3_lili: ; @_ZL20rocblas_gemvt_kernelILb1ELi256E19rocblas_complex_numIdEPKS1_S1_EviiT2_lPKT1_lilS7_lilS4_lPT3_lili
; %bb.0:
	s_load_b32 s33, s[0:1], 0x88
	s_bfe_u32 s2, ttmp6, 0x40014
	s_lshr_b32 s3, ttmp7, 16
	s_add_co_i32 s2, s2, 1
	s_bfe_u32 s4, ttmp6, 0x40008
	s_mul_i32 s2, s3, s2
	s_getreg_b32 s7, hwreg(HW_REG_IB_STS2, 6, 4)
	s_add_co_i32 s4, s4, s2
	s_cmp_eq_u32 s7, 0
	s_mov_b32 s35, 0
	s_cselect_b32 s34, s3, s4
	s_wait_kmcnt 0x0
	s_cmp_ge_u32 s34, s33
	s_cbranch_scc1 .LBB184_43
; %bb.1:
	s_clause 0x6
	s_load_b32 s2, s[0:1], 0x28
	s_load_b96 s[4:6], s[0:1], 0x40
	s_load_b96 s[8:10], s[0:1], 0x70
	s_load_b256 s[12:19], s[0:1], 0x8
	s_load_b32 s45, s[0:1], 0x0
	s_load_b128 s[28:31], s[0:1], 0x30
	s_load_b256 s[20:27], s[0:1], 0x50
	s_bfe_u32 s3, ttmp6, 0x4000c
	s_load_b64 s[36:37], s[0:1], 0x80
	s_add_co_i32 s3, s3, 1
	s_wait_xcnt 0x0
	s_and_b32 s0, ttmp6, 15
	s_mul_i32 s1, ttmp9, s3
	v_lshlrev_b32_e32 v26, 4, v0
	s_add_co_i32 s11, s0, s1
	s_wait_kmcnt 0x0
	s_ashr_i32 s3, s2, 31
	s_ashr_i32 s39, s6, 31
	;; [unrolled: 1-line block ×3, first 2 shown]
	s_lshl_b64 s[0:1], s[4:5], 4
	s_lshl_b64 s[4:5], s[8:9], 4
	;; [unrolled: 1-line block ×3, first 2 shown]
	s_cmp_eq_u32 s7, 0
	s_mov_b32 s38, s6
	s_cselect_b32 s42, ttmp9, s11
	s_ashr_i32 s7, s45, 31
	v_cmp_gt_i32_e32 vcc_lo, s45, v0
	s_lshr_b32 s7, s7, 24
	s_ashr_i32 s43, s42, 31
	s_add_co_i32 s7, s45, s7
	s_mul_u64 s[2:3], s[2:3], s[42:43]
	s_and_b32 s18, s7, 0xffffff00
	s_delay_alu instid0(SALU_CYCLE_1) | instskip(SKIP_3) | instid1(VALU_DEP_1)
	v_dual_mov_b32 v13, 0 :: v_dual_bitop2_b32 v4, s18, v0 bitop3:0x54
	s_lshl_b64 s[2:3], s[2:3], 4
	s_add_nc_u64 s[26:27], s[26:27], s[4:5]
	s_add_nc_u64 s[4:5], s[2:3], s[8:9]
	v_dual_mov_b32 v1, v13 :: v_dual_ashrrev_i32 v5, 31, v4
	s_mov_b32 s40, s10
	s_add_nc_u64 s[10:11], s[30:31], s[0:1]
	s_add_nc_u64 s[0:1], s[16:17], s[8:9]
	s_delay_alu instid0(VALU_DEP_1)
	v_mul_u64_e32 v[2:3], s[38:39], v[0:1]
	v_mul_u64_e32 v[14:15], s[38:39], v[4:5]
	v_cndmask_b32_e32 v1, 0, v0, vcc_lo
	s_add_nc_u64 s[4:5], s[16:17], s[4:5]
	v_cmp_gt_u32_e64 s6, 8, v0
	v_cmp_gt_u32_e64 s7, 4, v0
	;; [unrolled: 1-line block ×3, first 2 shown]
	v_lshlrev_b32_e32 v12, 4, v1
	s_mul_u64 s[40:41], s[40:41], s[42:43]
	s_cmp_gt_i32 s45, 0xff
	s_cselect_b32 s44, -1, 0
	s_delay_alu instid0(VALU_DEP_1)
	v_add_nc_u64_e32 v[6:7], s[0:1], v[12:13]
	v_cmp_gt_i32_e64 s1, s45, v4
	v_add_nc_u64_e32 v[4:5], s[4:5], v[12:13]
	v_cmp_eq_u32_e64 s0, 0, v0
	v_cmp_gt_u32_e64 s4, 32, v0
	v_cmp_gt_u32_e64 s5, 16, v0
	s_ashr_i32 s19, s18, 31
	v_add_nc_u64_e32 v[16:17], s[2:3], v[6:7]
	v_cmp_gt_u32_e64 s2, 0x80, v0
	v_add_nc_u64_e32 v[18:19], 8, v[4:5]
	v_cmp_gt_u32_e64 s3, 64, v0
	s_lshl_b64 s[16:17], s[28:29], 4
	s_lshl_b64 s[30:31], s[20:21], 4
	;; [unrolled: 1-line block ×4, first 2 shown]
	v_lshl_add_u64 v[2:3], v[2:3], 4, s[10:11]
	s_delay_alu instid0(VALU_DEP_1)
	v_add_nc_u64_e32 v[20:21], 8, v[2:3]
	s_branch .LBB184_4
.LBB184_2:                              ;   in Loop: Header=BB184_4 Depth=1
	s_wait_xcnt 0x0
	s_or_b32 exec_lo, exec_lo, s9
.LBB184_3:                              ;   in Loop: Header=BB184_4 Depth=1
	s_add_co_i32 s34, s34, 0x10000
	s_delay_alu instid0(SALU_CYCLE_1)
	s_cmp_lt_u32 s34, s33
	s_cbranch_scc0 .LBB184_43
.LBB184_4:                              ; =>This Loop Header: Depth=1
                                        ;     Child Loop BB184_17 Depth 2
	s_mul_u64 s[42:43], s[14:15], s[34:35]
	s_delay_alu instid0(SALU_CYCLE_1) | instskip(NEXT) | instid1(SALU_CYCLE_1)
	s_lshl_b64 s[42:43], s[42:43], 4
	s_add_nc_u64 s[42:43], s[12:13], s[42:43]
	global_load_b128 v[4:7], v13, s[42:43]
	s_wait_xcnt 0x0
	s_mul_u64 s[42:43], s[24:25], s[34:35]
	s_delay_alu instid0(SALU_CYCLE_1) | instskip(NEXT) | instid1(SALU_CYCLE_1)
	s_lshl_b64 s[42:43], s[42:43], 4
	s_add_nc_u64 s[42:43], s[22:23], s[42:43]
	s_wait_loadcnt 0x1
	global_load_b128 v[0:3], v13, s[42:43]
	s_wait_loadcnt 0x1
	v_cmp_neq_f64_e32 vcc_lo, 0, v[4:5]
	v_cmp_neq_f64_e64 s9, 0, v[6:7]
	s_wait_xcnt 0x0
	s_or_b32 s42, vcc_lo, s9
	s_mov_b32 s9, -1
	s_and_b32 vcc_lo, exec_lo, s42
	s_cbranch_vccz .LBB184_6
; %bb.5:                                ;   in Loop: Header=BB184_4 Depth=1
	s_and_not1_b32 vcc_lo, exec_lo, s9
	s_cbranch_vccnz .LBB184_3
	s_branch .LBB184_7
.LBB184_6:                              ;   in Loop: Header=BB184_4 Depth=1
	s_wait_loadcnt 0x0
	v_cmp_neq_f64_e32 vcc_lo, 1.0, v[0:1]
	v_cmp_neq_f64_e64 s9, 0, v[2:3]
	s_or_b32 s9, vcc_lo, s9
	s_delay_alu instid0(SALU_CYCLE_1)
	s_and_not1_b32 vcc_lo, exec_lo, s9
	s_cbranch_vccnz .LBB184_3
.LBB184_7:                              ;   in Loop: Header=BB184_4 Depth=1
	s_xor_b32 s9, s42, -1
	s_mul_u64 s[42:43], s[36:37], s[34:35]
	s_and_not1_b32 vcc_lo, exec_lo, s9
	s_lshl_b64 s[42:43], s[42:43], 4
	s_delay_alu instid0(SALU_CYCLE_1)
	s_add_nc_u64 s[42:43], s[26:27], s[42:43]
	s_cbranch_vccnz .LBB184_11
; %bb.8:                                ;   in Loop: Header=BB184_4 Depth=1
	s_mov_b32 s46, 0
	s_mov_b32 s45, 0
                                        ; implicit-def: $vgpr10_vgpr11
	s_and_saveexec_b32 s47, s0
	s_cbranch_execz .LBB184_12
; %bb.9:                                ;   in Loop: Header=BB184_4 Depth=1
	s_wait_loadcnt 0x0
	v_cmp_neq_f64_e32 vcc_lo, 0, v[0:1]
	v_cmp_neq_f64_e64 s9, 0, v[2:3]
	s_or_b32 s9, vcc_lo, s9
	s_delay_alu instid0(SALU_CYCLE_1)
	s_and_not1_b32 vcc_lo, exec_lo, s9
	s_cbranch_vccnz .LBB184_13
; %bb.10:                               ;   in Loop: Header=BB184_4 Depth=1
	s_add_nc_u64 s[48:49], s[42:43], s[40:41]
	global_load_b128 v[22:25], v13, s[48:49]
	s_wait_loadcnt 0x0
	v_mul_f64_e32 v[8:9], v[2:3], v[24:25]
	v_mul_f64_e32 v[10:11], v[0:1], v[24:25]
	s_delay_alu instid0(VALU_DEP_2) | instskip(NEXT) | instid1(VALU_DEP_2)
	v_fma_f64 v[8:9], v[0:1], v[22:23], -v[8:9]
	v_fmac_f64_e32 v[10:11], v[2:3], v[22:23]
	s_branch .LBB184_14
.LBB184_11:                             ;   in Loop: Header=BB184_4 Depth=1
	s_mov_b32 s45, 0
                                        ; implicit-def: $vgpr10_vgpr11
	s_cbranch_execnz .LBB184_15
	s_branch .LBB184_41
.LBB184_12:                             ;   in Loop: Header=BB184_4 Depth=1
	s_or_b32 exec_lo, exec_lo, s47
	s_delay_alu instid0(SALU_CYCLE_1)
	s_and_b32 vcc_lo, exec_lo, s46
	s_cbranch_vccnz .LBB184_15
	s_branch .LBB184_41
.LBB184_13:                             ;   in Loop: Header=BB184_4 Depth=1
	v_mov_b64_e32 v[10:11], 0
	v_mov_b64_e32 v[8:9], 0
.LBB184_14:                             ;   in Loop: Header=BB184_4 Depth=1
	s_mov_b32 s45, exec_lo
	s_wait_xcnt 0x0
	s_or_b32 exec_lo, exec_lo, s47
	s_delay_alu instid0(SALU_CYCLE_1)
	s_and_b32 vcc_lo, exec_lo, s46
	s_cbranch_vccz .LBB184_41
.LBB184_15:                             ;   in Loop: Header=BB184_4 Depth=1
	v_mov_b64_e32 v[10:11], 0
	s_and_not1_b32 vcc_lo, exec_lo, s44
	s_delay_alu instid0(VALU_DEP_1)
	v_mov_b64_e32 v[8:9], v[10:11]
	s_cbranch_vccnz .LBB184_18
; %bb.16:                               ;   in Loop: Header=BB184_4 Depth=1
	v_mad_nc_u64_u32 v[22:23], s16, s34, v[18:19]
	v_mad_nc_u64_u32 v[24:25], s30, s34, v[20:21]
	v_mov_b64_e32 v[10:11], 0
	s_mov_b32 s9, 0
	s_delay_alu instid0(VALU_DEP_1) | instskip(NEXT) | instid1(VALU_DEP_4)
	v_mov_b64_e32 v[8:9], v[10:11]
	v_mad_u32 v23, s17, s34, v23
	s_delay_alu instid0(VALU_DEP_4)
	v_mad_u32 v25, s31, s34, v25
.LBB184_17:                             ;   Parent Loop BB184_4 Depth=1
                                        ; =>  This Inner Loop Header: Depth=2
	global_load_b128 v[28:31], v[22:23], off offset:-8
	global_load_b128 v[32:35], v[24:25], off offset:-8
	s_wait_xcnt 0x1
	v_add_nc_u64_e32 v[22:23], 0x1000, v[22:23]
	s_wait_xcnt 0x0
	v_add_nc_u64_e32 v[24:25], s[38:39], v[24:25]
	s_addk_co_i32 s9, 0x100
	s_delay_alu instid0(SALU_CYCLE_1) | instskip(SKIP_3) | instid1(VALU_DEP_2)
	s_cmp_ge_i32 s9, s18
	s_wait_loadcnt 0x0
	v_mul_f64_e32 v[36:37], v[30:31], v[34:35]
	v_mul_f64_e32 v[30:31], v[30:31], v[32:33]
	v_fmac_f64_e32 v[36:37], v[28:29], v[32:33]
	s_delay_alu instid0(VALU_DEP_2) | instskip(NEXT) | instid1(VALU_DEP_2)
	v_fma_f64 v[28:29], v[28:29], v[34:35], -v[30:31]
	v_add_f64_e32 v[8:9], v[8:9], v[36:37]
	s_delay_alu instid0(VALU_DEP_2)
	v_add_f64_e32 v[10:11], v[10:11], v[28:29]
	s_cbranch_scc0 .LBB184_17
.LBB184_18:                             ;   in Loop: Header=BB184_4 Depth=1
	s_and_saveexec_b32 s9, s1
	s_cbranch_execz .LBB184_20
; %bb.19:                               ;   in Loop: Header=BB184_4 Depth=1
	s_mul_u64 s[46:47], s[28:29], s[34:35]
	s_mul_u64 s[48:49], s[20:21], s[34:35]
	v_lshl_add_u64 v[22:23], s[46:47], 4, v[16:17]
	s_lshl_b64 s[46:47], s[48:49], 4
	s_delay_alu instid0(SALU_CYCLE_1) | instskip(NEXT) | instid1(SALU_CYCLE_1)
	s_add_nc_u64 s[46:47], s[10:11], s[46:47]
	v_lshl_add_u64 v[32:33], v[14:15], 4, s[46:47]
	s_delay_alu instid0(VALU_DEP_2)
	v_lshl_add_u64 v[34:35], s[18:19], 4, v[22:23]
	global_load_b128 v[22:25], v[32:33], off
	global_load_b128 v[28:31], v[34:35], off
	s_wait_loadcnt 0x0
	s_wait_xcnt 0x1
	v_mul_f64_e32 v[32:33], v[30:31], v[24:25]
	v_mul_f64_e32 v[30:31], v[30:31], v[22:23]
	s_delay_alu instid0(VALU_DEP_2) | instskip(NEXT) | instid1(VALU_DEP_2)
	v_fmac_f64_e32 v[32:33], v[28:29], v[22:23]
	v_fma_f64 v[22:23], v[28:29], v[24:25], -v[30:31]
	s_delay_alu instid0(VALU_DEP_2) | instskip(NEXT) | instid1(VALU_DEP_2)
	v_add_f64_e32 v[8:9], v[8:9], v[32:33]
	v_add_f64_e32 v[10:11], v[10:11], v[22:23]
.LBB184_20:                             ;   in Loop: Header=BB184_4 Depth=1
	s_wait_xcnt 0x0
	s_or_b32 exec_lo, exec_lo, s9
	ds_store_b128 v26, v[8:11]
	s_wait_loadcnt_dscnt 0x0
	s_barrier_signal -1
	s_barrier_wait -1
	s_and_saveexec_b32 s9, s2
	s_cbranch_execz .LBB184_22
; %bb.21:                               ;   in Loop: Header=BB184_4 Depth=1
	ds_load_b128 v[8:11], v26 offset:2048
	ds_load_b128 v[22:25], v26
	s_wait_dscnt 0x0
	v_add_f64_e32 v[8:9], v[8:9], v[22:23]
	v_add_f64_e32 v[10:11], v[10:11], v[24:25]
	ds_store_b128 v26, v[8:11]
.LBB184_22:                             ;   in Loop: Header=BB184_4 Depth=1
	s_or_b32 exec_lo, exec_lo, s9
	s_wait_dscnt 0x0
	s_barrier_signal -1
	s_barrier_wait -1
	s_and_saveexec_b32 s9, s3
	s_cbranch_execz .LBB184_24
; %bb.23:                               ;   in Loop: Header=BB184_4 Depth=1
	ds_load_b128 v[8:11], v26 offset:1024
	ds_load_b128 v[22:25], v26
	s_wait_dscnt 0x0
	v_add_f64_e32 v[8:9], v[8:9], v[22:23]
	v_add_f64_e32 v[10:11], v[10:11], v[24:25]
	ds_store_b128 v26, v[8:11]
.LBB184_24:                             ;   in Loop: Header=BB184_4 Depth=1
	s_or_b32 exec_lo, exec_lo, s9
	s_wait_dscnt 0x0
	;; [unrolled: 14-line block ×6, first 2 shown]
	s_barrier_signal -1
	s_barrier_wait -1
	s_and_saveexec_b32 s9, s8
	s_cbranch_execz .LBB184_34
; %bb.33:                               ;   in Loop: Header=BB184_4 Depth=1
	ds_load_b128 v[8:11], v26
	ds_load_b128 v[22:25], v26 offset:32
	s_wait_dscnt 0x0
	v_add_f64_e32 v[8:9], v[22:23], v[8:9]
	v_add_f64_e32 v[10:11], v[24:25], v[10:11]
	ds_store_b128 v26, v[8:11]
.LBB184_34:                             ;   in Loop: Header=BB184_4 Depth=1
	s_or_b32 exec_lo, exec_lo, s9
	s_wait_dscnt 0x0
	s_barrier_signal -1
	s_barrier_wait -1
	s_and_saveexec_b32 s9, s0
	s_cbranch_execz .LBB184_36
; %bb.35:                               ;   in Loop: Header=BB184_4 Depth=1
	ds_load_b128 v[8:11], v13
	ds_load_b128 v[22:25], v13 offset:16
	s_wait_dscnt 0x0
	v_add_f64_e32 v[8:9], v[22:23], v[8:9]
	v_add_f64_e32 v[10:11], v[24:25], v[10:11]
	ds_store_b128 v13, v[8:11]
.LBB184_36:                             ;   in Loop: Header=BB184_4 Depth=1
	s_or_b32 exec_lo, exec_lo, s9
	s_wait_dscnt 0x0
	s_barrier_signal -1
	s_barrier_wait -1
                                        ; implicit-def: $vgpr10_vgpr11
	s_and_saveexec_b32 s46, s0
	s_cbranch_execz .LBB184_40
; %bb.37:                               ;   in Loop: Header=BB184_4 Depth=1
	ds_load_b128 v[22:25], v13
	v_cmp_neq_f64_e32 vcc_lo, 0, v[0:1]
	v_cmp_neq_f64_e64 s9, 0, v[2:3]
	s_wait_dscnt 0x0
	v_mul_f64_e32 v[8:9], v[6:7], v[24:25]
	v_mul_f64_e32 v[10:11], v[4:5], v[24:25]
	s_or_b32 s9, vcc_lo, s9
	s_delay_alu instid0(SALU_CYCLE_1) | instskip(NEXT) | instid1(VALU_DEP_2)
	s_and_not1_b32 vcc_lo, exec_lo, s9
	v_fma_f64 v[8:9], v[4:5], v[22:23], -v[8:9]
	s_delay_alu instid0(VALU_DEP_2)
	v_fmac_f64_e32 v[10:11], v[6:7], v[22:23]
	s_cbranch_vccnz .LBB184_39
; %bb.38:                               ;   in Loop: Header=BB184_4 Depth=1
	s_add_nc_u64 s[48:49], s[42:43], s[40:41]
	global_load_b128 v[4:7], v13, s[48:49]
	s_wait_loadcnt 0x0
	v_mul_f64_e32 v[22:23], v[2:3], v[6:7]
	v_mul_f64_e32 v[6:7], v[0:1], v[6:7]
	s_delay_alu instid0(VALU_DEP_2) | instskip(NEXT) | instid1(VALU_DEP_2)
	v_fma_f64 v[0:1], v[0:1], v[4:5], -v[22:23]
	v_fmac_f64_e32 v[6:7], v[2:3], v[4:5]
	s_delay_alu instid0(VALU_DEP_2) | instskip(NEXT) | instid1(VALU_DEP_2)
	v_add_f64_e32 v[8:9], v[8:9], v[0:1]
	v_add_f64_e32 v[10:11], v[10:11], v[6:7]
.LBB184_39:                             ;   in Loop: Header=BB184_4 Depth=1
	s_or_b32 s45, s45, exec_lo
.LBB184_40:                             ;   in Loop: Header=BB184_4 Depth=1
	s_wait_xcnt 0x0
	s_or_b32 exec_lo, exec_lo, s46
.LBB184_41:                             ;   in Loop: Header=BB184_4 Depth=1
	s_and_saveexec_b32 s9, s45
	s_cbranch_execz .LBB184_2
; %bb.42:                               ;   in Loop: Header=BB184_4 Depth=1
	s_add_nc_u64 s[42:43], s[42:43], s[40:41]
	global_store_b128 v13, v[8:11], s[42:43]
	s_branch .LBB184_2
.LBB184_43:
	s_endpgm
	.section	.rodata,"a",@progbits
	.p2align	6, 0x0
	.amdhsa_kernel _ZL20rocblas_gemvt_kernelILb1ELi256E19rocblas_complex_numIdEPKS1_S1_EviiT2_lPKT1_lilS7_lilS4_lPT3_lili
		.amdhsa_group_segment_fixed_size 4096
		.amdhsa_private_segment_fixed_size 0
		.amdhsa_kernarg_size 140
		.amdhsa_user_sgpr_count 2
		.amdhsa_user_sgpr_dispatch_ptr 0
		.amdhsa_user_sgpr_queue_ptr 0
		.amdhsa_user_sgpr_kernarg_segment_ptr 1
		.amdhsa_user_sgpr_dispatch_id 0
		.amdhsa_user_sgpr_kernarg_preload_length 0
		.amdhsa_user_sgpr_kernarg_preload_offset 0
		.amdhsa_user_sgpr_private_segment_size 0
		.amdhsa_wavefront_size32 1
		.amdhsa_uses_dynamic_stack 0
		.amdhsa_enable_private_segment 0
		.amdhsa_system_sgpr_workgroup_id_x 1
		.amdhsa_system_sgpr_workgroup_id_y 0
		.amdhsa_system_sgpr_workgroup_id_z 1
		.amdhsa_system_sgpr_workgroup_info 0
		.amdhsa_system_vgpr_workitem_id 0
		.amdhsa_next_free_vgpr 38
		.amdhsa_next_free_sgpr 50
		.amdhsa_named_barrier_count 0
		.amdhsa_reserve_vcc 1
		.amdhsa_float_round_mode_32 0
		.amdhsa_float_round_mode_16_64 0
		.amdhsa_float_denorm_mode_32 3
		.amdhsa_float_denorm_mode_16_64 3
		.amdhsa_fp16_overflow 0
		.amdhsa_memory_ordered 1
		.amdhsa_forward_progress 1
		.amdhsa_inst_pref_size 15
		.amdhsa_round_robin_scheduling 0
		.amdhsa_exception_fp_ieee_invalid_op 0
		.amdhsa_exception_fp_denorm_src 0
		.amdhsa_exception_fp_ieee_div_zero 0
		.amdhsa_exception_fp_ieee_overflow 0
		.amdhsa_exception_fp_ieee_underflow 0
		.amdhsa_exception_fp_ieee_inexact 0
		.amdhsa_exception_int_div_zero 0
	.end_amdhsa_kernel
	.section	.text._ZL20rocblas_gemvt_kernelILb1ELi256E19rocblas_complex_numIdEPKS1_S1_EviiT2_lPKT1_lilS7_lilS4_lPT3_lili,"axG",@progbits,_ZL20rocblas_gemvt_kernelILb1ELi256E19rocblas_complex_numIdEPKS1_S1_EviiT2_lPKT1_lilS7_lilS4_lPT3_lili,comdat
.Lfunc_end184:
	.size	_ZL20rocblas_gemvt_kernelILb1ELi256E19rocblas_complex_numIdEPKS1_S1_EviiT2_lPKT1_lilS7_lilS4_lPT3_lili, .Lfunc_end184-_ZL20rocblas_gemvt_kernelILb1ELi256E19rocblas_complex_numIdEPKS1_S1_EviiT2_lPKT1_lilS7_lilS4_lPT3_lili
                                        ; -- End function
	.set _ZL20rocblas_gemvt_kernelILb1ELi256E19rocblas_complex_numIdEPKS1_S1_EviiT2_lPKT1_lilS7_lilS4_lPT3_lili.num_vgpr, 38
	.set _ZL20rocblas_gemvt_kernelILb1ELi256E19rocblas_complex_numIdEPKS1_S1_EviiT2_lPKT1_lilS7_lilS4_lPT3_lili.num_agpr, 0
	.set _ZL20rocblas_gemvt_kernelILb1ELi256E19rocblas_complex_numIdEPKS1_S1_EviiT2_lPKT1_lilS7_lilS4_lPT3_lili.numbered_sgpr, 50
	.set _ZL20rocblas_gemvt_kernelILb1ELi256E19rocblas_complex_numIdEPKS1_S1_EviiT2_lPKT1_lilS7_lilS4_lPT3_lili.num_named_barrier, 0
	.set _ZL20rocblas_gemvt_kernelILb1ELi256E19rocblas_complex_numIdEPKS1_S1_EviiT2_lPKT1_lilS7_lilS4_lPT3_lili.private_seg_size, 0
	.set _ZL20rocblas_gemvt_kernelILb1ELi256E19rocblas_complex_numIdEPKS1_S1_EviiT2_lPKT1_lilS7_lilS4_lPT3_lili.uses_vcc, 1
	.set _ZL20rocblas_gemvt_kernelILb1ELi256E19rocblas_complex_numIdEPKS1_S1_EviiT2_lPKT1_lilS7_lilS4_lPT3_lili.uses_flat_scratch, 0
	.set _ZL20rocblas_gemvt_kernelILb1ELi256E19rocblas_complex_numIdEPKS1_S1_EviiT2_lPKT1_lilS7_lilS4_lPT3_lili.has_dyn_sized_stack, 0
	.set _ZL20rocblas_gemvt_kernelILb1ELi256E19rocblas_complex_numIdEPKS1_S1_EviiT2_lPKT1_lilS7_lilS4_lPT3_lili.has_recursion, 0
	.set _ZL20rocblas_gemvt_kernelILb1ELi256E19rocblas_complex_numIdEPKS1_S1_EviiT2_lPKT1_lilS7_lilS4_lPT3_lili.has_indirect_call, 0
	.section	.AMDGPU.csdata,"",@progbits
; Kernel info:
; codeLenInByte = 1804
; TotalNumSgprs: 52
; NumVgprs: 38
; ScratchSize: 0
; MemoryBound: 0
; FloatMode: 240
; IeeeMode: 1
; LDSByteSize: 4096 bytes/workgroup (compile time only)
; SGPRBlocks: 0
; VGPRBlocks: 2
; NumSGPRsForWavesPerEU: 52
; NumVGPRsForWavesPerEU: 38
; NamedBarCnt: 0
; Occupancy: 16
; WaveLimiterHint : 0
; COMPUTE_PGM_RSRC2:SCRATCH_EN: 0
; COMPUTE_PGM_RSRC2:USER_SGPR: 2
; COMPUTE_PGM_RSRC2:TRAP_HANDLER: 0
; COMPUTE_PGM_RSRC2:TGID_X_EN: 1
; COMPUTE_PGM_RSRC2:TGID_Y_EN: 0
; COMPUTE_PGM_RSRC2:TGID_Z_EN: 1
; COMPUTE_PGM_RSRC2:TIDIG_COMP_CNT: 0
	.section	.text._ZL20rocblas_gemvt_kernelILb1ELi256E19rocblas_complex_numIdES1_S1_EviiT2_lPKT1_lilS5_lilS2_lPT3_lili,"axG",@progbits,_ZL20rocblas_gemvt_kernelILb1ELi256E19rocblas_complex_numIdES1_S1_EviiT2_lPKT1_lilS5_lilS2_lPT3_lili,comdat
	.globl	_ZL20rocblas_gemvt_kernelILb1ELi256E19rocblas_complex_numIdES1_S1_EviiT2_lPKT1_lilS5_lilS2_lPT3_lili ; -- Begin function _ZL20rocblas_gemvt_kernelILb1ELi256E19rocblas_complex_numIdES1_S1_EviiT2_lPKT1_lilS5_lilS2_lPT3_lili
	.p2align	8
	.type	_ZL20rocblas_gemvt_kernelILb1ELi256E19rocblas_complex_numIdES1_S1_EviiT2_lPKT1_lilS5_lilS2_lPT3_lili,@function
_ZL20rocblas_gemvt_kernelILb1ELi256E19rocblas_complex_numIdES1_S1_EviiT2_lPKT1_lilS5_lilS2_lPT3_lili: ; @_ZL20rocblas_gemvt_kernelILb1ELi256E19rocblas_complex_numIdES1_S1_EviiT2_lPKT1_lilS5_lilS2_lPT3_lili
; %bb.0:
	s_load_b32 s33, s[0:1], 0x98
	s_bfe_u32 s2, ttmp6, 0x40014
	s_lshr_b32 s3, ttmp7, 16
	s_add_co_i32 s2, s2, 1
	s_bfe_u32 s5, ttmp6, 0x40008
	s_mul_i32 s4, s3, s2
	s_getreg_b32 s2, hwreg(HW_REG_IB_STS2, 6, 4)
	s_add_co_i32 s5, s5, s4
	s_cmp_eq_u32 s2, 0
	s_mov_b32 s29, 0
	s_cselect_b32 s28, s3, s5
	s_wait_kmcnt 0x0
	s_cmp_ge_u32 s28, s33
	s_cbranch_scc1 .LBB185_41
; %bb.1:
	s_clause 0x9
	s_load_b128 s[12:15], s[0:1], 0x8
	s_load_b64 s[30:31], s[0:1], 0x68
	s_load_b128 s[16:19], s[0:1], 0x58
	s_load_b32 s36, s[0:1], 0x30
	s_load_b96 s[24:26], s[0:1], 0x48
	s_load_b32 s38, s[0:1], 0x88
	s_load_b128 s[8:11], s[0:1], 0x78
	s_load_b128 s[4:7], s[0:1], 0x20
	s_load_b32 s47, s[0:1], 0x0
	s_load_b128 s[20:23], s[0:1], 0x38
	s_bfe_u32 s37, ttmp6, 0x4000c
	s_load_b64 s[34:35], s[0:1], 0x90
	s_add_co_i32 s37, s37, 1
	s_wait_xcnt 0x0
	s_and_b32 s0, ttmp6, 15
	s_mul_i32 s1, ttmp9, s37
	v_lshlrev_b32_e32 v18, 4, v0
	s_add_co_i32 s42, s0, s1
	s_wait_kmcnt 0x0
	s_ashr_i32 s37, s36, 31
	s_ashr_i32 s41, s26, 31
	;; [unrolled: 1-line block ×3, first 2 shown]
	v_cmp_neq_f64_e64 s3, s[12:13], 0
	v_cmp_neq_f64_e64 s27, s[14:15], 0
	;; [unrolled: 1-line block ×4, first 2 shown]
	s_lshl_b64 s[0:1], s[24:25], 4
	s_lshl_b64 s[24:25], s[10:11], 4
	;; [unrolled: 1-line block ×3, first 2 shown]
	v_cmp_gt_i32_e32 vcc_lo, s47, v0
	v_mov_b32_e32 v5, 0
	v_cmp_neq_f64_e64 s49, s[18:19], 1.0
	s_add_nc_u64 s[22:23], s[22:23], s[0:1]
	s_add_nc_u64 s[0:1], s[4:5], s[6:7]
	v_cndmask_b32_e32 v4, 0, v0, vcc_lo
	s_add_nc_u64 s[24:25], s[8:9], s[24:25]
	v_cmp_gt_u32_e64 s8, 2, v0
	s_or_b32 s48, s3, s27
	s_or_b32 s44, s40, s46
	s_xor_b32 s45, s48, -1
	s_cmp_eq_u32 s2, 0
	s_mov_b32 s40, s26
	s_cselect_b32 s2, ttmp9, s42
	s_ashr_i32 s3, s47, 31
	s_delay_alu instid0(SALU_CYCLE_1) | instskip(NEXT) | instid1(SALU_CYCLE_1)
	s_lshr_b32 s3, s3, 24
	s_add_co_i32 s3, s47, s3
	s_delay_alu instid0(SALU_CYCLE_1) | instskip(NEXT) | instid1(SALU_CYCLE_1)
	s_and_b32 s10, s3, 0xffffff00
	v_dual_mov_b32 v1, v5 :: v_dual_bitop2_b32 v10, s10, v0 bitop3:0x54
	v_lshlrev_b32_e32 v4, 4, v4
	s_ashr_i32 s3, s2, 31
	s_delay_alu instid0(VALU_DEP_2) | instskip(NEXT) | instid1(VALU_DEP_3)
	v_mul_u64_e32 v[2:3], s[40:41], v[0:1]
	v_ashrrev_i32_e32 v11, 31, v10
	s_mul_u64 s[42:43], s[38:39], s[2:3]
	s_mul_u64 s[2:3], s[36:37], s[2:3]
	v_add_nc_u64_e32 v[8:9], s[0:1], v[4:5]
	s_lshl_b64 s[26:27], s[2:3], 4
	v_mul_u64_e32 v[6:7], s[40:41], v[10:11]
	s_add_nc_u64 s[6:7], s[26:27], s[6:7]
	v_cmp_gt_i32_e64 s1, s47, v10
	s_add_nc_u64 s[6:7], s[4:5], s[6:7]
	s_cmp_gt_i32 s47, 0xff
	v_add_nc_u64_e32 v[10:11], s[6:7], v[4:5]
	v_add_nc_u64_e32 v[8:9], s[26:27], v[8:9]
	v_cmp_eq_u32_e64 s0, 0, v0
	v_cmp_gt_u32_e64 s2, 0x80, v0
	v_cmp_gt_u32_e64 s3, 64, v0
	;; [unrolled: 1-line block ×4, first 2 shown]
	v_add_nc_u64_e32 v[10:11], 8, v[10:11]
	v_cmp_gt_u32_e64 s6, 8, v0
	v_cmp_gt_u32_e64 s7, 4, v0
	s_cselect_b32 s9, -1, 0
	s_or_b32 s36, s48, s49
	s_ashr_i32 s11, s10, 31
	s_lshl_b64 s[26:27], s[20:21], 4
	s_or_b32 s46, s36, s46
	s_lshl_b64 s[36:37], s[16:17], 4
	s_lshl_b64 s[38:39], s[40:41], 12
	;; [unrolled: 1-line block ×3, first 2 shown]
	v_lshl_add_u64 v[2:3], v[2:3], 4, s[22:23]
	s_delay_alu instid0(VALU_DEP_1)
	v_add_nc_u64_e32 v[12:13], 8, v[2:3]
	s_branch .LBB185_4
.LBB185_2:                              ;   in Loop: Header=BB185_4 Depth=1
	s_wait_xcnt 0x0
	s_or_b32 exec_lo, exec_lo, s48
.LBB185_3:                              ;   in Loop: Header=BB185_4 Depth=1
	s_add_co_i32 s28, s28, 0x10000
	s_delay_alu instid0(SALU_CYCLE_1)
	s_cmp_lt_u32 s28, s33
	s_cbranch_scc0 .LBB185_41
.LBB185_4:                              ; =>This Loop Header: Depth=1
                                        ;     Child Loop BB185_15 Depth 2
	s_and_not1_b32 vcc_lo, exec_lo, s46
	s_cbranch_vccnz .LBB185_3
; %bb.5:                                ;   in Loop: Header=BB185_4 Depth=1
	s_mul_u64 s[42:43], s[34:35], s[28:29]
	s_and_not1_b32 vcc_lo, exec_lo, s45
	s_lshl_b64 s[42:43], s[42:43], 4
	s_delay_alu instid0(SALU_CYCLE_1)
	s_add_nc_u64 s[42:43], s[24:25], s[42:43]
	s_cbranch_vccnz .LBB185_9
; %bb.6:                                ;   in Loop: Header=BB185_4 Depth=1
	s_mov_b32 s48, 0
	s_mov_b32 s47, 0
                                        ; implicit-def: $vgpr2_vgpr3
	s_and_saveexec_b32 s49, s0
	s_cbranch_execz .LBB185_10
; %bb.7:                                ;   in Loop: Header=BB185_4 Depth=1
	s_and_not1_b32 vcc_lo, exec_lo, s44
	s_cbranch_vccnz .LBB185_11
; %bb.8:                                ;   in Loop: Header=BB185_4 Depth=1
	s_add_nc_u64 s[50:51], s[42:43], s[40:41]
	global_load_b128 v[14:17], v5, s[50:51]
	s_wait_loadcnt 0x0
	v_mul_f64_e32 v[0:1], s[30:31], v[16:17]
	v_mul_f64_e32 v[2:3], s[18:19], v[16:17]
	s_delay_alu instid0(VALU_DEP_2) | instskip(NEXT) | instid1(VALU_DEP_2)
	v_fma_f64 v[0:1], s[18:19], v[14:15], -v[0:1]
	v_fmac_f64_e32 v[2:3], s[30:31], v[14:15]
	s_branch .LBB185_12
.LBB185_9:                              ;   in Loop: Header=BB185_4 Depth=1
	s_mov_b32 s47, 0
                                        ; implicit-def: $vgpr2_vgpr3
	s_cbranch_execnz .LBB185_13
	s_branch .LBB185_39
.LBB185_10:                             ;   in Loop: Header=BB185_4 Depth=1
	s_or_b32 exec_lo, exec_lo, s49
	s_delay_alu instid0(SALU_CYCLE_1)
	s_and_b32 vcc_lo, exec_lo, s48
	s_cbranch_vccnz .LBB185_13
	s_branch .LBB185_39
.LBB185_11:                             ;   in Loop: Header=BB185_4 Depth=1
	v_mov_b64_e32 v[2:3], 0
	v_mov_b64_e32 v[0:1], 0
.LBB185_12:                             ;   in Loop: Header=BB185_4 Depth=1
	s_mov_b32 s47, exec_lo
	s_wait_xcnt 0x0
	s_or_b32 exec_lo, exec_lo, s49
	s_delay_alu instid0(SALU_CYCLE_1)
	s_and_b32 vcc_lo, exec_lo, s48
	s_cbranch_vccz .LBB185_39
.LBB185_13:                             ;   in Loop: Header=BB185_4 Depth=1
	v_mov_b64_e32 v[2:3], 0
	s_and_not1_b32 vcc_lo, exec_lo, s9
	s_delay_alu instid0(VALU_DEP_1)
	v_mov_b64_e32 v[0:1], v[2:3]
	s_cbranch_vccnz .LBB185_16
; %bb.14:                               ;   in Loop: Header=BB185_4 Depth=1
	v_mad_nc_u64_u32 v[14:15], s26, s28, v[10:11]
	v_mad_nc_u64_u32 v[16:17], s36, s28, v[12:13]
	v_mov_b64_e32 v[2:3], 0
	s_mov_b32 s48, 0
	s_delay_alu instid0(VALU_DEP_1) | instskip(NEXT) | instid1(VALU_DEP_4)
	v_mov_b64_e32 v[0:1], v[2:3]
	v_mad_u32 v15, s27, s28, v15
	s_delay_alu instid0(VALU_DEP_4)
	v_mad_u32 v17, s37, s28, v17
.LBB185_15:                             ;   Parent Loop BB185_4 Depth=1
                                        ; =>  This Inner Loop Header: Depth=2
	global_load_b128 v[20:23], v[14:15], off offset:-8
	global_load_b128 v[24:27], v[16:17], off offset:-8
	s_wait_xcnt 0x1
	v_add_nc_u64_e32 v[14:15], 0x1000, v[14:15]
	s_wait_xcnt 0x0
	v_add_nc_u64_e32 v[16:17], s[38:39], v[16:17]
	s_addk_co_i32 s48, 0x100
	s_delay_alu instid0(SALU_CYCLE_1) | instskip(SKIP_3) | instid1(VALU_DEP_2)
	s_cmp_ge_i32 s48, s10
	s_wait_loadcnt 0x0
	v_mul_f64_e32 v[28:29], v[22:23], v[26:27]
	v_mul_f64_e32 v[22:23], v[22:23], v[24:25]
	v_fmac_f64_e32 v[28:29], v[20:21], v[24:25]
	s_delay_alu instid0(VALU_DEP_2) | instskip(NEXT) | instid1(VALU_DEP_2)
	v_fma_f64 v[20:21], v[20:21], v[26:27], -v[22:23]
	v_add_f64_e32 v[0:1], v[0:1], v[28:29]
	s_delay_alu instid0(VALU_DEP_2)
	v_add_f64_e32 v[2:3], v[2:3], v[20:21]
	s_cbranch_scc0 .LBB185_15
.LBB185_16:                             ;   in Loop: Header=BB185_4 Depth=1
	s_and_saveexec_b32 s48, s1
	s_cbranch_execz .LBB185_18
; %bb.17:                               ;   in Loop: Header=BB185_4 Depth=1
	s_mul_u64 s[50:51], s[20:21], s[28:29]
	s_mul_u64 s[52:53], s[16:17], s[28:29]
	v_lshl_add_u64 v[14:15], s[50:51], 4, v[8:9]
	s_lshl_b64 s[50:51], s[52:53], 4
	s_delay_alu instid0(SALU_CYCLE_1) | instskip(NEXT) | instid1(SALU_CYCLE_1)
	s_add_nc_u64 s[50:51], s[22:23], s[50:51]
	v_lshl_add_u64 v[24:25], v[6:7], 4, s[50:51]
	s_delay_alu instid0(VALU_DEP_2)
	v_lshl_add_u64 v[26:27], s[10:11], 4, v[14:15]
	global_load_b128 v[14:17], v[24:25], off
	global_load_b128 v[20:23], v[26:27], off
	s_wait_loadcnt 0x0
	s_wait_xcnt 0x1
	v_mul_f64_e32 v[24:25], v[22:23], v[16:17]
	v_mul_f64_e32 v[22:23], v[22:23], v[14:15]
	s_delay_alu instid0(VALU_DEP_2) | instskip(NEXT) | instid1(VALU_DEP_2)
	v_fmac_f64_e32 v[24:25], v[20:21], v[14:15]
	v_fma_f64 v[14:15], v[20:21], v[16:17], -v[22:23]
	s_delay_alu instid0(VALU_DEP_2) | instskip(NEXT) | instid1(VALU_DEP_2)
	v_add_f64_e32 v[0:1], v[0:1], v[24:25]
	v_add_f64_e32 v[2:3], v[2:3], v[14:15]
.LBB185_18:                             ;   in Loop: Header=BB185_4 Depth=1
	s_wait_xcnt 0x0
	s_or_b32 exec_lo, exec_lo, s48
	ds_store_b128 v18, v[0:3]
	s_wait_dscnt 0x0
	s_barrier_signal -1
	s_barrier_wait -1
	s_and_saveexec_b32 s48, s2
	s_cbranch_execz .LBB185_20
; %bb.19:                               ;   in Loop: Header=BB185_4 Depth=1
	ds_load_b128 v[0:3], v18 offset:2048
	ds_load_b128 v[14:17], v18
	s_wait_dscnt 0x0
	v_add_f64_e32 v[0:1], v[0:1], v[14:15]
	v_add_f64_e32 v[2:3], v[2:3], v[16:17]
	ds_store_b128 v18, v[0:3]
.LBB185_20:                             ;   in Loop: Header=BB185_4 Depth=1
	s_or_b32 exec_lo, exec_lo, s48
	s_wait_dscnt 0x0
	s_barrier_signal -1
	s_barrier_wait -1
	s_and_saveexec_b32 s48, s3
	s_cbranch_execz .LBB185_22
; %bb.21:                               ;   in Loop: Header=BB185_4 Depth=1
	ds_load_b128 v[0:3], v18 offset:1024
	ds_load_b128 v[14:17], v18
	s_wait_dscnt 0x0
	v_add_f64_e32 v[0:1], v[0:1], v[14:15]
	v_add_f64_e32 v[2:3], v[2:3], v[16:17]
	ds_store_b128 v18, v[0:3]
.LBB185_22:                             ;   in Loop: Header=BB185_4 Depth=1
	s_or_b32 exec_lo, exec_lo, s48
	;; [unrolled: 14-line block ×6, first 2 shown]
	s_wait_dscnt 0x0
	s_barrier_signal -1
	s_barrier_wait -1
	s_and_saveexec_b32 s48, s8
	s_cbranch_execz .LBB185_32
; %bb.31:                               ;   in Loop: Header=BB185_4 Depth=1
	ds_load_b128 v[0:3], v18
	ds_load_b128 v[14:17], v18 offset:32
	s_wait_dscnt 0x0
	v_add_f64_e32 v[0:1], v[14:15], v[0:1]
	v_add_f64_e32 v[2:3], v[16:17], v[2:3]
	ds_store_b128 v18, v[0:3]
.LBB185_32:                             ;   in Loop: Header=BB185_4 Depth=1
	s_or_b32 exec_lo, exec_lo, s48
	s_wait_dscnt 0x0
	s_barrier_signal -1
	s_barrier_wait -1
	s_and_saveexec_b32 s48, s0
	s_cbranch_execz .LBB185_34
; %bb.33:                               ;   in Loop: Header=BB185_4 Depth=1
	ds_load_b128 v[0:3], v5
	ds_load_b128 v[14:17], v5 offset:16
	s_wait_dscnt 0x0
	v_add_f64_e32 v[0:1], v[14:15], v[0:1]
	v_add_f64_e32 v[2:3], v[16:17], v[2:3]
	ds_store_b128 v5, v[0:3]
.LBB185_34:                             ;   in Loop: Header=BB185_4 Depth=1
	s_or_b32 exec_lo, exec_lo, s48
	s_wait_dscnt 0x0
	s_barrier_signal -1
	s_barrier_wait -1
                                        ; implicit-def: $vgpr2_vgpr3
	s_and_saveexec_b32 s48, s0
	s_cbranch_execz .LBB185_38
; %bb.35:                               ;   in Loop: Header=BB185_4 Depth=1
	ds_load_b128 v[14:17], v5
	s_and_not1_b32 vcc_lo, exec_lo, s44
	s_wait_dscnt 0x0
	v_mul_f64_e32 v[0:1], s[14:15], v[16:17]
	v_mul_f64_e32 v[2:3], s[12:13], v[16:17]
	s_delay_alu instid0(VALU_DEP_2) | instskip(NEXT) | instid1(VALU_DEP_2)
	v_fma_f64 v[0:1], s[12:13], v[14:15], -v[0:1]
	v_fmac_f64_e32 v[2:3], s[14:15], v[14:15]
	s_cbranch_vccnz .LBB185_37
; %bb.36:                               ;   in Loop: Header=BB185_4 Depth=1
	s_add_nc_u64 s[50:51], s[42:43], s[40:41]
	global_load_b128 v[14:17], v5, s[50:51]
	s_wait_loadcnt 0x0
	v_mul_f64_e32 v[20:21], s[30:31], v[16:17]
	v_mul_f64_e32 v[16:17], s[18:19], v[16:17]
	s_delay_alu instid0(VALU_DEP_2) | instskip(NEXT) | instid1(VALU_DEP_2)
	v_fma_f64 v[20:21], s[18:19], v[14:15], -v[20:21]
	v_fmac_f64_e32 v[16:17], s[30:31], v[14:15]
	s_delay_alu instid0(VALU_DEP_2) | instskip(NEXT) | instid1(VALU_DEP_2)
	v_add_f64_e32 v[0:1], v[0:1], v[20:21]
	v_add_f64_e32 v[2:3], v[2:3], v[16:17]
.LBB185_37:                             ;   in Loop: Header=BB185_4 Depth=1
	s_or_b32 s47, s47, exec_lo
.LBB185_38:                             ;   in Loop: Header=BB185_4 Depth=1
	s_wait_xcnt 0x0
	s_or_b32 exec_lo, exec_lo, s48
.LBB185_39:                             ;   in Loop: Header=BB185_4 Depth=1
	s_and_saveexec_b32 s48, s47
	s_cbranch_execz .LBB185_2
; %bb.40:                               ;   in Loop: Header=BB185_4 Depth=1
	s_add_nc_u64 s[42:43], s[42:43], s[40:41]
	global_store_b128 v5, v[0:3], s[42:43]
	s_branch .LBB185_2
.LBB185_41:
	s_endpgm
	.section	.rodata,"a",@progbits
	.p2align	6, 0x0
	.amdhsa_kernel _ZL20rocblas_gemvt_kernelILb1ELi256E19rocblas_complex_numIdES1_S1_EviiT2_lPKT1_lilS5_lilS2_lPT3_lili
		.amdhsa_group_segment_fixed_size 4096
		.amdhsa_private_segment_fixed_size 0
		.amdhsa_kernarg_size 156
		.amdhsa_user_sgpr_count 2
		.amdhsa_user_sgpr_dispatch_ptr 0
		.amdhsa_user_sgpr_queue_ptr 0
		.amdhsa_user_sgpr_kernarg_segment_ptr 1
		.amdhsa_user_sgpr_dispatch_id 0
		.amdhsa_user_sgpr_kernarg_preload_length 0
		.amdhsa_user_sgpr_kernarg_preload_offset 0
		.amdhsa_user_sgpr_private_segment_size 0
		.amdhsa_wavefront_size32 1
		.amdhsa_uses_dynamic_stack 0
		.amdhsa_enable_private_segment 0
		.amdhsa_system_sgpr_workgroup_id_x 1
		.amdhsa_system_sgpr_workgroup_id_y 0
		.amdhsa_system_sgpr_workgroup_id_z 1
		.amdhsa_system_sgpr_workgroup_info 0
		.amdhsa_system_vgpr_workitem_id 0
		.amdhsa_next_free_vgpr 30
		.amdhsa_next_free_sgpr 54
		.amdhsa_named_barrier_count 0
		.amdhsa_reserve_vcc 1
		.amdhsa_float_round_mode_32 0
		.amdhsa_float_round_mode_16_64 0
		.amdhsa_float_denorm_mode_32 3
		.amdhsa_float_denorm_mode_16_64 3
		.amdhsa_fp16_overflow 0
		.amdhsa_memory_ordered 1
		.amdhsa_forward_progress 1
		.amdhsa_inst_pref_size 14
		.amdhsa_round_robin_scheduling 0
		.amdhsa_exception_fp_ieee_invalid_op 0
		.amdhsa_exception_fp_denorm_src 0
		.amdhsa_exception_fp_ieee_div_zero 0
		.amdhsa_exception_fp_ieee_overflow 0
		.amdhsa_exception_fp_ieee_underflow 0
		.amdhsa_exception_fp_ieee_inexact 0
		.amdhsa_exception_int_div_zero 0
	.end_amdhsa_kernel
	.section	.text._ZL20rocblas_gemvt_kernelILb1ELi256E19rocblas_complex_numIdES1_S1_EviiT2_lPKT1_lilS5_lilS2_lPT3_lili,"axG",@progbits,_ZL20rocblas_gemvt_kernelILb1ELi256E19rocblas_complex_numIdES1_S1_EviiT2_lPKT1_lilS5_lilS2_lPT3_lili,comdat
.Lfunc_end185:
	.size	_ZL20rocblas_gemvt_kernelILb1ELi256E19rocblas_complex_numIdES1_S1_EviiT2_lPKT1_lilS5_lilS2_lPT3_lili, .Lfunc_end185-_ZL20rocblas_gemvt_kernelILb1ELi256E19rocblas_complex_numIdES1_S1_EviiT2_lPKT1_lilS5_lilS2_lPT3_lili
                                        ; -- End function
	.set _ZL20rocblas_gemvt_kernelILb1ELi256E19rocblas_complex_numIdES1_S1_EviiT2_lPKT1_lilS5_lilS2_lPT3_lili.num_vgpr, 30
	.set _ZL20rocblas_gemvt_kernelILb1ELi256E19rocblas_complex_numIdES1_S1_EviiT2_lPKT1_lilS5_lilS2_lPT3_lili.num_agpr, 0
	.set _ZL20rocblas_gemvt_kernelILb1ELi256E19rocblas_complex_numIdES1_S1_EviiT2_lPKT1_lilS5_lilS2_lPT3_lili.numbered_sgpr, 54
	.set _ZL20rocblas_gemvt_kernelILb1ELi256E19rocblas_complex_numIdES1_S1_EviiT2_lPKT1_lilS5_lilS2_lPT3_lili.num_named_barrier, 0
	.set _ZL20rocblas_gemvt_kernelILb1ELi256E19rocblas_complex_numIdES1_S1_EviiT2_lPKT1_lilS5_lilS2_lPT3_lili.private_seg_size, 0
	.set _ZL20rocblas_gemvt_kernelILb1ELi256E19rocblas_complex_numIdES1_S1_EviiT2_lPKT1_lilS5_lilS2_lPT3_lili.uses_vcc, 1
	.set _ZL20rocblas_gemvt_kernelILb1ELi256E19rocblas_complex_numIdES1_S1_EviiT2_lPKT1_lilS5_lilS2_lPT3_lili.uses_flat_scratch, 0
	.set _ZL20rocblas_gemvt_kernelILb1ELi256E19rocblas_complex_numIdES1_S1_EviiT2_lPKT1_lilS5_lilS2_lPT3_lili.has_dyn_sized_stack, 0
	.set _ZL20rocblas_gemvt_kernelILb1ELi256E19rocblas_complex_numIdES1_S1_EviiT2_lPKT1_lilS5_lilS2_lPT3_lili.has_recursion, 0
	.set _ZL20rocblas_gemvt_kernelILb1ELi256E19rocblas_complex_numIdES1_S1_EviiT2_lPKT1_lilS5_lilS2_lPT3_lili.has_indirect_call, 0
	.section	.AMDGPU.csdata,"",@progbits
; Kernel info:
; codeLenInByte = 1696
; TotalNumSgprs: 56
; NumVgprs: 30
; ScratchSize: 0
; MemoryBound: 0
; FloatMode: 240
; IeeeMode: 1
; LDSByteSize: 4096 bytes/workgroup (compile time only)
; SGPRBlocks: 0
; VGPRBlocks: 1
; NumSGPRsForWavesPerEU: 56
; NumVGPRsForWavesPerEU: 30
; NamedBarCnt: 0
; Occupancy: 16
; WaveLimiterHint : 1
; COMPUTE_PGM_RSRC2:SCRATCH_EN: 0
; COMPUTE_PGM_RSRC2:USER_SGPR: 2
; COMPUTE_PGM_RSRC2:TRAP_HANDLER: 0
; COMPUTE_PGM_RSRC2:TGID_X_EN: 1
; COMPUTE_PGM_RSRC2:TGID_Y_EN: 0
; COMPUTE_PGM_RSRC2:TGID_Z_EN: 1
; COMPUTE_PGM_RSRC2:TIDIG_COMP_CNT: 0
	.section	.text._ZL32rocblas_gemvt_warp_reduce_kernelILb1ELi1024Ei19rocblas_complex_numIdEPKS1_S1_EviiT3_lPKT2_lT1_lS7_lS8_lS4_lPT4_lS8_li,"axG",@progbits,_ZL32rocblas_gemvt_warp_reduce_kernelILb1ELi1024Ei19rocblas_complex_numIdEPKS1_S1_EviiT3_lPKT2_lT1_lS7_lS8_lS4_lPT4_lS8_li,comdat
	.globl	_ZL32rocblas_gemvt_warp_reduce_kernelILb1ELi1024Ei19rocblas_complex_numIdEPKS1_S1_EviiT3_lPKT2_lT1_lS7_lS8_lS4_lPT4_lS8_li ; -- Begin function _ZL32rocblas_gemvt_warp_reduce_kernelILb1ELi1024Ei19rocblas_complex_numIdEPKS1_S1_EviiT3_lPKT2_lT1_lS7_lS8_lS4_lPT4_lS8_li
	.p2align	8
	.type	_ZL32rocblas_gemvt_warp_reduce_kernelILb1ELi1024Ei19rocblas_complex_numIdEPKS1_S1_EviiT3_lPKT2_lT1_lS7_lS8_lS4_lPT4_lS8_li,@function
_ZL32rocblas_gemvt_warp_reduce_kernelILb1ELi1024Ei19rocblas_complex_numIdEPKS1_S1_EviiT3_lPKT2_lT1_lS7_lS8_lS4_lPT4_lS8_li: ; @_ZL32rocblas_gemvt_warp_reduce_kernelILb1ELi1024Ei19rocblas_complex_numIdEPKS1_S1_EviiT3_lPKT2_lT1_lS7_lS8_lS4_lPT4_lS8_li
; %bb.0:
	s_load_b32 s33, s[0:1], 0x88
	s_bfe_u32 s2, ttmp6, 0x40014
	s_lshr_b32 s3, ttmp7, 16
	s_add_co_i32 s2, s2, 1
	s_bfe_u32 s5, ttmp6, 0x40008
	s_mul_i32 s4, s3, s2
	s_getreg_b32 s2, hwreg(HW_REG_IB_STS2, 6, 4)
	s_add_co_i32 s5, s5, s4
	s_cmp_eq_u32 s2, 0
	s_mov_b32 s35, 0
	s_cselect_b32 s34, s3, s5
	s_wait_kmcnt 0x0
	s_cmp_ge_u32 s34, s33
	s_cbranch_scc1 .LBB186_36
; %bb.1:
	s_clause 0x7
	s_load_b96 s[4:6], s[0:1], 0x40
	s_load_b96 s[28:30], s[0:1], 0x70
	s_load_b256 s[8:15], s[0:1], 0x8
	s_load_b32 s7, s[0:1], 0x0
	s_load_b32 s31, s[0:1], 0x28
	s_load_b128 s[24:27], s[0:1], 0x30
	s_load_b256 s[16:23], s[0:1], 0x50
	s_load_b64 s[36:37], s[0:1], 0x80
	s_wait_xcnt 0x0
	s_bfe_u32 s1, ttmp6, 0x4000c
	s_and_b32 s3, ttmp6, 15
	s_add_co_i32 s1, s1, 1
	v_dual_mov_b32 v2, 0 :: v_dual_bitop2_b32 v3, 31, v0 bitop3:0x40
	s_mul_i32 s1, ttmp9, s1
	v_cmp_eq_u32_e64 s0, 0, v0
	s_add_co_i32 s3, s3, s1
	v_mbcnt_lo_u32_b32 v30, -1, 0
	v_lshlrev_b32_e32 v28, 4, v3
	s_wait_kmcnt 0x0
	s_lshl_b64 s[4:5], s[4:5], 4
	s_lshl_b64 s[28:29], s[28:29], 4
	;; [unrolled: 1-line block ×3, first 2 shown]
	s_cmp_eq_u32 s2, 0
	v_cmp_gt_i32_e32 vcc_lo, s7, v0
	s_cselect_b32 s1, ttmp9, s3
	s_ashr_i32 s2, s7, 31
	v_mov_b32_e32 v5, v2
	s_lshr_b32 s2, s2, 22
	v_cndmask_b32_e32 v1, 0, v0, vcc_lo
	s_add_co_i32 s2, s7, s2
	s_add_nc_u64 s[14:15], s[26:27], s[4:5]
	s_and_b32 s26, s2, 0xfffffc00
	s_mul_i32 s4, s31, s1
	v_dual_lshlrev_b32 v4, 4, v1 :: v_dual_bitop2_b32 v8, s26, v0 bitop3:0x54
	s_ashr_i32 s5, s4, 31
	s_add_nc_u64 s[2:3], s[12:13], s[38:39]
	s_lshl_b64 s[4:5], s[4:5], 4
	s_delay_alu instid0(VALU_DEP_1)
	v_mul_lo_u32 v22, s6, v8
	v_add_nc_u64_e32 v[6:7], s[2:3], v[4:5]
	s_add_nc_u64 s[2:3], s[38:39], s[4:5]
	v_mul_lo_u32 v1, v0, s6
	s_add_nc_u64 s[2:3], s[12:13], s[2:3]
	s_add_nc_u64 s[22:23], s[22:23], s[28:29]
	v_add_nc_u64_e32 v[4:5], s[2:3], v[4:5]
	s_mul_i32 s28, s30, s1
	v_add_nc_u64_e32 v[24:25], s[4:5], v[6:7]
	v_cmp_gt_i32_e64 s1, s26, v0
	v_dual_lshrrev_b32 v6, 1, v0 :: v_dual_ashrrev_i32 v23, 31, v22
	v_cmp_gt_i32_e64 s2, s7, v8
	v_add_nc_u64_e32 v[26:27], 8, v[4:5]
	v_cmp_gt_u32_e64 s3, 32, v0
	v_cmp_eq_u32_e64 s4, 0, v3
	v_and_b32_e32 v29, 0x1f0, v6
	s_ashr_i32 s29, s28, 31
	s_ashr_i32 s27, s26, 31
	s_lshl_b32 s38, s6, 10
	s_lshl_b64 s[6:7], s[24:25], 4
	s_lshl_b64 s[12:13], s[28:29], 4
	s_branch .LBB186_4
.LBB186_2:                              ;   in Loop: Header=BB186_4 Depth=1
	s_wait_xcnt 0x0
	s_or_b32 exec_lo, exec_lo, s5
.LBB186_3:                              ;   in Loop: Header=BB186_4 Depth=1
	s_add_co_i32 s34, s34, 0x10000
	s_delay_alu instid0(SALU_CYCLE_1)
	s_cmp_lt_u32 s34, s33
	s_cbranch_scc0 .LBB186_36
.LBB186_4:                              ; =>This Loop Header: Depth=1
                                        ;     Child Loop BB186_25 Depth 2
	s_mul_u64 s[28:29], s[10:11], s[34:35]
	s_delay_alu instid0(SALU_CYCLE_1) | instskip(NEXT) | instid1(SALU_CYCLE_1)
	s_lshl_b64 s[28:29], s[28:29], 4
	s_add_nc_u64 s[28:29], s[8:9], s[28:29]
	global_load_b128 v[10:13], v2, s[28:29]
	s_wait_xcnt 0x0
	s_mul_u64 s[28:29], s[20:21], s[34:35]
	s_delay_alu instid0(SALU_CYCLE_1) | instskip(NEXT) | instid1(SALU_CYCLE_1)
	s_lshl_b64 s[28:29], s[28:29], 4
	s_add_nc_u64 s[28:29], s[18:19], s[28:29]
	s_wait_loadcnt 0x1
	global_load_b128 v[6:9], v2, s[28:29]
	s_wait_loadcnt 0x1
	v_cmp_neq_f64_e32 vcc_lo, 0, v[10:11]
	v_cmp_neq_f64_e64 s5, 0, v[12:13]
	s_wait_xcnt 0x0
	s_or_b32 s28, vcc_lo, s5
	s_mov_b32 s5, -1
	s_and_b32 vcc_lo, exec_lo, s28
	s_cbranch_vccz .LBB186_6
; %bb.5:                                ;   in Loop: Header=BB186_4 Depth=1
	s_and_not1_b32 vcc_lo, exec_lo, s5
	s_cbranch_vccnz .LBB186_3
	s_branch .LBB186_7
.LBB186_6:                              ;   in Loop: Header=BB186_4 Depth=1
	s_wait_loadcnt 0x0
	v_cmp_neq_f64_e32 vcc_lo, 1.0, v[6:7]
	v_cmp_neq_f64_e64 s5, 0, v[8:9]
	s_or_b32 s5, vcc_lo, s5
	s_delay_alu instid0(SALU_CYCLE_1)
	s_and_not1_b32 vcc_lo, exec_lo, s5
	s_cbranch_vccnz .LBB186_3
.LBB186_7:                              ;   in Loop: Header=BB186_4 Depth=1
	s_xor_b32 s5, s28, -1
	s_mul_u64 s[28:29], s[36:37], s[34:35]
	s_and_not1_b32 vcc_lo, exec_lo, s5
	s_lshl_b64 s[28:29], s[28:29], 4
	s_delay_alu instid0(SALU_CYCLE_1)
	s_add_nc_u64 s[28:29], s[22:23], s[28:29]
	s_cbranch_vccnz .LBB186_11
; %bb.8:                                ;   in Loop: Header=BB186_4 Depth=1
	s_mov_b32 s30, 0
	s_mov_b32 s39, 0
                                        ; implicit-def: $vgpr16_vgpr17
	s_and_saveexec_b32 s31, s0
	s_cbranch_execz .LBB186_12
; %bb.9:                                ;   in Loop: Header=BB186_4 Depth=1
	s_wait_loadcnt 0x0
	v_cmp_neq_f64_e32 vcc_lo, 0, v[6:7]
	v_cmp_neq_f64_e64 s5, 0, v[8:9]
	s_or_b32 s5, vcc_lo, s5
	s_delay_alu instid0(SALU_CYCLE_1)
	s_and_not1_b32 vcc_lo, exec_lo, s5
	s_cbranch_vccnz .LBB186_13
; %bb.10:                               ;   in Loop: Header=BB186_4 Depth=1
	s_add_nc_u64 s[40:41], s[28:29], s[12:13]
	s_wait_dscnt 0x0
	global_load_b128 v[18:21], v2, s[40:41]
	s_wait_loadcnt 0x0
	v_mul_f64_e32 v[4:5], v[8:9], v[20:21]
	v_mul_f64_e32 v[16:17], v[6:7], v[20:21]
	s_delay_alu instid0(VALU_DEP_2) | instskip(NEXT) | instid1(VALU_DEP_2)
	v_fma_f64 v[14:15], v[6:7], v[18:19], -v[4:5]
	v_fmac_f64_e32 v[16:17], v[8:9], v[18:19]
	s_branch .LBB186_14
.LBB186_11:                             ;   in Loop: Header=BB186_4 Depth=1
	s_mov_b32 s39, 0
                                        ; implicit-def: $vgpr16_vgpr17
	s_cbranch_execnz .LBB186_15
	s_branch .LBB186_34
.LBB186_12:                             ;   in Loop: Header=BB186_4 Depth=1
	s_or_b32 exec_lo, exec_lo, s31
	s_delay_alu instid0(SALU_CYCLE_1)
	s_and_b32 vcc_lo, exec_lo, s30
	s_cbranch_vccnz .LBB186_15
	s_branch .LBB186_34
.LBB186_13:                             ;   in Loop: Header=BB186_4 Depth=1
	v_mov_b64_e32 v[16:17], 0
	v_mov_b64_e32 v[14:15], 0
.LBB186_14:                             ;   in Loop: Header=BB186_4 Depth=1
	s_mov_b32 s39, exec_lo
	s_wait_xcnt 0x0
	s_or_b32 exec_lo, exec_lo, s31
	s_delay_alu instid0(SALU_CYCLE_1)
	s_and_b32 vcc_lo, exec_lo, s30
	s_cbranch_vccz .LBB186_34
.LBB186_15:                             ;   in Loop: Header=BB186_4 Depth=1
	v_mov_b64_e32 v[14:15], 0
	v_mov_b64_e32 v[16:17], 0
	s_mul_u64 s[30:31], s[16:17], s[34:35]
	s_delay_alu instid0(SALU_CYCLE_1) | instskip(NEXT) | instid1(SALU_CYCLE_1)
	s_lshl_b64 s[30:31], s[30:31], 4
	s_add_nc_u64 s[30:31], s[14:15], s[30:31]
	s_and_saveexec_b32 s5, s1
	s_cbranch_execnz .LBB186_24
; %bb.16:                               ;   in Loop: Header=BB186_4 Depth=1
	s_or_b32 exec_lo, exec_lo, s5
	s_and_saveexec_b32 s5, s2
	s_cbranch_execnz .LBB186_27
.LBB186_17:                             ;   in Loop: Header=BB186_4 Depth=1
	s_or_b32 exec_lo, exec_lo, s5
	s_and_saveexec_b32 s5, s3
.LBB186_18:                             ;   in Loop: Header=BB186_4 Depth=1
	v_dual_mov_b32 v3, v2 :: v_dual_mov_b32 v4, v2
	v_mov_b32_e32 v5, v2
	ds_store_b128 v28, v[2:5]
.LBB186_19:                             ;   in Loop: Header=BB186_4 Depth=1
	s_or_b32 exec_lo, exec_lo, s5
	v_lshl_or_b32 v3, v30, 2, 64
	v_cmp_gt_u32_e32 vcc_lo, 24, v30
	s_wait_loadcnt_dscnt 0x0
	s_barrier_signal -1
	s_barrier_wait -1
	ds_bpermute_b32 v4, v3, v16
	ds_bpermute_b32 v5, v3, v17
	;; [unrolled: 1-line block ×4, first 2 shown]
	s_wait_dscnt 0x0
	v_add_f64_e32 v[4:5], v[16:17], v[4:5]
	v_cndmask_b32_e64 v16, 0, 8, vcc_lo
	v_cmp_gt_u32_e32 vcc_lo, 28, v30
	s_delay_alu instid0(VALU_DEP_2)
	v_add_lshl_u32 v31, v16, v30, 2
	ds_bpermute_b32 v16, v31, v4
	ds_bpermute_b32 v17, v31, v5
	s_wait_dscnt 0x0
	v_add_f64_e32 v[4:5], v[4:5], v[16:17]
	v_cndmask_b32_e64 v16, 0, 4, vcc_lo
	v_cmp_gt_u32_e32 vcc_lo, 30, v30
	s_delay_alu instid0(VALU_DEP_2)
	v_add_lshl_u32 v32, v16, v30, 2
	ds_bpermute_b32 v16, v32, v4
	ds_bpermute_b32 v17, v32, v5
	s_wait_dscnt 0x0
	v_add_f64_e32 v[4:5], v[4:5], v[16:17]
	v_cndmask_b32_e64 v16, 0, 2, vcc_lo
	v_cmp_ne_u32_e32 vcc_lo, 31, v30
	s_delay_alu instid0(VALU_DEP_2)
	v_add_lshl_u32 v33, v16, v30, 2
	ds_bpermute_b32 v16, v33, v4
	ds_bpermute_b32 v17, v33, v5
	s_wait_dscnt 0x0
	v_add_f64_e32 v[4:5], v[4:5], v[16:17]
	v_add_co_ci_u32_e64 v16, null, 0, v30, vcc_lo
	s_delay_alu instid0(VALU_DEP_1)
	v_dual_add_f64 v[14:15], v[14:15], v[18:19] :: v_dual_lshlrev_b32 v34, 2, v16
	ds_bpermute_b32 v16, v34, v4
	ds_bpermute_b32 v17, v34, v5
	;; [unrolled: 1-line block ×4, first 2 shown]
	s_wait_dscnt 0x0
	v_add_f64_e32 v[14:15], v[14:15], v[18:19]
	ds_bpermute_b32 v18, v32, v14
	ds_bpermute_b32 v19, v32, v15
	s_wait_dscnt 0x0
	v_add_f64_e32 v[14:15], v[14:15], v[18:19]
	ds_bpermute_b32 v18, v33, v14
	ds_bpermute_b32 v19, v33, v15
	;; [unrolled: 4-line block ×3, first 2 shown]
	s_and_saveexec_b32 s5, s4
	s_cbranch_execz .LBB186_21
; %bb.20:                               ;   in Loop: Header=BB186_4 Depth=1
	s_wait_dscnt 0x0
	v_add_f64_e32 v[18:19], v[14:15], v[18:19]
	v_add_f64_e32 v[16:17], v[4:5], v[16:17]
	ds_store_b128 v29, v[16:19]
.LBB186_21:                             ;   in Loop: Header=BB186_4 Depth=1
	s_or_b32 exec_lo, exec_lo, s5
	v_mov_b64_e32 v[20:21], 0
	s_wait_dscnt 0x0
	v_mov_b64_e32 v[18:19], 0
	s_barrier_signal -1
	s_barrier_wait -1
	s_and_saveexec_b32 s5, s3
	s_cbranch_execnz .LBB186_28
; %bb.22:                               ;   in Loop: Header=BB186_4 Depth=1
	s_or_b32 exec_lo, exec_lo, s5
	s_and_saveexec_b32 s5, s3
	s_cbranch_execnz .LBB186_29
.LBB186_23:                             ;   in Loop: Header=BB186_4 Depth=1
	s_or_b32 exec_lo, exec_lo, s5
                                        ; implicit-def: $vgpr16_vgpr17
	s_and_saveexec_b32 s30, s0
	s_cbranch_execnz .LBB186_30
	s_branch .LBB186_33
.LBB186_24:                             ;   in Loop: Header=BB186_4 Depth=1
	v_mad_nc_u64_u32 v[4:5], s6, s34, v[26:27]
	v_mov_b64_e32 v[14:15], 0
	v_mov_b64_e32 v[16:17], 0
	s_wait_dscnt 0x0
	v_dual_mov_b32 v3, v0 :: v_dual_mov_b32 v18, v1
	s_mov_b32 s40, 0
	s_delay_alu instid0(VALU_DEP_4)
	v_mad_u32 v5, s7, s34, v5
.LBB186_25:                             ;   Parent Loop BB186_4 Depth=1
                                        ; =>  This Inner Loop Header: Depth=2
	global_load_b128 v[32:35], v[4:5], off offset:-8
	global_load_b128 v[36:39], v18, s[30:31] scale_offset
	v_add_nc_u32_e32 v3, 0x400, v3
	s_wait_xcnt 0x1
	v_add_nc_u64_e32 v[4:5], 0x4000, v[4:5]
	s_wait_xcnt 0x0
	v_add_nc_u32_e32 v18, s38, v18
	v_cmp_le_i32_e32 vcc_lo, s26, v3
	s_or_b32 s40, vcc_lo, s40
	s_wait_loadcnt 0x0
	v_mul_f64_e32 v[20:21], v[34:35], v[38:39]
	v_mul_f64_e32 v[34:35], v[34:35], v[36:37]
	s_delay_alu instid0(VALU_DEP_2) | instskip(NEXT) | instid1(VALU_DEP_2)
	v_fmac_f64_e32 v[20:21], v[32:33], v[36:37]
	v_fma_f64 v[32:33], v[32:33], v[38:39], -v[34:35]
	s_delay_alu instid0(VALU_DEP_2) | instskip(NEXT) | instid1(VALU_DEP_2)
	v_add_f64_e32 v[16:17], v[16:17], v[20:21]
	v_add_f64_e32 v[14:15], v[14:15], v[32:33]
	s_and_not1_b32 exec_lo, exec_lo, s40
	s_cbranch_execnz .LBB186_25
; %bb.26:                               ;   in Loop: Header=BB186_4 Depth=1
	s_or_b32 exec_lo, exec_lo, s40
	s_delay_alu instid0(SALU_CYCLE_1)
	s_or_b32 exec_lo, exec_lo, s5
	s_and_saveexec_b32 s5, s2
	s_cbranch_execz .LBB186_17
.LBB186_27:                             ;   in Loop: Header=BB186_4 Depth=1
	s_mul_u64 s[40:41], s[24:25], s[34:35]
	v_lshl_add_u64 v[36:37], v[22:23], 4, s[30:31]
	v_lshl_add_u64 v[4:5], s[40:41], 4, v[24:25]
	s_delay_alu instid0(VALU_DEP_1)
	v_lshl_add_u64 v[4:5], s[26:27], 4, v[4:5]
	s_wait_dscnt 0x0
	global_load_b128 v[18:21], v[36:37], off
	global_load_b128 v[32:35], v[4:5], off
	s_wait_loadcnt 0x0
	s_wait_xcnt 0x0
	v_mul_f64_e32 v[4:5], v[34:35], v[20:21]
	v_mul_f64_e32 v[34:35], v[34:35], v[18:19]
	s_delay_alu instid0(VALU_DEP_2) | instskip(NEXT) | instid1(VALU_DEP_2)
	v_fmac_f64_e32 v[4:5], v[32:33], v[18:19]
	v_fma_f64 v[18:19], v[32:33], v[20:21], -v[34:35]
	s_delay_alu instid0(VALU_DEP_2) | instskip(NEXT) | instid1(VALU_DEP_2)
	v_add_f64_e32 v[16:17], v[16:17], v[4:5]
	v_add_f64_e32 v[14:15], v[14:15], v[18:19]
	s_or_b32 exec_lo, exec_lo, s5
	s_and_saveexec_b32 s5, s3
	s_cbranch_execnz .LBB186_18
	s_branch .LBB186_19
.LBB186_28:                             ;   in Loop: Header=BB186_4 Depth=1
	ds_load_b128 v[18:21], v28
	s_or_b32 exec_lo, exec_lo, s5
	s_and_saveexec_b32 s5, s3
	s_cbranch_execz .LBB186_23
.LBB186_29:                             ;   in Loop: Header=BB186_4 Depth=1
	s_wait_dscnt 0x0
	ds_bpermute_b32 v4, v3, v18
	ds_bpermute_b32 v5, v3, v19
	ds_bpermute_b32 v14, v3, v20
	ds_bpermute_b32 v15, v3, v21
	s_wait_dscnt 0x2
	v_add_f64_e32 v[4:5], v[18:19], v[4:5]
	s_wait_dscnt 0x0
	v_add_f64_e32 v[14:15], v[20:21], v[14:15]
	ds_bpermute_b32 v16, v31, v4
	ds_bpermute_b32 v17, v31, v5
	ds_bpermute_b32 v18, v31, v14
	ds_bpermute_b32 v19, v31, v15
	s_wait_dscnt 0x2
	v_add_f64_e32 v[4:5], v[4:5], v[16:17]
	s_wait_dscnt 0x0
	v_add_f64_e32 v[14:15], v[14:15], v[18:19]
	ds_bpermute_b32 v16, v32, v4
	ds_bpermute_b32 v17, v32, v5
	ds_bpermute_b32 v18, v32, v14
	ds_bpermute_b32 v19, v32, v15
	s_wait_dscnt 0x2
	v_add_f64_e32 v[4:5], v[4:5], v[16:17]
	s_wait_dscnt 0x0
	v_add_f64_e32 v[14:15], v[14:15], v[18:19]
	ds_bpermute_b32 v16, v33, v4
	ds_bpermute_b32 v17, v33, v5
	ds_bpermute_b32 v18, v33, v14
	ds_bpermute_b32 v19, v33, v15
	s_wait_dscnt 0x2
	v_add_f64_e32 v[4:5], v[4:5], v[16:17]
	s_wait_dscnt 0x0
	v_add_f64_e32 v[14:15], v[14:15], v[18:19]
	ds_bpermute_b32 v16, v34, v4
	ds_bpermute_b32 v17, v34, v5
	ds_bpermute_b32 v20, v34, v14
	ds_bpermute_b32 v21, v34, v15
	s_wait_dscnt 0x2
	v_add_f64_e32 v[18:19], v[4:5], v[16:17]
	s_wait_dscnt 0x0
	v_add_f64_e32 v[20:21], v[14:15], v[20:21]
	s_or_b32 exec_lo, exec_lo, s5
                                        ; implicit-def: $vgpr16_vgpr17
	s_and_saveexec_b32 s30, s0
	s_cbranch_execz .LBB186_33
.LBB186_30:                             ;   in Loop: Header=BB186_4 Depth=1
	s_wait_dscnt 0x0
	s_delay_alu instid0(VALU_DEP_1) | instskip(SKIP_3) | instid1(VALU_DEP_4)
	v_mul_f64_e32 v[4:5], v[12:13], v[20:21]
	v_mul_f64_e32 v[16:17], v[10:11], v[20:21]
	v_cmp_neq_f64_e32 vcc_lo, 0, v[6:7]
	v_cmp_neq_f64_e64 s5, 0, v[8:9]
	v_fma_f64 v[14:15], v[10:11], v[18:19], -v[4:5]
	s_delay_alu instid0(VALU_DEP_4) | instskip(SKIP_1) | instid1(SALU_CYCLE_1)
	v_fmac_f64_e32 v[16:17], v[12:13], v[18:19]
	s_or_b32 s5, vcc_lo, s5
	s_and_not1_b32 vcc_lo, exec_lo, s5
	s_cbranch_vccnz .LBB186_32
; %bb.31:                               ;   in Loop: Header=BB186_4 Depth=1
	s_add_nc_u64 s[40:41], s[28:29], s[12:13]
	global_load_b128 v[10:13], v2, s[40:41]
	s_wait_loadcnt 0x0
	v_mul_f64_e32 v[4:5], v[8:9], v[12:13]
	v_mul_f64_e32 v[12:13], v[6:7], v[12:13]
	s_delay_alu instid0(VALU_DEP_2) | instskip(NEXT) | instid1(VALU_DEP_2)
	v_fma_f64 v[4:5], v[6:7], v[10:11], -v[4:5]
	v_fmac_f64_e32 v[12:13], v[8:9], v[10:11]
	s_delay_alu instid0(VALU_DEP_2) | instskip(NEXT) | instid1(VALU_DEP_2)
	v_add_f64_e32 v[14:15], v[14:15], v[4:5]
	v_add_f64_e32 v[16:17], v[16:17], v[12:13]
.LBB186_32:                             ;   in Loop: Header=BB186_4 Depth=1
	s_or_b32 s39, s39, exec_lo
.LBB186_33:                             ;   in Loop: Header=BB186_4 Depth=1
	s_wait_xcnt 0x0
	s_or_b32 exec_lo, exec_lo, s30
.LBB186_34:                             ;   in Loop: Header=BB186_4 Depth=1
	s_and_saveexec_b32 s5, s39
	s_cbranch_execz .LBB186_2
; %bb.35:                               ;   in Loop: Header=BB186_4 Depth=1
	s_add_nc_u64 s[28:29], s[28:29], s[12:13]
	global_store_b128 v2, v[14:17], s[28:29]
	s_branch .LBB186_2
.LBB186_36:
	s_endpgm
	.section	.rodata,"a",@progbits
	.p2align	6, 0x0
	.amdhsa_kernel _ZL32rocblas_gemvt_warp_reduce_kernelILb1ELi1024Ei19rocblas_complex_numIdEPKS1_S1_EviiT3_lPKT2_lT1_lS7_lS8_lS4_lPT4_lS8_li
		.amdhsa_group_segment_fixed_size 512
		.amdhsa_private_segment_fixed_size 0
		.amdhsa_kernarg_size 140
		.amdhsa_user_sgpr_count 2
		.amdhsa_user_sgpr_dispatch_ptr 0
		.amdhsa_user_sgpr_queue_ptr 0
		.amdhsa_user_sgpr_kernarg_segment_ptr 1
		.amdhsa_user_sgpr_dispatch_id 0
		.amdhsa_user_sgpr_kernarg_preload_length 0
		.amdhsa_user_sgpr_kernarg_preload_offset 0
		.amdhsa_user_sgpr_private_segment_size 0
		.amdhsa_wavefront_size32 1
		.amdhsa_uses_dynamic_stack 0
		.amdhsa_enable_private_segment 0
		.amdhsa_system_sgpr_workgroup_id_x 1
		.amdhsa_system_sgpr_workgroup_id_y 0
		.amdhsa_system_sgpr_workgroup_id_z 1
		.amdhsa_system_sgpr_workgroup_info 0
		.amdhsa_system_vgpr_workitem_id 0
		.amdhsa_next_free_vgpr 40
		.amdhsa_next_free_sgpr 42
		.amdhsa_named_barrier_count 0
		.amdhsa_reserve_vcc 1
		.amdhsa_float_round_mode_32 0
		.amdhsa_float_round_mode_16_64 0
		.amdhsa_float_denorm_mode_32 3
		.amdhsa_float_denorm_mode_16_64 3
		.amdhsa_fp16_overflow 0
		.amdhsa_memory_ordered 1
		.amdhsa_forward_progress 1
		.amdhsa_inst_pref_size 16
		.amdhsa_round_robin_scheduling 0
		.amdhsa_exception_fp_ieee_invalid_op 0
		.amdhsa_exception_fp_denorm_src 0
		.amdhsa_exception_fp_ieee_div_zero 0
		.amdhsa_exception_fp_ieee_overflow 0
		.amdhsa_exception_fp_ieee_underflow 0
		.amdhsa_exception_fp_ieee_inexact 0
		.amdhsa_exception_int_div_zero 0
	.end_amdhsa_kernel
	.section	.text._ZL32rocblas_gemvt_warp_reduce_kernelILb1ELi1024Ei19rocblas_complex_numIdEPKS1_S1_EviiT3_lPKT2_lT1_lS7_lS8_lS4_lPT4_lS8_li,"axG",@progbits,_ZL32rocblas_gemvt_warp_reduce_kernelILb1ELi1024Ei19rocblas_complex_numIdEPKS1_S1_EviiT3_lPKT2_lT1_lS7_lS8_lS4_lPT4_lS8_li,comdat
.Lfunc_end186:
	.size	_ZL32rocblas_gemvt_warp_reduce_kernelILb1ELi1024Ei19rocblas_complex_numIdEPKS1_S1_EviiT3_lPKT2_lT1_lS7_lS8_lS4_lPT4_lS8_li, .Lfunc_end186-_ZL32rocblas_gemvt_warp_reduce_kernelILb1ELi1024Ei19rocblas_complex_numIdEPKS1_S1_EviiT3_lPKT2_lT1_lS7_lS8_lS4_lPT4_lS8_li
                                        ; -- End function
	.set _ZL32rocblas_gemvt_warp_reduce_kernelILb1ELi1024Ei19rocblas_complex_numIdEPKS1_S1_EviiT3_lPKT2_lT1_lS7_lS8_lS4_lPT4_lS8_li.num_vgpr, 40
	.set _ZL32rocblas_gemvt_warp_reduce_kernelILb1ELi1024Ei19rocblas_complex_numIdEPKS1_S1_EviiT3_lPKT2_lT1_lS7_lS8_lS4_lPT4_lS8_li.num_agpr, 0
	.set _ZL32rocblas_gemvt_warp_reduce_kernelILb1ELi1024Ei19rocblas_complex_numIdEPKS1_S1_EviiT3_lPKT2_lT1_lS7_lS8_lS4_lPT4_lS8_li.numbered_sgpr, 42
	.set _ZL32rocblas_gemvt_warp_reduce_kernelILb1ELi1024Ei19rocblas_complex_numIdEPKS1_S1_EviiT3_lPKT2_lT1_lS7_lS8_lS4_lPT4_lS8_li.num_named_barrier, 0
	.set _ZL32rocblas_gemvt_warp_reduce_kernelILb1ELi1024Ei19rocblas_complex_numIdEPKS1_S1_EviiT3_lPKT2_lT1_lS7_lS8_lS4_lPT4_lS8_li.private_seg_size, 0
	.set _ZL32rocblas_gemvt_warp_reduce_kernelILb1ELi1024Ei19rocblas_complex_numIdEPKS1_S1_EviiT3_lPKT2_lT1_lS7_lS8_lS4_lPT4_lS8_li.uses_vcc, 1
	.set _ZL32rocblas_gemvt_warp_reduce_kernelILb1ELi1024Ei19rocblas_complex_numIdEPKS1_S1_EviiT3_lPKT2_lT1_lS7_lS8_lS4_lPT4_lS8_li.uses_flat_scratch, 0
	.set _ZL32rocblas_gemvt_warp_reduce_kernelILb1ELi1024Ei19rocblas_complex_numIdEPKS1_S1_EviiT3_lPKT2_lT1_lS7_lS8_lS4_lPT4_lS8_li.has_dyn_sized_stack, 0
	.set _ZL32rocblas_gemvt_warp_reduce_kernelILb1ELi1024Ei19rocblas_complex_numIdEPKS1_S1_EviiT3_lPKT2_lT1_lS7_lS8_lS4_lPT4_lS8_li.has_recursion, 0
	.set _ZL32rocblas_gemvt_warp_reduce_kernelILb1ELi1024Ei19rocblas_complex_numIdEPKS1_S1_EviiT3_lPKT2_lT1_lS7_lS8_lS4_lPT4_lS8_li.has_indirect_call, 0
	.section	.AMDGPU.csdata,"",@progbits
; Kernel info:
; codeLenInByte = 2000
; TotalNumSgprs: 44
; NumVgprs: 40
; ScratchSize: 0
; MemoryBound: 0
; FloatMode: 240
; IeeeMode: 1
; LDSByteSize: 512 bytes/workgroup (compile time only)
; SGPRBlocks: 0
; VGPRBlocks: 2
; NumSGPRsForWavesPerEU: 44
; NumVGPRsForWavesPerEU: 40
; NamedBarCnt: 0
; Occupancy: 16
; WaveLimiterHint : 0
; COMPUTE_PGM_RSRC2:SCRATCH_EN: 0
; COMPUTE_PGM_RSRC2:USER_SGPR: 2
; COMPUTE_PGM_RSRC2:TRAP_HANDLER: 0
; COMPUTE_PGM_RSRC2:TGID_X_EN: 1
; COMPUTE_PGM_RSRC2:TGID_Y_EN: 0
; COMPUTE_PGM_RSRC2:TGID_Z_EN: 1
; COMPUTE_PGM_RSRC2:TIDIG_COMP_CNT: 0
	.section	.text._ZL32rocblas_gemvt_warp_reduce_kernelILb1ELi1024El19rocblas_complex_numIdEPKS1_S1_EviiT3_lPKT2_lT1_lS7_lS8_lS4_lPT4_lS8_li,"axG",@progbits,_ZL32rocblas_gemvt_warp_reduce_kernelILb1ELi1024El19rocblas_complex_numIdEPKS1_S1_EviiT3_lPKT2_lT1_lS7_lS8_lS4_lPT4_lS8_li,comdat
	.globl	_ZL32rocblas_gemvt_warp_reduce_kernelILb1ELi1024El19rocblas_complex_numIdEPKS1_S1_EviiT3_lPKT2_lT1_lS7_lS8_lS4_lPT4_lS8_li ; -- Begin function _ZL32rocblas_gemvt_warp_reduce_kernelILb1ELi1024El19rocblas_complex_numIdEPKS1_S1_EviiT3_lPKT2_lT1_lS7_lS8_lS4_lPT4_lS8_li
	.p2align	8
	.type	_ZL32rocblas_gemvt_warp_reduce_kernelILb1ELi1024El19rocblas_complex_numIdEPKS1_S1_EviiT3_lPKT2_lT1_lS7_lS8_lS4_lPT4_lS8_li,@function
_ZL32rocblas_gemvt_warp_reduce_kernelILb1ELi1024El19rocblas_complex_numIdEPKS1_S1_EviiT3_lPKT2_lT1_lS7_lS8_lS4_lPT4_lS8_li: ; @_ZL32rocblas_gemvt_warp_reduce_kernelILb1ELi1024El19rocblas_complex_numIdEPKS1_S1_EviiT3_lPKT2_lT1_lS7_lS8_lS4_lPT4_lS8_li
; %bb.0:
	s_load_b32 s30, s[0:1], 0x88
	s_bfe_u32 s2, ttmp6, 0x40014
	s_lshr_b32 s3, ttmp7, 16
	s_add_co_i32 s2, s2, 1
	s_bfe_u32 s5, ttmp6, 0x40008
	s_mul_i32 s4, s3, s2
	s_getreg_b32 s2, hwreg(HW_REG_IB_STS2, 6, 4)
	s_add_co_i32 s5, s5, s4
	s_cmp_eq_u32 s2, 0
	s_mov_b32 s7, 0
	s_cselect_b32 s6, s3, s5
	s_wait_kmcnt 0x0
	s_cmp_ge_u32 s6, s30
	s_cbranch_scc1 .LBB187_36
; %bb.1:
	s_clause 0x2
	s_load_b512 s[8:23], s[0:1], 0x8
	s_load_b512 s[36:51], s[0:1], 0x48
	s_load_b32 s28, s[0:1], 0x0
	s_wait_xcnt 0x0
	s_bfe_u32 s0, ttmp6, 0x4000c
	s_and_b32 s1, ttmp6, 15
	s_add_co_i32 s0, s0, 1
	v_mbcnt_lo_u32_b32 v31, -1, 0
	s_mul_i32 s0, ttmp9, s0
	v_and_b32_e32 v3, 31, v0
	s_add_co_i32 s3, s1, s0
	s_wait_kmcnt 0x0
	s_lshl_b64 s[0:1], s[22:23], 4
	s_lshl_b64 s[4:5], s[46:47], 4
	s_lshl_b64 s[24:25], s[14:15], 4
	s_cmp_eq_u32 s2, 0
	v_cmp_gt_i32_e32 vcc_lo, s28, v0
	s_cselect_b32 s2, ttmp9, s3
	s_ashr_i32 s3, s28, 31
	s_add_nc_u64 s[22:23], s[12:13], s[24:25]
	s_lshr_b32 s3, s3, 22
	s_add_nc_u64 s[20:21], s[20:21], s[0:1]
	s_add_co_i32 s3, s28, s3
	v_cmp_eq_u32_e64 s0, 0, v0
	s_and_b32 s14, s3, 0xfffffc00
	s_delay_alu instid0(SALU_CYCLE_1)
	v_dual_mov_b32 v2, 0 :: v_dual_bitop2_b32 v6, s14, v0 bitop3:0x54
	s_ashr_i32 s3, s2, 31
	v_cmp_gt_i32_e64 s1, s14, v0
	s_mul_u64 s[26:27], s[48:49], s[2:3]
	v_dual_mov_b32 v1, v2 :: v_dual_ashrrev_i32 v7, 31, v6
	v_mov_b32_e32 v9, v2
	s_ashr_i32 s15, s14, 31
	s_lshl_b64 s[26:27], s[26:27], 4
	s_delay_alu instid0(VALU_DEP_2) | instskip(SKIP_2) | instid1(VALU_DEP_2)
	v_mul_u64_e32 v[4:5], s[36:37], v[0:1]
	v_cndmask_b32_e32 v1, 0, v0, vcc_lo
	v_mul_u64_e32 v[22:23], s[36:37], v[6:7]
	v_dual_lshlrev_b32 v8, 4, v1 :: v_dual_lshlrev_b32 v1, 4, v3
	s_delay_alu instid0(VALU_DEP_1)
	v_add_nc_u64_e32 v[10:11], s[22:23], v[8:9]
	s_add_nc_u64 s[22:23], s[44:45], s[4:5]
	s_mul_u64 s[4:5], s[16:17], s[2:3]
	v_cmp_gt_i32_e64 s2, s28, v6
	s_lshl_b64 s[4:5], s[4:5], 4
	v_cmp_gt_u32_e64 s3, 32, v0
	s_lshl_b64 s[16:17], s[36:37], 14
	v_add_nc_u64_e32 v[24:25], s[4:5], v[10:11]
	s_add_nc_u64 s[4:5], s[4:5], s[24:25]
	v_lshrrev_b32_e32 v10, 1, v0
	s_add_nc_u64 s[4:5], s[12:13], s[4:5]
	s_lshl_b64 s[12:13], s[38:39], 4
	v_add_nc_u64_e32 v[6:7], s[4:5], v[8:9]
	v_cmp_eq_u32_e64 s4, 0, v3
	v_and_b32_e32 v30, 0x1f0, v10
	s_lshl_b64 s[24:25], s[18:19], 4
	v_add_nc_u64_e32 v[28:29], 8, v[6:7]
	v_lshl_add_u64 v[4:5], v[4:5], 4, s[20:21]
	s_delay_alu instid0(VALU_DEP_1)
	v_add_nc_u64_e32 v[26:27], 8, v[4:5]
	s_branch .LBB187_4
.LBB187_2:                              ;   in Loop: Header=BB187_4 Depth=1
	s_wait_xcnt 0x0
	s_or_b32 exec_lo, exec_lo, s5
.LBB187_3:                              ;   in Loop: Header=BB187_4 Depth=1
	s_add_co_i32 s6, s6, 0x10000
	s_delay_alu instid0(SALU_CYCLE_1)
	s_cmp_lt_u32 s6, s30
	s_cbranch_scc0 .LBB187_36
.LBB187_4:                              ; =>This Loop Header: Depth=1
                                        ;     Child Loop BB187_25 Depth 2
	s_mul_u64 s[28:29], s[10:11], s[6:7]
	s_delay_alu instid0(SALU_CYCLE_1) | instskip(NEXT) | instid1(SALU_CYCLE_1)
	s_lshl_b64 s[28:29], s[28:29], 4
	s_add_nc_u64 s[28:29], s[8:9], s[28:29]
	global_load_b128 v[10:13], v2, s[28:29]
	s_wait_xcnt 0x0
	s_mul_u64 s[28:29], s[42:43], s[6:7]
	s_delay_alu instid0(SALU_CYCLE_1) | instskip(NEXT) | instid1(SALU_CYCLE_1)
	s_lshl_b64 s[28:29], s[28:29], 4
	s_add_nc_u64 s[28:29], s[40:41], s[28:29]
	s_wait_loadcnt 0x1
	global_load_b128 v[6:9], v2, s[28:29]
	s_wait_loadcnt 0x1
	v_cmp_neq_f64_e32 vcc_lo, 0, v[10:11]
	v_cmp_neq_f64_e64 s5, 0, v[12:13]
	s_wait_xcnt 0x0
	s_or_b32 s28, vcc_lo, s5
	s_mov_b32 s5, -1
	s_and_b32 vcc_lo, exec_lo, s28
	s_cbranch_vccz .LBB187_6
; %bb.5:                                ;   in Loop: Header=BB187_4 Depth=1
	s_and_not1_b32 vcc_lo, exec_lo, s5
	s_cbranch_vccnz .LBB187_3
	s_branch .LBB187_7
.LBB187_6:                              ;   in Loop: Header=BB187_4 Depth=1
	s_wait_loadcnt 0x0
	v_cmp_neq_f64_e32 vcc_lo, 1.0, v[6:7]
	v_cmp_neq_f64_e64 s5, 0, v[8:9]
	s_or_b32 s5, vcc_lo, s5
	s_delay_alu instid0(SALU_CYCLE_1)
	s_and_not1_b32 vcc_lo, exec_lo, s5
	s_cbranch_vccnz .LBB187_3
.LBB187_7:                              ;   in Loop: Header=BB187_4 Depth=1
	s_xor_b32 s5, s28, -1
	s_mul_u64 s[28:29], s[50:51], s[6:7]
	s_and_not1_b32 vcc_lo, exec_lo, s5
	s_lshl_b64 s[28:29], s[28:29], 4
	s_delay_alu instid0(SALU_CYCLE_1)
	s_add_nc_u64 s[28:29], s[22:23], s[28:29]
	s_cbranch_vccnz .LBB187_11
; %bb.8:                                ;   in Loop: Header=BB187_4 Depth=1
	s_mov_b32 s33, 0
	s_mov_b32 s31, 0
                                        ; implicit-def: $vgpr16_vgpr17
	s_and_saveexec_b32 s34, s0
	s_cbranch_execz .LBB187_12
; %bb.9:                                ;   in Loop: Header=BB187_4 Depth=1
	s_wait_loadcnt 0x0
	v_cmp_neq_f64_e32 vcc_lo, 0, v[6:7]
	v_cmp_neq_f64_e64 s5, 0, v[8:9]
	s_or_b32 s5, vcc_lo, s5
	s_delay_alu instid0(SALU_CYCLE_1)
	s_and_not1_b32 vcc_lo, exec_lo, s5
	s_cbranch_vccnz .LBB187_13
; %bb.10:                               ;   in Loop: Header=BB187_4 Depth=1
	s_add_nc_u64 s[36:37], s[28:29], s[26:27]
	s_wait_dscnt 0x0
	global_load_b128 v[18:21], v2, s[36:37]
	s_wait_loadcnt 0x0
	v_mul_f64_e32 v[4:5], v[8:9], v[20:21]
	v_mul_f64_e32 v[16:17], v[6:7], v[20:21]
	s_delay_alu instid0(VALU_DEP_2) | instskip(NEXT) | instid1(VALU_DEP_2)
	v_fma_f64 v[14:15], v[6:7], v[18:19], -v[4:5]
	v_fmac_f64_e32 v[16:17], v[8:9], v[18:19]
	s_branch .LBB187_14
.LBB187_11:                             ;   in Loop: Header=BB187_4 Depth=1
	s_mov_b32 s31, 0
                                        ; implicit-def: $vgpr16_vgpr17
	s_cbranch_execnz .LBB187_15
	s_branch .LBB187_34
.LBB187_12:                             ;   in Loop: Header=BB187_4 Depth=1
	s_or_b32 exec_lo, exec_lo, s34
	s_delay_alu instid0(SALU_CYCLE_1)
	s_and_b32 vcc_lo, exec_lo, s33
	s_cbranch_vccnz .LBB187_15
	s_branch .LBB187_34
.LBB187_13:                             ;   in Loop: Header=BB187_4 Depth=1
	v_mov_b64_e32 v[16:17], 0
	v_mov_b64_e32 v[14:15], 0
.LBB187_14:                             ;   in Loop: Header=BB187_4 Depth=1
	s_mov_b32 s31, exec_lo
	s_wait_xcnt 0x0
	s_or_b32 exec_lo, exec_lo, s34
	s_delay_alu instid0(SALU_CYCLE_1)
	s_and_b32 vcc_lo, exec_lo, s33
	s_cbranch_vccz .LBB187_34
.LBB187_15:                             ;   in Loop: Header=BB187_4 Depth=1
	v_mov_b64_e32 v[14:15], 0
	v_mov_b64_e32 v[16:17], 0
	s_and_saveexec_b32 s5, s1
	s_cbranch_execnz .LBB187_24
; %bb.16:                               ;   in Loop: Header=BB187_4 Depth=1
	s_or_b32 exec_lo, exec_lo, s5
	s_and_saveexec_b32 s5, s2
	s_cbranch_execnz .LBB187_27
.LBB187_17:                             ;   in Loop: Header=BB187_4 Depth=1
	s_or_b32 exec_lo, exec_lo, s5
	s_and_saveexec_b32 s5, s3
.LBB187_18:                             ;   in Loop: Header=BB187_4 Depth=1
	v_dual_mov_b32 v3, v2 :: v_dual_mov_b32 v4, v2
	v_mov_b32_e32 v5, v2
	ds_store_b128 v1, v[2:5]
.LBB187_19:                             ;   in Loop: Header=BB187_4 Depth=1
	s_or_b32 exec_lo, exec_lo, s5
	v_lshl_or_b32 v3, v31, 2, 64
	v_cmp_gt_u32_e32 vcc_lo, 24, v31
	s_wait_loadcnt_dscnt 0x0
	s_barrier_signal -1
	s_barrier_wait -1
	ds_bpermute_b32 v4, v3, v16
	ds_bpermute_b32 v5, v3, v17
	;; [unrolled: 1-line block ×4, first 2 shown]
	s_wait_dscnt 0x0
	v_add_f64_e32 v[4:5], v[16:17], v[4:5]
	v_cndmask_b32_e64 v16, 0, 8, vcc_lo
	v_cmp_gt_u32_e32 vcc_lo, 28, v31
	s_delay_alu instid0(VALU_DEP_2)
	v_add_lshl_u32 v32, v16, v31, 2
	ds_bpermute_b32 v16, v32, v4
	ds_bpermute_b32 v17, v32, v5
	s_wait_dscnt 0x0
	v_add_f64_e32 v[4:5], v[4:5], v[16:17]
	v_cndmask_b32_e64 v16, 0, 4, vcc_lo
	v_cmp_gt_u32_e32 vcc_lo, 30, v31
	s_delay_alu instid0(VALU_DEP_2)
	v_add_lshl_u32 v33, v16, v31, 2
	ds_bpermute_b32 v16, v33, v4
	ds_bpermute_b32 v17, v33, v5
	s_wait_dscnt 0x0
	v_add_f64_e32 v[4:5], v[4:5], v[16:17]
	v_cndmask_b32_e64 v16, 0, 2, vcc_lo
	v_cmp_ne_u32_e32 vcc_lo, 31, v31
	s_delay_alu instid0(VALU_DEP_2)
	v_add_lshl_u32 v34, v16, v31, 2
	ds_bpermute_b32 v16, v34, v4
	ds_bpermute_b32 v17, v34, v5
	s_wait_dscnt 0x0
	v_add_f64_e32 v[4:5], v[4:5], v[16:17]
	v_add_co_ci_u32_e64 v16, null, 0, v31, vcc_lo
	s_delay_alu instid0(VALU_DEP_1)
	v_dual_add_f64 v[14:15], v[14:15], v[18:19] :: v_dual_lshlrev_b32 v35, 2, v16
	ds_bpermute_b32 v16, v35, v4
	ds_bpermute_b32 v17, v35, v5
	;; [unrolled: 1-line block ×4, first 2 shown]
	s_wait_dscnt 0x0
	v_add_f64_e32 v[14:15], v[14:15], v[18:19]
	ds_bpermute_b32 v18, v33, v14
	ds_bpermute_b32 v19, v33, v15
	s_wait_dscnt 0x0
	v_add_f64_e32 v[14:15], v[14:15], v[18:19]
	ds_bpermute_b32 v18, v34, v14
	ds_bpermute_b32 v19, v34, v15
	;; [unrolled: 4-line block ×3, first 2 shown]
	s_and_saveexec_b32 s5, s4
	s_cbranch_execz .LBB187_21
; %bb.20:                               ;   in Loop: Header=BB187_4 Depth=1
	s_wait_dscnt 0x0
	v_add_f64_e32 v[18:19], v[14:15], v[18:19]
	v_add_f64_e32 v[16:17], v[4:5], v[16:17]
	ds_store_b128 v30, v[16:19]
.LBB187_21:                             ;   in Loop: Header=BB187_4 Depth=1
	s_or_b32 exec_lo, exec_lo, s5
	v_mov_b64_e32 v[20:21], 0
	s_wait_dscnt 0x0
	v_mov_b64_e32 v[18:19], 0
	s_barrier_signal -1
	s_barrier_wait -1
	s_and_saveexec_b32 s5, s3
	s_cbranch_execnz .LBB187_28
; %bb.22:                               ;   in Loop: Header=BB187_4 Depth=1
	s_or_b32 exec_lo, exec_lo, s5
	s_and_saveexec_b32 s5, s3
	s_cbranch_execnz .LBB187_29
.LBB187_23:                             ;   in Loop: Header=BB187_4 Depth=1
	s_or_b32 exec_lo, exec_lo, s5
                                        ; implicit-def: $vgpr16_vgpr17
	s_and_saveexec_b32 s33, s0
	s_cbranch_execnz .LBB187_30
	s_branch .LBB187_33
.LBB187_24:                             ;   in Loop: Header=BB187_4 Depth=1
	v_mad_nc_u64_u32 v[4:5], s12, s6, v[26:27]
	s_wait_dscnt 0x0
	v_mad_nc_u64_u32 v[18:19], s24, s6, v[28:29]
	v_mov_b64_e32 v[14:15], 0
	v_mov_b64_e32 v[16:17], 0
	v_mov_b32_e32 v3, v0
	s_mov_b32 s33, 0
	v_mad_u32 v5, s13, s6, v5
	v_mad_u32 v19, s25, s6, v19
.LBB187_25:                             ;   Parent Loop BB187_4 Depth=1
                                        ; =>  This Inner Loop Header: Depth=2
	global_load_b128 v[32:35], v[18:19], off offset:-8
	global_load_b128 v[36:39], v[4:5], off offset:-8
	v_add_nc_u32_e32 v3, 0x400, v3
	s_wait_xcnt 0x0
	v_add_nc_u64_e32 v[4:5], s[16:17], v[4:5]
	v_add_nc_u64_e32 v[18:19], 0x4000, v[18:19]
	s_delay_alu instid0(VALU_DEP_3) | instskip(SKIP_4) | instid1(VALU_DEP_2)
	v_cmp_le_i32_e32 vcc_lo, s14, v3
	s_or_b32 s33, vcc_lo, s33
	s_wait_loadcnt 0x0
	v_mul_f64_e32 v[20:21], v[34:35], v[38:39]
	v_mul_f64_e32 v[34:35], v[34:35], v[36:37]
	v_fmac_f64_e32 v[20:21], v[32:33], v[36:37]
	s_delay_alu instid0(VALU_DEP_2) | instskip(NEXT) | instid1(VALU_DEP_2)
	v_fma_f64 v[32:33], v[32:33], v[38:39], -v[34:35]
	v_add_f64_e32 v[16:17], v[16:17], v[20:21]
	s_delay_alu instid0(VALU_DEP_2)
	v_add_f64_e32 v[14:15], v[14:15], v[32:33]
	s_and_not1_b32 exec_lo, exec_lo, s33
	s_cbranch_execnz .LBB187_25
; %bb.26:                               ;   in Loop: Header=BB187_4 Depth=1
	s_or_b32 exec_lo, exec_lo, s33
	s_delay_alu instid0(SALU_CYCLE_1)
	s_or_b32 exec_lo, exec_lo, s5
	s_and_saveexec_b32 s5, s2
	s_cbranch_execz .LBB187_17
.LBB187_27:                             ;   in Loop: Header=BB187_4 Depth=1
	s_mul_u64 s[34:35], s[18:19], s[6:7]
	s_mul_u64 s[36:37], s[38:39], s[6:7]
	v_lshl_add_u64 v[4:5], s[34:35], 4, v[24:25]
	s_lshl_b64 s[34:35], s[36:37], 4
	s_delay_alu instid0(SALU_CYCLE_1) | instskip(NEXT) | instid1(SALU_CYCLE_1)
	s_add_nc_u64 s[34:35], s[20:21], s[34:35]
	v_lshl_add_u64 v[36:37], v[22:23], 4, s[34:35]
	s_delay_alu instid0(VALU_DEP_2)
	v_lshl_add_u64 v[4:5], s[14:15], 4, v[4:5]
	s_wait_dscnt 0x0
	global_load_b128 v[18:21], v[36:37], off
	global_load_b128 v[32:35], v[4:5], off
	s_wait_loadcnt 0x0
	s_wait_xcnt 0x0
	v_mul_f64_e32 v[4:5], v[34:35], v[20:21]
	v_mul_f64_e32 v[34:35], v[34:35], v[18:19]
	s_delay_alu instid0(VALU_DEP_2) | instskip(NEXT) | instid1(VALU_DEP_2)
	v_fmac_f64_e32 v[4:5], v[32:33], v[18:19]
	v_fma_f64 v[18:19], v[32:33], v[20:21], -v[34:35]
	s_delay_alu instid0(VALU_DEP_2) | instskip(NEXT) | instid1(VALU_DEP_2)
	v_add_f64_e32 v[16:17], v[16:17], v[4:5]
	v_add_f64_e32 v[14:15], v[14:15], v[18:19]
	s_or_b32 exec_lo, exec_lo, s5
	s_and_saveexec_b32 s5, s3
	s_cbranch_execnz .LBB187_18
	s_branch .LBB187_19
.LBB187_28:                             ;   in Loop: Header=BB187_4 Depth=1
	ds_load_b128 v[18:21], v1
	s_or_b32 exec_lo, exec_lo, s5
	s_and_saveexec_b32 s5, s3
	s_cbranch_execz .LBB187_23
.LBB187_29:                             ;   in Loop: Header=BB187_4 Depth=1
	s_wait_dscnt 0x0
	ds_bpermute_b32 v4, v3, v18
	ds_bpermute_b32 v5, v3, v19
	ds_bpermute_b32 v14, v3, v20
	ds_bpermute_b32 v15, v3, v21
	s_wait_dscnt 0x2
	v_add_f64_e32 v[4:5], v[18:19], v[4:5]
	s_wait_dscnt 0x0
	v_add_f64_e32 v[14:15], v[20:21], v[14:15]
	ds_bpermute_b32 v16, v32, v4
	ds_bpermute_b32 v17, v32, v5
	ds_bpermute_b32 v18, v32, v14
	ds_bpermute_b32 v19, v32, v15
	s_wait_dscnt 0x2
	v_add_f64_e32 v[4:5], v[4:5], v[16:17]
	s_wait_dscnt 0x0
	v_add_f64_e32 v[14:15], v[14:15], v[18:19]
	;; [unrolled: 8-line block ×5, first 2 shown]
	s_or_b32 exec_lo, exec_lo, s5
                                        ; implicit-def: $vgpr16_vgpr17
	s_and_saveexec_b32 s33, s0
	s_cbranch_execz .LBB187_33
.LBB187_30:                             ;   in Loop: Header=BB187_4 Depth=1
	s_wait_dscnt 0x0
	s_delay_alu instid0(VALU_DEP_1) | instskip(SKIP_3) | instid1(VALU_DEP_4)
	v_mul_f64_e32 v[4:5], v[12:13], v[20:21]
	v_mul_f64_e32 v[16:17], v[10:11], v[20:21]
	v_cmp_neq_f64_e32 vcc_lo, 0, v[6:7]
	v_cmp_neq_f64_e64 s5, 0, v[8:9]
	v_fma_f64 v[14:15], v[10:11], v[18:19], -v[4:5]
	s_delay_alu instid0(VALU_DEP_4) | instskip(SKIP_1) | instid1(SALU_CYCLE_1)
	v_fmac_f64_e32 v[16:17], v[12:13], v[18:19]
	s_or_b32 s5, vcc_lo, s5
	s_and_not1_b32 vcc_lo, exec_lo, s5
	s_cbranch_vccnz .LBB187_32
; %bb.31:                               ;   in Loop: Header=BB187_4 Depth=1
	s_add_nc_u64 s[34:35], s[28:29], s[26:27]
	global_load_b128 v[10:13], v2, s[34:35]
	s_wait_loadcnt 0x0
	v_mul_f64_e32 v[4:5], v[8:9], v[12:13]
	v_mul_f64_e32 v[12:13], v[6:7], v[12:13]
	s_delay_alu instid0(VALU_DEP_2) | instskip(NEXT) | instid1(VALU_DEP_2)
	v_fma_f64 v[4:5], v[6:7], v[10:11], -v[4:5]
	v_fmac_f64_e32 v[12:13], v[8:9], v[10:11]
	s_delay_alu instid0(VALU_DEP_2) | instskip(NEXT) | instid1(VALU_DEP_2)
	v_add_f64_e32 v[14:15], v[14:15], v[4:5]
	v_add_f64_e32 v[16:17], v[16:17], v[12:13]
.LBB187_32:                             ;   in Loop: Header=BB187_4 Depth=1
	s_or_b32 s31, s31, exec_lo
.LBB187_33:                             ;   in Loop: Header=BB187_4 Depth=1
	s_wait_xcnt 0x0
	s_or_b32 exec_lo, exec_lo, s33
.LBB187_34:                             ;   in Loop: Header=BB187_4 Depth=1
	s_and_saveexec_b32 s5, s31
	s_cbranch_execz .LBB187_2
; %bb.35:                               ;   in Loop: Header=BB187_4 Depth=1
	s_add_nc_u64 s[28:29], s[28:29], s[26:27]
	global_store_b128 v2, v[14:17], s[28:29]
	s_branch .LBB187_2
.LBB187_36:
	s_endpgm
	.section	.rodata,"a",@progbits
	.p2align	6, 0x0
	.amdhsa_kernel _ZL32rocblas_gemvt_warp_reduce_kernelILb1ELi1024El19rocblas_complex_numIdEPKS1_S1_EviiT3_lPKT2_lT1_lS7_lS8_lS4_lPT4_lS8_li
		.amdhsa_group_segment_fixed_size 512
		.amdhsa_private_segment_fixed_size 0
		.amdhsa_kernarg_size 140
		.amdhsa_user_sgpr_count 2
		.amdhsa_user_sgpr_dispatch_ptr 0
		.amdhsa_user_sgpr_queue_ptr 0
		.amdhsa_user_sgpr_kernarg_segment_ptr 1
		.amdhsa_user_sgpr_dispatch_id 0
		.amdhsa_user_sgpr_kernarg_preload_length 0
		.amdhsa_user_sgpr_kernarg_preload_offset 0
		.amdhsa_user_sgpr_private_segment_size 0
		.amdhsa_wavefront_size32 1
		.amdhsa_uses_dynamic_stack 0
		.amdhsa_enable_private_segment 0
		.amdhsa_system_sgpr_workgroup_id_x 1
		.amdhsa_system_sgpr_workgroup_id_y 0
		.amdhsa_system_sgpr_workgroup_id_z 1
		.amdhsa_system_sgpr_workgroup_info 0
		.amdhsa_system_vgpr_workitem_id 0
		.amdhsa_next_free_vgpr 40
		.amdhsa_next_free_sgpr 52
		.amdhsa_named_barrier_count 0
		.amdhsa_reserve_vcc 1
		.amdhsa_float_round_mode_32 0
		.amdhsa_float_round_mode_16_64 0
		.amdhsa_float_denorm_mode_32 3
		.amdhsa_float_denorm_mode_16_64 3
		.amdhsa_fp16_overflow 0
		.amdhsa_memory_ordered 1
		.amdhsa_forward_progress 1
		.amdhsa_inst_pref_size 16
		.amdhsa_round_robin_scheduling 0
		.amdhsa_exception_fp_ieee_invalid_op 0
		.amdhsa_exception_fp_denorm_src 0
		.amdhsa_exception_fp_ieee_div_zero 0
		.amdhsa_exception_fp_ieee_overflow 0
		.amdhsa_exception_fp_ieee_underflow 0
		.amdhsa_exception_fp_ieee_inexact 0
		.amdhsa_exception_int_div_zero 0
	.end_amdhsa_kernel
	.section	.text._ZL32rocblas_gemvt_warp_reduce_kernelILb1ELi1024El19rocblas_complex_numIdEPKS1_S1_EviiT3_lPKT2_lT1_lS7_lS8_lS4_lPT4_lS8_li,"axG",@progbits,_ZL32rocblas_gemvt_warp_reduce_kernelILb1ELi1024El19rocblas_complex_numIdEPKS1_S1_EviiT3_lPKT2_lT1_lS7_lS8_lS4_lPT4_lS8_li,comdat
.Lfunc_end187:
	.size	_ZL32rocblas_gemvt_warp_reduce_kernelILb1ELi1024El19rocblas_complex_numIdEPKS1_S1_EviiT3_lPKT2_lT1_lS7_lS8_lS4_lPT4_lS8_li, .Lfunc_end187-_ZL32rocblas_gemvt_warp_reduce_kernelILb1ELi1024El19rocblas_complex_numIdEPKS1_S1_EviiT3_lPKT2_lT1_lS7_lS8_lS4_lPT4_lS8_li
                                        ; -- End function
	.set _ZL32rocblas_gemvt_warp_reduce_kernelILb1ELi1024El19rocblas_complex_numIdEPKS1_S1_EviiT3_lPKT2_lT1_lS7_lS8_lS4_lPT4_lS8_li.num_vgpr, 40
	.set _ZL32rocblas_gemvt_warp_reduce_kernelILb1ELi1024El19rocblas_complex_numIdEPKS1_S1_EviiT3_lPKT2_lT1_lS7_lS8_lS4_lPT4_lS8_li.num_agpr, 0
	.set _ZL32rocblas_gemvt_warp_reduce_kernelILb1ELi1024El19rocblas_complex_numIdEPKS1_S1_EviiT3_lPKT2_lT1_lS7_lS8_lS4_lPT4_lS8_li.numbered_sgpr, 52
	.set _ZL32rocblas_gemvt_warp_reduce_kernelILb1ELi1024El19rocblas_complex_numIdEPKS1_S1_EviiT3_lPKT2_lT1_lS7_lS8_lS4_lPT4_lS8_li.num_named_barrier, 0
	.set _ZL32rocblas_gemvt_warp_reduce_kernelILb1ELi1024El19rocblas_complex_numIdEPKS1_S1_EviiT3_lPKT2_lT1_lS7_lS8_lS4_lPT4_lS8_li.private_seg_size, 0
	.set _ZL32rocblas_gemvt_warp_reduce_kernelILb1ELi1024El19rocblas_complex_numIdEPKS1_S1_EviiT3_lPKT2_lT1_lS7_lS8_lS4_lPT4_lS8_li.uses_vcc, 1
	.set _ZL32rocblas_gemvt_warp_reduce_kernelILb1ELi1024El19rocblas_complex_numIdEPKS1_S1_EviiT3_lPKT2_lT1_lS7_lS8_lS4_lPT4_lS8_li.uses_flat_scratch, 0
	.set _ZL32rocblas_gemvt_warp_reduce_kernelILb1ELi1024El19rocblas_complex_numIdEPKS1_S1_EviiT3_lPKT2_lT1_lS7_lS8_lS4_lPT4_lS8_li.has_dyn_sized_stack, 0
	.set _ZL32rocblas_gemvt_warp_reduce_kernelILb1ELi1024El19rocblas_complex_numIdEPKS1_S1_EviiT3_lPKT2_lT1_lS7_lS8_lS4_lPT4_lS8_li.has_recursion, 0
	.set _ZL32rocblas_gemvt_warp_reduce_kernelILb1ELi1024El19rocblas_complex_numIdEPKS1_S1_EviiT3_lPKT2_lT1_lS7_lS8_lS4_lPT4_lS8_li.has_indirect_call, 0
	.section	.AMDGPU.csdata,"",@progbits
; Kernel info:
; codeLenInByte = 1988
; TotalNumSgprs: 54
; NumVgprs: 40
; ScratchSize: 0
; MemoryBound: 0
; FloatMode: 240
; IeeeMode: 1
; LDSByteSize: 512 bytes/workgroup (compile time only)
; SGPRBlocks: 0
; VGPRBlocks: 2
; NumSGPRsForWavesPerEU: 54
; NumVGPRsForWavesPerEU: 40
; NamedBarCnt: 0
; Occupancy: 16
; WaveLimiterHint : 0
; COMPUTE_PGM_RSRC2:SCRATCH_EN: 0
; COMPUTE_PGM_RSRC2:USER_SGPR: 2
; COMPUTE_PGM_RSRC2:TRAP_HANDLER: 0
; COMPUTE_PGM_RSRC2:TGID_X_EN: 1
; COMPUTE_PGM_RSRC2:TGID_Y_EN: 0
; COMPUTE_PGM_RSRC2:TGID_Z_EN: 1
; COMPUTE_PGM_RSRC2:TIDIG_COMP_CNT: 0
	.section	.text._ZL32rocblas_gemvt_warp_reduce_kernelILb1ELi1024Ei19rocblas_complex_numIdES1_S1_EviiT3_lPKT2_lT1_lS5_lS6_lS2_lPT4_lS6_li,"axG",@progbits,_ZL32rocblas_gemvt_warp_reduce_kernelILb1ELi1024Ei19rocblas_complex_numIdES1_S1_EviiT3_lPKT2_lT1_lS5_lS6_lS2_lPT4_lS6_li,comdat
	.globl	_ZL32rocblas_gemvt_warp_reduce_kernelILb1ELi1024Ei19rocblas_complex_numIdES1_S1_EviiT3_lPKT2_lT1_lS5_lS6_lS2_lPT4_lS6_li ; -- Begin function _ZL32rocblas_gemvt_warp_reduce_kernelILb1ELi1024Ei19rocblas_complex_numIdES1_S1_EviiT3_lPKT2_lT1_lS5_lS6_lS2_lPT4_lS6_li
	.p2align	8
	.type	_ZL32rocblas_gemvt_warp_reduce_kernelILb1ELi1024Ei19rocblas_complex_numIdES1_S1_EviiT3_lPKT2_lT1_lS5_lS6_lS2_lPT4_lS6_li,@function
_ZL32rocblas_gemvt_warp_reduce_kernelILb1ELi1024Ei19rocblas_complex_numIdES1_S1_EviiT3_lPKT2_lT1_lS5_lS6_lS2_lPT4_lS6_li: ; @_ZL32rocblas_gemvt_warp_reduce_kernelILb1ELi1024Ei19rocblas_complex_numIdES1_S1_EviiT3_lPKT2_lT1_lS5_lS6_lS2_lPT4_lS6_li
; %bb.0:
	s_load_b32 s33, s[0:1], 0x98
	s_bfe_u32 s2, ttmp6, 0x40014
	s_lshr_b32 s4, ttmp7, 16
	s_add_co_i32 s2, s2, 1
	s_bfe_u32 s5, ttmp6, 0x40008
	s_mul_i32 s2, s4, s2
	s_getreg_b32 s3, hwreg(HW_REG_IB_STS2, 6, 4)
	s_add_co_i32 s5, s5, s2
	s_cmp_eq_u32 s3, 0
	s_mov_b32 s29, 0
	s_cselect_b32 s28, s4, s5
	s_wait_kmcnt 0x0
	s_cmp_ge_u32 s28, s33
	s_cbranch_scc1 .LBB188_34
; %bb.1:
	s_clause 0xa
	s_load_b128 s[8:11], s[0:1], 0x8
	s_load_b64 s[30:31], s[0:1], 0x68
	s_load_b128 s[12:15], s[0:1], 0x58
	s_load_b32 s27, s[0:1], 0x0
	s_load_b128 s[16:19], s[0:1], 0x38
	s_load_b96 s[24:26], s[0:1], 0x48
	s_load_b128 s[20:23], s[0:1], 0x78
	s_load_b128 s[4:7], s[0:1], 0x20
	s_load_b32 s42, s[0:1], 0x30
	s_load_b32 s43, s[0:1], 0x88
	s_load_b64 s[34:35], s[0:1], 0x90
	v_dual_mov_b32 v2, 0 :: v_dual_bitop2_b32 v3, 31, v0 bitop3:0x40
	s_bfe_u32 s2, ttmp6, 0x4000c
	v_lshrrev_b32_e32 v4, 1, v0
	s_add_co_i32 s2, s2, 1
	s_and_b32 s36, ttmp6, 15
	s_mul_i32 s37, ttmp9, s2
	v_cmp_eq_u32_e64 s2, 0, v3
	v_mov_b32_e32 v5, v2
	v_and_b32_e32 v18, 0x1f0, v4
	s_add_co_i32 s45, s36, s37
	s_wait_xcnt 0x0
	v_cmp_eq_u32_e64 s0, 0, v0
	v_cmp_gt_u32_e64 s1, 32, v0
	s_wait_kmcnt 0x0
	v_cmp_neq_f64_e64 s38, s[8:9], 0
	v_cmp_neq_f64_e64 s39, s[10:11], 0
	;; [unrolled: 1-line block ×4, first 2 shown]
	v_cmp_gt_i32_e32 vcc_lo, s27, v0
	v_lshlrev_b32_e32 v1, 4, v3
	v_cmp_neq_f64_e64 s44, s[14:15], 1.0
	s_lshl_b64 s[24:25], s[24:25], 4
	s_lshl_b64 s[22:23], s[22:23], 4
	v_cndmask_b32_e32 v3, 0, v0, vcc_lo
	s_lshl_b64 s[36:37], s[6:7], 4
	s_add_nc_u64 s[6:7], s[18:19], s[24:25]
	s_add_nc_u64 s[18:19], s[20:21], s[22:23]
	;; [unrolled: 1-line block ×3, first 2 shown]
	v_lshlrev_b32_e32 v4, 4, v3
	v_mul_lo_u32 v19, v0, s26
	v_mbcnt_lo_u32_b32 v20, -1, 0
	s_delay_alu instid0(VALU_DEP_3)
	v_add_nc_u64_e32 v[6:7], s[20:21], v[4:5]
	s_or_b32 s46, s38, s39
	s_or_b32 s38, s41, s40
	s_xor_b32 s39, s46, -1
	s_cmp_eq_u32 s3, 0
	s_cselect_b32 s3, ttmp9, s45
	s_ashr_i32 s20, s27, 31
	s_mul_i32 s22, s42, s3
	s_lshr_b32 s20, s20, 22
	s_ashr_i32 s23, s22, 31
	s_add_co_i32 s20, s27, s20
	s_lshl_b64 s[22:23], s[22:23], 4
	s_and_b32 s20, s20, 0xfffffc00
	s_add_nc_u64 s[24:25], s[36:37], s[22:23]
	v_or_b32_e32 v3, s20, v0
	s_add_nc_u64 s[4:5], s[4:5], s[24:25]
	v_add_nc_u64_e32 v[14:15], s[22:23], v[6:7]
	v_add_nc_u64_e32 v[4:5], s[4:5], v[4:5]
	s_mul_i32 s24, s43, s3
	v_mul_lo_u32 v12, s26, v3
	v_cmp_gt_i32_e64 s3, s20, v0
	v_cmp_gt_i32_e64 s4, s27, v3
	s_or_b32 s21, s46, s44
	s_ashr_i32 s25, s24, 31
	v_add_nc_u64_e32 v[16:17], 8, v[4:5]
	s_or_b32 s5, s21, s40
	s_ashr_i32 s21, s20, 31
	s_lshl_b32 s40, s26, 10
	s_lshl_b64 s[22:23], s[16:17], 4
	s_lshl_b64 s[24:25], s[24:25], 4
	v_ashrrev_i32_e32 v13, 31, v12
	s_branch .LBB188_4
.LBB188_2:                              ;   in Loop: Header=BB188_4 Depth=1
	s_wait_xcnt 0x0
	s_or_b32 exec_lo, exec_lo, s36
.LBB188_3:                              ;   in Loop: Header=BB188_4 Depth=1
	s_add_co_i32 s28, s28, 0x10000
	s_delay_alu instid0(SALU_CYCLE_1)
	s_cmp_lt_u32 s28, s33
	s_cbranch_scc0 .LBB188_34
.LBB188_4:                              ; =>This Loop Header: Depth=1
                                        ;     Child Loop BB188_23 Depth 2
	s_and_not1_b32 vcc_lo, exec_lo, s5
	s_cbranch_vccnz .LBB188_3
; %bb.5:                                ;   in Loop: Header=BB188_4 Depth=1
	s_mul_u64 s[26:27], s[34:35], s[28:29]
	s_and_not1_b32 vcc_lo, exec_lo, s39
	s_lshl_b64 s[26:27], s[26:27], 4
	s_delay_alu instid0(SALU_CYCLE_1)
	s_add_nc_u64 s[26:27], s[18:19], s[26:27]
	s_cbranch_vccnz .LBB188_9
; %bb.6:                                ;   in Loop: Header=BB188_4 Depth=1
	s_mov_b32 s36, 0
	s_mov_b32 s41, 0
                                        ; implicit-def: $vgpr6_vgpr7
	s_and_saveexec_b32 s37, s0
	s_cbranch_execz .LBB188_10
; %bb.7:                                ;   in Loop: Header=BB188_4 Depth=1
	s_and_not1_b32 vcc_lo, exec_lo, s38
	s_cbranch_vccnz .LBB188_11
; %bb.8:                                ;   in Loop: Header=BB188_4 Depth=1
	s_add_nc_u64 s[42:43], s[26:27], s[24:25]
	s_wait_dscnt 0x0
	global_load_b128 v[8:11], v2, s[42:43]
	s_wait_loadcnt 0x0
	v_mul_f64_e32 v[4:5], s[30:31], v[10:11]
	v_mul_f64_e32 v[6:7], s[14:15], v[10:11]
	s_delay_alu instid0(VALU_DEP_2) | instskip(NEXT) | instid1(VALU_DEP_2)
	v_fma_f64 v[4:5], s[14:15], v[8:9], -v[4:5]
	v_fmac_f64_e32 v[6:7], s[30:31], v[8:9]
	s_branch .LBB188_12
.LBB188_9:                              ;   in Loop: Header=BB188_4 Depth=1
	s_mov_b32 s41, 0
                                        ; implicit-def: $vgpr6_vgpr7
	s_cbranch_execnz .LBB188_13
	s_branch .LBB188_32
.LBB188_10:                             ;   in Loop: Header=BB188_4 Depth=1
	s_or_b32 exec_lo, exec_lo, s37
	s_delay_alu instid0(SALU_CYCLE_1)
	s_and_b32 vcc_lo, exec_lo, s36
	s_cbranch_vccnz .LBB188_13
	s_branch .LBB188_32
.LBB188_11:                             ;   in Loop: Header=BB188_4 Depth=1
	v_mov_b64_e32 v[6:7], 0
	v_mov_b64_e32 v[4:5], 0
.LBB188_12:                             ;   in Loop: Header=BB188_4 Depth=1
	s_mov_b32 s41, exec_lo
	s_wait_xcnt 0x0
	s_or_b32 exec_lo, exec_lo, s37
	s_delay_alu instid0(SALU_CYCLE_1)
	s_and_b32 vcc_lo, exec_lo, s36
	s_cbranch_vccz .LBB188_32
.LBB188_13:                             ;   in Loop: Header=BB188_4 Depth=1
	v_mov_b64_e32 v[6:7], 0
	s_wait_dscnt 0x0
	v_mov_b64_e32 v[8:9], 0
	s_mul_u64 s[36:37], s[12:13], s[28:29]
	s_delay_alu instid0(SALU_CYCLE_1) | instskip(NEXT) | instid1(SALU_CYCLE_1)
	s_lshl_b64 s[36:37], s[36:37], 4
	s_add_nc_u64 s[36:37], s[6:7], s[36:37]
	s_and_saveexec_b32 s42, s3
	s_cbranch_execnz .LBB188_22
; %bb.14:                               ;   in Loop: Header=BB188_4 Depth=1
	s_or_b32 exec_lo, exec_lo, s42
	s_and_saveexec_b32 s42, s4
	s_cbranch_execnz .LBB188_25
.LBB188_15:                             ;   in Loop: Header=BB188_4 Depth=1
	s_or_b32 exec_lo, exec_lo, s42
	s_and_saveexec_b32 s36, s1
.LBB188_16:                             ;   in Loop: Header=BB188_4 Depth=1
	v_dual_mov_b32 v3, v2 :: v_dual_mov_b32 v4, v2
	v_mov_b32_e32 v5, v2
	ds_store_b128 v1, v[2:5]
.LBB188_17:                             ;   in Loop: Header=BB188_4 Depth=1
	s_or_b32 exec_lo, exec_lo, s36
	v_lshl_or_b32 v3, v20, 2, 64
	v_cmp_gt_u32_e32 vcc_lo, 24, v20
	s_wait_dscnt 0x0
	s_barrier_signal -1
	s_barrier_wait -1
	ds_bpermute_b32 v4, v3, v8
	ds_bpermute_b32 v5, v3, v9
	;; [unrolled: 1-line block ×4, first 2 shown]
	s_wait_dscnt 0x0
	v_add_f64_e32 v[4:5], v[8:9], v[4:5]
	v_cndmask_b32_e64 v8, 0, 8, vcc_lo
	v_cmp_gt_u32_e32 vcc_lo, 28, v20
	s_delay_alu instid0(VALU_DEP_2)
	v_add_lshl_u32 v21, v8, v20, 2
	ds_bpermute_b32 v8, v21, v4
	ds_bpermute_b32 v9, v21, v5
	s_wait_dscnt 0x0
	v_add_f64_e32 v[4:5], v[4:5], v[8:9]
	v_cndmask_b32_e64 v8, 0, 4, vcc_lo
	v_cmp_gt_u32_e32 vcc_lo, 30, v20
	s_delay_alu instid0(VALU_DEP_2)
	v_add_lshl_u32 v22, v8, v20, 2
	ds_bpermute_b32 v8, v22, v4
	ds_bpermute_b32 v9, v22, v5
	s_wait_dscnt 0x0
	v_add_f64_e32 v[4:5], v[4:5], v[8:9]
	v_cndmask_b32_e64 v8, 0, 2, vcc_lo
	v_cmp_ne_u32_e32 vcc_lo, 31, v20
	s_delay_alu instid0(VALU_DEP_2)
	v_add_lshl_u32 v23, v8, v20, 2
	ds_bpermute_b32 v8, v23, v4
	ds_bpermute_b32 v9, v23, v5
	s_wait_dscnt 0x0
	v_add_f64_e32 v[4:5], v[4:5], v[8:9]
	v_add_co_ci_u32_e64 v8, null, 0, v20, vcc_lo
	s_delay_alu instid0(VALU_DEP_1)
	v_dual_add_f64 v[6:7], v[6:7], v[10:11] :: v_dual_lshlrev_b32 v24, 2, v8
	ds_bpermute_b32 v8, v24, v4
	ds_bpermute_b32 v9, v24, v5
	;; [unrolled: 1-line block ×4, first 2 shown]
	s_wait_dscnt 0x0
	v_add_f64_e32 v[6:7], v[6:7], v[10:11]
	ds_bpermute_b32 v10, v22, v6
	ds_bpermute_b32 v11, v22, v7
	s_wait_dscnt 0x0
	v_add_f64_e32 v[6:7], v[6:7], v[10:11]
	ds_bpermute_b32 v10, v23, v6
	ds_bpermute_b32 v11, v23, v7
	s_wait_dscnt 0x0
	v_add_f64_e32 v[6:7], v[6:7], v[10:11]
	ds_bpermute_b32 v10, v24, v6
	ds_bpermute_b32 v11, v24, v7
	s_and_saveexec_b32 s36, s2
	s_cbranch_execz .LBB188_19
; %bb.18:                               ;   in Loop: Header=BB188_4 Depth=1
	s_wait_dscnt 0x0
	v_add_f64_e32 v[6:7], v[6:7], v[10:11]
	v_add_f64_e32 v[4:5], v[4:5], v[8:9]
	ds_store_b128 v18, v[4:7]
.LBB188_19:                             ;   in Loop: Header=BB188_4 Depth=1
	s_or_b32 exec_lo, exec_lo, s36
	s_wait_dscnt 0x0
	v_mov_b64_e32 v[10:11], 0
	v_mov_b64_e32 v[8:9], 0
	s_barrier_signal -1
	s_barrier_wait -1
	s_and_saveexec_b32 s36, s1
	s_cbranch_execnz .LBB188_26
; %bb.20:                               ;   in Loop: Header=BB188_4 Depth=1
	s_or_b32 exec_lo, exec_lo, s36
	s_and_saveexec_b32 s36, s1
	s_cbranch_execnz .LBB188_27
.LBB188_21:                             ;   in Loop: Header=BB188_4 Depth=1
	s_or_b32 exec_lo, exec_lo, s36
                                        ; implicit-def: $vgpr6_vgpr7
	s_and_saveexec_b32 s36, s0
	s_cbranch_execnz .LBB188_28
	s_branch .LBB188_31
.LBB188_22:                             ;   in Loop: Header=BB188_4 Depth=1
	v_mad_nc_u64_u32 v[4:5], s22, s28, v[16:17]
	v_mov_b64_e32 v[6:7], 0
	v_mov_b64_e32 v[8:9], 0
	v_dual_mov_b32 v3, v0 :: v_dual_mov_b32 v10, v19
	s_mov_b32 s43, 0
	s_delay_alu instid0(VALU_DEP_4)
	v_mad_u32 v5, s23, s28, v5
.LBB188_23:                             ;   Parent Loop BB188_4 Depth=1
                                        ; =>  This Inner Loop Header: Depth=2
	global_load_b128 v[22:25], v[4:5], off offset:-8
	global_load_b128 v[26:29], v10, s[36:37] scale_offset
	v_add_nc_u32_e32 v3, 0x400, v3
	s_wait_xcnt 0x1
	v_add_nc_u64_e32 v[4:5], 0x4000, v[4:5]
	s_wait_xcnt 0x0
	v_add_nc_u32_e32 v10, s40, v10
	v_cmp_le_i32_e32 vcc_lo, s20, v3
	s_or_b32 s43, vcc_lo, s43
	s_wait_loadcnt 0x0
	v_mul_f64_e32 v[30:31], v[24:25], v[28:29]
	v_mul_f64_e32 v[24:25], v[24:25], v[26:27]
	s_delay_alu instid0(VALU_DEP_2) | instskip(NEXT) | instid1(VALU_DEP_2)
	v_fmac_f64_e32 v[30:31], v[22:23], v[26:27]
	v_fma_f64 v[22:23], v[22:23], v[28:29], -v[24:25]
	s_delay_alu instid0(VALU_DEP_2) | instskip(NEXT) | instid1(VALU_DEP_2)
	v_add_f64_e32 v[8:9], v[8:9], v[30:31]
	v_add_f64_e32 v[6:7], v[6:7], v[22:23]
	s_and_not1_b32 exec_lo, exec_lo, s43
	s_cbranch_execnz .LBB188_23
; %bb.24:                               ;   in Loop: Header=BB188_4 Depth=1
	s_or_b32 exec_lo, exec_lo, s43
	s_delay_alu instid0(SALU_CYCLE_1)
	s_or_b32 exec_lo, exec_lo, s42
	s_and_saveexec_b32 s42, s4
	s_cbranch_execz .LBB188_15
.LBB188_25:                             ;   in Loop: Header=BB188_4 Depth=1
	s_mul_u64 s[44:45], s[16:17], s[28:29]
	v_lshl_add_u64 v[10:11], v[12:13], 4, s[36:37]
	v_lshl_add_u64 v[4:5], s[44:45], 4, v[14:15]
	s_delay_alu instid0(VALU_DEP_1)
	v_lshl_add_u64 v[4:5], s[20:21], 4, v[4:5]
	global_load_b128 v[22:25], v[10:11], off
	global_load_b128 v[26:29], v[4:5], off
	s_wait_loadcnt 0x0
	s_wait_xcnt 0x0
	v_mul_f64_e32 v[4:5], v[28:29], v[24:25]
	v_mul_f64_e32 v[10:11], v[28:29], v[22:23]
	s_delay_alu instid0(VALU_DEP_2) | instskip(NEXT) | instid1(VALU_DEP_2)
	v_fmac_f64_e32 v[4:5], v[26:27], v[22:23]
	v_fma_f64 v[10:11], v[26:27], v[24:25], -v[10:11]
	s_delay_alu instid0(VALU_DEP_2) | instskip(NEXT) | instid1(VALU_DEP_2)
	v_add_f64_e32 v[8:9], v[8:9], v[4:5]
	v_add_f64_e32 v[6:7], v[6:7], v[10:11]
	s_or_b32 exec_lo, exec_lo, s42
	s_and_saveexec_b32 s36, s1
	s_cbranch_execnz .LBB188_16
	s_branch .LBB188_17
.LBB188_26:                             ;   in Loop: Header=BB188_4 Depth=1
	ds_load_b128 v[8:11], v1
	s_or_b32 exec_lo, exec_lo, s36
	s_and_saveexec_b32 s36, s1
	s_cbranch_execz .LBB188_21
.LBB188_27:                             ;   in Loop: Header=BB188_4 Depth=1
	s_wait_dscnt 0x0
	ds_bpermute_b32 v4, v3, v8
	ds_bpermute_b32 v5, v3, v9
	ds_bpermute_b32 v6, v3, v10
	ds_bpermute_b32 v7, v3, v11
	s_wait_dscnt 0x2
	v_add_f64_e32 v[4:5], v[8:9], v[4:5]
	s_wait_dscnt 0x0
	v_add_f64_e32 v[6:7], v[10:11], v[6:7]
	ds_bpermute_b32 v8, v21, v4
	ds_bpermute_b32 v9, v21, v5
	ds_bpermute_b32 v10, v21, v6
	ds_bpermute_b32 v11, v21, v7
	s_wait_dscnt 0x2
	v_add_f64_e32 v[4:5], v[4:5], v[8:9]
	s_wait_dscnt 0x0
	v_add_f64_e32 v[6:7], v[6:7], v[10:11]
	;; [unrolled: 8-line block ×5, first 2 shown]
	s_or_b32 exec_lo, exec_lo, s36
                                        ; implicit-def: $vgpr6_vgpr7
	s_and_saveexec_b32 s36, s0
	s_cbranch_execz .LBB188_31
.LBB188_28:                             ;   in Loop: Header=BB188_4 Depth=1
	s_wait_dscnt 0x0
	s_delay_alu instid0(VALU_DEP_1) | instskip(SKIP_2) | instid1(VALU_DEP_2)
	v_mul_f64_e32 v[4:5], s[10:11], v[10:11]
	v_mul_f64_e32 v[6:7], s[8:9], v[10:11]
	s_and_not1_b32 vcc_lo, exec_lo, s38
	v_fma_f64 v[4:5], s[8:9], v[8:9], -v[4:5]
	s_delay_alu instid0(VALU_DEP_2)
	v_fmac_f64_e32 v[6:7], s[10:11], v[8:9]
	s_cbranch_vccnz .LBB188_30
; %bb.29:                               ;   in Loop: Header=BB188_4 Depth=1
	s_add_nc_u64 s[42:43], s[26:27], s[24:25]
	global_load_b128 v[8:11], v2, s[42:43]
	s_wait_loadcnt 0x0
	v_mul_f64_e32 v[22:23], s[30:31], v[10:11]
	v_mul_f64_e32 v[10:11], s[14:15], v[10:11]
	s_delay_alu instid0(VALU_DEP_2) | instskip(NEXT) | instid1(VALU_DEP_2)
	v_fma_f64 v[22:23], s[14:15], v[8:9], -v[22:23]
	v_fmac_f64_e32 v[10:11], s[30:31], v[8:9]
	s_delay_alu instid0(VALU_DEP_2) | instskip(NEXT) | instid1(VALU_DEP_2)
	v_add_f64_e32 v[4:5], v[4:5], v[22:23]
	v_add_f64_e32 v[6:7], v[6:7], v[10:11]
.LBB188_30:                             ;   in Loop: Header=BB188_4 Depth=1
	s_or_b32 s41, s41, exec_lo
.LBB188_31:                             ;   in Loop: Header=BB188_4 Depth=1
	s_wait_xcnt 0x0
	s_or_b32 exec_lo, exec_lo, s36
.LBB188_32:                             ;   in Loop: Header=BB188_4 Depth=1
	s_and_saveexec_b32 s36, s41
	s_cbranch_execz .LBB188_2
; %bb.33:                               ;   in Loop: Header=BB188_4 Depth=1
	s_add_nc_u64 s[26:27], s[26:27], s[24:25]
	global_store_b128 v2, v[4:7], s[26:27]
	s_branch .LBB188_2
.LBB188_34:
	s_endpgm
	.section	.rodata,"a",@progbits
	.p2align	6, 0x0
	.amdhsa_kernel _ZL32rocblas_gemvt_warp_reduce_kernelILb1ELi1024Ei19rocblas_complex_numIdES1_S1_EviiT3_lPKT2_lT1_lS5_lS6_lS2_lPT4_lS6_li
		.amdhsa_group_segment_fixed_size 512
		.amdhsa_private_segment_fixed_size 0
		.amdhsa_kernarg_size 156
		.amdhsa_user_sgpr_count 2
		.amdhsa_user_sgpr_dispatch_ptr 0
		.amdhsa_user_sgpr_queue_ptr 0
		.amdhsa_user_sgpr_kernarg_segment_ptr 1
		.amdhsa_user_sgpr_dispatch_id 0
		.amdhsa_user_sgpr_kernarg_preload_length 0
		.amdhsa_user_sgpr_kernarg_preload_offset 0
		.amdhsa_user_sgpr_private_segment_size 0
		.amdhsa_wavefront_size32 1
		.amdhsa_uses_dynamic_stack 0
		.amdhsa_enable_private_segment 0
		.amdhsa_system_sgpr_workgroup_id_x 1
		.amdhsa_system_sgpr_workgroup_id_y 0
		.amdhsa_system_sgpr_workgroup_id_z 1
		.amdhsa_system_sgpr_workgroup_info 0
		.amdhsa_system_vgpr_workitem_id 0
		.amdhsa_next_free_vgpr 32
		.amdhsa_next_free_sgpr 47
		.amdhsa_named_barrier_count 0
		.amdhsa_reserve_vcc 1
		.amdhsa_float_round_mode_32 0
		.amdhsa_float_round_mode_16_64 0
		.amdhsa_float_denorm_mode_32 3
		.amdhsa_float_denorm_mode_16_64 3
		.amdhsa_fp16_overflow 0
		.amdhsa_memory_ordered 1
		.amdhsa_forward_progress 1
		.amdhsa_inst_pref_size 15
		.amdhsa_round_robin_scheduling 0
		.amdhsa_exception_fp_ieee_invalid_op 0
		.amdhsa_exception_fp_denorm_src 0
		.amdhsa_exception_fp_ieee_div_zero 0
		.amdhsa_exception_fp_ieee_overflow 0
		.amdhsa_exception_fp_ieee_underflow 0
		.amdhsa_exception_fp_ieee_inexact 0
		.amdhsa_exception_int_div_zero 0
	.end_amdhsa_kernel
	.section	.text._ZL32rocblas_gemvt_warp_reduce_kernelILb1ELi1024Ei19rocblas_complex_numIdES1_S1_EviiT3_lPKT2_lT1_lS5_lS6_lS2_lPT4_lS6_li,"axG",@progbits,_ZL32rocblas_gemvt_warp_reduce_kernelILb1ELi1024Ei19rocblas_complex_numIdES1_S1_EviiT3_lPKT2_lT1_lS5_lS6_lS2_lPT4_lS6_li,comdat
.Lfunc_end188:
	.size	_ZL32rocblas_gemvt_warp_reduce_kernelILb1ELi1024Ei19rocblas_complex_numIdES1_S1_EviiT3_lPKT2_lT1_lS5_lS6_lS2_lPT4_lS6_li, .Lfunc_end188-_ZL32rocblas_gemvt_warp_reduce_kernelILb1ELi1024Ei19rocblas_complex_numIdES1_S1_EviiT3_lPKT2_lT1_lS5_lS6_lS2_lPT4_lS6_li
                                        ; -- End function
	.set _ZL32rocblas_gemvt_warp_reduce_kernelILb1ELi1024Ei19rocblas_complex_numIdES1_S1_EviiT3_lPKT2_lT1_lS5_lS6_lS2_lPT4_lS6_li.num_vgpr, 32
	.set _ZL32rocblas_gemvt_warp_reduce_kernelILb1ELi1024Ei19rocblas_complex_numIdES1_S1_EviiT3_lPKT2_lT1_lS5_lS6_lS2_lPT4_lS6_li.num_agpr, 0
	.set _ZL32rocblas_gemvt_warp_reduce_kernelILb1ELi1024Ei19rocblas_complex_numIdES1_S1_EviiT3_lPKT2_lT1_lS5_lS6_lS2_lPT4_lS6_li.numbered_sgpr, 47
	.set _ZL32rocblas_gemvt_warp_reduce_kernelILb1ELi1024Ei19rocblas_complex_numIdES1_S1_EviiT3_lPKT2_lT1_lS5_lS6_lS2_lPT4_lS6_li.num_named_barrier, 0
	.set _ZL32rocblas_gemvt_warp_reduce_kernelILb1ELi1024Ei19rocblas_complex_numIdES1_S1_EviiT3_lPKT2_lT1_lS5_lS6_lS2_lPT4_lS6_li.private_seg_size, 0
	.set _ZL32rocblas_gemvt_warp_reduce_kernelILb1ELi1024Ei19rocblas_complex_numIdES1_S1_EviiT3_lPKT2_lT1_lS5_lS6_lS2_lPT4_lS6_li.uses_vcc, 1
	.set _ZL32rocblas_gemvt_warp_reduce_kernelILb1ELi1024Ei19rocblas_complex_numIdES1_S1_EviiT3_lPKT2_lT1_lS5_lS6_lS2_lPT4_lS6_li.uses_flat_scratch, 0
	.set _ZL32rocblas_gemvt_warp_reduce_kernelILb1ELi1024Ei19rocblas_complex_numIdES1_S1_EviiT3_lPKT2_lT1_lS5_lS6_lS2_lPT4_lS6_li.has_dyn_sized_stack, 0
	.set _ZL32rocblas_gemvt_warp_reduce_kernelILb1ELi1024Ei19rocblas_complex_numIdES1_S1_EviiT3_lPKT2_lT1_lS5_lS6_lS2_lPT4_lS6_li.has_recursion, 0
	.set _ZL32rocblas_gemvt_warp_reduce_kernelILb1ELi1024Ei19rocblas_complex_numIdES1_S1_EviiT3_lPKT2_lT1_lS5_lS6_lS2_lPT4_lS6_li.has_indirect_call, 0
	.section	.AMDGPU.csdata,"",@progbits
; Kernel info:
; codeLenInByte = 1892
; TotalNumSgprs: 49
; NumVgprs: 32
; ScratchSize: 0
; MemoryBound: 0
; FloatMode: 240
; IeeeMode: 1
; LDSByteSize: 512 bytes/workgroup (compile time only)
; SGPRBlocks: 0
; VGPRBlocks: 1
; NumSGPRsForWavesPerEU: 49
; NumVGPRsForWavesPerEU: 32
; NamedBarCnt: 0
; Occupancy: 16
; WaveLimiterHint : 1
; COMPUTE_PGM_RSRC2:SCRATCH_EN: 0
; COMPUTE_PGM_RSRC2:USER_SGPR: 2
; COMPUTE_PGM_RSRC2:TRAP_HANDLER: 0
; COMPUTE_PGM_RSRC2:TGID_X_EN: 1
; COMPUTE_PGM_RSRC2:TGID_Y_EN: 0
; COMPUTE_PGM_RSRC2:TGID_Z_EN: 1
; COMPUTE_PGM_RSRC2:TIDIG_COMP_CNT: 0
	.section	.text._ZL32rocblas_gemvt_warp_reduce_kernelILb1ELi1024El19rocblas_complex_numIdES1_S1_EviiT3_lPKT2_lT1_lS5_lS6_lS2_lPT4_lS6_li,"axG",@progbits,_ZL32rocblas_gemvt_warp_reduce_kernelILb1ELi1024El19rocblas_complex_numIdES1_S1_EviiT3_lPKT2_lT1_lS5_lS6_lS2_lPT4_lS6_li,comdat
	.globl	_ZL32rocblas_gemvt_warp_reduce_kernelILb1ELi1024El19rocblas_complex_numIdES1_S1_EviiT3_lPKT2_lT1_lS5_lS6_lS2_lPT4_lS6_li ; -- Begin function _ZL32rocblas_gemvt_warp_reduce_kernelILb1ELi1024El19rocblas_complex_numIdES1_S1_EviiT3_lPKT2_lT1_lS5_lS6_lS2_lPT4_lS6_li
	.p2align	8
	.type	_ZL32rocblas_gemvt_warp_reduce_kernelILb1ELi1024El19rocblas_complex_numIdES1_S1_EviiT3_lPKT2_lT1_lS5_lS6_lS2_lPT4_lS6_li,@function
_ZL32rocblas_gemvt_warp_reduce_kernelILb1ELi1024El19rocblas_complex_numIdES1_S1_EviiT3_lPKT2_lT1_lS5_lS6_lS2_lPT4_lS6_li: ; @_ZL32rocblas_gemvt_warp_reduce_kernelILb1ELi1024El19rocblas_complex_numIdES1_S1_EviiT3_lPKT2_lT1_lS5_lS6_lS2_lPT4_lS6_li
; %bb.0:
	s_load_b32 s33, s[0:1], 0x98
	s_bfe_u32 s2, ttmp6, 0x40014
	s_lshr_b32 s3, ttmp7, 16
	s_add_co_i32 s2, s2, 1
	s_bfe_u32 s5, ttmp6, 0x40008
	s_mul_i32 s4, s3, s2
	s_getreg_b32 s2, hwreg(HW_REG_IB_STS2, 6, 4)
	s_add_co_i32 s5, s5, s4
	s_cmp_eq_u32 s2, 0
	s_mov_b32 s35, 0
	s_cselect_b32 s34, s3, s5
	s_wait_kmcnt 0x0
	s_cmp_ge_u32 s34, s33
	s_cbranch_scc1 .LBB189_34
; %bb.1:
	s_clause 0x4
	s_load_b128 s[28:31], s[0:1], 0x8
	s_load_b128 s[36:39], s[0:1], 0x60
	s_load_b512 s[4:19], s[0:1], 0x20
	s_load_b256 s[20:27], s[0:1], 0x78
	s_load_b32 s43, s[0:1], 0x0
	s_wait_xcnt 0x0
	s_bfe_u32 s0, ttmp6, 0x4000c
	s_and_b32 s1, ttmp6, 15
	s_add_co_i32 s0, s0, 1
	v_mbcnt_lo_u32_b32 v21, -1, 0
	s_mul_i32 s0, ttmp9, s0
	v_and_b32_e32 v3, 31, v0
	s_add_co_i32 s44, s1, s0
	s_wait_kmcnt 0x0
	v_cmp_neq_f64_e64 s3, s[28:29], 0
	v_cmp_neq_f64_e64 s40, s[30:31], 0
	;; [unrolled: 1-line block ×4, first 2 shown]
	s_lshl_b64 s[0:1], s[14:15], 4
	s_lshl_b64 s[14:15], s[22:23], 4
	;; [unrolled: 1-line block ×3, first 2 shown]
	v_cmp_gt_i32_e32 vcc_lo, s43, v0
	v_mov_b32_e32 v2, 0
	s_add_nc_u64 s[12:13], s[12:13], s[0:1]
	s_add_nc_u64 s[0:1], s[4:5], s[22:23]
	;; [unrolled: 1-line block ×3, first 2 shown]
	s_or_b32 s45, s3, s40
	s_or_b32 s40, s41, s42
	s_xor_b32 s41, s45, -1
	s_cmp_eq_u32 s2, 0
	s_cselect_b32 s2, ttmp9, s44
	s_ashr_i32 s3, s43, 31
	v_cmp_neq_f64_e64 s44, s[36:37], 1.0
	s_lshr_b32 s3, s3, 22
	s_lshl_b64 s[20:21], s[10:11], 4
	s_add_co_i32 s3, s43, s3
	s_delay_alu instid0(SALU_CYCLE_1) | instskip(NEXT) | instid1(SALU_CYCLE_1)
	s_and_b32 s6, s3, 0xfffffc00
	v_dual_mov_b32 v1, v2 :: v_dual_bitop2_b32 v6, s6, v0 bitop3:0x54
	s_ashr_i32 s3, s2, 31
	s_ashr_i32 s7, s6, 31
	s_mul_u64 s[8:9], s[8:9], s[2:3]
	s_delay_alu instid0(VALU_DEP_1) | instskip(SKIP_4) | instid1(VALU_DEP_2)
	v_mul_u64_e32 v[4:5], s[16:17], v[0:1]
	v_dual_ashrrev_i32 v7, 31, v6 :: v_dual_cndmask_b32 v1, 0, v0, vcc_lo
	v_mov_b32_e32 v9, v2
	s_lshl_b64 s[8:9], s[8:9], 4
	s_mul_u64 s[24:25], s[24:25], s[2:3]
	v_mul_u64_e32 v[12:13], s[16:17], v[6:7]
	v_lshlrev_b32_e32 v8, 4, v1
	v_cmp_gt_i32_e64 s2, s43, v6
	v_cmp_gt_u32_e64 s3, 32, v0
	s_lshl_b64 s[16:17], s[16:17], 14
	v_lshlrev_b32_e32 v1, 4, v3
	v_add_nc_u64_e32 v[10:11], s[0:1], v[8:9]
	v_cmp_eq_u32_e64 s0, 0, v0
	v_cmp_gt_i32_e64 s1, s6, v0
	s_delay_alu instid0(VALU_DEP_3)
	v_add_nc_u64_e32 v[14:15], s[8:9], v[10:11]
	s_add_nc_u64 s[8:9], s[8:9], s[22:23]
	v_lshrrev_b32_e32 v10, 1, v0
	s_add_nc_u64 s[4:5], s[4:5], s[8:9]
	s_lshl_b64 s[8:9], s[18:19], 4
	v_add_nc_u64_e32 v[6:7], s[4:5], v[8:9]
	v_cmp_eq_u32_e64 s4, 0, v3
	v_and_b32_e32 v20, 0x1f0, v10
	s_or_b32 s5, s45, s44
	s_lshl_b64 s[22:23], s[24:25], 4
	s_or_b32 s5, s5, s42
	v_add_nc_u64_e32 v[18:19], 8, v[6:7]
	v_lshl_add_u64 v[4:5], v[4:5], 4, s[12:13]
	s_delay_alu instid0(VALU_DEP_1)
	v_add_nc_u64_e32 v[16:17], 8, v[4:5]
	s_branch .LBB189_4
.LBB189_2:                              ;   in Loop: Header=BB189_4 Depth=1
	s_wait_xcnt 0x0
	s_or_b32 exec_lo, exec_lo, s43
.LBB189_3:                              ;   in Loop: Header=BB189_4 Depth=1
	s_add_co_i32 s34, s34, 0x10000
	s_delay_alu instid0(SALU_CYCLE_1)
	s_cmp_lt_u32 s34, s33
	s_cbranch_scc0 .LBB189_34
.LBB189_4:                              ; =>This Loop Header: Depth=1
                                        ;     Child Loop BB189_23 Depth 2
	s_and_not1_b32 vcc_lo, exec_lo, s5
	s_cbranch_vccnz .LBB189_3
; %bb.5:                                ;   in Loop: Header=BB189_4 Depth=1
	s_mul_u64 s[24:25], s[26:27], s[34:35]
	s_and_not1_b32 vcc_lo, exec_lo, s41
	s_lshl_b64 s[24:25], s[24:25], 4
	s_delay_alu instid0(SALU_CYCLE_1)
	s_add_nc_u64 s[24:25], s[14:15], s[24:25]
	s_cbranch_vccnz .LBB189_9
; %bb.6:                                ;   in Loop: Header=BB189_4 Depth=1
	s_mov_b32 s43, 0
	s_mov_b32 s42, 0
                                        ; implicit-def: $vgpr6_vgpr7
	s_and_saveexec_b32 s44, s0
	s_cbranch_execz .LBB189_10
; %bb.7:                                ;   in Loop: Header=BB189_4 Depth=1
	s_and_not1_b32 vcc_lo, exec_lo, s40
	s_cbranch_vccnz .LBB189_11
; %bb.8:                                ;   in Loop: Header=BB189_4 Depth=1
	s_add_nc_u64 s[46:47], s[24:25], s[22:23]
	s_wait_dscnt 0x0
	global_load_b128 v[8:11], v2, s[46:47]
	s_wait_loadcnt 0x0
	v_mul_f64_e32 v[4:5], s[38:39], v[10:11]
	v_mul_f64_e32 v[6:7], s[36:37], v[10:11]
	s_delay_alu instid0(VALU_DEP_2) | instskip(NEXT) | instid1(VALU_DEP_2)
	v_fma_f64 v[4:5], s[36:37], v[8:9], -v[4:5]
	v_fmac_f64_e32 v[6:7], s[38:39], v[8:9]
	s_branch .LBB189_12
.LBB189_9:                              ;   in Loop: Header=BB189_4 Depth=1
	s_mov_b32 s42, 0
                                        ; implicit-def: $vgpr6_vgpr7
	s_cbranch_execnz .LBB189_13
	s_branch .LBB189_32
.LBB189_10:                             ;   in Loop: Header=BB189_4 Depth=1
	s_or_b32 exec_lo, exec_lo, s44
	s_delay_alu instid0(SALU_CYCLE_1)
	s_and_b32 vcc_lo, exec_lo, s43
	s_cbranch_vccnz .LBB189_13
	s_branch .LBB189_32
.LBB189_11:                             ;   in Loop: Header=BB189_4 Depth=1
	v_mov_b64_e32 v[6:7], 0
	v_mov_b64_e32 v[4:5], 0
.LBB189_12:                             ;   in Loop: Header=BB189_4 Depth=1
	s_mov_b32 s42, exec_lo
	s_wait_xcnt 0x0
	s_or_b32 exec_lo, exec_lo, s44
	s_delay_alu instid0(SALU_CYCLE_1)
	s_and_b32 vcc_lo, exec_lo, s43
	s_cbranch_vccz .LBB189_32
.LBB189_13:                             ;   in Loop: Header=BB189_4 Depth=1
	v_mov_b64_e32 v[6:7], 0
	s_wait_dscnt 0x0
	v_mov_b64_e32 v[8:9], 0
	s_and_saveexec_b32 s43, s1
	s_cbranch_execnz .LBB189_22
; %bb.14:                               ;   in Loop: Header=BB189_4 Depth=1
	s_or_b32 exec_lo, exec_lo, s43
	s_and_saveexec_b32 s43, s2
	s_cbranch_execnz .LBB189_25
.LBB189_15:                             ;   in Loop: Header=BB189_4 Depth=1
	s_or_b32 exec_lo, exec_lo, s43
	s_and_saveexec_b32 s43, s3
.LBB189_16:                             ;   in Loop: Header=BB189_4 Depth=1
	v_dual_mov_b32 v3, v2 :: v_dual_mov_b32 v4, v2
	v_mov_b32_e32 v5, v2
	ds_store_b128 v1, v[2:5]
.LBB189_17:                             ;   in Loop: Header=BB189_4 Depth=1
	s_or_b32 exec_lo, exec_lo, s43
	v_lshl_or_b32 v3, v21, 2, 64
	v_cmp_gt_u32_e32 vcc_lo, 24, v21
	s_wait_dscnt 0x0
	s_barrier_signal -1
	s_barrier_wait -1
	ds_bpermute_b32 v4, v3, v8
	ds_bpermute_b32 v5, v3, v9
	;; [unrolled: 1-line block ×4, first 2 shown]
	s_wait_dscnt 0x0
	v_add_f64_e32 v[4:5], v[8:9], v[4:5]
	v_cndmask_b32_e64 v8, 0, 8, vcc_lo
	v_cmp_gt_u32_e32 vcc_lo, 28, v21
	s_delay_alu instid0(VALU_DEP_2)
	v_add_lshl_u32 v22, v8, v21, 2
	ds_bpermute_b32 v8, v22, v4
	ds_bpermute_b32 v9, v22, v5
	s_wait_dscnt 0x0
	v_add_f64_e32 v[4:5], v[4:5], v[8:9]
	v_cndmask_b32_e64 v8, 0, 4, vcc_lo
	v_cmp_gt_u32_e32 vcc_lo, 30, v21
	s_delay_alu instid0(VALU_DEP_2)
	v_add_lshl_u32 v23, v8, v21, 2
	ds_bpermute_b32 v8, v23, v4
	ds_bpermute_b32 v9, v23, v5
	s_wait_dscnt 0x0
	v_add_f64_e32 v[4:5], v[4:5], v[8:9]
	v_cndmask_b32_e64 v8, 0, 2, vcc_lo
	v_cmp_ne_u32_e32 vcc_lo, 31, v21
	s_delay_alu instid0(VALU_DEP_2)
	v_add_lshl_u32 v24, v8, v21, 2
	ds_bpermute_b32 v8, v24, v4
	ds_bpermute_b32 v9, v24, v5
	s_wait_dscnt 0x0
	v_add_f64_e32 v[4:5], v[4:5], v[8:9]
	v_add_co_ci_u32_e64 v8, null, 0, v21, vcc_lo
	s_delay_alu instid0(VALU_DEP_1)
	v_dual_add_f64 v[6:7], v[6:7], v[10:11] :: v_dual_lshlrev_b32 v25, 2, v8
	ds_bpermute_b32 v8, v25, v4
	ds_bpermute_b32 v9, v25, v5
	;; [unrolled: 1-line block ×4, first 2 shown]
	s_wait_dscnt 0x0
	v_add_f64_e32 v[6:7], v[6:7], v[10:11]
	ds_bpermute_b32 v10, v23, v6
	ds_bpermute_b32 v11, v23, v7
	s_wait_dscnt 0x0
	v_add_f64_e32 v[6:7], v[6:7], v[10:11]
	ds_bpermute_b32 v10, v24, v6
	ds_bpermute_b32 v11, v24, v7
	;; [unrolled: 4-line block ×3, first 2 shown]
	s_and_saveexec_b32 s43, s4
	s_cbranch_execz .LBB189_19
; %bb.18:                               ;   in Loop: Header=BB189_4 Depth=1
	s_wait_dscnt 0x0
	v_add_f64_e32 v[6:7], v[6:7], v[10:11]
	v_add_f64_e32 v[4:5], v[4:5], v[8:9]
	ds_store_b128 v20, v[4:7]
.LBB189_19:                             ;   in Loop: Header=BB189_4 Depth=1
	s_or_b32 exec_lo, exec_lo, s43
	s_wait_dscnt 0x0
	v_mov_b64_e32 v[10:11], 0
	v_mov_b64_e32 v[8:9], 0
	s_barrier_signal -1
	s_barrier_wait -1
	s_and_saveexec_b32 s43, s3
	s_cbranch_execnz .LBB189_26
; %bb.20:                               ;   in Loop: Header=BB189_4 Depth=1
	s_or_b32 exec_lo, exec_lo, s43
	s_and_saveexec_b32 s43, s3
	s_cbranch_execnz .LBB189_27
.LBB189_21:                             ;   in Loop: Header=BB189_4 Depth=1
	s_or_b32 exec_lo, exec_lo, s43
                                        ; implicit-def: $vgpr6_vgpr7
	s_and_saveexec_b32 s43, s0
	s_cbranch_execnz .LBB189_28
	s_branch .LBB189_31
.LBB189_22:                             ;   in Loop: Header=BB189_4 Depth=1
	v_mad_nc_u64_u32 v[4:5], s8, s34, v[16:17]
	v_mad_nc_u64_u32 v[10:11], s20, s34, v[18:19]
	v_mov_b64_e32 v[6:7], 0
	v_mov_b64_e32 v[8:9], 0
	v_mov_b32_e32 v3, v0
	s_mov_b32 s44, 0
	v_mad_u32 v5, s9, s34, v5
	v_mad_u32 v11, s21, s34, v11
.LBB189_23:                             ;   Parent Loop BB189_4 Depth=1
                                        ; =>  This Inner Loop Header: Depth=2
	global_load_b128 v[22:25], v[10:11], off offset:-8
	global_load_b128 v[26:29], v[4:5], off offset:-8
	v_add_nc_u32_e32 v3, 0x400, v3
	s_wait_xcnt 0x0
	v_add_nc_u64_e32 v[4:5], s[16:17], v[4:5]
	v_add_nc_u64_e32 v[10:11], 0x4000, v[10:11]
	s_delay_alu instid0(VALU_DEP_3) | instskip(SKIP_4) | instid1(VALU_DEP_2)
	v_cmp_le_i32_e32 vcc_lo, s6, v3
	s_or_b32 s44, vcc_lo, s44
	s_wait_loadcnt 0x0
	v_mul_f64_e32 v[30:31], v[24:25], v[28:29]
	v_mul_f64_e32 v[24:25], v[24:25], v[26:27]
	v_fmac_f64_e32 v[30:31], v[22:23], v[26:27]
	s_delay_alu instid0(VALU_DEP_2) | instskip(NEXT) | instid1(VALU_DEP_2)
	v_fma_f64 v[22:23], v[22:23], v[28:29], -v[24:25]
	v_add_f64_e32 v[8:9], v[8:9], v[30:31]
	s_delay_alu instid0(VALU_DEP_2)
	v_add_f64_e32 v[6:7], v[6:7], v[22:23]
	s_and_not1_b32 exec_lo, exec_lo, s44
	s_cbranch_execnz .LBB189_23
; %bb.24:                               ;   in Loop: Header=BB189_4 Depth=1
	s_or_b32 exec_lo, exec_lo, s44
	s_delay_alu instid0(SALU_CYCLE_1)
	s_or_b32 exec_lo, exec_lo, s43
	s_and_saveexec_b32 s43, s2
	s_cbranch_execz .LBB189_15
.LBB189_25:                             ;   in Loop: Header=BB189_4 Depth=1
	s_mul_u64 s[44:45], s[10:11], s[34:35]
	s_mul_u64 s[46:47], s[18:19], s[34:35]
	v_lshl_add_u64 v[4:5], s[44:45], 4, v[14:15]
	s_lshl_b64 s[44:45], s[46:47], 4
	s_delay_alu instid0(SALU_CYCLE_1) | instskip(NEXT) | instid1(SALU_CYCLE_1)
	s_add_nc_u64 s[44:45], s[12:13], s[44:45]
	v_lshl_add_u64 v[10:11], v[12:13], 4, s[44:45]
	s_delay_alu instid0(VALU_DEP_2)
	v_lshl_add_u64 v[4:5], s[6:7], 4, v[4:5]
	global_load_b128 v[22:25], v[10:11], off
	global_load_b128 v[26:29], v[4:5], off
	s_wait_loadcnt 0x0
	s_wait_xcnt 0x0
	v_mul_f64_e32 v[4:5], v[28:29], v[24:25]
	v_mul_f64_e32 v[10:11], v[28:29], v[22:23]
	s_delay_alu instid0(VALU_DEP_2) | instskip(NEXT) | instid1(VALU_DEP_2)
	v_fmac_f64_e32 v[4:5], v[26:27], v[22:23]
	v_fma_f64 v[10:11], v[26:27], v[24:25], -v[10:11]
	s_delay_alu instid0(VALU_DEP_2) | instskip(NEXT) | instid1(VALU_DEP_2)
	v_add_f64_e32 v[8:9], v[8:9], v[4:5]
	v_add_f64_e32 v[6:7], v[6:7], v[10:11]
	s_or_b32 exec_lo, exec_lo, s43
	s_and_saveexec_b32 s43, s3
	s_cbranch_execnz .LBB189_16
	s_branch .LBB189_17
.LBB189_26:                             ;   in Loop: Header=BB189_4 Depth=1
	ds_load_b128 v[8:11], v1
	s_or_b32 exec_lo, exec_lo, s43
	s_and_saveexec_b32 s43, s3
	s_cbranch_execz .LBB189_21
.LBB189_27:                             ;   in Loop: Header=BB189_4 Depth=1
	s_wait_dscnt 0x0
	ds_bpermute_b32 v4, v3, v8
	ds_bpermute_b32 v5, v3, v9
	ds_bpermute_b32 v6, v3, v10
	ds_bpermute_b32 v7, v3, v11
	s_wait_dscnt 0x2
	v_add_f64_e32 v[4:5], v[8:9], v[4:5]
	s_wait_dscnt 0x0
	v_add_f64_e32 v[6:7], v[10:11], v[6:7]
	ds_bpermute_b32 v8, v22, v4
	ds_bpermute_b32 v9, v22, v5
	ds_bpermute_b32 v10, v22, v6
	ds_bpermute_b32 v11, v22, v7
	s_wait_dscnt 0x2
	v_add_f64_e32 v[4:5], v[4:5], v[8:9]
	s_wait_dscnt 0x0
	v_add_f64_e32 v[6:7], v[6:7], v[10:11]
	;; [unrolled: 8-line block ×5, first 2 shown]
	s_or_b32 exec_lo, exec_lo, s43
                                        ; implicit-def: $vgpr6_vgpr7
	s_and_saveexec_b32 s43, s0
	s_cbranch_execz .LBB189_31
.LBB189_28:                             ;   in Loop: Header=BB189_4 Depth=1
	s_wait_dscnt 0x0
	s_delay_alu instid0(VALU_DEP_1) | instskip(SKIP_2) | instid1(VALU_DEP_2)
	v_mul_f64_e32 v[4:5], s[30:31], v[10:11]
	v_mul_f64_e32 v[6:7], s[28:29], v[10:11]
	s_and_not1_b32 vcc_lo, exec_lo, s40
	v_fma_f64 v[4:5], s[28:29], v[8:9], -v[4:5]
	s_delay_alu instid0(VALU_DEP_2)
	v_fmac_f64_e32 v[6:7], s[30:31], v[8:9]
	s_cbranch_vccnz .LBB189_30
; %bb.29:                               ;   in Loop: Header=BB189_4 Depth=1
	s_add_nc_u64 s[44:45], s[24:25], s[22:23]
	global_load_b128 v[8:11], v2, s[44:45]
	s_wait_loadcnt 0x0
	v_mul_f64_e32 v[22:23], s[38:39], v[10:11]
	v_mul_f64_e32 v[10:11], s[36:37], v[10:11]
	s_delay_alu instid0(VALU_DEP_2) | instskip(NEXT) | instid1(VALU_DEP_2)
	v_fma_f64 v[22:23], s[36:37], v[8:9], -v[22:23]
	v_fmac_f64_e32 v[10:11], s[38:39], v[8:9]
	s_delay_alu instid0(VALU_DEP_2) | instskip(NEXT) | instid1(VALU_DEP_2)
	v_add_f64_e32 v[4:5], v[4:5], v[22:23]
	v_add_f64_e32 v[6:7], v[6:7], v[10:11]
.LBB189_30:                             ;   in Loop: Header=BB189_4 Depth=1
	s_or_b32 s42, s42, exec_lo
.LBB189_31:                             ;   in Loop: Header=BB189_4 Depth=1
	s_wait_xcnt 0x0
	s_or_b32 exec_lo, exec_lo, s43
.LBB189_32:                             ;   in Loop: Header=BB189_4 Depth=1
	s_and_saveexec_b32 s43, s42
	s_cbranch_execz .LBB189_2
; %bb.33:                               ;   in Loop: Header=BB189_4 Depth=1
	s_add_nc_u64 s[24:25], s[24:25], s[22:23]
	global_store_b128 v2, v[4:7], s[24:25]
	s_branch .LBB189_2
.LBB189_34:
	s_endpgm
	.section	.rodata,"a",@progbits
	.p2align	6, 0x0
	.amdhsa_kernel _ZL32rocblas_gemvt_warp_reduce_kernelILb1ELi1024El19rocblas_complex_numIdES1_S1_EviiT3_lPKT2_lT1_lS5_lS6_lS2_lPT4_lS6_li
		.amdhsa_group_segment_fixed_size 512
		.amdhsa_private_segment_fixed_size 0
		.amdhsa_kernarg_size 156
		.amdhsa_user_sgpr_count 2
		.amdhsa_user_sgpr_dispatch_ptr 0
		.amdhsa_user_sgpr_queue_ptr 0
		.amdhsa_user_sgpr_kernarg_segment_ptr 1
		.amdhsa_user_sgpr_dispatch_id 0
		.amdhsa_user_sgpr_kernarg_preload_length 0
		.amdhsa_user_sgpr_kernarg_preload_offset 0
		.amdhsa_user_sgpr_private_segment_size 0
		.amdhsa_wavefront_size32 1
		.amdhsa_uses_dynamic_stack 0
		.amdhsa_enable_private_segment 0
		.amdhsa_system_sgpr_workgroup_id_x 1
		.amdhsa_system_sgpr_workgroup_id_y 0
		.amdhsa_system_sgpr_workgroup_id_z 1
		.amdhsa_system_sgpr_workgroup_info 0
		.amdhsa_system_vgpr_workitem_id 0
		.amdhsa_next_free_vgpr 32
		.amdhsa_next_free_sgpr 48
		.amdhsa_named_barrier_count 0
		.amdhsa_reserve_vcc 1
		.amdhsa_float_round_mode_32 0
		.amdhsa_float_round_mode_16_64 0
		.amdhsa_float_denorm_mode_32 3
		.amdhsa_float_denorm_mode_16_64 3
		.amdhsa_fp16_overflow 0
		.amdhsa_memory_ordered 1
		.amdhsa_forward_progress 1
		.amdhsa_inst_pref_size 15
		.amdhsa_round_robin_scheduling 0
		.amdhsa_exception_fp_ieee_invalid_op 0
		.amdhsa_exception_fp_denorm_src 0
		.amdhsa_exception_fp_ieee_div_zero 0
		.amdhsa_exception_fp_ieee_overflow 0
		.amdhsa_exception_fp_ieee_underflow 0
		.amdhsa_exception_fp_ieee_inexact 0
		.amdhsa_exception_int_div_zero 0
	.end_amdhsa_kernel
	.section	.text._ZL32rocblas_gemvt_warp_reduce_kernelILb1ELi1024El19rocblas_complex_numIdES1_S1_EviiT3_lPKT2_lT1_lS5_lS6_lS2_lPT4_lS6_li,"axG",@progbits,_ZL32rocblas_gemvt_warp_reduce_kernelILb1ELi1024El19rocblas_complex_numIdES1_S1_EviiT3_lPKT2_lT1_lS5_lS6_lS2_lPT4_lS6_li,comdat
.Lfunc_end189:
	.size	_ZL32rocblas_gemvt_warp_reduce_kernelILb1ELi1024El19rocblas_complex_numIdES1_S1_EviiT3_lPKT2_lT1_lS5_lS6_lS2_lPT4_lS6_li, .Lfunc_end189-_ZL32rocblas_gemvt_warp_reduce_kernelILb1ELi1024El19rocblas_complex_numIdES1_S1_EviiT3_lPKT2_lT1_lS5_lS6_lS2_lPT4_lS6_li
                                        ; -- End function
	.set _ZL32rocblas_gemvt_warp_reduce_kernelILb1ELi1024El19rocblas_complex_numIdES1_S1_EviiT3_lPKT2_lT1_lS5_lS6_lS2_lPT4_lS6_li.num_vgpr, 32
	.set _ZL32rocblas_gemvt_warp_reduce_kernelILb1ELi1024El19rocblas_complex_numIdES1_S1_EviiT3_lPKT2_lT1_lS5_lS6_lS2_lPT4_lS6_li.num_agpr, 0
	.set _ZL32rocblas_gemvt_warp_reduce_kernelILb1ELi1024El19rocblas_complex_numIdES1_S1_EviiT3_lPKT2_lT1_lS5_lS6_lS2_lPT4_lS6_li.numbered_sgpr, 48
	.set _ZL32rocblas_gemvt_warp_reduce_kernelILb1ELi1024El19rocblas_complex_numIdES1_S1_EviiT3_lPKT2_lT1_lS5_lS6_lS2_lPT4_lS6_li.num_named_barrier, 0
	.set _ZL32rocblas_gemvt_warp_reduce_kernelILb1ELi1024El19rocblas_complex_numIdES1_S1_EviiT3_lPKT2_lT1_lS5_lS6_lS2_lPT4_lS6_li.private_seg_size, 0
	.set _ZL32rocblas_gemvt_warp_reduce_kernelILb1ELi1024El19rocblas_complex_numIdES1_S1_EviiT3_lPKT2_lT1_lS5_lS6_lS2_lPT4_lS6_li.uses_vcc, 1
	.set _ZL32rocblas_gemvt_warp_reduce_kernelILb1ELi1024El19rocblas_complex_numIdES1_S1_EviiT3_lPKT2_lT1_lS5_lS6_lS2_lPT4_lS6_li.uses_flat_scratch, 0
	.set _ZL32rocblas_gemvt_warp_reduce_kernelILb1ELi1024El19rocblas_complex_numIdES1_S1_EviiT3_lPKT2_lT1_lS5_lS6_lS2_lPT4_lS6_li.has_dyn_sized_stack, 0
	.set _ZL32rocblas_gemvt_warp_reduce_kernelILb1ELi1024El19rocblas_complex_numIdES1_S1_EviiT3_lPKT2_lT1_lS5_lS6_lS2_lPT4_lS6_li.has_recursion, 0
	.set _ZL32rocblas_gemvt_warp_reduce_kernelILb1ELi1024El19rocblas_complex_numIdES1_S1_EviiT3_lPKT2_lT1_lS5_lS6_lS2_lPT4_lS6_li.has_indirect_call, 0
	.section	.AMDGPU.csdata,"",@progbits
; Kernel info:
; codeLenInByte = 1876
; TotalNumSgprs: 50
; NumVgprs: 32
; ScratchSize: 0
; MemoryBound: 0
; FloatMode: 240
; IeeeMode: 1
; LDSByteSize: 512 bytes/workgroup (compile time only)
; SGPRBlocks: 0
; VGPRBlocks: 1
; NumSGPRsForWavesPerEU: 50
; NumVGPRsForWavesPerEU: 32
; NamedBarCnt: 0
; Occupancy: 16
; WaveLimiterHint : 1
; COMPUTE_PGM_RSRC2:SCRATCH_EN: 0
; COMPUTE_PGM_RSRC2:USER_SGPR: 2
; COMPUTE_PGM_RSRC2:TRAP_HANDLER: 0
; COMPUTE_PGM_RSRC2:TGID_X_EN: 1
; COMPUTE_PGM_RSRC2:TGID_Y_EN: 0
; COMPUTE_PGM_RSRC2:TGID_Z_EN: 1
; COMPUTE_PGM_RSRC2:TIDIG_COMP_CNT: 0
	.section	.text._ZL34rocblas_gemvn_sm_mn_batched_kernelILi32ELi24EPKfS1_KPfEviiT2_lPKT1_lilS7_lilS4_lPT3_lili,"axG",@progbits,_ZL34rocblas_gemvn_sm_mn_batched_kernelILi32ELi24EPKfS1_KPfEviiT2_lPKT1_lilS7_lilS4_lPT3_lili,comdat
	.globl	_ZL34rocblas_gemvn_sm_mn_batched_kernelILi32ELi24EPKfS1_KPfEviiT2_lPKT1_lilS7_lilS4_lPT3_lili ; -- Begin function _ZL34rocblas_gemvn_sm_mn_batched_kernelILi32ELi24EPKfS1_KPfEviiT2_lPKT1_lilS7_lilS4_lPT3_lili
	.p2align	8
	.type	_ZL34rocblas_gemvn_sm_mn_batched_kernelILi32ELi24EPKfS1_KPfEviiT2_lPKT1_lilS7_lilS4_lPT3_lili,@function
_ZL34rocblas_gemvn_sm_mn_batched_kernelILi32ELi24EPKfS1_KPfEviiT2_lPKT1_lilS7_lilS4_lPT3_lili: ; @_ZL34rocblas_gemvn_sm_mn_batched_kernelILi32ELi24EPKfS1_KPfEviiT2_lPKT1_lilS7_lilS4_lPT3_lili
; %bb.0:
	s_endpgm
	.section	.rodata,"a",@progbits
	.p2align	6, 0x0
	.amdhsa_kernel _ZL34rocblas_gemvn_sm_mn_batched_kernelILi32ELi24EPKfS1_KPfEviiT2_lPKT1_lilS7_lilS4_lPT3_lili
		.amdhsa_group_segment_fixed_size 0
		.amdhsa_private_segment_fixed_size 0
		.amdhsa_kernarg_size 140
		.amdhsa_user_sgpr_count 2
		.amdhsa_user_sgpr_dispatch_ptr 0
		.amdhsa_user_sgpr_queue_ptr 0
		.amdhsa_user_sgpr_kernarg_segment_ptr 1
		.amdhsa_user_sgpr_dispatch_id 0
		.amdhsa_user_sgpr_kernarg_preload_length 0
		.amdhsa_user_sgpr_kernarg_preload_offset 0
		.amdhsa_user_sgpr_private_segment_size 0
		.amdhsa_wavefront_size32 1
		.amdhsa_uses_dynamic_stack 0
		.amdhsa_enable_private_segment 0
		.amdhsa_system_sgpr_workgroup_id_x 1
		.amdhsa_system_sgpr_workgroup_id_y 0
		.amdhsa_system_sgpr_workgroup_id_z 0
		.amdhsa_system_sgpr_workgroup_info 0
		.amdhsa_system_vgpr_workitem_id 0
		.amdhsa_next_free_vgpr 1
		.amdhsa_next_free_sgpr 1
		.amdhsa_named_barrier_count 0
		.amdhsa_reserve_vcc 0
		.amdhsa_float_round_mode_32 0
		.amdhsa_float_round_mode_16_64 0
		.amdhsa_float_denorm_mode_32 3
		.amdhsa_float_denorm_mode_16_64 3
		.amdhsa_fp16_overflow 0
		.amdhsa_memory_ordered 1
		.amdhsa_forward_progress 1
		.amdhsa_inst_pref_size 1
		.amdhsa_round_robin_scheduling 0
		.amdhsa_exception_fp_ieee_invalid_op 0
		.amdhsa_exception_fp_denorm_src 0
		.amdhsa_exception_fp_ieee_div_zero 0
		.amdhsa_exception_fp_ieee_overflow 0
		.amdhsa_exception_fp_ieee_underflow 0
		.amdhsa_exception_fp_ieee_inexact 0
		.amdhsa_exception_int_div_zero 0
	.end_amdhsa_kernel
	.section	.text._ZL34rocblas_gemvn_sm_mn_batched_kernelILi32ELi24EPKfS1_KPfEviiT2_lPKT1_lilS7_lilS4_lPT3_lili,"axG",@progbits,_ZL34rocblas_gemvn_sm_mn_batched_kernelILi32ELi24EPKfS1_KPfEviiT2_lPKT1_lilS7_lilS4_lPT3_lili,comdat
.Lfunc_end190:
	.size	_ZL34rocblas_gemvn_sm_mn_batched_kernelILi32ELi24EPKfS1_KPfEviiT2_lPKT1_lilS7_lilS4_lPT3_lili, .Lfunc_end190-_ZL34rocblas_gemvn_sm_mn_batched_kernelILi32ELi24EPKfS1_KPfEviiT2_lPKT1_lilS7_lilS4_lPT3_lili
                                        ; -- End function
	.set _ZL34rocblas_gemvn_sm_mn_batched_kernelILi32ELi24EPKfS1_KPfEviiT2_lPKT1_lilS7_lilS4_lPT3_lili.num_vgpr, 0
	.set _ZL34rocblas_gemvn_sm_mn_batched_kernelILi32ELi24EPKfS1_KPfEviiT2_lPKT1_lilS7_lilS4_lPT3_lili.num_agpr, 0
	.set _ZL34rocblas_gemvn_sm_mn_batched_kernelILi32ELi24EPKfS1_KPfEviiT2_lPKT1_lilS7_lilS4_lPT3_lili.numbered_sgpr, 0
	.set _ZL34rocblas_gemvn_sm_mn_batched_kernelILi32ELi24EPKfS1_KPfEviiT2_lPKT1_lilS7_lilS4_lPT3_lili.num_named_barrier, 0
	.set _ZL34rocblas_gemvn_sm_mn_batched_kernelILi32ELi24EPKfS1_KPfEviiT2_lPKT1_lilS7_lilS4_lPT3_lili.private_seg_size, 0
	.set _ZL34rocblas_gemvn_sm_mn_batched_kernelILi32ELi24EPKfS1_KPfEviiT2_lPKT1_lilS7_lilS4_lPT3_lili.uses_vcc, 0
	.set _ZL34rocblas_gemvn_sm_mn_batched_kernelILi32ELi24EPKfS1_KPfEviiT2_lPKT1_lilS7_lilS4_lPT3_lili.uses_flat_scratch, 0
	.set _ZL34rocblas_gemvn_sm_mn_batched_kernelILi32ELi24EPKfS1_KPfEviiT2_lPKT1_lilS7_lilS4_lPT3_lili.has_dyn_sized_stack, 0
	.set _ZL34rocblas_gemvn_sm_mn_batched_kernelILi32ELi24EPKfS1_KPfEviiT2_lPKT1_lilS7_lilS4_lPT3_lili.has_recursion, 0
	.set _ZL34rocblas_gemvn_sm_mn_batched_kernelILi32ELi24EPKfS1_KPfEviiT2_lPKT1_lilS7_lilS4_lPT3_lili.has_indirect_call, 0
	.section	.AMDGPU.csdata,"",@progbits
; Kernel info:
; codeLenInByte = 4
; TotalNumSgprs: 0
; NumVgprs: 0
; ScratchSize: 0
; MemoryBound: 0
; FloatMode: 240
; IeeeMode: 1
; LDSByteSize: 0 bytes/workgroup (compile time only)
; SGPRBlocks: 0
; VGPRBlocks: 0
; NumSGPRsForWavesPerEU: 1
; NumVGPRsForWavesPerEU: 1
; NamedBarCnt: 0
; Occupancy: 16
; WaveLimiterHint : 0
; COMPUTE_PGM_RSRC2:SCRATCH_EN: 0
; COMPUTE_PGM_RSRC2:USER_SGPR: 2
; COMPUTE_PGM_RSRC2:TRAP_HANDLER: 0
; COMPUTE_PGM_RSRC2:TGID_X_EN: 1
; COMPUTE_PGM_RSRC2:TGID_Y_EN: 0
; COMPUTE_PGM_RSRC2:TGID_Z_EN: 0
; COMPUTE_PGM_RSRC2:TIDIG_COMP_CNT: 0
	.section	.text._ZL34rocblas_gemvn_sm_mn_batched_kernelILi32ELi24EPKffKPfEviiT2_lPKT1_lilS7_lilS4_lPT3_lili,"axG",@progbits,_ZL34rocblas_gemvn_sm_mn_batched_kernelILi32ELi24EPKffKPfEviiT2_lPKT1_lilS7_lilS4_lPT3_lili,comdat
	.globl	_ZL34rocblas_gemvn_sm_mn_batched_kernelILi32ELi24EPKffKPfEviiT2_lPKT1_lilS7_lilS4_lPT3_lili ; -- Begin function _ZL34rocblas_gemvn_sm_mn_batched_kernelILi32ELi24EPKffKPfEviiT2_lPKT1_lilS7_lilS4_lPT3_lili
	.p2align	8
	.type	_ZL34rocblas_gemvn_sm_mn_batched_kernelILi32ELi24EPKffKPfEviiT2_lPKT1_lilS7_lilS4_lPT3_lili,@function
_ZL34rocblas_gemvn_sm_mn_batched_kernelILi32ELi24EPKffKPfEviiT2_lPKT1_lilS7_lilS4_lPT3_lili: ; @_ZL34rocblas_gemvn_sm_mn_batched_kernelILi32ELi24EPKffKPfEviiT2_lPKT1_lilS7_lilS4_lPT3_lili
; %bb.0:
	s_endpgm
	.section	.rodata,"a",@progbits
	.p2align	6, 0x0
	.amdhsa_kernel _ZL34rocblas_gemvn_sm_mn_batched_kernelILi32ELi24EPKffKPfEviiT2_lPKT1_lilS7_lilS4_lPT3_lili
		.amdhsa_group_segment_fixed_size 0
		.amdhsa_private_segment_fixed_size 0
		.amdhsa_kernarg_size 140
		.amdhsa_user_sgpr_count 2
		.amdhsa_user_sgpr_dispatch_ptr 0
		.amdhsa_user_sgpr_queue_ptr 0
		.amdhsa_user_sgpr_kernarg_segment_ptr 1
		.amdhsa_user_sgpr_dispatch_id 0
		.amdhsa_user_sgpr_kernarg_preload_length 0
		.amdhsa_user_sgpr_kernarg_preload_offset 0
		.amdhsa_user_sgpr_private_segment_size 0
		.amdhsa_wavefront_size32 1
		.amdhsa_uses_dynamic_stack 0
		.amdhsa_enable_private_segment 0
		.amdhsa_system_sgpr_workgroup_id_x 1
		.amdhsa_system_sgpr_workgroup_id_y 0
		.amdhsa_system_sgpr_workgroup_id_z 0
		.amdhsa_system_sgpr_workgroup_info 0
		.amdhsa_system_vgpr_workitem_id 0
		.amdhsa_next_free_vgpr 1
		.amdhsa_next_free_sgpr 1
		.amdhsa_named_barrier_count 0
		.amdhsa_reserve_vcc 0
		.amdhsa_float_round_mode_32 0
		.amdhsa_float_round_mode_16_64 0
		.amdhsa_float_denorm_mode_32 3
		.amdhsa_float_denorm_mode_16_64 3
		.amdhsa_fp16_overflow 0
		.amdhsa_memory_ordered 1
		.amdhsa_forward_progress 1
		.amdhsa_inst_pref_size 1
		.amdhsa_round_robin_scheduling 0
		.amdhsa_exception_fp_ieee_invalid_op 0
		.amdhsa_exception_fp_denorm_src 0
		.amdhsa_exception_fp_ieee_div_zero 0
		.amdhsa_exception_fp_ieee_overflow 0
		.amdhsa_exception_fp_ieee_underflow 0
		.amdhsa_exception_fp_ieee_inexact 0
		.amdhsa_exception_int_div_zero 0
	.end_amdhsa_kernel
	.section	.text._ZL34rocblas_gemvn_sm_mn_batched_kernelILi32ELi24EPKffKPfEviiT2_lPKT1_lilS7_lilS4_lPT3_lili,"axG",@progbits,_ZL34rocblas_gemvn_sm_mn_batched_kernelILi32ELi24EPKffKPfEviiT2_lPKT1_lilS7_lilS4_lPT3_lili,comdat
.Lfunc_end191:
	.size	_ZL34rocblas_gemvn_sm_mn_batched_kernelILi32ELi24EPKffKPfEviiT2_lPKT1_lilS7_lilS4_lPT3_lili, .Lfunc_end191-_ZL34rocblas_gemvn_sm_mn_batched_kernelILi32ELi24EPKffKPfEviiT2_lPKT1_lilS7_lilS4_lPT3_lili
                                        ; -- End function
	.set _ZL34rocblas_gemvn_sm_mn_batched_kernelILi32ELi24EPKffKPfEviiT2_lPKT1_lilS7_lilS4_lPT3_lili.num_vgpr, 0
	.set _ZL34rocblas_gemvn_sm_mn_batched_kernelILi32ELi24EPKffKPfEviiT2_lPKT1_lilS7_lilS4_lPT3_lili.num_agpr, 0
	.set _ZL34rocblas_gemvn_sm_mn_batched_kernelILi32ELi24EPKffKPfEviiT2_lPKT1_lilS7_lilS4_lPT3_lili.numbered_sgpr, 0
	.set _ZL34rocblas_gemvn_sm_mn_batched_kernelILi32ELi24EPKffKPfEviiT2_lPKT1_lilS7_lilS4_lPT3_lili.num_named_barrier, 0
	.set _ZL34rocblas_gemvn_sm_mn_batched_kernelILi32ELi24EPKffKPfEviiT2_lPKT1_lilS7_lilS4_lPT3_lili.private_seg_size, 0
	.set _ZL34rocblas_gemvn_sm_mn_batched_kernelILi32ELi24EPKffKPfEviiT2_lPKT1_lilS7_lilS4_lPT3_lili.uses_vcc, 0
	.set _ZL34rocblas_gemvn_sm_mn_batched_kernelILi32ELi24EPKffKPfEviiT2_lPKT1_lilS7_lilS4_lPT3_lili.uses_flat_scratch, 0
	.set _ZL34rocblas_gemvn_sm_mn_batched_kernelILi32ELi24EPKffKPfEviiT2_lPKT1_lilS7_lilS4_lPT3_lili.has_dyn_sized_stack, 0
	.set _ZL34rocblas_gemvn_sm_mn_batched_kernelILi32ELi24EPKffKPfEviiT2_lPKT1_lilS7_lilS4_lPT3_lili.has_recursion, 0
	.set _ZL34rocblas_gemvn_sm_mn_batched_kernelILi32ELi24EPKffKPfEviiT2_lPKT1_lilS7_lilS4_lPT3_lili.has_indirect_call, 0
	.section	.AMDGPU.csdata,"",@progbits
; Kernel info:
; codeLenInByte = 4
; TotalNumSgprs: 0
; NumVgprs: 0
; ScratchSize: 0
; MemoryBound: 0
; FloatMode: 240
; IeeeMode: 1
; LDSByteSize: 0 bytes/workgroup (compile time only)
; SGPRBlocks: 0
; VGPRBlocks: 0
; NumSGPRsForWavesPerEU: 1
; NumVGPRsForWavesPerEU: 1
; NamedBarCnt: 0
; Occupancy: 16
; WaveLimiterHint : 0
; COMPUTE_PGM_RSRC2:SCRATCH_EN: 0
; COMPUTE_PGM_RSRC2:USER_SGPR: 2
; COMPUTE_PGM_RSRC2:TRAP_HANDLER: 0
; COMPUTE_PGM_RSRC2:TGID_X_EN: 1
; COMPUTE_PGM_RSRC2:TGID_Y_EN: 0
; COMPUTE_PGM_RSRC2:TGID_Z_EN: 0
; COMPUTE_PGM_RSRC2:TIDIG_COMP_CNT: 0
	.section	.text._ZL20rocblas_gemvn_kernelILi64ELi4EiPKfS1_KPfEviiT3_lPKT2_lT1_lS7_lS8_lS4_lPT4_lS8_li,"axG",@progbits,_ZL20rocblas_gemvn_kernelILi64ELi4EiPKfS1_KPfEviiT3_lPKT2_lT1_lS7_lS8_lS4_lPT4_lS8_li,comdat
	.globl	_ZL20rocblas_gemvn_kernelILi64ELi4EiPKfS1_KPfEviiT3_lPKT2_lT1_lS7_lS8_lS4_lPT4_lS8_li ; -- Begin function _ZL20rocblas_gemvn_kernelILi64ELi4EiPKfS1_KPfEviiT3_lPKT2_lT1_lS7_lS8_lS4_lPT4_lS8_li
	.p2align	8
	.type	_ZL20rocblas_gemvn_kernelILi64ELi4EiPKfS1_KPfEviiT3_lPKT2_lT1_lS7_lS8_lS4_lPT4_lS8_li,@function
_ZL20rocblas_gemvn_kernelILi64ELi4EiPKfS1_KPfEviiT3_lPKT2_lT1_lS7_lS8_lS4_lPT4_lS8_li: ; @_ZL20rocblas_gemvn_kernelILi64ELi4EiPKfS1_KPfEviiT3_lPKT2_lT1_lS7_lS8_lS4_lPT4_lS8_li
; %bb.0:
	s_clause 0x1
	s_load_b64 s[4:5], s[0:1], 0x9c
	s_load_b32 s33, s[0:1], 0x88
	s_bfe_u32 s2, ttmp6, 0x40014
	s_lshr_b32 s3, ttmp7, 16
	s_add_co_i32 s2, s2, 1
	s_bfe_u32 s6, ttmp6, 0x40008
	s_mul_i32 s7, s3, s2
	s_getreg_b32 s2, hwreg(HW_REG_IB_STS2, 6, 4)
	s_add_co_i32 s6, s6, s7
	s_mov_b32 s11, 0
	s_wait_kmcnt 0x0
	s_lshr_b32 s7, s4, 16
	s_and_b32 s4, s4, 0xffff
	s_and_b32 s5, s5, 0xffff
	s_mul_i32 s4, s7, s4
	s_cmp_eq_u32 s2, 0
	s_mul_i32 s4, s4, s5
	s_cselect_b32 s10, s3, s6
	s_cmp_lg_u32 s4, 0x100
	s_cselect_b32 s3, -1, 0
	s_cmp_ge_u32 s10, s33
	s_cselect_b32 s4, -1, 0
	s_delay_alu instid0(SALU_CYCLE_1) | instskip(NEXT) | instid1(SALU_CYCLE_1)
	s_or_b32 s3, s3, s4
	s_and_b32 vcc_lo, exec_lo, s3
	s_cbranch_vccnz .LBB192_56
; %bb.1:
	s_clause 0x6
	s_load_b32 s4, s[0:1], 0x78
	s_load_b64 s[8:9], s[0:1], 0x0
	s_load_b256 s[12:19], s[0:1], 0x8
	s_load_b32 s34, s[0:1], 0x28
	s_load_b128 s[28:31], s[0:1], 0x38
	s_load_b32 s35, s[0:1], 0x48
	s_load_b256 s[20:27], s[0:1], 0x58
	s_wait_xcnt 0x0
	s_bfe_u32 s0, ttmp6, 0x4000c
	v_and_b32_e32 v6, 0x3ff, v0
	s_add_co_i32 s0, s0, 1
	v_bfe_u32 v7, v0, 10, 10
	s_and_b32 s1, ttmp6, 15
	s_mul_i32 s0, ttmp9, s0
	v_mov_b32_e32 v1, 0
	s_add_co_i32 s1, s1, s0
	v_lshl_add_u32 v5, v7, 6, v6
	v_lshlrev_b32_e32 v36, 2, v7
	s_wait_kmcnt 0x0
	s_ashr_i32 s5, s4, 31
	s_cmp_eq_u32 s2, 0
	s_mov_b32 s2, s8
	s_cselect_b32 s0, ttmp9, s1
	s_ashr_i32 s3, s8, 31
	s_lshl_b32 s36, s0, 8
	s_ashr_i32 s1, s9, 31
	v_dual_add_nc_u32 v0, s36, v5 :: v_dual_bitop2_b32 v37, s36, v6 bitop3:0x54
	v_or_b32_e32 v8, s36, v5
	s_lshr_b32 s0, s1, 28
	v_mul_lo_u32 v11, v7, s34
	s_delay_alu instid0(VALU_DEP_3)
	v_mul_u64_e32 v[2:3], s[4:5], v[0:1]
	v_add_nc_u32_e32 v9, 0x80, v37
	v_add_nc_u32_e32 v4, 64, v37
	v_cmp_gt_i64_e32 vcc_lo, s[2:3], v[0:1]
	v_add_nc_u32_e32 v0, 0xc0, v37
	s_add_co_i32 s0, s9, s0
	v_cmp_gt_i32_e64 s3, s8, v9
	v_lshlrev_b32_e32 v9, 2, v6
	v_cmp_gt_i32_e64 s2, s8, v4
	v_mul_lo_u32 v4, s4, v8
	v_cmp_gt_i32_e64 s4, s8, v0
	s_and_b32 s37, s0, -16
	v_lshl_add_u32 v0, v7, 10, v9
	v_lshl_add_u32 v38, v7, 8, v9
	v_mul_lo_u32 v7, v7, s35
	s_sub_co_i32 s6, s9, s37
	v_or_b32_e32 v9, 2, v36
	s_cmp_gt_i32 s6, 0
	v_cmp_gt_i32_e64 s6, s8, v8
	v_mul_lo_u32 v8, s34, v36
	v_or_b32_e32 v10, 3, v36
	v_mad_u32 v39, s34, v9, v6
	v_mul_lo_u32 v41, s35, v9
	v_mad_u32 v42, s35, v36, s35
	v_cmp_gt_u32_e64 s5, 0x100, v5
	v_lshlrev_b32_e32 v46, 2, v7
	v_mad_u32 v40, s34, v10, v6
	v_mul_lo_u32 v43, s35, v10
	v_cmp_gt_i32_e64 s0, s37, v36
	v_cmp_gt_i32_e64 s1, s8, v37
	v_ashrrev_i32_e32 v5, 31, v4
	v_add3_u32 v44, v8, s34, v6
	v_lshl_add_u32 v45, v11, 2, v6
	s_cselect_b32 s38, -1, 0
	s_and_b32 s39, s5, vcc_lo
	s_lshl_b32 s40, s34, 4
	s_lshl_b32 s41, s35, 4
	s_lshl_b64 s[18:19], s[18:19], 2
	s_lshl_b64 s[30:31], s[30:31], 2
	;; [unrolled: 1-line block ×3, first 2 shown]
	s_branch .LBB192_4
.LBB192_2:                              ;   in Loop: Header=BB192_4 Depth=1
	s_wait_xcnt 0x0
	s_or_b32 exec_lo, exec_lo, s7
.LBB192_3:                              ;   in Loop: Header=BB192_4 Depth=1
	s_add_co_i32 s10, s10, 0x10000
	s_delay_alu instid0(SALU_CYCLE_1)
	s_cmp_lt_u32 s10, s33
	s_cbranch_scc0 .LBB192_56
.LBB192_4:                              ; =>This Loop Header: Depth=1
                                        ;     Child Loop BB192_24 Depth 2
	s_mul_u64 s[42:43], s[14:15], s[10:11]
	s_wait_xcnt 0x0
	s_mul_u64 s[44:45], s[22:23], s[10:11]
	s_lshl_b64 s[42:43], s[42:43], 2
	s_lshl_b64 s[44:45], s[44:45], 2
	s_add_nc_u64 s[42:43], s[12:13], s[42:43]
	s_add_nc_u64 s[44:45], s[20:21], s[44:45]
	s_clause 0x1
	global_load_b32 v47, v1, s[42:43]
	global_load_b32 v6, v1, s[44:45]
	s_wait_loadcnt 0x1
	v_cmp_eq_f32_e64 s7, 0, v47
	s_wait_loadcnt 0x0
	v_cmp_eq_f32_e32 vcc_lo, 1.0, v6
	s_wait_xcnt 0x1
	v_readfirstlane_b32 s42, v6
	s_and_b32 s8, s7, vcc_lo
	s_delay_alu instid0(SALU_CYCLE_1)
	s_and_b32 vcc_lo, exec_lo, s8
	s_cbranch_vccnz .LBB192_3
; %bb.5:                                ;   in Loop: Header=BB192_4 Depth=1
	v_mov_b64_e32 v[10:11], 0
	v_mov_b64_e32 v[8:9], 0
	v_cmp_neq_f32_e64 s8, 0, v47
	s_and_b32 vcc_lo, exec_lo, s7
	s_cbranch_vccnz .LBB192_7
; %bb.6:                                ;   in Loop: Header=BB192_4 Depth=1
	s_wait_xcnt 0x0
	s_lshl_b64 s[44:45], s[10:11], 3
	s_delay_alu instid0(SALU_CYCLE_1)
	s_add_nc_u64 s[44:45], s[16:17], s[44:45]
	global_load_b64 v[6:7], v1, s[44:45]
	s_wait_loadcnt 0x0
	v_add_nc_u64_e32 v[8:9], s[18:19], v[6:7]
.LBB192_7:                              ;   in Loop: Header=BB192_4 Depth=1
	s_and_not1_b32 vcc_lo, exec_lo, s8
	s_cbranch_vccnz .LBB192_9
; %bb.8:                                ;   in Loop: Header=BB192_4 Depth=1
	s_wait_xcnt 0x0
	s_lshl_b64 s[44:45], s[10:11], 3
	s_delay_alu instid0(SALU_CYCLE_1)
	s_add_nc_u64 s[44:45], s[28:29], s[44:45]
	global_load_b64 v[6:7], v1, s[44:45]
	s_wait_loadcnt 0x0
	v_add_nc_u64_e32 v[10:11], s[30:31], v[6:7]
.LBB192_9:                              ;   in Loop: Header=BB192_4 Depth=1
	s_wait_xcnt 0x0
	s_lshl_b64 s[44:45], s[10:11], 3
	s_and_not1_b32 vcc_lo, exec_lo, s7
	s_add_nc_u64 s[44:45], s[24:25], s[44:45]
	global_load_b64 v[6:7], v1, s[44:45]
	s_wait_loadcnt 0x0
	v_add_nc_u64_e32 v[6:7], s[26:27], v[6:7]
	s_cbranch_vccnz .LBB192_13
; %bb.10:                               ;   in Loop: Header=BB192_4 Depth=1
	s_mov_b32 s7, 0
	s_mov_b32 s8, 0
                                        ; implicit-def: $vgpr12
	s_wait_xcnt 0x0
	s_and_saveexec_b32 s43, s39
	s_cbranch_execz .LBB192_14
; %bb.11:                               ;   in Loop: Header=BB192_4 Depth=1
	s_cmp_eq_f32 s42, 0
	s_cbranch_scc1 .LBB192_16
; %bb.12:                               ;   in Loop: Header=BB192_4 Depth=1
	v_lshl_add_u64 v[12:13], v[2:3], 2, v[6:7]
	flat_load_b32 v12, v[12:13]
	s_wait_loadcnt_dscnt 0x0
	s_wait_xcnt 0x0
	v_mul_f32_e32 v12, s42, v12
	s_branch .LBB192_17
.LBB192_13:                             ;   in Loop: Header=BB192_4 Depth=1
	s_mov_b32 s8, 0
                                        ; implicit-def: $vgpr12
	s_cbranch_execz .LBB192_15
	s_branch .LBB192_18
.LBB192_14:                             ;   in Loop: Header=BB192_4 Depth=1
	s_or_b32 exec_lo, exec_lo, s43
	s_delay_alu instid0(SALU_CYCLE_1)
	s_and_b32 vcc_lo, exec_lo, s7
	s_cbranch_vccnz .LBB192_18
.LBB192_15:                             ;   in Loop: Header=BB192_4 Depth=1
	v_mov_b64_e32 v[8:9], v[2:3]
	s_wait_xcnt 0x0
	s_and_saveexec_b32 s7, s8
	s_cbranch_execz .LBB192_2
	s_branch .LBB192_55
.LBB192_16:                             ;   in Loop: Header=BB192_4 Depth=1
	v_mov_b32_e32 v12, 0
.LBB192_17:                             ;   in Loop: Header=BB192_4 Depth=1
	s_mov_b32 s8, exec_lo
	s_or_b32 exec_lo, exec_lo, s43
	s_delay_alu instid0(SALU_CYCLE_1)
	s_and_b32 vcc_lo, exec_lo, s7
	s_cbranch_vccz .LBB192_15
.LBB192_18:                             ;   in Loop: Header=BB192_4 Depth=1
	v_dual_mov_b32 v48, 0 :: v_dual_mov_b32 v52, v36
	v_dual_mov_b32 v49, 0 :: v_dual_mov_b32 v50, 0
	v_mov_b32_e32 v51, 0
	s_wait_xcnt 0x0
	s_and_saveexec_b32 s7, s0
	s_cbranch_execz .LBB192_30
; %bb.19:                               ;   in Loop: Header=BB192_4 Depth=1
	v_dual_mov_b32 v48, 0 :: v_dual_mov_b32 v53, v45
	v_dual_mov_b32 v54, v40 :: v_dual_mov_b32 v55, v39
	;; [unrolled: 1-line block ×4, first 2 shown]
	v_mov_b32_e32 v51, 0
	s_mov_b32 s43, 0
	s_mov_b32 s44, 0
	s_branch .LBB192_24
.LBB192_20:                             ;   in Loop: Header=BB192_24 Depth=2
	s_wait_xcnt 0x0
	s_or_b32 exec_lo, exec_lo, s48
	s_wait_loadcnt_dscnt 0x202
	v_pk_mul_f32 v[26:27], v[16:17], v[32:33]
	s_wait_loadcnt_dscnt 0x0
	v_pk_mul_f32 v[24:25], v[12:13], v[24:25]
	s_delay_alu instid0(VALU_DEP_2) | instskip(NEXT) | instid1(VALU_DEP_1)
	v_add_f32_e32 v26, v50, v26
	v_add_f32_e32 v26, v26, v27
	s_delay_alu instid0(VALU_DEP_1) | instskip(NEXT) | instid1(VALU_DEP_1)
	v_add_f32_e32 v24, v26, v24
	v_add_f32_e32 v50, v24, v25
.LBB192_21:                             ;   in Loop: Header=BB192_24 Depth=2
	s_or_b32 exec_lo, exec_lo, s47
	s_wait_loadcnt_dscnt 0x202
	v_pk_mul_f32 v[22:23], v[16:17], v[22:23]
	s_wait_loadcnt_dscnt 0x0
	v_pk_mul_f32 v[20:21], v[12:13], v[20:21]
	s_delay_alu instid0(VALU_DEP_2) | instskip(NEXT) | instid1(VALU_DEP_1)
	v_add_f32_e32 v22, v49, v22
	v_add_f32_e32 v22, v22, v23
	s_delay_alu instid0(VALU_DEP_1) | instskip(NEXT) | instid1(VALU_DEP_1)
	v_add_f32_e32 v20, v22, v20
	v_add_f32_e32 v49, v20, v21
.LBB192_22:                             ;   in Loop: Header=BB192_24 Depth=2
	s_or_b32 exec_lo, exec_lo, s46
	s_wait_loadcnt_dscnt 0x202
	v_pk_mul_f32 v[16:17], v[16:17], v[18:19]
	s_wait_loadcnt_dscnt 0x0
	v_pk_mul_f32 v[12:13], v[12:13], v[14:15]
	s_delay_alu instid0(VALU_DEP_2) | instskip(NEXT) | instid1(VALU_DEP_1)
	v_add_f32_e32 v16, v48, v16
	v_add_f32_e32 v16, v16, v17
	s_delay_alu instid0(VALU_DEP_1) | instskip(NEXT) | instid1(VALU_DEP_1)
	v_add_f32_e32 v12, v16, v12
	v_add_f32_e32 v48, v12, v13
.LBB192_23:                             ;   in Loop: Header=BB192_24 Depth=2
	s_or_b32 exec_lo, exec_lo, s45
	v_dual_add_nc_u32 v52, 16, v52 :: v_dual_add_nc_u32 v55, s40, v55
	v_dual_add_nc_u32 v56, s40, v56 :: v_dual_add_nc_u32 v54, s40, v54
	v_add_nc_u32_e32 v53, s40, v53
	s_delay_alu instid0(VALU_DEP_3) | instskip(SKIP_2) | instid1(SALU_CYCLE_1)
	v_cmp_le_i32_e32 vcc_lo, s37, v52
	s_add_co_i32 s44, s44, s41
	s_or_b32 s43, vcc_lo, s43
	s_and_not1_b32 exec_lo, exec_lo, s43
	s_cbranch_execz .LBB192_29
.LBB192_24:                             ;   Parent Loop BB192_4 Depth=1
                                        ; =>  This Inner Loop Header: Depth=2
	s_and_saveexec_b32 s45, s1
	s_cbranch_execz .LBB192_23
; %bb.25:                               ;   in Loop: Header=BB192_24 Depth=2
	v_dual_add_nc_u32 v21, s44, v43 :: v_dual_add_nc_u32 v23, s44, v41
	v_readfirstlane_b32 s46, v10
	v_readfirstlane_b32 s47, v11
	v_dual_add_nc_u32 v25, s44, v42 :: v_dual_add_nc_u32 v20, s36, v53
	v_dual_add_nc_u32 v27, s44, v46 :: v_dual_add_nc_u32 v22, s36, v56
	v_readfirstlane_b32 s48, v8
	v_readfirstlane_b32 s49, v9
	v_dual_add_nc_u32 v26, s36, v55 :: v_dual_add_nc_u32 v24, s36, v54
	s_clause 0x3
	flat_load_b32 v13, v21, s[46:47] scale_offset
	flat_load_b32 v12, v23, s[46:47] scale_offset
	;; [unrolled: 1-line block ×4, first 2 shown]
	s_clause 0x3
	flat_load_b32 v18, v20, s[48:49] scale_offset
	flat_load_b32 v19, v22, s[48:49] scale_offset
	;; [unrolled: 1-line block ×4, first 2 shown]
	s_wait_xcnt 0x0
	s_and_saveexec_b32 s46, s2
	s_cbranch_execz .LBB192_22
; %bb.26:                               ;   in Loop: Header=BB192_24 Depth=2
	v_dual_ashrrev_i32 v21, 31, v20 :: v_dual_ashrrev_i32 v23, 31, v22
	v_dual_ashrrev_i32 v27, 31, v26 :: v_dual_ashrrev_i32 v25, 31, v24
	s_delay_alu instid0(VALU_DEP_2) | instskip(NEXT) | instid1(VALU_DEP_3)
	v_lshl_add_u64 v[30:31], v[20:21], 2, v[8:9]
	v_lshl_add_u64 v[28:29], v[22:23], 2, v[8:9]
	s_delay_alu instid0(VALU_DEP_3) | instskip(NEXT) | instid1(VALU_DEP_4)
	v_lshl_add_u64 v[26:27], v[26:27], 2, v[8:9]
	v_lshl_add_u64 v[34:35], v[24:25], 2, v[8:9]
	s_clause 0x3
	flat_load_b32 v22, v[30:31] offset:256
	flat_load_b32 v23, v[28:29] offset:256
	;; [unrolled: 1-line block ×4, first 2 shown]
	s_wait_xcnt 0x0
	s_and_saveexec_b32 s47, s3
	s_cbranch_execz .LBB192_21
; %bb.27:                               ;   in Loop: Header=BB192_24 Depth=2
	s_clause 0x3
	flat_load_b32 v32, v[30:31] offset:512
	flat_load_b32 v33, v[28:29] offset:512
	;; [unrolled: 1-line block ×4, first 2 shown]
	s_wait_xcnt 0x0
	s_and_saveexec_b32 s48, s4
	s_cbranch_execz .LBB192_20
; %bb.28:                               ;   in Loop: Header=BB192_24 Depth=2
	s_clause 0x3
	flat_load_b32 v58, v[30:31] offset:768
	flat_load_b32 v59, v[28:29] offset:768
	;; [unrolled: 1-line block ×4, first 2 shown]
	s_wait_loadcnt_dscnt 0x202
	s_wait_xcnt 0x1
	v_pk_mul_f32 v[26:27], v[16:17], v[58:59]
	s_delay_alu instid0(VALU_DEP_1) | instskip(NEXT) | instid1(VALU_DEP_1)
	v_add_f32_e32 v26, v51, v26
	v_add_f32_e32 v28, v26, v27
	s_wait_loadcnt_dscnt 0x0
	v_pk_mul_f32 v[26:27], v[12:13], v[60:61]
	s_delay_alu instid0(VALU_DEP_1) | instskip(NEXT) | instid1(VALU_DEP_1)
	v_add_f32_e32 v26, v28, v26
	v_add_f32_e32 v51, v26, v27
	s_branch .LBB192_20
.LBB192_29:                             ;   in Loop: Header=BB192_4 Depth=1
	s_or_b32 exec_lo, exec_lo, s43
.LBB192_30:                             ;   in Loop: Header=BB192_4 Depth=1
	s_delay_alu instid0(SALU_CYCLE_1) | instskip(NEXT) | instid1(SALU_CYCLE_1)
	s_or_b32 exec_lo, exec_lo, s7
	s_and_not1_b32 vcc_lo, exec_lo, s38
	s_cbranch_vccnz .LBB192_48
; %bb.31:                               ;   in Loop: Header=BB192_4 Depth=1
	v_dual_mov_b32 v14, 0 :: v_dual_bitop2_b32 v16, 1, v52 bitop3:0x54
	v_cmp_gt_i32_e32 vcc_lo, s9, v52
	s_delay_alu instid0(VALU_DEP_2)
	v_dual_mov_b32 v15, v14 :: v_dual_mov_b32 v12, v14
	v_mov_b32_e32 v13, v14
	s_and_saveexec_b32 s43, vcc_lo
	s_cbranch_execz .LBB192_39
; %bb.32:                               ;   in Loop: Header=BB192_4 Depth=1
	v_mul_lo_u32 v12, v52, s35
	v_readfirstlane_b32 s44, v10
	v_readfirstlane_b32 s45, v11
	v_dual_mov_b32 v13, 0 :: v_dual_mov_b32 v15, 0
	v_mov_b32_e32 v14, 0
	flat_load_b32 v12, v12, s[44:45] scale_offset
	s_wait_xcnt 0x0
	s_mov_b32 s44, exec_lo
	v_cmpx_gt_i32_e64 s9, v16
	s_cbranch_execz .LBB192_38
; %bb.33:                               ;   in Loop: Header=BB192_4 Depth=1
	v_mul_lo_u32 v13, v16, s35
	v_readfirstlane_b32 s46, v10
	v_readfirstlane_b32 s47, v11
	v_dual_mov_b32 v15, 0 :: v_dual_bitop2_b32 v17, 2, v52 bitop3:0x54
	v_mov_b32_e32 v14, 0
	s_mov_b32 s45, exec_lo
	flat_load_b32 v13, v13, s[46:47] scale_offset
	s_wait_xcnt 0x0
	v_cmpx_gt_i32_e64 s9, v17
	s_cbranch_execz .LBB192_37
; %bb.34:                               ;   in Loop: Header=BB192_4 Depth=1
	v_mul_lo_u32 v14, v17, s35
	v_readfirstlane_b32 s46, v10
	v_readfirstlane_b32 s47, v11
	v_dual_mov_b32 v15, 0 :: v_dual_bitop2_b32 v17, 3, v52 bitop3:0x54
	flat_load_b32 v14, v14, s[46:47] scale_offset
	s_wait_xcnt 0x0
	s_mov_b32 s46, exec_lo
	v_cmpx_gt_i32_e64 s9, v17
	s_cbranch_execz .LBB192_36
; %bb.35:                               ;   in Loop: Header=BB192_4 Depth=1
	v_mul_lo_u32 v15, v17, s35
	v_readfirstlane_b32 s48, v10
	v_readfirstlane_b32 s49, v11
	flat_load_b32 v15, v15, s[48:49] scale_offset
.LBB192_36:                             ;   in Loop: Header=BB192_4 Depth=1
	s_wait_xcnt 0x0
	s_or_b32 exec_lo, exec_lo, s46
.LBB192_37:                             ;   in Loop: Header=BB192_4 Depth=1
	s_delay_alu instid0(SALU_CYCLE_1)
	s_or_b32 exec_lo, exec_lo, s45
.LBB192_38:                             ;   in Loop: Header=BB192_4 Depth=1
	s_delay_alu instid0(SALU_CYCLE_1)
	s_or_b32 exec_lo, exec_lo, s44
.LBB192_39:                             ;   in Loop: Header=BB192_4 Depth=1
	s_delay_alu instid0(SALU_CYCLE_1)
	s_or_b32 exec_lo, exec_lo, s43
	s_and_saveexec_b32 s7, s1
	s_cbranch_execz .LBB192_47
; %bb.40:                               ;   in Loop: Header=BB192_4 Depth=1
	v_mul_lo_u32 v11, v52, s34
	v_mul_lo_u32 v18, v16, s34
	v_or_b32_e32 v10, 2, v52
	v_readfirstlane_b32 s44, v8
	v_readfirstlane_b32 s45, v9
	v_cndmask_b32_e32 v11, 0, v11, vcc_lo
	s_delay_alu instid0(VALU_DEP_4) | instskip(SKIP_2) | instid1(VALU_DEP_1)
	v_mul_lo_u32 v19, v10, s34
	v_cmp_gt_i32_e32 vcc_lo, s9, v16
	v_dual_cndmask_b32 v16, 0, v18, vcc_lo :: v_dual_bitop2_b32 v17, 3, v52 bitop3:0x54
	v_mul_lo_u32 v20, v17, s34
	v_cmp_gt_i32_e32 vcc_lo, s9, v10
	s_delay_alu instid0(VALU_DEP_3) | instskip(SKIP_1) | instid1(VALU_DEP_4)
	v_dual_add_nc_u32 v22, v16, v37 :: v_dual_cndmask_b32 v10, 0, v19, vcc_lo
	v_cmp_gt_i32_e32 vcc_lo, s9, v17
	v_dual_cndmask_b32 v17, 0, v20 :: v_dual_add_nc_u32 v20, v11, v37
	s_delay_alu instid0(VALU_DEP_1)
	v_dual_add_nc_u32 v26, v10, v37 :: v_dual_add_nc_u32 v18, v17, v37
	s_clause 0x3
	flat_load_b32 v16, v20, s[44:45] scale_offset
	flat_load_b32 v17, v22, s[44:45] scale_offset
	;; [unrolled: 1-line block ×4, first 2 shown]
	s_wait_xcnt 0x0
	s_and_saveexec_b32 s43, s2
	s_cbranch_execz .LBB192_46
; %bb.41:                               ;   in Loop: Header=BB192_4 Depth=1
	v_dual_ashrrev_i32 v21, 31, v20 :: v_dual_ashrrev_i32 v23, 31, v22
	v_ashrrev_i32_e32 v27, 31, v26
	v_ashrrev_i32_e32 v19, 31, v18
	s_delay_alu instid0(VALU_DEP_3) | instskip(NEXT) | instid1(VALU_DEP_4)
	v_lshl_add_u64 v[24:25], v[20:21], 2, v[8:9]
	v_lshl_add_u64 v[22:23], v[22:23], 2, v[8:9]
	s_delay_alu instid0(VALU_DEP_4) | instskip(NEXT) | instid1(VALU_DEP_4)
	v_lshl_add_u64 v[28:29], v[26:27], 2, v[8:9]
	v_lshl_add_u64 v[30:31], v[18:19], 2, v[8:9]
	s_clause 0x3
	flat_load_b32 v18, v[24:25] offset:256
	flat_load_b32 v19, v[22:23] offset:256
	;; [unrolled: 1-line block ×4, first 2 shown]
	s_wait_xcnt 0x0
	s_and_saveexec_b32 s44, s3
	s_cbranch_execz .LBB192_45
; %bb.42:                               ;   in Loop: Header=BB192_4 Depth=1
	s_clause 0x3
	flat_load_b32 v26, v[24:25] offset:512
	flat_load_b32 v27, v[22:23] offset:512
	;; [unrolled: 1-line block ×4, first 2 shown]
	s_wait_xcnt 0x0
	s_and_saveexec_b32 s45, s4
	s_cbranch_execz .LBB192_44
; %bb.43:                               ;   in Loop: Header=BB192_4 Depth=1
	s_clause 0x3
	flat_load_b32 v32, v[24:25] offset:768
	flat_load_b32 v33, v[22:23] offset:768
	;; [unrolled: 1-line block ×4, first 2 shown]
	s_wait_loadcnt_dscnt 0x202
	s_wait_xcnt 0x2
	v_pk_mul_f32 v[22:23], v[12:13], v[32:33]
	s_delay_alu instid0(VALU_DEP_1) | instskip(NEXT) | instid1(VALU_DEP_1)
	v_add_f32_e32 v22, v51, v22
	v_add_f32_e32 v24, v22, v23
	s_wait_loadcnt_dscnt 0x0
	v_pk_mul_f32 v[22:23], v[14:15], v[34:35]
	s_delay_alu instid0(VALU_DEP_1) | instskip(NEXT) | instid1(VALU_DEP_1)
	v_add_f32_e32 v22, v24, v22
	v_add_f32_e32 v51, v22, v23
.LBB192_44:                             ;   in Loop: Header=BB192_4 Depth=1
	s_wait_xcnt 0x0
	s_or_b32 exec_lo, exec_lo, s45
	s_wait_loadcnt_dscnt 0x202
	v_pk_mul_f32 v[22:23], v[12:13], v[26:27]
	s_wait_loadcnt_dscnt 0x0
	v_pk_mul_f32 v[20:21], v[14:15], v[20:21]
	s_delay_alu instid0(VALU_DEP_2) | instskip(NEXT) | instid1(VALU_DEP_1)
	v_add_f32_e32 v22, v50, v22
	v_add_f32_e32 v22, v22, v23
	s_delay_alu instid0(VALU_DEP_1) | instskip(NEXT) | instid1(VALU_DEP_1)
	v_add_f32_e32 v20, v22, v20
	v_add_f32_e32 v50, v20, v21
.LBB192_45:                             ;   in Loop: Header=BB192_4 Depth=1
	s_or_b32 exec_lo, exec_lo, s44
	s_wait_loadcnt_dscnt 0x202
	v_pk_mul_f32 v[18:19], v[12:13], v[18:19]
	s_wait_loadcnt_dscnt 0x0
	v_pk_mul_f32 v[8:9], v[14:15], v[8:9]
	s_delay_alu instid0(VALU_DEP_2) | instskip(NEXT) | instid1(VALU_DEP_1)
	v_add_f32_e32 v18, v49, v18
	v_add_f32_e32 v18, v18, v19
	s_delay_alu instid0(VALU_DEP_1) | instskip(NEXT) | instid1(VALU_DEP_1)
	v_add_f32_e32 v8, v18, v8
	v_add_f32_e32 v49, v8, v9
.LBB192_46:                             ;   in Loop: Header=BB192_4 Depth=1
	s_or_b32 exec_lo, exec_lo, s43
	s_wait_loadcnt_dscnt 0x202
	v_pk_mul_f32 v[8:9], v[12:13], v[16:17]
	s_delay_alu instid0(VALU_DEP_1) | instskip(NEXT) | instid1(VALU_DEP_1)
	v_add_f32_e32 v8, v48, v8
	v_add_f32_e32 v12, v8, v9
	s_wait_loadcnt_dscnt 0x0
	v_pk_mul_f32 v[8:9], v[14:15], v[10:11]
	s_delay_alu instid0(VALU_DEP_1) | instskip(NEXT) | instid1(VALU_DEP_1)
	v_add_f32_e32 v8, v12, v8
	v_add_f32_e32 v48, v8, v9
.LBB192_47:                             ;   in Loop: Header=BB192_4 Depth=1
	s_or_b32 exec_lo, exec_lo, s7
.LBB192_48:                             ;   in Loop: Header=BB192_4 Depth=1
	ds_store_2addr_stride64_b32 v0, v48, v49 offset1:1
	ds_store_2addr_stride64_b32 v0, v50, v51 offset0:2 offset1:3
	s_wait_loadcnt_dscnt 0x0
	s_barrier_signal -1
	s_barrier_wait -1
                                        ; implicit-def: $vgpr12
	s_and_saveexec_b32 s7, s5
	s_cbranch_execz .LBB192_54
; %bb.49:                               ;   in Loop: Header=BB192_4 Depth=1
	ds_load_2addr_stride64_b32 v[8:9], v38 offset1:4
	ds_load_2addr_stride64_b32 v[10:11], v38 offset0:8 offset1:12
	s_mov_b32 s44, s8
                                        ; implicit-def: $vgpr12
	s_wait_dscnt 0x1
	v_add_f32_e32 v8, v8, v9
	s_wait_dscnt 0x0
	s_delay_alu instid0(VALU_DEP_1) | instskip(NEXT) | instid1(VALU_DEP_1)
	v_add_f32_e32 v8, v10, v8
	v_add_f32_e32 v8, v11, v8
	ds_store_b32 v38, v8
	s_and_saveexec_b32 s43, s6
	s_cbranch_execz .LBB192_53
; %bb.50:                               ;   in Loop: Header=BB192_4 Depth=1
	v_mul_f32_e32 v12, v47, v8
	s_cmp_eq_f32 s42, 0
	s_cbranch_scc1 .LBB192_52
; %bb.51:                               ;   in Loop: Header=BB192_4 Depth=1
	v_lshl_add_u64 v[8:9], v[4:5], 2, v[6:7]
	flat_load_b32 v8, v[8:9]
	s_wait_loadcnt_dscnt 0x0
	v_fmac_f32_e32 v12, s42, v8
.LBB192_52:                             ;   in Loop: Header=BB192_4 Depth=1
	s_or_b32 s44, s8, exec_lo
.LBB192_53:                             ;   in Loop: Header=BB192_4 Depth=1
	s_wait_xcnt 0x0
	s_or_b32 exec_lo, exec_lo, s43
	s_delay_alu instid0(SALU_CYCLE_1) | instskip(SKIP_1) | instid1(SALU_CYCLE_1)
	s_and_not1_b32 s8, s8, exec_lo
	s_and_b32 s42, s44, exec_lo
	s_or_b32 s8, s8, s42
.LBB192_54:                             ;   in Loop: Header=BB192_4 Depth=1
	s_or_b32 exec_lo, exec_lo, s7
	v_mov_b64_e32 v[8:9], v[4:5]
	s_and_saveexec_b32 s7, s8
	s_cbranch_execz .LBB192_2
.LBB192_55:                             ;   in Loop: Header=BB192_4 Depth=1
	s_delay_alu instid0(VALU_DEP_1)
	v_lshl_add_u64 v[6:7], v[8:9], 2, v[6:7]
	flat_store_b32 v[6:7], v12
	s_branch .LBB192_2
.LBB192_56:
	s_endpgm
	.section	.rodata,"a",@progbits
	.p2align	6, 0x0
	.amdhsa_kernel _ZL20rocblas_gemvn_kernelILi64ELi4EiPKfS1_KPfEviiT3_lPKT2_lT1_lS7_lS8_lS4_lPT4_lS8_li
		.amdhsa_group_segment_fixed_size 4096
		.amdhsa_private_segment_fixed_size 0
		.amdhsa_kernarg_size 400
		.amdhsa_user_sgpr_count 2
		.amdhsa_user_sgpr_dispatch_ptr 0
		.amdhsa_user_sgpr_queue_ptr 0
		.amdhsa_user_sgpr_kernarg_segment_ptr 1
		.amdhsa_user_sgpr_dispatch_id 0
		.amdhsa_user_sgpr_kernarg_preload_length 0
		.amdhsa_user_sgpr_kernarg_preload_offset 0
		.amdhsa_user_sgpr_private_segment_size 0
		.amdhsa_wavefront_size32 1
		.amdhsa_uses_dynamic_stack 0
		.amdhsa_enable_private_segment 0
		.amdhsa_system_sgpr_workgroup_id_x 1
		.amdhsa_system_sgpr_workgroup_id_y 0
		.amdhsa_system_sgpr_workgroup_id_z 1
		.amdhsa_system_sgpr_workgroup_info 0
		.amdhsa_system_vgpr_workitem_id 1
		.amdhsa_next_free_vgpr 62
		.amdhsa_next_free_sgpr 50
		.amdhsa_named_barrier_count 0
		.amdhsa_reserve_vcc 1
		.amdhsa_float_round_mode_32 0
		.amdhsa_float_round_mode_16_64 0
		.amdhsa_float_denorm_mode_32 3
		.amdhsa_float_denorm_mode_16_64 3
		.amdhsa_fp16_overflow 0
		.amdhsa_memory_ordered 1
		.amdhsa_forward_progress 1
		.amdhsa_inst_pref_size 23
		.amdhsa_round_robin_scheduling 0
		.amdhsa_exception_fp_ieee_invalid_op 0
		.amdhsa_exception_fp_denorm_src 0
		.amdhsa_exception_fp_ieee_div_zero 0
		.amdhsa_exception_fp_ieee_overflow 0
		.amdhsa_exception_fp_ieee_underflow 0
		.amdhsa_exception_fp_ieee_inexact 0
		.amdhsa_exception_int_div_zero 0
	.end_amdhsa_kernel
	.section	.text._ZL20rocblas_gemvn_kernelILi64ELi4EiPKfS1_KPfEviiT3_lPKT2_lT1_lS7_lS8_lS4_lPT4_lS8_li,"axG",@progbits,_ZL20rocblas_gemvn_kernelILi64ELi4EiPKfS1_KPfEviiT3_lPKT2_lT1_lS7_lS8_lS4_lPT4_lS8_li,comdat
.Lfunc_end192:
	.size	_ZL20rocblas_gemvn_kernelILi64ELi4EiPKfS1_KPfEviiT3_lPKT2_lT1_lS7_lS8_lS4_lPT4_lS8_li, .Lfunc_end192-_ZL20rocblas_gemvn_kernelILi64ELi4EiPKfS1_KPfEviiT3_lPKT2_lT1_lS7_lS8_lS4_lPT4_lS8_li
                                        ; -- End function
	.set _ZL20rocblas_gemvn_kernelILi64ELi4EiPKfS1_KPfEviiT3_lPKT2_lT1_lS7_lS8_lS4_lPT4_lS8_li.num_vgpr, 62
	.set _ZL20rocblas_gemvn_kernelILi64ELi4EiPKfS1_KPfEviiT3_lPKT2_lT1_lS7_lS8_lS4_lPT4_lS8_li.num_agpr, 0
	.set _ZL20rocblas_gemvn_kernelILi64ELi4EiPKfS1_KPfEviiT3_lPKT2_lT1_lS7_lS8_lS4_lPT4_lS8_li.numbered_sgpr, 50
	.set _ZL20rocblas_gemvn_kernelILi64ELi4EiPKfS1_KPfEviiT3_lPKT2_lT1_lS7_lS8_lS4_lPT4_lS8_li.num_named_barrier, 0
	.set _ZL20rocblas_gemvn_kernelILi64ELi4EiPKfS1_KPfEviiT3_lPKT2_lT1_lS7_lS8_lS4_lPT4_lS8_li.private_seg_size, 0
	.set _ZL20rocblas_gemvn_kernelILi64ELi4EiPKfS1_KPfEviiT3_lPKT2_lT1_lS7_lS8_lS4_lPT4_lS8_li.uses_vcc, 1
	.set _ZL20rocblas_gemvn_kernelILi64ELi4EiPKfS1_KPfEviiT3_lPKT2_lT1_lS7_lS8_lS4_lPT4_lS8_li.uses_flat_scratch, 1
	.set _ZL20rocblas_gemvn_kernelILi64ELi4EiPKfS1_KPfEviiT3_lPKT2_lT1_lS7_lS8_lS4_lPT4_lS8_li.has_dyn_sized_stack, 0
	.set _ZL20rocblas_gemvn_kernelILi64ELi4EiPKfS1_KPfEviiT3_lPKT2_lT1_lS7_lS8_lS4_lPT4_lS8_li.has_recursion, 0
	.set _ZL20rocblas_gemvn_kernelILi64ELi4EiPKfS1_KPfEviiT3_lPKT2_lT1_lS7_lS8_lS4_lPT4_lS8_li.has_indirect_call, 0
	.section	.AMDGPU.csdata,"",@progbits
; Kernel info:
; codeLenInByte = 2936
; TotalNumSgprs: 52
; NumVgprs: 62
; ScratchSize: 0
; MemoryBound: 0
; FloatMode: 240
; IeeeMode: 1
; LDSByteSize: 4096 bytes/workgroup (compile time only)
; SGPRBlocks: 0
; VGPRBlocks: 3
; NumSGPRsForWavesPerEU: 52
; NumVGPRsForWavesPerEU: 62
; NamedBarCnt: 0
; Occupancy: 16
; WaveLimiterHint : 1
; COMPUTE_PGM_RSRC2:SCRATCH_EN: 0
; COMPUTE_PGM_RSRC2:USER_SGPR: 2
; COMPUTE_PGM_RSRC2:TRAP_HANDLER: 0
; COMPUTE_PGM_RSRC2:TGID_X_EN: 1
; COMPUTE_PGM_RSRC2:TGID_Y_EN: 0
; COMPUTE_PGM_RSRC2:TGID_Z_EN: 1
; COMPUTE_PGM_RSRC2:TIDIG_COMP_CNT: 1
	.section	.text._ZL20rocblas_gemvn_kernelILi64ELi4ElPKfS1_KPfEviiT3_lPKT2_lT1_lS7_lS8_lS4_lPT4_lS8_li,"axG",@progbits,_ZL20rocblas_gemvn_kernelILi64ELi4ElPKfS1_KPfEviiT3_lPKT2_lT1_lS7_lS8_lS4_lPT4_lS8_li,comdat
	.globl	_ZL20rocblas_gemvn_kernelILi64ELi4ElPKfS1_KPfEviiT3_lPKT2_lT1_lS7_lS8_lS4_lPT4_lS8_li ; -- Begin function _ZL20rocblas_gemvn_kernelILi64ELi4ElPKfS1_KPfEviiT3_lPKT2_lT1_lS7_lS8_lS4_lPT4_lS8_li
	.p2align	8
	.type	_ZL20rocblas_gemvn_kernelILi64ELi4ElPKfS1_KPfEviiT3_lPKT2_lT1_lS7_lS8_lS4_lPT4_lS8_li,@function
_ZL20rocblas_gemvn_kernelILi64ELi4ElPKfS1_KPfEviiT3_lPKT2_lT1_lS7_lS8_lS4_lPT4_lS8_li: ; @_ZL20rocblas_gemvn_kernelILi64ELi4ElPKfS1_KPfEviiT3_lPKT2_lT1_lS7_lS8_lS4_lPT4_lS8_li
; %bb.0:
	s_clause 0x1
	s_load_b64 s[2:3], s[0:1], 0x9c
	s_load_b32 s33, s[0:1], 0x88
	s_bfe_u32 s4, ttmp6, 0x40014
	s_lshr_b32 s5, ttmp7, 16
	s_add_co_i32 s4, s4, 1
	s_bfe_u32 s6, ttmp6, 0x40008
	s_mul_i32 s7, s5, s4
	s_getreg_b32 s4, hwreg(HW_REG_IB_STS2, 6, 4)
	s_add_co_i32 s6, s6, s7
	s_mov_b32 s11, 0
	s_wait_kmcnt 0x0
	s_lshr_b32 s7, s2, 16
	s_and_b32 s2, s2, 0xffff
	s_and_b32 s3, s3, 0xffff
	s_mul_i32 s2, s7, s2
	s_cmp_eq_u32 s4, 0
	s_mul_i32 s2, s2, s3
	s_cselect_b32 s10, s5, s6
	s_cmp_lg_u32 s2, 0x100
	s_cselect_b32 s2, -1, 0
	s_cmp_ge_u32 s10, s33
	s_cselect_b32 s3, -1, 0
	s_delay_alu instid0(SALU_CYCLE_1) | instskip(NEXT) | instid1(SALU_CYCLE_1)
	s_or_b32 s2, s2, s3
	s_and_b32 vcc_lo, exec_lo, s2
	s_cbranch_vccnz .LBB193_56
; %bb.1:
	s_clause 0x2
	s_load_b64 s[34:35], s[0:1], 0x0
	s_load_b64 s[36:37], s[0:1], 0x28
	;; [unrolled: 1-line block ×3, first 2 shown]
	s_bfe_u32 s5, ttmp6, 0x4000c
	v_and_b32_e32 v28, 0x3ff, v0
	s_add_co_i32 s5, s5, 1
	v_bfe_u32 v6, v0, 10, 10
	s_clause 0x1
	s_load_b64 s[38:39], s[0:1], 0x48
	s_load_b128 s[28:31], s[0:1], 0x38
	s_and_b32 s6, ttmp6, 15
	s_mul_i32 s5, ttmp9, s5
	v_lshl_add_u32 v29, v6, 6, v28
	s_add_co_i32 s6, s6, s5
	s_cmp_eq_u32 s4, 0
	s_load_b256 s[12:19], s[0:1], 0x8
	s_cselect_b32 s4, ttmp9, s6
	s_load_b256 s[20:27], s[0:1], 0x58
	s_lshl_b32 s6, s4, 8
	s_delay_alu instid0(SALU_CYCLE_1)
	v_dual_mov_b32 v1, 0 :: v_dual_add_nc_u32 v0, s6, v29
	v_lshlrev_b32_e32 v64, 2, v6
	s_wait_kmcnt 0x0
	s_ashr_i32 s5, s34, 31
	s_mov_b32 s4, s34
	v_mov_b32_e32 v7, v1
	v_mul_u64_e32 v[2:3], s[2:3], v[0:1]
	v_cmp_gt_i64_e32 vcc_lo, s[4:5], v[0:1]
	v_or_b32_e32 v14, s6, v28
	v_or_b32_e32 v0, 3, v64
	;; [unrolled: 1-line block ×3, first 2 shown]
	v_mul_u64_e32 v[8:9], s[38:39], v[6:7]
	v_mul_u64_e32 v[18:19], s[36:37], v[6:7]
	v_ashrrev_i32_e32 v15, 31, v14
	v_mul_u64_e32 v[10:11], s[36:37], v[0:1]
	v_mul_u64_e32 v[12:13], s[38:39], v[0:1]
	v_or_b32_e32 v0, 2, v64
	v_mad_nc_u64_u32 v[24:25], s38, v64, s[38:39]
	v_mad_nc_u64_u32 v[26:27], s36, v64, s[36:37]
	s_ashr_i32 s4, s35, 31
	v_cmp_gt_u32_e64 s5, 0x100, v29
	v_mul_u64_e32 v[20:21], s[36:37], v[0:1]
	v_mul_u64_e32 v[22:23], s[38:39], v[0:1]
	v_dual_add_nc_u32 v0, 64, v14 :: v_dual_ashrrev_i32 v17, 31, v16
	s_lshr_b32 s4, s4, 28
	v_cmp_gt_i32_e64 s6, s34, v16
	s_add_co_i32 s4, s35, s4
	v_mad_u32 v25, s39, v64, v25
	v_mul_u64_e32 v[4:5], s[2:3], v[16:17]
	v_mad_u32 v27, s37, v64, v27
	v_cmp_gt_i32_e64 s2, s34, v0
	v_lshlrev_b32_e32 v0, 2, v28
	v_add_nc_u32_e32 v7, 0x80, v14
	v_add_nc_u32_e32 v17, 0xc0, v14
	s_and_b32 s44, s4, -16
	v_cmp_gt_i32_e64 s1, s34, v14
	s_sub_co_i32 s4, s35, s44
	v_cmp_gt_i32_e64 s3, s34, v7
	s_cmp_gt_i32 s4, 0
	v_cmp_gt_i32_e64 s4, s34, v17
	v_lshl_add_u32 v65, v6, 10, v0
	v_lshl_add_u32 v66, v6, 8, v0
	v_lshlrev_b64_e32 v[6:7], 4, v[8:9]
	v_lshlrev_b64_e32 v[8:9], 2, v[14:15]
	;; [unrolled: 1-line block ×5, first 2 shown]
	v_cmp_gt_i32_e64 s0, s44, v64
	s_cselect_b32 s45, -1, 0
	s_and_b32 s34, s5, vcc_lo
	s_lshl_b64 s[40:41], s[38:39], 6
	s_lshl_b64 s[42:43], s[36:37], 6
	v_lshlrev_b64_e32 v[16:17], 2, v[20:21]
	v_lshlrev_b64_e32 v[18:19], 2, v[22:23]
	;; [unrolled: 1-line block ×4, first 2 shown]
	s_lshl_b64 s[18:19], s[18:19], 2
	s_lshl_b64 s[30:31], s[30:31], 2
	;; [unrolled: 1-line block ×3, first 2 shown]
	s_branch .LBB193_4
.LBB193_2:                              ;   in Loop: Header=BB193_4 Depth=1
	s_wait_xcnt 0x0
	s_or_b32 exec_lo, exec_lo, s7
.LBB193_3:                              ;   in Loop: Header=BB193_4 Depth=1
	s_add_co_i32 s10, s10, 0x10000
	s_delay_alu instid0(SALU_CYCLE_1)
	s_cmp_lt_u32 s10, s33
	s_cbranch_scc0 .LBB193_56
.LBB193_4:                              ; =>This Loop Header: Depth=1
                                        ;     Child Loop BB193_24 Depth 2
	s_mul_u64 s[8:9], s[14:15], s[10:11]
	s_mul_u64 s[46:47], s[22:23], s[10:11]
	s_lshl_b64 s[8:9], s[8:9], 2
	s_lshl_b64 s[46:47], s[46:47], 2
	s_add_nc_u64 s[8:9], s[12:13], s[8:9]
	s_add_nc_u64 s[46:47], s[20:21], s[46:47]
	s_clause 0x1
	global_load_b32 v67, v1, s[8:9]
	global_load_b32 v0, v1, s[46:47]
	s_wait_loadcnt 0x1
	v_cmp_eq_f32_e64 s7, 0, v67
	s_wait_loadcnt 0x0
	v_cmp_eq_f32_e32 vcc_lo, 1.0, v0
	s_wait_xcnt 0x0
	v_readfirstlane_b32 s46, v0
	s_and_b32 s8, s7, vcc_lo
	s_delay_alu instid0(SALU_CYCLE_1)
	s_and_b32 vcc_lo, exec_lo, s8
	s_cbranch_vccnz .LBB193_3
; %bb.5:                                ;   in Loop: Header=BB193_4 Depth=1
	v_mov_b64_e32 v[28:29], 0
	v_mov_b64_e32 v[26:27], 0
	v_cmp_neq_f32_e64 s8, 0, v67
	s_and_b32 vcc_lo, exec_lo, s7
	s_cbranch_vccnz .LBB193_7
; %bb.6:                                ;   in Loop: Header=BB193_4 Depth=1
	s_lshl_b64 s[48:49], s[10:11], 3
	s_delay_alu instid0(SALU_CYCLE_1)
	s_add_nc_u64 s[48:49], s[16:17], s[48:49]
	global_load_b64 v[24:25], v1, s[48:49]
	s_wait_loadcnt 0x0
	v_add_nc_u64_e32 v[26:27], s[18:19], v[24:25]
.LBB193_7:                              ;   in Loop: Header=BB193_4 Depth=1
	s_and_not1_b32 vcc_lo, exec_lo, s8
	s_cbranch_vccnz .LBB193_9
; %bb.8:                                ;   in Loop: Header=BB193_4 Depth=1
	s_lshl_b64 s[8:9], s[10:11], 3
	s_delay_alu instid0(SALU_CYCLE_1)
	s_add_nc_u64 s[8:9], s[28:29], s[8:9]
	global_load_b64 v[24:25], v1, s[8:9]
	s_wait_loadcnt 0x0
	v_add_nc_u64_e32 v[28:29], s[30:31], v[24:25]
.LBB193_9:                              ;   in Loop: Header=BB193_4 Depth=1
	s_wait_xcnt 0x0
	s_lshl_b64 s[8:9], s[10:11], 3
	s_and_not1_b32 vcc_lo, exec_lo, s7
	s_add_nc_u64 s[8:9], s[24:25], s[8:9]
	global_load_b64 v[24:25], v1, s[8:9]
	s_wait_loadcnt 0x0
	v_add_nc_u64_e32 v[24:25], s[26:27], v[24:25]
	s_cbranch_vccnz .LBB193_13
; %bb.10:                               ;   in Loop: Header=BB193_4 Depth=1
	s_mov_b32 s7, 0
	s_mov_b32 s47, 0
                                        ; implicit-def: $vgpr0
	s_wait_xcnt 0x0
	s_and_saveexec_b32 s8, s34
	s_cbranch_execz .LBB193_14
; %bb.11:                               ;   in Loop: Header=BB193_4 Depth=1
	s_cmp_eq_f32 s46, 0
	s_cbranch_scc1 .LBB193_16
; %bb.12:                               ;   in Loop: Header=BB193_4 Depth=1
	v_lshl_add_u64 v[30:31], v[2:3], 2, v[24:25]
	flat_load_b32 v0, v[30:31]
	s_wait_loadcnt_dscnt 0x0
	v_mul_f32_e32 v0, s46, v0
	s_branch .LBB193_17
.LBB193_13:                             ;   in Loop: Header=BB193_4 Depth=1
	s_mov_b32 s47, 0
                                        ; implicit-def: $vgpr0
	s_cbranch_execz .LBB193_15
	s_branch .LBB193_18
.LBB193_14:                             ;   in Loop: Header=BB193_4 Depth=1
	s_or_b32 exec_lo, exec_lo, s8
	s_delay_alu instid0(SALU_CYCLE_1)
	s_and_b32 vcc_lo, exec_lo, s7
	s_cbranch_vccnz .LBB193_18
.LBB193_15:                             ;   in Loop: Header=BB193_4 Depth=1
	v_mov_b64_e32 v[26:27], v[2:3]
	s_wait_xcnt 0x0
	s_and_saveexec_b32 s7, s47
	s_cbranch_execz .LBB193_2
	s_branch .LBB193_55
.LBB193_16:                             ;   in Loop: Header=BB193_4 Depth=1
	v_mov_b32_e32 v0, 0
.LBB193_17:                             ;   in Loop: Header=BB193_4 Depth=1
	s_mov_b32 s47, exec_lo
	s_wait_xcnt 0x0
	s_or_b32 exec_lo, exec_lo, s8
	s_delay_alu instid0(SALU_CYCLE_1)
	s_and_b32 vcc_lo, exec_lo, s7
	s_cbranch_vccz .LBB193_15
.LBB193_18:                             ;   in Loop: Header=BB193_4 Depth=1
	v_dual_mov_b32 v68, 0 :: v_dual_mov_b32 v0, v64
	v_dual_mov_b32 v69, 0 :: v_dual_mov_b32 v70, 0
	v_mov_b32_e32 v71, 0
	s_wait_xcnt 0x0
	s_and_saveexec_b32 s7, s0
	s_cbranch_execz .LBB193_30
; %bb.19:                               ;   in Loop: Header=BB193_4 Depth=1
	v_add_nc_u64_e32 v[30:31], v[26:27], v[10:11]
	v_add_nc_u64_e32 v[32:33], v[26:27], v[14:15]
	;; [unrolled: 1-line block ×4, first 2 shown]
	v_mov_b64_e32 v[38:39], v[28:29]
	v_dual_mov_b32 v68, 0 :: v_dual_mov_b32 v0, v64
	v_dual_mov_b32 v69, 0 :: v_dual_mov_b32 v70, 0
	v_mov_b32_e32 v71, 0
	s_mov_b32 s8, 0
	s_branch .LBB193_24
.LBB193_20:                             ;   in Loop: Header=BB193_24 Depth=2
	s_wait_xcnt 0x0
	s_or_b32 exec_lo, exec_lo, s50
	s_wait_loadcnt_dscnt 0x202
	v_pk_mul_f32 v[52:53], v[44:45], v[62:63]
	s_delay_alu instid0(VALU_DEP_1) | instskip(NEXT) | instid1(VALU_DEP_1)
	v_add_f32_e32 v52, v70, v52
	v_add_f32_e32 v54, v52, v53
	s_wait_loadcnt_dscnt 0x0
	v_pk_mul_f32 v[52:53], v[40:41], v[60:61]
	s_delay_alu instid0(VALU_DEP_1) | instskip(NEXT) | instid1(VALU_DEP_1)
	v_add_f32_e32 v52, v54, v52
	v_add_f32_e32 v70, v52, v53
.LBB193_21:                             ;   in Loop: Header=BB193_24 Depth=2
	s_or_b32 exec_lo, exec_lo, s49
	s_wait_loadcnt_dscnt 0x202
	v_pk_mul_f32 v[50:51], v[44:45], v[50:51]
	s_wait_loadcnt_dscnt 0x0
	v_pk_mul_f32 v[48:49], v[40:41], v[48:49]
	s_delay_alu instid0(VALU_DEP_2) | instskip(NEXT) | instid1(VALU_DEP_1)
	v_add_f32_e32 v50, v69, v50
	v_add_f32_e32 v50, v50, v51
	s_delay_alu instid0(VALU_DEP_1) | instskip(NEXT) | instid1(VALU_DEP_1)
	v_add_f32_e32 v48, v50, v48
	v_add_f32_e32 v69, v48, v49
.LBB193_22:                             ;   in Loop: Header=BB193_24 Depth=2
	s_or_b32 exec_lo, exec_lo, s48
	s_wait_loadcnt_dscnt 0x202
	v_pk_mul_f32 v[44:45], v[44:45], v[46:47]
	s_wait_loadcnt_dscnt 0x0
	v_pk_mul_f32 v[40:41], v[40:41], v[42:43]
	s_delay_alu instid0(VALU_DEP_2) | instskip(NEXT) | instid1(VALU_DEP_1)
	v_add_f32_e32 v44, v68, v44
	v_add_f32_e32 v44, v44, v45
	s_delay_alu instid0(VALU_DEP_1) | instskip(NEXT) | instid1(VALU_DEP_1)
	v_add_f32_e32 v40, v44, v40
	v_add_f32_e32 v68, v40, v41
.LBB193_23:                             ;   in Loop: Header=BB193_24 Depth=2
	s_or_b32 exec_lo, exec_lo, s9
	v_add_nc_u32_e32 v0, 16, v0
	v_add_nc_u64_e32 v[38:39], s[40:41], v[38:39]
	v_add_nc_u64_e32 v[30:31], s[42:43], v[30:31]
	;; [unrolled: 1-line block ×4, first 2 shown]
	v_cmp_le_i32_e32 vcc_lo, s44, v0
	v_add_nc_u64_e32 v[36:37], s[42:43], v[36:37]
	s_or_b32 s8, vcc_lo, s8
	s_delay_alu instid0(SALU_CYCLE_1)
	s_and_not1_b32 exec_lo, exec_lo, s8
	s_cbranch_execz .LBB193_29
.LBB193_24:                             ;   Parent Loop BB193_4 Depth=1
                                        ; =>  This Inner Loop Header: Depth=2
	s_and_saveexec_b32 s9, s1
	s_cbranch_execz .LBB193_23
; %bb.25:                               ;   in Loop: Header=BB193_24 Depth=2
	v_add_nc_u64_e32 v[48:49], v[38:39], v[12:13]
	v_add_nc_u64_e32 v[50:51], v[38:39], v[18:19]
	;; [unrolled: 1-line block ×8, first 2 shown]
	s_clause 0x3
	flat_load_b32 v41, v[48:49]
	flat_load_b32 v40, v[50:51]
	;; [unrolled: 1-line block ×8, first 2 shown]
	s_wait_xcnt 0x0
	s_and_saveexec_b32 s48, s2
	s_cbranch_execz .LBB193_22
; %bb.26:                               ;   in Loop: Header=BB193_24 Depth=2
	flat_load_b32 v50, v[52:53] offset:256
	flat_load_b32 v51, v[54:55] offset:256
	flat_load_b32 v48, v[56:57] offset:256
	flat_load_b32 v49, v[58:59] offset:256
	s_wait_xcnt 0x0
	s_and_saveexec_b32 s49, s3
	s_cbranch_execz .LBB193_21
; %bb.27:                               ;   in Loop: Header=BB193_24 Depth=2
	flat_load_b32 v62, v[52:53] offset:512
	flat_load_b32 v63, v[54:55] offset:512
	flat_load_b32 v60, v[56:57] offset:512
	flat_load_b32 v61, v[58:59] offset:512
	;; [unrolled: 8-line block ×3, first 2 shown]
	s_wait_loadcnt_dscnt 0x202
	s_wait_xcnt 0x3
	v_pk_mul_f32 v[52:53], v[44:45], v[72:73]
	s_delay_alu instid0(VALU_DEP_1) | instskip(SKIP_1) | instid1(VALU_DEP_1)
	v_add_f32_e32 v52, v71, v52
	s_wait_xcnt 0x2
	v_add_f32_e32 v54, v52, v53
	s_wait_loadcnt_dscnt 0x0
	v_pk_mul_f32 v[52:53], v[40:41], v[74:75]
	s_delay_alu instid0(VALU_DEP_1) | instskip(NEXT) | instid1(VALU_DEP_1)
	v_add_f32_e32 v52, v54, v52
	v_add_f32_e32 v71, v52, v53
	s_branch .LBB193_20
.LBB193_29:                             ;   in Loop: Header=BB193_4 Depth=1
	s_or_b32 exec_lo, exec_lo, s8
.LBB193_30:                             ;   in Loop: Header=BB193_4 Depth=1
	s_delay_alu instid0(SALU_CYCLE_1) | instskip(NEXT) | instid1(SALU_CYCLE_1)
	s_or_b32 exec_lo, exec_lo, s7
	s_and_not1_b32 vcc_lo, exec_lo, s45
	s_cbranch_vccnz .LBB193_48
; %bb.31:                               ;   in Loop: Header=BB193_4 Depth=1
	v_dual_mov_b32 v32, 0 :: v_dual_bitop2_b32 v34, 1, v0 bitop3:0x54
	v_cmp_gt_i32_e32 vcc_lo, s35, v0
	s_delay_alu instid0(VALU_DEP_2)
	v_dual_mov_b32 v33, v32 :: v_dual_mov_b32 v30, v32
	v_mov_b32_e32 v31, v32
	s_and_saveexec_b32 s8, vcc_lo
	s_cbranch_execz .LBB193_39
; %bb.32:                               ;   in Loop: Header=BB193_4 Depth=1
	v_mul_u64_e32 v[30:31], s[38:39], v[0:1]
	v_mov_b32_e32 v32, 0
	s_mov_b32 s9, exec_lo
	v_mov_b32_e32 v33, 0
	s_delay_alu instid0(VALU_DEP_3)
	v_lshl_add_u64 v[30:31], v[30:31], 2, v[28:29]
	flat_load_b32 v30, v[30:31]
	s_wait_xcnt 0x0
	v_mov_b32_e32 v31, 0
	v_cmpx_gt_i32_e64 s35, v34
	s_cbranch_execz .LBB193_38
; %bb.33:                               ;   in Loop: Header=BB193_4 Depth=1
	v_dual_mov_b32 v35, v1 :: v_dual_bitop2_b32 v36, 2, v0 bitop3:0x54
	s_mov_b32 s48, exec_lo
	s_delay_alu instid0(VALU_DEP_1) | instskip(NEXT) | instid1(VALU_DEP_1)
	v_mul_u64_e32 v[32:33], s[38:39], v[34:35]
	v_lshl_add_u64 v[32:33], v[32:33], 2, v[28:29]
	flat_load_b32 v31, v[32:33]
	s_wait_xcnt 0x0
	v_dual_mov_b32 v33, 0 :: v_dual_mov_b32 v32, 0
	v_cmpx_gt_i32_e64 s35, v36
	s_cbranch_execz .LBB193_37
; %bb.34:                               ;   in Loop: Header=BB193_4 Depth=1
	v_mov_b32_e32 v37, v1
	s_mov_b32 s49, exec_lo
	s_delay_alu instid0(VALU_DEP_1) | instskip(SKIP_1) | instid1(VALU_DEP_2)
	v_mul_u64_e32 v[32:33], s[38:39], v[36:37]
	v_or_b32_e32 v36, 3, v0
	v_lshl_add_u64 v[32:33], v[32:33], 2, v[28:29]
	flat_load_b32 v32, v[32:33]
	s_wait_xcnt 0x0
	v_mov_b32_e32 v33, 0
	v_cmpx_gt_i32_e64 s35, v36
	s_cbranch_execz .LBB193_36
; %bb.35:                               ;   in Loop: Header=BB193_4 Depth=1
	v_mov_b32_e32 v37, v1
	s_delay_alu instid0(VALU_DEP_1) | instskip(NEXT) | instid1(VALU_DEP_1)
	v_mul_u64_e32 v[36:37], s[38:39], v[36:37]
	v_lshl_add_u64 v[28:29], v[36:37], 2, v[28:29]
	flat_load_b32 v33, v[28:29]
.LBB193_36:                             ;   in Loop: Header=BB193_4 Depth=1
	s_wait_xcnt 0x0
	s_or_b32 exec_lo, exec_lo, s49
.LBB193_37:                             ;   in Loop: Header=BB193_4 Depth=1
	s_delay_alu instid0(SALU_CYCLE_1)
	s_or_b32 exec_lo, exec_lo, s48
.LBB193_38:                             ;   in Loop: Header=BB193_4 Depth=1
	s_delay_alu instid0(SALU_CYCLE_1)
	s_or_b32 exec_lo, exec_lo, s9
.LBB193_39:                             ;   in Loop: Header=BB193_4 Depth=1
	s_delay_alu instid0(SALU_CYCLE_1)
	s_or_b32 exec_lo, exec_lo, s8
	s_and_saveexec_b32 s48, s1
	s_cbranch_execz .LBB193_47
; %bb.40:                               ;   in Loop: Header=BB193_4 Depth=1
	v_dual_mov_b32 v35, v1 :: v_dual_bitop2_b32 v28, 2, v0 bitop3:0x54
	v_mov_b32_e32 v29, v1
	v_mul_u64_e32 v[36:37], s[36:37], v[0:1]
	v_or_b32_e32 v0, 3, v0
	s_delay_alu instid0(VALU_DEP_4)
	v_mul_u64_e32 v[38:39], s[36:37], v[34:35]
	v_cmp_gt_i32_e64 s7, s35, v34
	v_mul_u64_e32 v[40:41], s[36:37], v[28:29]
	v_cmp_gt_i32_e64 s8, s35, v28
	;; [unrolled: 2-line block ×3, first 2 shown]
	v_dual_cndmask_b32 v29, 0, v37 :: v_dual_cndmask_b32 v28, 0, v36
	v_dual_cndmask_b32 v35, 0, v39, s7 :: v_dual_cndmask_b32 v34, 0, v38, s7
	v_dual_cndmask_b32 v37, 0, v41, s8 :: v_dual_cndmask_b32 v36, 0, v40, s8
	s_delay_alu instid0(VALU_DEP_4) | instskip(NEXT) | instid1(VALU_DEP_4)
	v_dual_cndmask_b32 v39, 0, v43, s9 :: v_dual_cndmask_b32 v38, 0, v42, s9
	v_lshl_add_u64 v[28:29], v[28:29], 2, v[26:27]
	s_delay_alu instid0(VALU_DEP_4) | instskip(NEXT) | instid1(VALU_DEP_4)
	v_lshl_add_u64 v[34:35], v[34:35], 2, v[26:27]
	v_lshl_add_u64 v[36:37], v[36:37], 2, v[26:27]
	s_delay_alu instid0(VALU_DEP_4) | instskip(NEXT) | instid1(VALU_DEP_4)
	v_lshl_add_u64 v[26:27], v[38:39], 2, v[26:27]
	v_add_nc_u64_e32 v[42:43], v[28:29], v[8:9]
	s_delay_alu instid0(VALU_DEP_4) | instskip(NEXT) | instid1(VALU_DEP_4)
	v_add_nc_u64_e32 v[38:39], v[34:35], v[8:9]
	v_add_nc_u64_e32 v[40:41], v[36:37], v[8:9]
	s_delay_alu instid0(VALU_DEP_4)
	v_add_nc_u64_e32 v[44:45], v[26:27], v[8:9]
	s_clause 0x3
	flat_load_b32 v28, v[42:43]
	flat_load_b32 v29, v[38:39]
	;; [unrolled: 1-line block ×4, first 2 shown]
	s_wait_xcnt 0x0
	s_and_saveexec_b32 s7, s2
	s_cbranch_execz .LBB193_46
; %bb.41:                               ;   in Loop: Header=BB193_4 Depth=1
	s_clause 0x3
	flat_load_b32 v36, v[42:43] offset:256
	flat_load_b32 v37, v[38:39] offset:256
	flat_load_b32 v34, v[40:41] offset:256
	flat_load_b32 v35, v[44:45] offset:256
	s_wait_xcnt 0x0
	s_and_saveexec_b32 s8, s3
	s_cbranch_execz .LBB193_45
; %bb.42:                               ;   in Loop: Header=BB193_4 Depth=1
	s_clause 0x3
	flat_load_b32 v48, v[42:43] offset:512
	flat_load_b32 v49, v[38:39] offset:512
	flat_load_b32 v46, v[40:41] offset:512
	flat_load_b32 v47, v[44:45] offset:512
	;; [unrolled: 9-line block ×3, first 2 shown]
	s_wait_loadcnt_dscnt 0x202
	s_wait_xcnt 0x2
	v_pk_mul_f32 v[38:39], v[30:31], v[50:51]
	s_delay_alu instid0(VALU_DEP_1) | instskip(NEXT) | instid1(VALU_DEP_1)
	v_add_f32_e32 v0, v71, v38
	v_add_f32_e32 v0, v0, v39
	s_wait_loadcnt_dscnt 0x0
	v_pk_mul_f32 v[38:39], v[32:33], v[52:53]
	s_delay_alu instid0(VALU_DEP_1) | instskip(NEXT) | instid1(VALU_DEP_1)
	v_add_f32_e32 v0, v0, v38
	v_add_f32_e32 v71, v0, v39
.LBB193_44:                             ;   in Loop: Header=BB193_4 Depth=1
	s_wait_xcnt 0x0
	s_or_b32 exec_lo, exec_lo, s9
	s_wait_loadcnt_dscnt 0x202
	v_pk_mul_f32 v[38:39], v[30:31], v[48:49]
	s_delay_alu instid0(VALU_DEP_1) | instskip(NEXT) | instid1(VALU_DEP_1)
	v_add_f32_e32 v0, v70, v38
	v_add_f32_e32 v0, v0, v39
	s_wait_loadcnt_dscnt 0x0
	v_pk_mul_f32 v[38:39], v[32:33], v[46:47]
	s_delay_alu instid0(VALU_DEP_1) | instskip(NEXT) | instid1(VALU_DEP_1)
	v_add_f32_e32 v0, v0, v38
	v_add_f32_e32 v70, v0, v39
.LBB193_45:                             ;   in Loop: Header=BB193_4 Depth=1
	s_or_b32 exec_lo, exec_lo, s8
	s_wait_loadcnt_dscnt 0x202
	v_pk_mul_f32 v[36:37], v[30:31], v[36:37]
	s_wait_loadcnt_dscnt 0x0
	v_pk_mul_f32 v[34:35], v[32:33], v[34:35]
	s_delay_alu instid0(VALU_DEP_2) | instskip(NEXT) | instid1(VALU_DEP_1)
	v_add_f32_e32 v0, v69, v36
	v_add_f32_e32 v0, v0, v37
	s_delay_alu instid0(VALU_DEP_1) | instskip(NEXT) | instid1(VALU_DEP_1)
	v_add_f32_e32 v0, v0, v34
	v_add_f32_e32 v69, v0, v35
.LBB193_46:                             ;   in Loop: Header=BB193_4 Depth=1
	s_or_b32 exec_lo, exec_lo, s7
	s_wait_loadcnt_dscnt 0x202
	v_pk_mul_f32 v[28:29], v[30:31], v[28:29]
	s_wait_loadcnt_dscnt 0x0
	v_pk_mul_f32 v[26:27], v[32:33], v[26:27]
	s_delay_alu instid0(VALU_DEP_2) | instskip(NEXT) | instid1(VALU_DEP_1)
	v_add_f32_e32 v0, v68, v28
	v_add_f32_e32 v0, v0, v29
	s_delay_alu instid0(VALU_DEP_1) | instskip(NEXT) | instid1(VALU_DEP_1)
	v_add_f32_e32 v0, v0, v26
	v_add_f32_e32 v68, v0, v27
.LBB193_47:                             ;   in Loop: Header=BB193_4 Depth=1
	s_or_b32 exec_lo, exec_lo, s48
.LBB193_48:                             ;   in Loop: Header=BB193_4 Depth=1
	ds_store_2addr_stride64_b32 v65, v68, v69 offset1:1
	ds_store_2addr_stride64_b32 v65, v70, v71 offset0:2 offset1:3
	s_wait_loadcnt_dscnt 0x0
	s_barrier_signal -1
	s_barrier_wait -1
                                        ; implicit-def: $vgpr0
	s_and_saveexec_b32 s7, s5
	s_cbranch_execz .LBB193_54
; %bb.49:                               ;   in Loop: Header=BB193_4 Depth=1
	ds_load_2addr_stride64_b32 v[26:27], v66 offset1:4
	ds_load_2addr_stride64_b32 v[28:29], v66 offset0:8 offset1:12
	s_mov_b32 s9, s47
	s_wait_dscnt 0x1
	v_add_f32_e32 v0, v26, v27
	s_wait_dscnt 0x0
	s_delay_alu instid0(VALU_DEP_1) | instskip(NEXT) | instid1(VALU_DEP_1)
	v_add_f32_e32 v0, v28, v0
	v_add_f32_e32 v26, v29, v0
                                        ; implicit-def: $vgpr0
	ds_store_b32 v66, v26
	s_and_saveexec_b32 s8, s6
	s_cbranch_execz .LBB193_53
; %bb.50:                               ;   in Loop: Header=BB193_4 Depth=1
	v_mul_f32_e32 v0, v67, v26
	s_cmp_eq_f32 s46, 0
	s_cbranch_scc1 .LBB193_52
; %bb.51:                               ;   in Loop: Header=BB193_4 Depth=1
	v_lshl_add_u64 v[26:27], v[4:5], 2, v[24:25]
	flat_load_b32 v26, v[26:27]
	s_wait_loadcnt_dscnt 0x0
	v_fmac_f32_e32 v0, s46, v26
.LBB193_52:                             ;   in Loop: Header=BB193_4 Depth=1
	s_or_b32 s9, s47, exec_lo
.LBB193_53:                             ;   in Loop: Header=BB193_4 Depth=1
	s_wait_xcnt 0x0
	s_or_b32 exec_lo, exec_lo, s8
	s_delay_alu instid0(SALU_CYCLE_1) | instskip(SKIP_1) | instid1(SALU_CYCLE_1)
	s_and_not1_b32 s8, s47, exec_lo
	s_and_b32 s9, s9, exec_lo
	s_or_b32 s47, s8, s9
.LBB193_54:                             ;   in Loop: Header=BB193_4 Depth=1
	s_or_b32 exec_lo, exec_lo, s7
	v_mov_b64_e32 v[26:27], v[4:5]
	s_and_saveexec_b32 s7, s47
	s_cbranch_execz .LBB193_2
.LBB193_55:                             ;   in Loop: Header=BB193_4 Depth=1
	s_delay_alu instid0(VALU_DEP_1)
	v_lshl_add_u64 v[24:25], v[26:27], 2, v[24:25]
	flat_store_b32 v[24:25], v0
	s_branch .LBB193_2
.LBB193_56:
	s_sendmsg sendmsg(MSG_DEALLOC_VGPRS)
	s_endpgm
	.section	.rodata,"a",@progbits
	.p2align	6, 0x0
	.amdhsa_kernel _ZL20rocblas_gemvn_kernelILi64ELi4ElPKfS1_KPfEviiT3_lPKT2_lT1_lS7_lS8_lS4_lPT4_lS8_li
		.amdhsa_group_segment_fixed_size 4096
		.amdhsa_private_segment_fixed_size 0
		.amdhsa_kernarg_size 400
		.amdhsa_user_sgpr_count 2
		.amdhsa_user_sgpr_dispatch_ptr 0
		.amdhsa_user_sgpr_queue_ptr 0
		.amdhsa_user_sgpr_kernarg_segment_ptr 1
		.amdhsa_user_sgpr_dispatch_id 0
		.amdhsa_user_sgpr_kernarg_preload_length 0
		.amdhsa_user_sgpr_kernarg_preload_offset 0
		.amdhsa_user_sgpr_private_segment_size 0
		.amdhsa_wavefront_size32 1
		.amdhsa_uses_dynamic_stack 0
		.amdhsa_enable_private_segment 0
		.amdhsa_system_sgpr_workgroup_id_x 1
		.amdhsa_system_sgpr_workgroup_id_y 0
		.amdhsa_system_sgpr_workgroup_id_z 1
		.amdhsa_system_sgpr_workgroup_info 0
		.amdhsa_system_vgpr_workitem_id 1
		.amdhsa_next_free_vgpr 76
		.amdhsa_next_free_sgpr 51
		.amdhsa_named_barrier_count 0
		.amdhsa_reserve_vcc 1
		.amdhsa_float_round_mode_32 0
		.amdhsa_float_round_mode_16_64 0
		.amdhsa_float_denorm_mode_32 3
		.amdhsa_float_denorm_mode_16_64 3
		.amdhsa_fp16_overflow 0
		.amdhsa_memory_ordered 1
		.amdhsa_forward_progress 1
		.amdhsa_inst_pref_size 23
		.amdhsa_round_robin_scheduling 0
		.amdhsa_exception_fp_ieee_invalid_op 0
		.amdhsa_exception_fp_denorm_src 0
		.amdhsa_exception_fp_ieee_div_zero 0
		.amdhsa_exception_fp_ieee_overflow 0
		.amdhsa_exception_fp_ieee_underflow 0
		.amdhsa_exception_fp_ieee_inexact 0
		.amdhsa_exception_int_div_zero 0
	.end_amdhsa_kernel
	.section	.text._ZL20rocblas_gemvn_kernelILi64ELi4ElPKfS1_KPfEviiT3_lPKT2_lT1_lS7_lS8_lS4_lPT4_lS8_li,"axG",@progbits,_ZL20rocblas_gemvn_kernelILi64ELi4ElPKfS1_KPfEviiT3_lPKT2_lT1_lS7_lS8_lS4_lPT4_lS8_li,comdat
.Lfunc_end193:
	.size	_ZL20rocblas_gemvn_kernelILi64ELi4ElPKfS1_KPfEviiT3_lPKT2_lT1_lS7_lS8_lS4_lPT4_lS8_li, .Lfunc_end193-_ZL20rocblas_gemvn_kernelILi64ELi4ElPKfS1_KPfEviiT3_lPKT2_lT1_lS7_lS8_lS4_lPT4_lS8_li
                                        ; -- End function
	.set _ZL20rocblas_gemvn_kernelILi64ELi4ElPKfS1_KPfEviiT3_lPKT2_lT1_lS7_lS8_lS4_lPT4_lS8_li.num_vgpr, 76
	.set _ZL20rocblas_gemvn_kernelILi64ELi4ElPKfS1_KPfEviiT3_lPKT2_lT1_lS7_lS8_lS4_lPT4_lS8_li.num_agpr, 0
	.set _ZL20rocblas_gemvn_kernelILi64ELi4ElPKfS1_KPfEviiT3_lPKT2_lT1_lS7_lS8_lS4_lPT4_lS8_li.numbered_sgpr, 51
	.set _ZL20rocblas_gemvn_kernelILi64ELi4ElPKfS1_KPfEviiT3_lPKT2_lT1_lS7_lS8_lS4_lPT4_lS8_li.num_named_barrier, 0
	.set _ZL20rocblas_gemvn_kernelILi64ELi4ElPKfS1_KPfEviiT3_lPKT2_lT1_lS7_lS8_lS4_lPT4_lS8_li.private_seg_size, 0
	.set _ZL20rocblas_gemvn_kernelILi64ELi4ElPKfS1_KPfEviiT3_lPKT2_lT1_lS7_lS8_lS4_lPT4_lS8_li.uses_vcc, 1
	.set _ZL20rocblas_gemvn_kernelILi64ELi4ElPKfS1_KPfEviiT3_lPKT2_lT1_lS7_lS8_lS4_lPT4_lS8_li.uses_flat_scratch, 1
	.set _ZL20rocblas_gemvn_kernelILi64ELi4ElPKfS1_KPfEviiT3_lPKT2_lT1_lS7_lS8_lS4_lPT4_lS8_li.has_dyn_sized_stack, 0
	.set _ZL20rocblas_gemvn_kernelILi64ELi4ElPKfS1_KPfEviiT3_lPKT2_lT1_lS7_lS8_lS4_lPT4_lS8_li.has_recursion, 0
	.set _ZL20rocblas_gemvn_kernelILi64ELi4ElPKfS1_KPfEviiT3_lPKT2_lT1_lS7_lS8_lS4_lPT4_lS8_li.has_indirect_call, 0
	.section	.AMDGPU.csdata,"",@progbits
; Kernel info:
; codeLenInByte = 2824
; TotalNumSgprs: 53
; NumVgprs: 76
; ScratchSize: 0
; MemoryBound: 0
; FloatMode: 240
; IeeeMode: 1
; LDSByteSize: 4096 bytes/workgroup (compile time only)
; SGPRBlocks: 0
; VGPRBlocks: 4
; NumSGPRsForWavesPerEU: 53
; NumVGPRsForWavesPerEU: 76
; NamedBarCnt: 0
; Occupancy: 12
; WaveLimiterHint : 1
; COMPUTE_PGM_RSRC2:SCRATCH_EN: 0
; COMPUTE_PGM_RSRC2:USER_SGPR: 2
; COMPUTE_PGM_RSRC2:TRAP_HANDLER: 0
; COMPUTE_PGM_RSRC2:TGID_X_EN: 1
; COMPUTE_PGM_RSRC2:TGID_Y_EN: 0
; COMPUTE_PGM_RSRC2:TGID_Z_EN: 1
; COMPUTE_PGM_RSRC2:TIDIG_COMP_CNT: 1
	.section	.text._ZL20rocblas_gemvn_kernelILi64ELi4EiPKffKPfEviiT3_lPKT2_lT1_lS7_lS8_lS4_lPT4_lS8_li,"axG",@progbits,_ZL20rocblas_gemvn_kernelILi64ELi4EiPKffKPfEviiT3_lPKT2_lT1_lS7_lS8_lS4_lPT4_lS8_li,comdat
	.globl	_ZL20rocblas_gemvn_kernelILi64ELi4EiPKffKPfEviiT3_lPKT2_lT1_lS7_lS8_lS4_lPT4_lS8_li ; -- Begin function _ZL20rocblas_gemvn_kernelILi64ELi4EiPKffKPfEviiT3_lPKT2_lT1_lS7_lS8_lS4_lPT4_lS8_li
	.p2align	8
	.type	_ZL20rocblas_gemvn_kernelILi64ELi4EiPKffKPfEviiT3_lPKT2_lT1_lS7_lS8_lS4_lPT4_lS8_li,@function
_ZL20rocblas_gemvn_kernelILi64ELi4EiPKffKPfEviiT3_lPKT2_lT1_lS7_lS8_lS4_lPT4_lS8_li: ; @_ZL20rocblas_gemvn_kernelILi64ELi4EiPKffKPfEviiT3_lPKT2_lT1_lS7_lS8_lS4_lPT4_lS8_li
; %bb.0:
	s_clause 0x1
	s_load_b64 s[2:3], s[0:1], 0x9c
	s_load_b32 s23, s[0:1], 0x88
	s_bfe_u32 s4, ttmp6, 0x40014
	s_lshr_b32 s5, ttmp7, 16
	s_add_co_i32 s4, s4, 1
	s_bfe_u32 s6, ttmp6, 0x40008
	s_mul_i32 s7, s5, s4
	s_getreg_b32 s4, hwreg(HW_REG_IB_STS2, 6, 4)
	s_add_co_i32 s6, s6, s7
	s_mov_b32 s25, 0
	s_wait_kmcnt 0x0
	s_lshr_b32 s7, s2, 16
	s_and_b32 s2, s2, 0xffff
	s_and_b32 s3, s3, 0xffff
	s_mul_i32 s2, s7, s2
	s_cmp_eq_u32 s4, 0
	s_mul_i32 s2, s2, s3
	s_cselect_b32 s24, s5, s6
	s_cmp_lg_u32 s2, 0x100
	s_cselect_b32 s2, -1, 0
	s_cmp_ge_u32 s24, s23
	s_cselect_b32 s3, -1, 0
	s_delay_alu instid0(SALU_CYCLE_1) | instskip(NEXT) | instid1(SALU_CYCLE_1)
	s_or_b32 s2, s2, s3
	s_and_b32 vcc_lo, exec_lo, s2
	s_cbranch_vccnz .LBB194_58
; %bb.1:
	s_clause 0x7
	s_load_b32 s2, s[0:1], 0x78
	s_load_b96 s[20:22], s[0:1], 0x0
	s_load_b32 s26, s[0:1], 0x58
	s_load_b128 s[8:11], s[0:1], 0x68
	s_load_b32 s27, s[0:1], 0x28
	s_load_b128 s[12:15], s[0:1], 0x38
	;; [unrolled: 2-line block ×3, first 2 shown]
	v_and_b32_e32 v6, 0x3ff, v0
	v_bfe_u32 v7, v0, 10, 10
	s_delay_alu instid0(VALU_DEP_2) | instskip(NEXT) | instid1(VALU_DEP_2)
	v_dual_mov_b32 v1, 0 :: v_dual_lshlrev_b32 v0, 2, v6
	v_lshl_add_u32 v2, v7, 6, v6
	s_delay_alu instid0(VALU_DEP_2)
	v_lshl_add_u32 v37, v7, 10, v0
	v_lshl_add_u32 v38, v7, 8, v0
	s_wait_kmcnt 0x0
	s_ashr_i32 s3, s2, 31
	s_cmp_eq_f32 s22, 0
	v_cmp_gt_u32_e64 s0, 0x100, v2
	s_mov_b32 s6, s20
	s_cselect_b32 s29, -1, 0
	s_cmp_neq_f32 s26, 1.0
	s_cselect_b32 s1, -1, 0
	s_cmp_neq_f32 s22, 0
	s_cselect_b32 s5, -1, 0
	s_bfe_u32 s7, ttmp6, 0x4000c
	s_and_b32 s31, ttmp6, 15
	s_add_co_i32 s7, s7, 1
	s_or_b32 s30, s5, s1
	s_mul_i32 s7, ttmp9, s7
	v_cndmask_b32_e64 v39, 0, 1, s5
	s_add_co_i32 s31, s31, s7
	s_cmp_eq_u32 s4, 0
	s_cselect_b32 s1, ttmp9, s31
	s_ashr_i32 s7, s20, 31
	s_lshl_b32 s31, s1, 8
	s_delay_alu instid0(SALU_CYCLE_1) | instskip(SKIP_2) | instid1(VALU_DEP_2)
	v_dual_lshlrev_b32 v36, 2, v7 :: v_dual_add_nc_u32 v0, s31, v2
	v_or_b32_e32 v5, s31, v2
	s_cmp_neq_f32 s26, 0
	v_mul_lo_u32 v9, s27, v36
	s_delay_alu instid0(VALU_DEP_3) | instskip(NEXT) | instid1(VALU_DEP_3)
	v_mul_u64_e32 v[2:3], s[2:3], v[0:1]
	v_mul_lo_u32 v4, s2, v5
	v_or_b32_e32 v40, s31, v6
	v_cmp_gt_i32_e64 s2, s20, v5
	s_cselect_b32 s33, -1, 0
	s_ashr_i32 s1, s21, 31
	v_mad_u32 v44, s28, v36, s28
	s_lshr_b32 s3, s1, 28
	v_cmp_gt_i64_e32 vcc_lo, s[6:7], v[0:1]
	s_add_co_i32 s3, s21, s3
	s_delay_alu instid0(SALU_CYCLE_1)
	s_and_b32 s34, s3, -16
	v_ashrrev_i32_e32 v5, 31, v4
	v_add_nc_u32_e32 v10, 0x80, v40
	v_add_nc_u32_e32 v11, 0xc0, v40
	;; [unrolled: 1-line block ×3, first 2 shown]
	s_sub_co_i32 s6, s21, s34
	v_cmp_gt_i32_e64 s1, s20, v40
	v_cmp_gt_i32_e64 s4, s20, v10
	v_mul_lo_u32 v10, v7, s27
	v_mul_lo_u32 v7, v7, s28
	v_or_b32_e32 v8, 2, v36
	v_cmp_gt_i32_e64 s5, s20, v11
	v_or_b32_e32 v11, 3, v36
	v_cmp_gt_i32_e64 s3, s20, v0
	s_cmp_gt_i32 s6, 0
	v_cmp_gt_i32_e64 s6, s34, v36
	v_add3_u32 v0, v9, s27, v6
	v_mad_u32 v42, s27, v11, v6
	v_mul_lo_u32 v45, s28, v11
	v_lshl_add_u32 v46, v10, 2, v6
	v_lshlrev_b32_e32 v47, 2, v7
	v_mad_u32 v41, s27, v8, v6
	v_mul_lo_u32 v43, s28, v8
	s_cselect_b32 s20, -1, 0
	s_and_b32 s35, s0, vcc_lo
	s_lshl_b32 s36, s27, 4
	s_lshl_b32 s37, s28, 4
	s_lshl_b64 s[18:19], s[18:19], 2
	s_lshl_b64 s[14:15], s[14:15], 2
	;; [unrolled: 1-line block ×3, first 2 shown]
	s_branch .LBB194_4
.LBB194_2:                              ;   in Loop: Header=BB194_4 Depth=1
	s_wait_xcnt 0x0
	s_or_b32 exec_lo, exec_lo, s7
.LBB194_3:                              ;   in Loop: Header=BB194_4 Depth=1
	s_add_co_i32 s24, s24, 0x10000
	s_delay_alu instid0(SALU_CYCLE_1)
	s_cmp_lt_u32 s24, s23
	s_cbranch_scc0 .LBB194_58
.LBB194_4:                              ; =>This Loop Header: Depth=1
                                        ;     Child Loop BB194_26 Depth 2
	s_and_not1_b32 vcc_lo, exec_lo, s30
	s_cbranch_vccnz .LBB194_3
; %bb.5:                                ;   in Loop: Header=BB194_4 Depth=1
	s_and_not1_b32 vcc_lo, exec_lo, s29
	s_cbranch_vccnz .LBB194_7
; %bb.6:                                ;   in Loop: Header=BB194_4 Depth=1
	v_mov_b64_e32 v[10:11], 0
	v_mov_b64_e32 v[8:9], 0
	s_cbranch_execz .LBB194_8
	s_branch .LBB194_9
.LBB194_7:                              ;   in Loop: Header=BB194_4 Depth=1
	v_mov_b64_e32 v[10:11], 0
	v_mov_b64_e32 v[8:9], 0
.LBB194_8:                              ;   in Loop: Header=BB194_4 Depth=1
	s_lshl_b64 s[38:39], s[24:25], 3
	s_delay_alu instid0(SALU_CYCLE_1)
	s_add_nc_u64 s[38:39], s[16:17], s[38:39]
	global_load_b64 v[6:7], v1, s[38:39]
	s_wait_loadcnt 0x0
	v_add_nc_u64_e32 v[8:9], s[18:19], v[6:7]
.LBB194_9:                              ;   in Loop: Header=BB194_4 Depth=1
	v_cmp_ne_u32_e32 vcc_lo, 1, v39
	s_cbranch_vccnz .LBB194_11
; %bb.10:                               ;   in Loop: Header=BB194_4 Depth=1
	s_wait_xcnt 0x0
	s_lshl_b64 s[38:39], s[24:25], 3
	s_delay_alu instid0(SALU_CYCLE_1)
	s_add_nc_u64 s[38:39], s[12:13], s[38:39]
	global_load_b64 v[6:7], v1, s[38:39]
	s_wait_loadcnt 0x0
	v_add_nc_u64_e32 v[10:11], s[14:15], v[6:7]
.LBB194_11:                             ;   in Loop: Header=BB194_4 Depth=1
	s_wait_xcnt 0x0
	s_lshl_b64 s[38:39], s[24:25], 3
	s_and_not1_b32 vcc_lo, exec_lo, s29
	s_add_nc_u64 s[38:39], s[8:9], s[38:39]
	global_load_b64 v[6:7], v1, s[38:39]
	s_wait_loadcnt 0x0
	v_add_nc_u64_e32 v[6:7], s[10:11], v[6:7]
	s_cbranch_vccnz .LBB194_15
; %bb.12:                               ;   in Loop: Header=BB194_4 Depth=1
	s_mov_b32 s7, 0
	s_wait_xcnt 0x0
	s_mov_b32 s38, 0
                                        ; implicit-def: $vgpr12
	s_and_saveexec_b32 s39, s35
	s_cbranch_execz .LBB194_16
; %bb.13:                               ;   in Loop: Header=BB194_4 Depth=1
	s_and_not1_b32 vcc_lo, exec_lo, s33
	s_cbranch_vccnz .LBB194_18
; %bb.14:                               ;   in Loop: Header=BB194_4 Depth=1
	v_lshl_add_u64 v[12:13], v[2:3], 2, v[6:7]
	flat_load_b32 v12, v[12:13]
	s_wait_loadcnt_dscnt 0x0
	s_wait_xcnt 0x0
	v_mul_f32_e32 v12, s26, v12
	s_branch .LBB194_19
.LBB194_15:                             ;   in Loop: Header=BB194_4 Depth=1
	s_wait_xcnt 0x0
	s_mov_b32 s38, 0
                                        ; implicit-def: $vgpr12
	s_cbranch_execz .LBB194_17
	s_branch .LBB194_20
.LBB194_16:                             ;   in Loop: Header=BB194_4 Depth=1
	s_or_b32 exec_lo, exec_lo, s39
	s_delay_alu instid0(SALU_CYCLE_1)
	s_and_b32 vcc_lo, exec_lo, s7
	s_cbranch_vccnz .LBB194_20
.LBB194_17:                             ;   in Loop: Header=BB194_4 Depth=1
	v_mov_b64_e32 v[8:9], v[2:3]
	s_and_saveexec_b32 s7, s38
	s_cbranch_execz .LBB194_2
	s_branch .LBB194_57
.LBB194_18:                             ;   in Loop: Header=BB194_4 Depth=1
	v_mov_b32_e32 v12, 0
.LBB194_19:                             ;   in Loop: Header=BB194_4 Depth=1
	s_mov_b32 s38, exec_lo
	s_or_b32 exec_lo, exec_lo, s39
	s_delay_alu instid0(SALU_CYCLE_1)
	s_and_b32 vcc_lo, exec_lo, s7
	s_cbranch_vccz .LBB194_17
.LBB194_20:                             ;   in Loop: Header=BB194_4 Depth=1
	v_dual_mov_b32 v48, 0 :: v_dual_mov_b32 v52, v36
	v_dual_mov_b32 v49, 0 :: v_dual_mov_b32 v50, 0
	v_mov_b32_e32 v51, 0
	s_and_saveexec_b32 s7, s6
	s_cbranch_execz .LBB194_32
; %bb.21:                               ;   in Loop: Header=BB194_4 Depth=1
	v_dual_mov_b32 v48, 0 :: v_dual_mov_b32 v53, v46
	v_dual_mov_b32 v54, v42 :: v_dual_mov_b32 v55, v41
	;; [unrolled: 1-line block ×4, first 2 shown]
	v_mov_b32_e32 v51, 0
	s_mov_b32 s39, 0
	s_mov_b32 s40, 0
	s_branch .LBB194_26
.LBB194_22:                             ;   in Loop: Header=BB194_26 Depth=2
	s_wait_xcnt 0x0
	s_or_b32 exec_lo, exec_lo, s44
	s_wait_loadcnt_dscnt 0x202
	v_pk_mul_f32 v[26:27], v[16:17], v[26:27]
	s_wait_loadcnt_dscnt 0x0
	v_pk_mul_f32 v[24:25], v[12:13], v[24:25]
	s_delay_alu instid0(VALU_DEP_2) | instskip(NEXT) | instid1(VALU_DEP_1)
	v_add_f32_e32 v26, v50, v26
	v_add_f32_e32 v26, v26, v27
	s_delay_alu instid0(VALU_DEP_1) | instskip(NEXT) | instid1(VALU_DEP_1)
	v_add_f32_e32 v24, v26, v24
	v_add_f32_e32 v50, v24, v25
.LBB194_23:                             ;   in Loop: Header=BB194_26 Depth=2
	s_or_b32 exec_lo, exec_lo, s43
	s_wait_loadcnt_dscnt 0x202
	v_pk_mul_f32 v[22:23], v[16:17], v[22:23]
	s_wait_loadcnt_dscnt 0x0
	v_pk_mul_f32 v[20:21], v[12:13], v[20:21]
	s_delay_alu instid0(VALU_DEP_2) | instskip(NEXT) | instid1(VALU_DEP_1)
	v_add_f32_e32 v22, v49, v22
	v_add_f32_e32 v22, v22, v23
	s_delay_alu instid0(VALU_DEP_1) | instskip(NEXT) | instid1(VALU_DEP_1)
	v_add_f32_e32 v20, v22, v20
	v_add_f32_e32 v49, v20, v21
.LBB194_24:                             ;   in Loop: Header=BB194_26 Depth=2
	s_or_b32 exec_lo, exec_lo, s42
	s_wait_loadcnt_dscnt 0x202
	v_pk_mul_f32 v[16:17], v[16:17], v[18:19]
	s_wait_loadcnt_dscnt 0x0
	v_pk_mul_f32 v[12:13], v[12:13], v[14:15]
	s_delay_alu instid0(VALU_DEP_2) | instskip(NEXT) | instid1(VALU_DEP_1)
	v_add_f32_e32 v16, v48, v16
	v_add_f32_e32 v16, v16, v17
	s_delay_alu instid0(VALU_DEP_1) | instskip(NEXT) | instid1(VALU_DEP_1)
	v_add_f32_e32 v12, v16, v12
	v_add_f32_e32 v48, v12, v13
.LBB194_25:                             ;   in Loop: Header=BB194_26 Depth=2
	s_or_b32 exec_lo, exec_lo, s41
	v_dual_add_nc_u32 v52, 16, v52 :: v_dual_add_nc_u32 v55, s36, v55
	v_dual_add_nc_u32 v56, s36, v56 :: v_dual_add_nc_u32 v54, s36, v54
	v_add_nc_u32_e32 v53, s36, v53
	s_delay_alu instid0(VALU_DEP_3) | instskip(SKIP_2) | instid1(SALU_CYCLE_1)
	v_cmp_le_i32_e32 vcc_lo, s34, v52
	s_add_co_i32 s40, s40, s37
	s_or_b32 s39, vcc_lo, s39
	s_and_not1_b32 exec_lo, exec_lo, s39
	s_cbranch_execz .LBB194_31
.LBB194_26:                             ;   Parent Loop BB194_4 Depth=1
                                        ; =>  This Inner Loop Header: Depth=2
	s_and_saveexec_b32 s41, s1
	s_cbranch_execz .LBB194_25
; %bb.27:                               ;   in Loop: Header=BB194_26 Depth=2
	v_dual_add_nc_u32 v21, s40, v45 :: v_dual_add_nc_u32 v23, s40, v43
	v_readfirstlane_b32 s42, v10
	v_readfirstlane_b32 s43, v11
	v_dual_add_nc_u32 v25, s40, v44 :: v_dual_add_nc_u32 v27, s40, v47
	v_dual_add_nc_u32 v20, s31, v53 :: v_dual_add_nc_u32 v22, s31, v56
	v_readfirstlane_b32 s44, v8
	v_readfirstlane_b32 s45, v9
	v_dual_add_nc_u32 v26, s31, v55 :: v_dual_add_nc_u32 v24, s31, v54
	s_clause 0x3
	flat_load_b32 v13, v21, s[42:43] scale_offset
	flat_load_b32 v12, v23, s[42:43] scale_offset
	;; [unrolled: 1-line block ×4, first 2 shown]
	s_clause 0x3
	flat_load_b32 v18, v20, s[44:45] scale_offset
	flat_load_b32 v19, v22, s[44:45] scale_offset
	;; [unrolled: 1-line block ×4, first 2 shown]
	s_wait_xcnt 0x0
	s_and_saveexec_b32 s42, s3
	s_cbranch_execz .LBB194_24
; %bb.28:                               ;   in Loop: Header=BB194_26 Depth=2
	v_dual_ashrrev_i32 v21, 31, v20 :: v_dual_ashrrev_i32 v23, 31, v22
	v_dual_ashrrev_i32 v27, 31, v26 :: v_dual_ashrrev_i32 v25, 31, v24
	s_delay_alu instid0(VALU_DEP_2) | instskip(NEXT) | instid1(VALU_DEP_3)
	v_lshl_add_u64 v[28:29], v[20:21], 2, v[8:9]
	v_lshl_add_u64 v[30:31], v[22:23], 2, v[8:9]
	s_delay_alu instid0(VALU_DEP_3) | instskip(NEXT) | instid1(VALU_DEP_4)
	v_lshl_add_u64 v[32:33], v[26:27], 2, v[8:9]
	v_lshl_add_u64 v[34:35], v[24:25], 2, v[8:9]
	s_clause 0x3
	flat_load_b32 v22, v[28:29] offset:256
	flat_load_b32 v23, v[30:31] offset:256
	;; [unrolled: 1-line block ×4, first 2 shown]
	s_wait_xcnt 0x0
	s_and_saveexec_b32 s43, s4
	s_cbranch_execz .LBB194_23
; %bb.29:                               ;   in Loop: Header=BB194_26 Depth=2
	s_clause 0x3
	flat_load_b32 v26, v[28:29] offset:512
	flat_load_b32 v27, v[30:31] offset:512
	;; [unrolled: 1-line block ×4, first 2 shown]
	s_wait_xcnt 0x0
	s_and_saveexec_b32 s44, s5
	s_cbranch_execz .LBB194_22
; %bb.30:                               ;   in Loop: Header=BB194_26 Depth=2
	s_clause 0x3
	flat_load_b32 v58, v[28:29] offset:768
	flat_load_b32 v59, v[30:31] offset:768
	;; [unrolled: 1-line block ×4, first 2 shown]
	s_wait_loadcnt_dscnt 0x202
	s_wait_xcnt 0x3
	v_pk_mul_f32 v[28:29], v[16:17], v[58:59]
	s_delay_alu instid0(VALU_DEP_1) | instskip(SKIP_1) | instid1(VALU_DEP_1)
	v_add_f32_e32 v28, v51, v28
	s_wait_xcnt 0x2
	v_add_f32_e32 v30, v28, v29
	s_wait_loadcnt_dscnt 0x0
	v_pk_mul_f32 v[28:29], v[12:13], v[60:61]
	s_delay_alu instid0(VALU_DEP_1) | instskip(NEXT) | instid1(VALU_DEP_1)
	v_add_f32_e32 v28, v30, v28
	v_add_f32_e32 v51, v28, v29
	s_branch .LBB194_22
.LBB194_31:                             ;   in Loop: Header=BB194_4 Depth=1
	s_or_b32 exec_lo, exec_lo, s39
.LBB194_32:                             ;   in Loop: Header=BB194_4 Depth=1
	s_delay_alu instid0(SALU_CYCLE_1) | instskip(NEXT) | instid1(SALU_CYCLE_1)
	s_or_b32 exec_lo, exec_lo, s7
	s_and_not1_b32 vcc_lo, exec_lo, s20
	s_cbranch_vccnz .LBB194_50
; %bb.33:                               ;   in Loop: Header=BB194_4 Depth=1
	v_dual_mov_b32 v14, 0 :: v_dual_bitop2_b32 v16, 1, v52 bitop3:0x54
	v_cmp_gt_i32_e32 vcc_lo, s21, v52
	s_delay_alu instid0(VALU_DEP_2)
	v_dual_mov_b32 v15, v14 :: v_dual_mov_b32 v12, v14
	v_mov_b32_e32 v13, v14
	s_and_saveexec_b32 s39, vcc_lo
	s_cbranch_execz .LBB194_41
; %bb.34:                               ;   in Loop: Header=BB194_4 Depth=1
	v_mul_lo_u32 v12, v52, s28
	v_readfirstlane_b32 s40, v10
	v_readfirstlane_b32 s41, v11
	v_dual_mov_b32 v13, 0 :: v_dual_mov_b32 v15, 0
	v_mov_b32_e32 v14, 0
	flat_load_b32 v12, v12, s[40:41] scale_offset
	s_wait_xcnt 0x0
	s_mov_b32 s40, exec_lo
	v_cmpx_gt_i32_e64 s21, v16
	s_cbranch_execz .LBB194_40
; %bb.35:                               ;   in Loop: Header=BB194_4 Depth=1
	v_mul_lo_u32 v13, v16, s28
	v_readfirstlane_b32 s42, v10
	v_readfirstlane_b32 s43, v11
	v_dual_mov_b32 v15, 0 :: v_dual_bitop2_b32 v17, 2, v52 bitop3:0x54
	v_mov_b32_e32 v14, 0
	s_mov_b32 s41, exec_lo
	flat_load_b32 v13, v13, s[42:43] scale_offset
	s_wait_xcnt 0x0
	v_cmpx_gt_i32_e64 s21, v17
	s_cbranch_execz .LBB194_39
; %bb.36:                               ;   in Loop: Header=BB194_4 Depth=1
	v_mul_lo_u32 v14, v17, s28
	v_readfirstlane_b32 s42, v10
	v_readfirstlane_b32 s43, v11
	v_dual_mov_b32 v15, 0 :: v_dual_bitop2_b32 v17, 3, v52 bitop3:0x54
	flat_load_b32 v14, v14, s[42:43] scale_offset
	s_wait_xcnt 0x0
	s_mov_b32 s42, exec_lo
	v_cmpx_gt_i32_e64 s21, v17
	s_cbranch_execz .LBB194_38
; %bb.37:                               ;   in Loop: Header=BB194_4 Depth=1
	v_mul_lo_u32 v15, v17, s28
	v_readfirstlane_b32 s44, v10
	v_readfirstlane_b32 s45, v11
	flat_load_b32 v15, v15, s[44:45] scale_offset
.LBB194_38:                             ;   in Loop: Header=BB194_4 Depth=1
	s_wait_xcnt 0x0
	s_or_b32 exec_lo, exec_lo, s42
.LBB194_39:                             ;   in Loop: Header=BB194_4 Depth=1
	s_delay_alu instid0(SALU_CYCLE_1)
	s_or_b32 exec_lo, exec_lo, s41
.LBB194_40:                             ;   in Loop: Header=BB194_4 Depth=1
	s_delay_alu instid0(SALU_CYCLE_1)
	s_or_b32 exec_lo, exec_lo, s40
.LBB194_41:                             ;   in Loop: Header=BB194_4 Depth=1
	s_delay_alu instid0(SALU_CYCLE_1)
	s_or_b32 exec_lo, exec_lo, s39
	s_and_saveexec_b32 s7, s1
	s_cbranch_execz .LBB194_49
; %bb.42:                               ;   in Loop: Header=BB194_4 Depth=1
	v_mul_lo_u32 v11, v52, s27
	v_mul_lo_u32 v18, v16, s27
	v_or_b32_e32 v10, 2, v52
	v_readfirstlane_b32 s40, v8
	v_readfirstlane_b32 s41, v9
	v_cndmask_b32_e32 v11, 0, v11, vcc_lo
	s_delay_alu instid0(VALU_DEP_4) | instskip(SKIP_2) | instid1(VALU_DEP_1)
	v_mul_lo_u32 v19, v10, s27
	v_cmp_gt_i32_e32 vcc_lo, s21, v16
	v_dual_cndmask_b32 v16, 0, v18, vcc_lo :: v_dual_bitop2_b32 v17, 3, v52 bitop3:0x54
	v_mul_lo_u32 v20, v17, s27
	v_cmp_gt_i32_e32 vcc_lo, s21, v10
	s_delay_alu instid0(VALU_DEP_3) | instskip(SKIP_1) | instid1(VALU_DEP_4)
	v_dual_add_nc_u32 v22, v16, v40 :: v_dual_cndmask_b32 v10, 0, v19, vcc_lo
	v_cmp_gt_i32_e32 vcc_lo, s21, v17
	v_cndmask_b32_e32 v17, 0, v20, vcc_lo
	s_delay_alu instid0(VALU_DEP_3) | instskip(NEXT) | instid1(VALU_DEP_2)
	v_dual_add_nc_u32 v20, v11, v40 :: v_dual_add_nc_u32 v26, v10, v40
	v_add_nc_u32_e32 v18, v17, v40
	s_clause 0x3
	flat_load_b32 v16, v20, s[40:41] scale_offset
	flat_load_b32 v17, v22, s[40:41] scale_offset
	;; [unrolled: 1-line block ×4, first 2 shown]
	s_wait_xcnt 0x0
	s_and_saveexec_b32 s39, s3
	s_cbranch_execz .LBB194_48
; %bb.43:                               ;   in Loop: Header=BB194_4 Depth=1
	v_dual_ashrrev_i32 v21, 31, v20 :: v_dual_ashrrev_i32 v23, 31, v22
	v_ashrrev_i32_e32 v27, 31, v26
	v_ashrrev_i32_e32 v19, 31, v18
	s_delay_alu instid0(VALU_DEP_3) | instskip(NEXT) | instid1(VALU_DEP_4)
	v_lshl_add_u64 v[20:21], v[20:21], 2, v[8:9]
	v_lshl_add_u64 v[24:25], v[22:23], 2, v[8:9]
	s_delay_alu instid0(VALU_DEP_4) | instskip(NEXT) | instid1(VALU_DEP_4)
	v_lshl_add_u64 v[26:27], v[26:27], 2, v[8:9]
	v_lshl_add_u64 v[30:31], v[18:19], 2, v[8:9]
	s_clause 0x3
	flat_load_b32 v18, v[20:21] offset:256
	flat_load_b32 v19, v[24:25] offset:256
	;; [unrolled: 1-line block ×4, first 2 shown]
	s_wait_xcnt 0x0
	s_and_saveexec_b32 s40, s4
	s_cbranch_execz .LBB194_47
; %bb.44:                               ;   in Loop: Header=BB194_4 Depth=1
	s_clause 0x3
	flat_load_b32 v28, v[20:21] offset:512
	flat_load_b32 v29, v[24:25] offset:512
	;; [unrolled: 1-line block ×4, first 2 shown]
	s_wait_xcnt 0x0
	s_and_saveexec_b32 s41, s5
	s_cbranch_execz .LBB194_46
; %bb.45:                               ;   in Loop: Header=BB194_4 Depth=1
	s_clause 0x3
	flat_load_b32 v32, v[20:21] offset:768
	flat_load_b32 v33, v[24:25] offset:768
	;; [unrolled: 1-line block ×4, first 2 shown]
	s_wait_loadcnt_dscnt 0x202
	s_wait_xcnt 0x3
	v_pk_mul_f32 v[20:21], v[12:13], v[32:33]
	s_delay_alu instid0(VALU_DEP_1) | instskip(SKIP_1) | instid1(VALU_DEP_1)
	v_add_f32_e32 v20, v51, v20
	s_wait_xcnt 0x2
	v_add_f32_e32 v24, v20, v21
	s_wait_loadcnt_dscnt 0x0
	v_pk_mul_f32 v[20:21], v[14:15], v[34:35]
	s_delay_alu instid0(VALU_DEP_1) | instskip(NEXT) | instid1(VALU_DEP_1)
	v_add_f32_e32 v20, v24, v20
	v_add_f32_e32 v51, v20, v21
.LBB194_46:                             ;   in Loop: Header=BB194_4 Depth=1
	s_wait_xcnt 0x0
	s_or_b32 exec_lo, exec_lo, s41
	s_wait_loadcnt_dscnt 0x202
	v_pk_mul_f32 v[20:21], v[12:13], v[28:29]
	s_delay_alu instid0(VALU_DEP_1) | instskip(NEXT) | instid1(VALU_DEP_1)
	v_add_f32_e32 v20, v50, v20
	v_add_f32_e32 v24, v20, v21
	s_wait_loadcnt_dscnt 0x0
	v_pk_mul_f32 v[20:21], v[14:15], v[22:23]
	s_delay_alu instid0(VALU_DEP_1) | instskip(NEXT) | instid1(VALU_DEP_1)
	v_add_f32_e32 v20, v24, v20
	v_add_f32_e32 v50, v20, v21
.LBB194_47:                             ;   in Loop: Header=BB194_4 Depth=1
	s_or_b32 exec_lo, exec_lo, s40
	s_wait_loadcnt_dscnt 0x202
	v_pk_mul_f32 v[18:19], v[12:13], v[18:19]
	s_wait_loadcnt_dscnt 0x0
	v_pk_mul_f32 v[8:9], v[14:15], v[8:9]
	s_delay_alu instid0(VALU_DEP_2) | instskip(NEXT) | instid1(VALU_DEP_1)
	v_add_f32_e32 v18, v49, v18
	v_add_f32_e32 v18, v18, v19
	s_delay_alu instid0(VALU_DEP_1) | instskip(NEXT) | instid1(VALU_DEP_1)
	v_add_f32_e32 v8, v18, v8
	v_add_f32_e32 v49, v8, v9
.LBB194_48:                             ;   in Loop: Header=BB194_4 Depth=1
	s_or_b32 exec_lo, exec_lo, s39
	s_wait_loadcnt_dscnt 0x202
	v_pk_mul_f32 v[8:9], v[12:13], v[16:17]
	s_delay_alu instid0(VALU_DEP_1) | instskip(NEXT) | instid1(VALU_DEP_1)
	v_add_f32_e32 v8, v48, v8
	v_add_f32_e32 v12, v8, v9
	s_wait_loadcnt_dscnt 0x0
	v_pk_mul_f32 v[8:9], v[14:15], v[10:11]
	s_delay_alu instid0(VALU_DEP_1) | instskip(NEXT) | instid1(VALU_DEP_1)
	v_add_f32_e32 v8, v12, v8
	v_add_f32_e32 v48, v8, v9
.LBB194_49:                             ;   in Loop: Header=BB194_4 Depth=1
	s_or_b32 exec_lo, exec_lo, s7
.LBB194_50:                             ;   in Loop: Header=BB194_4 Depth=1
	ds_store_2addr_stride64_b32 v37, v48, v49 offset1:1
	ds_store_2addr_stride64_b32 v37, v50, v51 offset0:2 offset1:3
	s_wait_loadcnt_dscnt 0x0
	s_barrier_signal -1
	s_barrier_wait -1
                                        ; implicit-def: $vgpr12
	s_and_saveexec_b32 s7, s0
	s_cbranch_execz .LBB194_56
; %bb.51:                               ;   in Loop: Header=BB194_4 Depth=1
	ds_load_2addr_stride64_b32 v[8:9], v38 offset1:4
	ds_load_2addr_stride64_b32 v[10:11], v38 offset0:8 offset1:12
	s_mov_b32 s40, s38
                                        ; implicit-def: $vgpr12
	s_wait_dscnt 0x1
	v_add_f32_e32 v8, v8, v9
	s_wait_dscnt 0x0
	s_delay_alu instid0(VALU_DEP_1) | instskip(NEXT) | instid1(VALU_DEP_1)
	v_add_f32_e32 v8, v10, v8
	v_add_f32_e32 v8, v11, v8
	ds_store_b32 v38, v8
	s_and_saveexec_b32 s39, s2
	s_cbranch_execz .LBB194_55
; %bb.52:                               ;   in Loop: Header=BB194_4 Depth=1
	v_mul_f32_e32 v12, s22, v8
	s_and_not1_b32 vcc_lo, exec_lo, s33
	s_cbranch_vccnz .LBB194_54
; %bb.53:                               ;   in Loop: Header=BB194_4 Depth=1
	v_lshl_add_u64 v[8:9], v[4:5], 2, v[6:7]
	flat_load_b32 v8, v[8:9]
	s_wait_loadcnt_dscnt 0x0
	v_fmac_f32_e32 v12, s26, v8
.LBB194_54:                             ;   in Loop: Header=BB194_4 Depth=1
	s_or_b32 s40, s38, exec_lo
.LBB194_55:                             ;   in Loop: Header=BB194_4 Depth=1
	s_wait_xcnt 0x0
	s_or_b32 exec_lo, exec_lo, s39
	s_delay_alu instid0(SALU_CYCLE_1) | instskip(SKIP_1) | instid1(SALU_CYCLE_1)
	s_and_not1_b32 s38, s38, exec_lo
	s_and_b32 s39, s40, exec_lo
	s_or_b32 s38, s38, s39
.LBB194_56:                             ;   in Loop: Header=BB194_4 Depth=1
	s_or_b32 exec_lo, exec_lo, s7
	v_mov_b64_e32 v[8:9], v[4:5]
	s_and_saveexec_b32 s7, s38
	s_cbranch_execz .LBB194_2
.LBB194_57:                             ;   in Loop: Header=BB194_4 Depth=1
	s_delay_alu instid0(VALU_DEP_1)
	v_lshl_add_u64 v[6:7], v[8:9], 2, v[6:7]
	flat_store_b32 v[6:7], v12
	s_branch .LBB194_2
.LBB194_58:
	s_endpgm
	.section	.rodata,"a",@progbits
	.p2align	6, 0x0
	.amdhsa_kernel _ZL20rocblas_gemvn_kernelILi64ELi4EiPKffKPfEviiT3_lPKT2_lT1_lS7_lS8_lS4_lPT4_lS8_li
		.amdhsa_group_segment_fixed_size 4096
		.amdhsa_private_segment_fixed_size 0
		.amdhsa_kernarg_size 400
		.amdhsa_user_sgpr_count 2
		.amdhsa_user_sgpr_dispatch_ptr 0
		.amdhsa_user_sgpr_queue_ptr 0
		.amdhsa_user_sgpr_kernarg_segment_ptr 1
		.amdhsa_user_sgpr_dispatch_id 0
		.amdhsa_user_sgpr_kernarg_preload_length 0
		.amdhsa_user_sgpr_kernarg_preload_offset 0
		.amdhsa_user_sgpr_private_segment_size 0
		.amdhsa_wavefront_size32 1
		.amdhsa_uses_dynamic_stack 0
		.amdhsa_enable_private_segment 0
		.amdhsa_system_sgpr_workgroup_id_x 1
		.amdhsa_system_sgpr_workgroup_id_y 0
		.amdhsa_system_sgpr_workgroup_id_z 1
		.amdhsa_system_sgpr_workgroup_info 0
		.amdhsa_system_vgpr_workitem_id 1
		.amdhsa_next_free_vgpr 62
		.amdhsa_next_free_sgpr 46
		.amdhsa_named_barrier_count 0
		.amdhsa_reserve_vcc 1
		.amdhsa_float_round_mode_32 0
		.amdhsa_float_round_mode_16_64 0
		.amdhsa_float_denorm_mode_32 3
		.amdhsa_float_denorm_mode_16_64 3
		.amdhsa_fp16_overflow 0
		.amdhsa_memory_ordered 1
		.amdhsa_forward_progress 1
		.amdhsa_inst_pref_size 23
		.amdhsa_round_robin_scheduling 0
		.amdhsa_exception_fp_ieee_invalid_op 0
		.amdhsa_exception_fp_denorm_src 0
		.amdhsa_exception_fp_ieee_div_zero 0
		.amdhsa_exception_fp_ieee_overflow 0
		.amdhsa_exception_fp_ieee_underflow 0
		.amdhsa_exception_fp_ieee_inexact 0
		.amdhsa_exception_int_div_zero 0
	.end_amdhsa_kernel
	.section	.text._ZL20rocblas_gemvn_kernelILi64ELi4EiPKffKPfEviiT3_lPKT2_lT1_lS7_lS8_lS4_lPT4_lS8_li,"axG",@progbits,_ZL20rocblas_gemvn_kernelILi64ELi4EiPKffKPfEviiT3_lPKT2_lT1_lS7_lS8_lS4_lPT4_lS8_li,comdat
.Lfunc_end194:
	.size	_ZL20rocblas_gemvn_kernelILi64ELi4EiPKffKPfEviiT3_lPKT2_lT1_lS7_lS8_lS4_lPT4_lS8_li, .Lfunc_end194-_ZL20rocblas_gemvn_kernelILi64ELi4EiPKffKPfEviiT3_lPKT2_lT1_lS7_lS8_lS4_lPT4_lS8_li
                                        ; -- End function
	.set _ZL20rocblas_gemvn_kernelILi64ELi4EiPKffKPfEviiT3_lPKT2_lT1_lS7_lS8_lS4_lPT4_lS8_li.num_vgpr, 62
	.set _ZL20rocblas_gemvn_kernelILi64ELi4EiPKffKPfEviiT3_lPKT2_lT1_lS7_lS8_lS4_lPT4_lS8_li.num_agpr, 0
	.set _ZL20rocblas_gemvn_kernelILi64ELi4EiPKffKPfEviiT3_lPKT2_lT1_lS7_lS8_lS4_lPT4_lS8_li.numbered_sgpr, 46
	.set _ZL20rocblas_gemvn_kernelILi64ELi4EiPKffKPfEviiT3_lPKT2_lT1_lS7_lS8_lS4_lPT4_lS8_li.num_named_barrier, 0
	.set _ZL20rocblas_gemvn_kernelILi64ELi4EiPKffKPfEviiT3_lPKT2_lT1_lS7_lS8_lS4_lPT4_lS8_li.private_seg_size, 0
	.set _ZL20rocblas_gemvn_kernelILi64ELi4EiPKffKPfEviiT3_lPKT2_lT1_lS7_lS8_lS4_lPT4_lS8_li.uses_vcc, 1
	.set _ZL20rocblas_gemvn_kernelILi64ELi4EiPKffKPfEviiT3_lPKT2_lT1_lS7_lS8_lS4_lPT4_lS8_li.uses_flat_scratch, 1
	.set _ZL20rocblas_gemvn_kernelILi64ELi4EiPKffKPfEviiT3_lPKT2_lT1_lS7_lS8_lS4_lPT4_lS8_li.has_dyn_sized_stack, 0
	.set _ZL20rocblas_gemvn_kernelILi64ELi4EiPKffKPfEviiT3_lPKT2_lT1_lS7_lS8_lS4_lPT4_lS8_li.has_recursion, 0
	.set _ZL20rocblas_gemvn_kernelILi64ELi4EiPKffKPfEviiT3_lPKT2_lT1_lS7_lS8_lS4_lPT4_lS8_li.has_indirect_call, 0
	.section	.AMDGPU.csdata,"",@progbits
; Kernel info:
; codeLenInByte = 2916
; TotalNumSgprs: 48
; NumVgprs: 62
; ScratchSize: 0
; MemoryBound: 0
; FloatMode: 240
; IeeeMode: 1
; LDSByteSize: 4096 bytes/workgroup (compile time only)
; SGPRBlocks: 0
; VGPRBlocks: 3
; NumSGPRsForWavesPerEU: 48
; NumVGPRsForWavesPerEU: 62
; NamedBarCnt: 0
; Occupancy: 16
; WaveLimiterHint : 1
; COMPUTE_PGM_RSRC2:SCRATCH_EN: 0
; COMPUTE_PGM_RSRC2:USER_SGPR: 2
; COMPUTE_PGM_RSRC2:TRAP_HANDLER: 0
; COMPUTE_PGM_RSRC2:TGID_X_EN: 1
; COMPUTE_PGM_RSRC2:TGID_Y_EN: 0
; COMPUTE_PGM_RSRC2:TGID_Z_EN: 1
; COMPUTE_PGM_RSRC2:TIDIG_COMP_CNT: 1
	.section	.text._ZL20rocblas_gemvn_kernelILi64ELi4ElPKffKPfEviiT3_lPKT2_lT1_lS7_lS8_lS4_lPT4_lS8_li,"axG",@progbits,_ZL20rocblas_gemvn_kernelILi64ELi4ElPKffKPfEviiT3_lPKT2_lT1_lS7_lS8_lS4_lPT4_lS8_li,comdat
	.globl	_ZL20rocblas_gemvn_kernelILi64ELi4ElPKffKPfEviiT3_lPKT2_lT1_lS7_lS8_lS4_lPT4_lS8_li ; -- Begin function _ZL20rocblas_gemvn_kernelILi64ELi4ElPKffKPfEviiT3_lPKT2_lT1_lS7_lS8_lS4_lPT4_lS8_li
	.p2align	8
	.type	_ZL20rocblas_gemvn_kernelILi64ELi4ElPKffKPfEviiT3_lPKT2_lT1_lS7_lS8_lS4_lPT4_lS8_li,@function
_ZL20rocblas_gemvn_kernelILi64ELi4ElPKffKPfEviiT3_lPKT2_lT1_lS7_lS8_lS4_lPT4_lS8_li: ; @_ZL20rocblas_gemvn_kernelILi64ELi4ElPKffKPfEviiT3_lPKT2_lT1_lS7_lS8_lS4_lPT4_lS8_li
; %bb.0:
	s_clause 0x1
	s_load_b64 s[2:3], s[0:1], 0x9c
	s_load_b32 s27, s[0:1], 0x88
	s_bfe_u32 s4, ttmp6, 0x40014
	s_lshr_b32 s5, ttmp7, 16
	s_add_co_i32 s4, s4, 1
	s_bfe_u32 s6, ttmp6, 0x40008
	s_mul_i32 s7, s5, s4
	s_getreg_b32 s4, hwreg(HW_REG_IB_STS2, 6, 4)
	s_add_co_i32 s6, s6, s7
	s_mov_b32 s11, 0
	s_wait_kmcnt 0x0
	s_lshr_b32 s7, s2, 16
	s_and_b32 s2, s2, 0xffff
	s_and_b32 s3, s3, 0xffff
	s_mul_i32 s2, s7, s2
	s_cmp_eq_u32 s4, 0
	s_mul_i32 s2, s2, s3
	s_cselect_b32 s10, s5, s6
	s_cmp_lg_u32 s2, 0x100
	s_cselect_b32 s2, -1, 0
	s_cmp_ge_u32 s10, s27
	s_cselect_b32 s3, -1, 0
	s_delay_alu instid0(SALU_CYCLE_1) | instskip(NEXT) | instid1(SALU_CYCLE_1)
	s_or_b32 s2, s2, s3
	s_and_b32 vcc_lo, exec_lo, s2
	s_cbranch_vccnz .LBB195_58
; %bb.1:
	s_clause 0x7
	s_load_b96 s[24:26], s[0:1], 0x0
	s_load_b32 s33, s[0:1], 0x58
	s_load_b64 s[28:29], s[0:1], 0x48
	s_load_b128 s[12:15], s[0:1], 0x18
	s_load_b64 s[30:31], s[0:1], 0x28
	s_load_b128 s[16:19], s[0:1], 0x38
	;; [unrolled: 2-line block ×3, first 2 shown]
	v_bfe_u32 v4, v0, 10, 10
	v_and_b32_e32 v15, 0x3ff, v0
	s_delay_alu instid0(VALU_DEP_2) | instskip(NEXT) | instid1(VALU_DEP_2)
	v_dual_mov_b32 v1, 0 :: v_dual_lshlrev_b32 v64, 2, v4
	v_lshl_add_u32 v14, v4, 6, v15
	s_delay_alu instid0(VALU_DEP_2) | instskip(NEXT) | instid1(VALU_DEP_1)
	v_dual_mov_b32 v5, v1 :: v_dual_lshlrev_b32 v20, 2, v15
	v_lshl_add_u32 v66, v4, 10, v20
	s_wait_kmcnt 0x0
	s_cmp_eq_f32 s26, 0
	v_lshl_add_u32 v67, v4, 8, v20
	v_mad_nc_u64_u32 v[6:7], s28, v64, s[28:29]
	v_mul_u64_e32 v[10:11], s[28:29], v[4:5]
	s_cselect_b32 s38, -1, 0
	s_cmp_neq_f32 s33, 1.0
	v_mad_nc_u64_u32 v[8:9], s30, v64, s[30:31]
	v_mul_u64_e32 v[12:13], s[30:31], v[4:5]
	s_cselect_b32 s0, -1, 0
	s_cmp_neq_f32 s26, 0
	s_delay_alu instid0(VALU_DEP_4)
	v_mad_u32 v7, s29, v64, v7
	s_cselect_b32 s1, -1, 0
	s_bfe_u32 s5, ttmp6, 0x4000c
	s_and_b32 s6, ttmp6, 15
	s_add_co_i32 s5, s5, 1
	s_or_b32 s39, s1, s0
	s_mul_i32 s5, ttmp9, s5
	v_cndmask_b32_e64 v65, 0, 1, s1
	s_add_co_i32 s6, s6, s5
	s_cmp_eq_u32 s4, 0
	s_mov_b32 s0, s24
	s_cselect_b32 s1, ttmp9, s6
	v_mad_u32 v9, s31, v64, v9
	s_lshl_b32 s4, s1, 8
	s_ashr_i32 s1, s24, 31
	v_dual_add_nc_u32 v0, s4, v14 :: v_dual_bitop2_b32 v24, s4, v15 bitop3:0x54
	v_lshlrev_b64_e32 v[4:5], 2, v[6:7]
	s_cmp_neq_f32 s33, 0
	s_delay_alu instid0(VALU_DEP_2)
	v_cmp_gt_i64_e32 vcc_lo, s[0:1], v[0:1]
	v_cmp_gt_u32_e64 s0, 0x100, v14
	v_or_b32_e32 v14, s4, v14
	v_mul_u64_e32 v[2:3], s[2:3], v[0:1]
	v_or_b32_e32 v0, 3, v64
	v_lshlrev_b64_e32 v[6:7], 2, v[8:9]
	s_cselect_b32 s40, -1, 0
	v_ashrrev_i32_e32 v15, 31, v14
	s_ashr_i32 s1, s25, 31
	v_mul_u64_e32 v[16:17], s[30:31], v[0:1]
	v_mul_u64_e32 v[18:19], s[28:29], v[0:1]
	v_or_b32_e32 v0, 2, v64
	v_mul_u64_e32 v[8:9], s[2:3], v[14:15]
	s_lshr_b32 s4, s1, 28
	v_ashrrev_i32_e32 v25, 31, v24
	v_add_nc_u32_e32 v15, 0x80, v24
	v_mul_u64_e32 v[20:21], s[30:31], v[0:1]
	v_mul_u64_e32 v[22:23], s[28:29], v[0:1]
	s_add_co_i32 s3, s25, s4
	v_add_nc_u32_e32 v0, 64, v24
	v_add_nc_u32_e32 v26, 0xc0, v24
	s_and_b32 s41, s3, -16
	v_cmp_gt_i32_e64 s2, s24, v14
	v_lshlrev_b64_e32 v[10:11], 4, v[10:11]
	v_lshlrev_b64_e32 v[12:13], 4, v[12:13]
	v_cmp_gt_i32_e64 s4, s24, v15
	s_sub_co_i32 s6, s25, s41
	v_lshlrev_b64_e32 v[14:15], 2, v[24:25]
	v_cmp_gt_i32_e64 s1, s24, v24
	v_cmp_gt_i32_e64 s3, s24, v0
	;; [unrolled: 1-line block ×3, first 2 shown]
	s_cmp_gt_i32 s6, 0
	v_cmp_gt_i32_e64 s6, s41, v64
	s_cselect_b32 s24, -1, 0
	s_and_b32 s42, s0, vcc_lo
	s_lshl_b64 s[34:35], s[28:29], 6
	s_lshl_b64 s[36:37], s[30:31], 6
	;; [unrolled: 1-line block ×5, first 2 shown]
	v_lshlrev_b64_e32 v[16:17], 2, v[16:17]
	v_lshlrev_b64_e32 v[18:19], 2, v[18:19]
	;; [unrolled: 1-line block ×4, first 2 shown]
	s_branch .LBB195_4
.LBB195_2:                              ;   in Loop: Header=BB195_4 Depth=1
	s_wait_xcnt 0x0
	s_or_b32 exec_lo, exec_lo, s7
.LBB195_3:                              ;   in Loop: Header=BB195_4 Depth=1
	s_add_co_i32 s10, s10, 0x10000
	s_delay_alu instid0(SALU_CYCLE_1)
	s_cmp_lt_u32 s10, s27
	s_cbranch_scc0 .LBB195_58
.LBB195_4:                              ; =>This Loop Header: Depth=1
                                        ;     Child Loop BB195_26 Depth 2
	s_and_not1_b32 vcc_lo, exec_lo, s39
	s_cbranch_vccnz .LBB195_3
; %bb.5:                                ;   in Loop: Header=BB195_4 Depth=1
	s_and_not1_b32 vcc_lo, exec_lo, s38
	s_cbranch_vccnz .LBB195_7
; %bb.6:                                ;   in Loop: Header=BB195_4 Depth=1
	v_mov_b64_e32 v[28:29], 0
	v_mov_b64_e32 v[26:27], 0
	s_cbranch_execz .LBB195_8
	s_branch .LBB195_9
.LBB195_7:                              ;   in Loop: Header=BB195_4 Depth=1
	v_mov_b64_e32 v[28:29], 0
	v_mov_b64_e32 v[26:27], 0
.LBB195_8:                              ;   in Loop: Header=BB195_4 Depth=1
	s_lshl_b64 s[8:9], s[10:11], 3
	s_delay_alu instid0(SALU_CYCLE_1)
	s_add_nc_u64 s[8:9], s[12:13], s[8:9]
	global_load_b64 v[24:25], v1, s[8:9]
	s_wait_loadcnt 0x0
	v_add_nc_u64_e32 v[26:27], s[14:15], v[24:25]
.LBB195_9:                              ;   in Loop: Header=BB195_4 Depth=1
	v_cmp_ne_u32_e32 vcc_lo, 1, v65
	s_cbranch_vccnz .LBB195_11
; %bb.10:                               ;   in Loop: Header=BB195_4 Depth=1
	s_wait_xcnt 0x0
	s_lshl_b64 s[8:9], s[10:11], 3
	s_delay_alu instid0(SALU_CYCLE_1)
	s_add_nc_u64 s[8:9], s[16:17], s[8:9]
	global_load_b64 v[24:25], v1, s[8:9]
	s_wait_loadcnt 0x0
	v_add_nc_u64_e32 v[28:29], s[18:19], v[24:25]
.LBB195_11:                             ;   in Loop: Header=BB195_4 Depth=1
	s_wait_xcnt 0x0
	s_lshl_b64 s[8:9], s[10:11], 3
	s_and_not1_b32 vcc_lo, exec_lo, s38
	s_add_nc_u64 s[8:9], s[20:21], s[8:9]
	global_load_b64 v[24:25], v1, s[8:9]
	s_wait_loadcnt 0x0
	v_add_nc_u64_e32 v[24:25], s[22:23], v[24:25]
	s_cbranch_vccnz .LBB195_15
; %bb.12:                               ;   in Loop: Header=BB195_4 Depth=1
	s_mov_b32 s7, 0
	s_mov_b32 s43, 0
                                        ; implicit-def: $vgpr0
	s_wait_xcnt 0x0
	s_and_saveexec_b32 s8, s42
	s_cbranch_execz .LBB195_16
; %bb.13:                               ;   in Loop: Header=BB195_4 Depth=1
	s_and_not1_b32 vcc_lo, exec_lo, s40
	s_cbranch_vccnz .LBB195_18
; %bb.14:                               ;   in Loop: Header=BB195_4 Depth=1
	v_lshl_add_u64 v[30:31], v[2:3], 2, v[24:25]
	flat_load_b32 v0, v[30:31]
	s_wait_loadcnt_dscnt 0x0
	v_mul_f32_e32 v0, s33, v0
	s_branch .LBB195_19
.LBB195_15:                             ;   in Loop: Header=BB195_4 Depth=1
	s_mov_b32 s43, 0
                                        ; implicit-def: $vgpr0
	s_cbranch_execz .LBB195_17
	s_branch .LBB195_20
.LBB195_16:                             ;   in Loop: Header=BB195_4 Depth=1
	s_or_b32 exec_lo, exec_lo, s8
	s_delay_alu instid0(SALU_CYCLE_1)
	s_and_b32 vcc_lo, exec_lo, s7
	s_cbranch_vccnz .LBB195_20
.LBB195_17:                             ;   in Loop: Header=BB195_4 Depth=1
	v_mov_b64_e32 v[26:27], v[2:3]
	s_wait_xcnt 0x0
	s_and_saveexec_b32 s7, s43
	s_cbranch_execz .LBB195_2
	s_branch .LBB195_57
.LBB195_18:                             ;   in Loop: Header=BB195_4 Depth=1
	v_mov_b32_e32 v0, 0
.LBB195_19:                             ;   in Loop: Header=BB195_4 Depth=1
	s_mov_b32 s43, exec_lo
	s_wait_xcnt 0x0
	s_or_b32 exec_lo, exec_lo, s8
	s_delay_alu instid0(SALU_CYCLE_1)
	s_and_b32 vcc_lo, exec_lo, s7
	s_cbranch_vccz .LBB195_17
.LBB195_20:                             ;   in Loop: Header=BB195_4 Depth=1
	v_dual_mov_b32 v68, 0 :: v_dual_mov_b32 v0, v64
	v_dual_mov_b32 v69, 0 :: v_dual_mov_b32 v70, 0
	v_mov_b32_e32 v71, 0
	s_wait_xcnt 0x0
	s_and_saveexec_b32 s7, s6
	s_cbranch_execz .LBB195_32
; %bb.21:                               ;   in Loop: Header=BB195_4 Depth=1
	v_add_nc_u64_e32 v[30:31], v[26:27], v[16:17]
	v_add_nc_u64_e32 v[32:33], v[26:27], v[12:13]
	;; [unrolled: 1-line block ×4, first 2 shown]
	v_mov_b64_e32 v[38:39], v[28:29]
	v_dual_mov_b32 v68, 0 :: v_dual_mov_b32 v0, v64
	v_dual_mov_b32 v69, 0 :: v_dual_mov_b32 v70, 0
	v_mov_b32_e32 v71, 0
	s_mov_b32 s8, 0
	s_branch .LBB195_26
.LBB195_22:                             ;   in Loop: Header=BB195_26 Depth=2
	s_wait_xcnt 0x0
	s_or_b32 exec_lo, exec_lo, s46
	s_wait_loadcnt_dscnt 0x202
	v_pk_mul_f32 v[52:53], v[44:45], v[62:63]
	s_delay_alu instid0(VALU_DEP_1) | instskip(NEXT) | instid1(VALU_DEP_1)
	v_add_f32_e32 v52, v70, v52
	v_add_f32_e32 v54, v52, v53
	s_wait_loadcnt_dscnt 0x0
	v_pk_mul_f32 v[52:53], v[40:41], v[60:61]
	s_delay_alu instid0(VALU_DEP_1) | instskip(NEXT) | instid1(VALU_DEP_1)
	v_add_f32_e32 v52, v54, v52
	v_add_f32_e32 v70, v52, v53
.LBB195_23:                             ;   in Loop: Header=BB195_26 Depth=2
	s_or_b32 exec_lo, exec_lo, s45
	s_wait_loadcnt_dscnt 0x202
	v_pk_mul_f32 v[50:51], v[44:45], v[50:51]
	s_wait_loadcnt_dscnt 0x0
	v_pk_mul_f32 v[48:49], v[40:41], v[48:49]
	s_delay_alu instid0(VALU_DEP_2) | instskip(NEXT) | instid1(VALU_DEP_1)
	v_add_f32_e32 v50, v69, v50
	v_add_f32_e32 v50, v50, v51
	s_delay_alu instid0(VALU_DEP_1) | instskip(NEXT) | instid1(VALU_DEP_1)
	v_add_f32_e32 v48, v50, v48
	v_add_f32_e32 v69, v48, v49
.LBB195_24:                             ;   in Loop: Header=BB195_26 Depth=2
	s_or_b32 exec_lo, exec_lo, s44
	s_wait_loadcnt_dscnt 0x202
	v_pk_mul_f32 v[44:45], v[44:45], v[46:47]
	s_wait_loadcnt_dscnt 0x0
	v_pk_mul_f32 v[40:41], v[40:41], v[42:43]
	s_delay_alu instid0(VALU_DEP_2) | instskip(NEXT) | instid1(VALU_DEP_1)
	v_add_f32_e32 v44, v68, v44
	v_add_f32_e32 v44, v44, v45
	s_delay_alu instid0(VALU_DEP_1) | instskip(NEXT) | instid1(VALU_DEP_1)
	v_add_f32_e32 v40, v44, v40
	v_add_f32_e32 v68, v40, v41
.LBB195_25:                             ;   in Loop: Header=BB195_26 Depth=2
	s_or_b32 exec_lo, exec_lo, s9
	v_add_nc_u32_e32 v0, 16, v0
	v_add_nc_u64_e32 v[38:39], s[34:35], v[38:39]
	v_add_nc_u64_e32 v[30:31], s[36:37], v[30:31]
	;; [unrolled: 1-line block ×4, first 2 shown]
	v_cmp_le_i32_e32 vcc_lo, s41, v0
	v_add_nc_u64_e32 v[36:37], s[36:37], v[36:37]
	s_or_b32 s8, vcc_lo, s8
	s_delay_alu instid0(SALU_CYCLE_1)
	s_and_not1_b32 exec_lo, exec_lo, s8
	s_cbranch_execz .LBB195_31
.LBB195_26:                             ;   Parent Loop BB195_4 Depth=1
                                        ; =>  This Inner Loop Header: Depth=2
	s_and_saveexec_b32 s9, s1
	s_cbranch_execz .LBB195_25
; %bb.27:                               ;   in Loop: Header=BB195_26 Depth=2
	v_add_nc_u64_e32 v[48:49], v[38:39], v[18:19]
	v_add_nc_u64_e32 v[50:51], v[38:39], v[22:23]
	;; [unrolled: 1-line block ×8, first 2 shown]
	s_clause 0x3
	flat_load_b32 v41, v[48:49]
	flat_load_b32 v40, v[50:51]
	;; [unrolled: 1-line block ×8, first 2 shown]
	s_wait_xcnt 0x0
	s_and_saveexec_b32 s44, s3
	s_cbranch_execz .LBB195_24
; %bb.28:                               ;   in Loop: Header=BB195_26 Depth=2
	flat_load_b32 v50, v[52:53] offset:256
	flat_load_b32 v51, v[54:55] offset:256
	flat_load_b32 v48, v[56:57] offset:256
	flat_load_b32 v49, v[58:59] offset:256
	s_wait_xcnt 0x0
	s_and_saveexec_b32 s45, s4
	s_cbranch_execz .LBB195_23
; %bb.29:                               ;   in Loop: Header=BB195_26 Depth=2
	flat_load_b32 v62, v[52:53] offset:512
	flat_load_b32 v63, v[54:55] offset:512
	flat_load_b32 v60, v[56:57] offset:512
	flat_load_b32 v61, v[58:59] offset:512
	;; [unrolled: 8-line block ×3, first 2 shown]
	s_wait_loadcnt_dscnt 0x202
	s_wait_xcnt 0x3
	v_pk_mul_f32 v[52:53], v[44:45], v[72:73]
	s_delay_alu instid0(VALU_DEP_1) | instskip(SKIP_1) | instid1(VALU_DEP_1)
	v_add_f32_e32 v52, v71, v52
	s_wait_xcnt 0x2
	v_add_f32_e32 v54, v52, v53
	s_wait_loadcnt_dscnt 0x0
	v_pk_mul_f32 v[52:53], v[40:41], v[74:75]
	s_delay_alu instid0(VALU_DEP_1) | instskip(NEXT) | instid1(VALU_DEP_1)
	v_add_f32_e32 v52, v54, v52
	v_add_f32_e32 v71, v52, v53
	s_branch .LBB195_22
.LBB195_31:                             ;   in Loop: Header=BB195_4 Depth=1
	s_or_b32 exec_lo, exec_lo, s8
.LBB195_32:                             ;   in Loop: Header=BB195_4 Depth=1
	s_delay_alu instid0(SALU_CYCLE_1) | instskip(NEXT) | instid1(SALU_CYCLE_1)
	s_or_b32 exec_lo, exec_lo, s7
	s_and_not1_b32 vcc_lo, exec_lo, s24
	s_cbranch_vccnz .LBB195_50
; %bb.33:                               ;   in Loop: Header=BB195_4 Depth=1
	v_dual_mov_b32 v32, 0 :: v_dual_bitop2_b32 v34, 1, v0 bitop3:0x54
	v_cmp_gt_i32_e32 vcc_lo, s25, v0
	s_delay_alu instid0(VALU_DEP_2)
	v_dual_mov_b32 v33, v32 :: v_dual_mov_b32 v30, v32
	v_mov_b32_e32 v31, v32
	s_and_saveexec_b32 s8, vcc_lo
	s_cbranch_execz .LBB195_41
; %bb.34:                               ;   in Loop: Header=BB195_4 Depth=1
	v_mul_u64_e32 v[30:31], s[28:29], v[0:1]
	v_mov_b32_e32 v32, 0
	s_mov_b32 s9, exec_lo
	v_mov_b32_e32 v33, 0
	s_delay_alu instid0(VALU_DEP_3)
	v_lshl_add_u64 v[30:31], v[30:31], 2, v[28:29]
	flat_load_b32 v30, v[30:31]
	s_wait_xcnt 0x0
	v_mov_b32_e32 v31, 0
	v_cmpx_gt_i32_e64 s25, v34
	s_cbranch_execz .LBB195_40
; %bb.35:                               ;   in Loop: Header=BB195_4 Depth=1
	v_dual_mov_b32 v35, v1 :: v_dual_bitop2_b32 v36, 2, v0 bitop3:0x54
	s_mov_b32 s44, exec_lo
	s_delay_alu instid0(VALU_DEP_1) | instskip(NEXT) | instid1(VALU_DEP_1)
	v_mul_u64_e32 v[32:33], s[28:29], v[34:35]
	v_lshl_add_u64 v[32:33], v[32:33], 2, v[28:29]
	flat_load_b32 v31, v[32:33]
	s_wait_xcnt 0x0
	v_dual_mov_b32 v33, 0 :: v_dual_mov_b32 v32, 0
	v_cmpx_gt_i32_e64 s25, v36
	s_cbranch_execz .LBB195_39
; %bb.36:                               ;   in Loop: Header=BB195_4 Depth=1
	v_mov_b32_e32 v37, v1
	s_mov_b32 s45, exec_lo
	s_delay_alu instid0(VALU_DEP_1) | instskip(SKIP_1) | instid1(VALU_DEP_2)
	v_mul_u64_e32 v[32:33], s[28:29], v[36:37]
	v_or_b32_e32 v36, 3, v0
	v_lshl_add_u64 v[32:33], v[32:33], 2, v[28:29]
	flat_load_b32 v32, v[32:33]
	s_wait_xcnt 0x0
	v_mov_b32_e32 v33, 0
	v_cmpx_gt_i32_e64 s25, v36
	s_cbranch_execz .LBB195_38
; %bb.37:                               ;   in Loop: Header=BB195_4 Depth=1
	v_mov_b32_e32 v37, v1
	s_delay_alu instid0(VALU_DEP_1) | instskip(NEXT) | instid1(VALU_DEP_1)
	v_mul_u64_e32 v[36:37], s[28:29], v[36:37]
	v_lshl_add_u64 v[28:29], v[36:37], 2, v[28:29]
	flat_load_b32 v33, v[28:29]
.LBB195_38:                             ;   in Loop: Header=BB195_4 Depth=1
	s_wait_xcnt 0x0
	s_or_b32 exec_lo, exec_lo, s45
.LBB195_39:                             ;   in Loop: Header=BB195_4 Depth=1
	s_delay_alu instid0(SALU_CYCLE_1)
	s_or_b32 exec_lo, exec_lo, s44
.LBB195_40:                             ;   in Loop: Header=BB195_4 Depth=1
	s_delay_alu instid0(SALU_CYCLE_1)
	s_or_b32 exec_lo, exec_lo, s9
.LBB195_41:                             ;   in Loop: Header=BB195_4 Depth=1
	s_delay_alu instid0(SALU_CYCLE_1)
	s_or_b32 exec_lo, exec_lo, s8
	s_and_saveexec_b32 s44, s1
	s_cbranch_execz .LBB195_49
; %bb.42:                               ;   in Loop: Header=BB195_4 Depth=1
	v_dual_mov_b32 v35, v1 :: v_dual_bitop2_b32 v28, 2, v0 bitop3:0x54
	v_mov_b32_e32 v29, v1
	v_mul_u64_e32 v[36:37], s[30:31], v[0:1]
	v_or_b32_e32 v0, 3, v0
	s_delay_alu instid0(VALU_DEP_4)
	v_mul_u64_e32 v[38:39], s[30:31], v[34:35]
	v_cmp_gt_i32_e64 s7, s25, v34
	v_mul_u64_e32 v[40:41], s[30:31], v[28:29]
	v_cmp_gt_i32_e64 s8, s25, v28
	;; [unrolled: 2-line block ×3, first 2 shown]
	v_dual_cndmask_b32 v29, 0, v37 :: v_dual_cndmask_b32 v28, 0, v36
	v_dual_cndmask_b32 v35, 0, v39, s7 :: v_dual_cndmask_b32 v34, 0, v38, s7
	v_dual_cndmask_b32 v37, 0, v41, s8 :: v_dual_cndmask_b32 v36, 0, v40, s8
	s_delay_alu instid0(VALU_DEP_4) | instskip(NEXT) | instid1(VALU_DEP_4)
	v_dual_cndmask_b32 v39, 0, v43, s9 :: v_dual_cndmask_b32 v38, 0, v42, s9
	v_lshl_add_u64 v[28:29], v[28:29], 2, v[26:27]
	s_delay_alu instid0(VALU_DEP_4) | instskip(NEXT) | instid1(VALU_DEP_4)
	v_lshl_add_u64 v[34:35], v[34:35], 2, v[26:27]
	v_lshl_add_u64 v[36:37], v[36:37], 2, v[26:27]
	s_delay_alu instid0(VALU_DEP_4) | instskip(NEXT) | instid1(VALU_DEP_4)
	v_lshl_add_u64 v[26:27], v[38:39], 2, v[26:27]
	v_add_nc_u64_e32 v[40:41], v[28:29], v[14:15]
	s_delay_alu instid0(VALU_DEP_4) | instskip(NEXT) | instid1(VALU_DEP_4)
	v_add_nc_u64_e32 v[38:39], v[34:35], v[14:15]
	v_add_nc_u64_e32 v[44:45], v[36:37], v[14:15]
	s_delay_alu instid0(VALU_DEP_4)
	v_add_nc_u64_e32 v[42:43], v[26:27], v[14:15]
	s_clause 0x3
	flat_load_b32 v28, v[40:41]
	flat_load_b32 v29, v[38:39]
	;; [unrolled: 1-line block ×4, first 2 shown]
	s_wait_xcnt 0x0
	s_and_saveexec_b32 s7, s3
	s_cbranch_execz .LBB195_48
; %bb.43:                               ;   in Loop: Header=BB195_4 Depth=1
	s_clause 0x3
	flat_load_b32 v36, v[40:41] offset:256
	flat_load_b32 v37, v[38:39] offset:256
	flat_load_b32 v34, v[44:45] offset:256
	flat_load_b32 v35, v[42:43] offset:256
	s_wait_xcnt 0x0
	s_and_saveexec_b32 s8, s4
	s_cbranch_execz .LBB195_47
; %bb.44:                               ;   in Loop: Header=BB195_4 Depth=1
	s_clause 0x3
	flat_load_b32 v48, v[40:41] offset:512
	flat_load_b32 v49, v[38:39] offset:512
	flat_load_b32 v46, v[44:45] offset:512
	flat_load_b32 v47, v[42:43] offset:512
	;; [unrolled: 9-line block ×3, first 2 shown]
	s_wait_loadcnt_dscnt 0x202
	s_wait_xcnt 0x2
	v_pk_mul_f32 v[38:39], v[30:31], v[50:51]
	s_delay_alu instid0(VALU_DEP_1) | instskip(NEXT) | instid1(VALU_DEP_1)
	v_add_f32_e32 v0, v71, v38
	v_add_f32_e32 v0, v0, v39
	s_wait_loadcnt_dscnt 0x0
	v_pk_mul_f32 v[38:39], v[32:33], v[52:53]
	s_delay_alu instid0(VALU_DEP_1) | instskip(NEXT) | instid1(VALU_DEP_1)
	v_add_f32_e32 v0, v0, v38
	v_add_f32_e32 v71, v0, v39
.LBB195_46:                             ;   in Loop: Header=BB195_4 Depth=1
	s_wait_xcnt 0x0
	s_or_b32 exec_lo, exec_lo, s9
	s_wait_loadcnt_dscnt 0x202
	v_pk_mul_f32 v[38:39], v[30:31], v[48:49]
	s_delay_alu instid0(VALU_DEP_1) | instskip(NEXT) | instid1(VALU_DEP_1)
	v_add_f32_e32 v0, v70, v38
	v_add_f32_e32 v0, v0, v39
	s_wait_loadcnt_dscnt 0x0
	v_pk_mul_f32 v[38:39], v[32:33], v[46:47]
	s_delay_alu instid0(VALU_DEP_1) | instskip(NEXT) | instid1(VALU_DEP_1)
	v_add_f32_e32 v0, v0, v38
	v_add_f32_e32 v70, v0, v39
.LBB195_47:                             ;   in Loop: Header=BB195_4 Depth=1
	s_or_b32 exec_lo, exec_lo, s8
	s_wait_loadcnt_dscnt 0x202
	v_pk_mul_f32 v[36:37], v[30:31], v[36:37]
	s_wait_loadcnt_dscnt 0x0
	v_pk_mul_f32 v[34:35], v[32:33], v[34:35]
	s_delay_alu instid0(VALU_DEP_2) | instskip(NEXT) | instid1(VALU_DEP_1)
	v_add_f32_e32 v0, v69, v36
	v_add_f32_e32 v0, v0, v37
	s_delay_alu instid0(VALU_DEP_1) | instskip(NEXT) | instid1(VALU_DEP_1)
	v_add_f32_e32 v0, v0, v34
	v_add_f32_e32 v69, v0, v35
.LBB195_48:                             ;   in Loop: Header=BB195_4 Depth=1
	s_or_b32 exec_lo, exec_lo, s7
	s_wait_loadcnt_dscnt 0x202
	v_pk_mul_f32 v[28:29], v[30:31], v[28:29]
	s_wait_loadcnt_dscnt 0x0
	v_pk_mul_f32 v[26:27], v[32:33], v[26:27]
	s_delay_alu instid0(VALU_DEP_2) | instskip(NEXT) | instid1(VALU_DEP_1)
	v_add_f32_e32 v0, v68, v28
	v_add_f32_e32 v0, v0, v29
	s_delay_alu instid0(VALU_DEP_1) | instskip(NEXT) | instid1(VALU_DEP_1)
	v_add_f32_e32 v0, v0, v26
	v_add_f32_e32 v68, v0, v27
.LBB195_49:                             ;   in Loop: Header=BB195_4 Depth=1
	s_or_b32 exec_lo, exec_lo, s44
.LBB195_50:                             ;   in Loop: Header=BB195_4 Depth=1
	ds_store_2addr_stride64_b32 v66, v68, v69 offset1:1
	ds_store_2addr_stride64_b32 v66, v70, v71 offset0:2 offset1:3
	s_wait_loadcnt_dscnt 0x0
	s_barrier_signal -1
	s_barrier_wait -1
                                        ; implicit-def: $vgpr0
	s_and_saveexec_b32 s7, s0
	s_cbranch_execz .LBB195_56
; %bb.51:                               ;   in Loop: Header=BB195_4 Depth=1
	ds_load_2addr_stride64_b32 v[26:27], v67 offset1:4
	ds_load_2addr_stride64_b32 v[28:29], v67 offset0:8 offset1:12
	s_mov_b32 s9, s43
	s_wait_dscnt 0x1
	v_add_f32_e32 v0, v26, v27
	s_wait_dscnt 0x0
	s_delay_alu instid0(VALU_DEP_1) | instskip(NEXT) | instid1(VALU_DEP_1)
	v_add_f32_e32 v0, v28, v0
	v_add_f32_e32 v26, v29, v0
                                        ; implicit-def: $vgpr0
	ds_store_b32 v67, v26
	s_and_saveexec_b32 s8, s2
	s_cbranch_execz .LBB195_55
; %bb.52:                               ;   in Loop: Header=BB195_4 Depth=1
	v_mul_f32_e32 v0, s26, v26
	s_and_not1_b32 vcc_lo, exec_lo, s40
	s_cbranch_vccnz .LBB195_54
; %bb.53:                               ;   in Loop: Header=BB195_4 Depth=1
	v_lshl_add_u64 v[26:27], v[8:9], 2, v[24:25]
	flat_load_b32 v26, v[26:27]
	s_wait_loadcnt_dscnt 0x0
	v_fmac_f32_e32 v0, s33, v26
.LBB195_54:                             ;   in Loop: Header=BB195_4 Depth=1
	s_or_b32 s9, s43, exec_lo
.LBB195_55:                             ;   in Loop: Header=BB195_4 Depth=1
	s_wait_xcnt 0x0
	s_or_b32 exec_lo, exec_lo, s8
	s_delay_alu instid0(SALU_CYCLE_1) | instskip(SKIP_1) | instid1(SALU_CYCLE_1)
	s_and_not1_b32 s8, s43, exec_lo
	s_and_b32 s9, s9, exec_lo
	s_or_b32 s43, s8, s9
.LBB195_56:                             ;   in Loop: Header=BB195_4 Depth=1
	s_or_b32 exec_lo, exec_lo, s7
	v_mov_b64_e32 v[26:27], v[8:9]
	s_and_saveexec_b32 s7, s43
	s_cbranch_execz .LBB195_2
.LBB195_57:                             ;   in Loop: Header=BB195_4 Depth=1
	s_delay_alu instid0(VALU_DEP_1)
	v_lshl_add_u64 v[24:25], v[26:27], 2, v[24:25]
	flat_store_b32 v[24:25], v0
	s_branch .LBB195_2
.LBB195_58:
	s_sendmsg sendmsg(MSG_DEALLOC_VGPRS)
	s_endpgm
	.section	.rodata,"a",@progbits
	.p2align	6, 0x0
	.amdhsa_kernel _ZL20rocblas_gemvn_kernelILi64ELi4ElPKffKPfEviiT3_lPKT2_lT1_lS7_lS8_lS4_lPT4_lS8_li
		.amdhsa_group_segment_fixed_size 4096
		.amdhsa_private_segment_fixed_size 0
		.amdhsa_kernarg_size 400
		.amdhsa_user_sgpr_count 2
		.amdhsa_user_sgpr_dispatch_ptr 0
		.amdhsa_user_sgpr_queue_ptr 0
		.amdhsa_user_sgpr_kernarg_segment_ptr 1
		.amdhsa_user_sgpr_dispatch_id 0
		.amdhsa_user_sgpr_kernarg_preload_length 0
		.amdhsa_user_sgpr_kernarg_preload_offset 0
		.amdhsa_user_sgpr_private_segment_size 0
		.amdhsa_wavefront_size32 1
		.amdhsa_uses_dynamic_stack 0
		.amdhsa_enable_private_segment 0
		.amdhsa_system_sgpr_workgroup_id_x 1
		.amdhsa_system_sgpr_workgroup_id_y 0
		.amdhsa_system_sgpr_workgroup_id_z 1
		.amdhsa_system_sgpr_workgroup_info 0
		.amdhsa_system_vgpr_workitem_id 1
		.amdhsa_next_free_vgpr 76
		.amdhsa_next_free_sgpr 47
		.amdhsa_named_barrier_count 0
		.amdhsa_reserve_vcc 1
		.amdhsa_float_round_mode_32 0
		.amdhsa_float_round_mode_16_64 0
		.amdhsa_float_denorm_mode_32 3
		.amdhsa_float_denorm_mode_16_64 3
		.amdhsa_fp16_overflow 0
		.amdhsa_memory_ordered 1
		.amdhsa_forward_progress 1
		.amdhsa_inst_pref_size 22
		.amdhsa_round_robin_scheduling 0
		.amdhsa_exception_fp_ieee_invalid_op 0
		.amdhsa_exception_fp_denorm_src 0
		.amdhsa_exception_fp_ieee_div_zero 0
		.amdhsa_exception_fp_ieee_overflow 0
		.amdhsa_exception_fp_ieee_underflow 0
		.amdhsa_exception_fp_ieee_inexact 0
		.amdhsa_exception_int_div_zero 0
	.end_amdhsa_kernel
	.section	.text._ZL20rocblas_gemvn_kernelILi64ELi4ElPKffKPfEviiT3_lPKT2_lT1_lS7_lS8_lS4_lPT4_lS8_li,"axG",@progbits,_ZL20rocblas_gemvn_kernelILi64ELi4ElPKffKPfEviiT3_lPKT2_lT1_lS7_lS8_lS4_lPT4_lS8_li,comdat
.Lfunc_end195:
	.size	_ZL20rocblas_gemvn_kernelILi64ELi4ElPKffKPfEviiT3_lPKT2_lT1_lS7_lS8_lS4_lPT4_lS8_li, .Lfunc_end195-_ZL20rocblas_gemvn_kernelILi64ELi4ElPKffKPfEviiT3_lPKT2_lT1_lS7_lS8_lS4_lPT4_lS8_li
                                        ; -- End function
	.set _ZL20rocblas_gemvn_kernelILi64ELi4ElPKffKPfEviiT3_lPKT2_lT1_lS7_lS8_lS4_lPT4_lS8_li.num_vgpr, 76
	.set _ZL20rocblas_gemvn_kernelILi64ELi4ElPKffKPfEviiT3_lPKT2_lT1_lS7_lS8_lS4_lPT4_lS8_li.num_agpr, 0
	.set _ZL20rocblas_gemvn_kernelILi64ELi4ElPKffKPfEviiT3_lPKT2_lT1_lS7_lS8_lS4_lPT4_lS8_li.numbered_sgpr, 47
	.set _ZL20rocblas_gemvn_kernelILi64ELi4ElPKffKPfEviiT3_lPKT2_lT1_lS7_lS8_lS4_lPT4_lS8_li.num_named_barrier, 0
	.set _ZL20rocblas_gemvn_kernelILi64ELi4ElPKffKPfEviiT3_lPKT2_lT1_lS7_lS8_lS4_lPT4_lS8_li.private_seg_size, 0
	.set _ZL20rocblas_gemvn_kernelILi64ELi4ElPKffKPfEviiT3_lPKT2_lT1_lS7_lS8_lS4_lPT4_lS8_li.uses_vcc, 1
	.set _ZL20rocblas_gemvn_kernelILi64ELi4ElPKffKPfEviiT3_lPKT2_lT1_lS7_lS8_lS4_lPT4_lS8_li.uses_flat_scratch, 1
	.set _ZL20rocblas_gemvn_kernelILi64ELi4ElPKffKPfEviiT3_lPKT2_lT1_lS7_lS8_lS4_lPT4_lS8_li.has_dyn_sized_stack, 0
	.set _ZL20rocblas_gemvn_kernelILi64ELi4ElPKffKPfEviiT3_lPKT2_lT1_lS7_lS8_lS4_lPT4_lS8_li.has_recursion, 0
	.set _ZL20rocblas_gemvn_kernelILi64ELi4ElPKffKPfEviiT3_lPKT2_lT1_lS7_lS8_lS4_lPT4_lS8_li.has_indirect_call, 0
	.section	.AMDGPU.csdata,"",@progbits
; Kernel info:
; codeLenInByte = 2808
; TotalNumSgprs: 49
; NumVgprs: 76
; ScratchSize: 0
; MemoryBound: 0
; FloatMode: 240
; IeeeMode: 1
; LDSByteSize: 4096 bytes/workgroup (compile time only)
; SGPRBlocks: 0
; VGPRBlocks: 4
; NumSGPRsForWavesPerEU: 49
; NumVGPRsForWavesPerEU: 76
; NamedBarCnt: 0
; Occupancy: 12
; WaveLimiterHint : 1
; COMPUTE_PGM_RSRC2:SCRATCH_EN: 0
; COMPUTE_PGM_RSRC2:USER_SGPR: 2
; COMPUTE_PGM_RSRC2:TRAP_HANDLER: 0
; COMPUTE_PGM_RSRC2:TGID_X_EN: 1
; COMPUTE_PGM_RSRC2:TGID_Y_EN: 0
; COMPUTE_PGM_RSRC2:TGID_Z_EN: 1
; COMPUTE_PGM_RSRC2:TIDIG_COMP_CNT: 1
	.section	.text._ZL24rocblas_gemv_scal_kernelILi256EPKfPKPfEviT0_lT1_lili,"axG",@progbits,_ZL24rocblas_gemv_scal_kernelILi256EPKfPKPfEviT0_lT1_lili,comdat
	.globl	_ZL24rocblas_gemv_scal_kernelILi256EPKfPKPfEviT0_lT1_lili ; -- Begin function _ZL24rocblas_gemv_scal_kernelILi256EPKfPKPfEviT0_lT1_lili
	.p2align	8
	.type	_ZL24rocblas_gemv_scal_kernelILi256EPKfPKPfEviT0_lT1_lili,@function
_ZL24rocblas_gemv_scal_kernelILi256EPKfPKPfEviT0_lT1_lili: ; @_ZL24rocblas_gemv_scal_kernelILi256EPKfPKPfEviT0_lT1_lili
; %bb.0:
	s_load_b32 s16, s[0:1], 0x38
	s_bfe_u32 s2, ttmp6, 0x40014
	s_lshr_b32 s3, ttmp7, 16
	s_add_co_i32 s2, s2, 1
	s_bfe_u32 s4, ttmp6, 0x40008
	s_mul_i32 s2, s3, s2
	s_getreg_b32 s17, hwreg(HW_REG_IB_STS2, 6, 4)
	s_add_co_i32 s4, s4, s2
	s_cmp_eq_u32 s17, 0
	s_cselect_b32 s2, s3, s4
	s_mov_b32 s3, 0
	s_wait_kmcnt 0x0
	s_cmp_ge_u32 s2, s16
	s_cbranch_scc1 .LBB196_10
; %bb.1:
	s_clause 0x2
	s_load_b32 s12, s[0:1], 0x0
	s_load_b32 s14, s[0:1], 0x28
	s_load_b256 s[4:11], s[0:1], 0x8
	s_bfe_u32 s13, ttmp6, 0x4000c
	s_and_b32 s15, ttmp6, 15
	s_add_co_i32 s13, s13, 1
	v_mov_b32_e32 v3, 0
	s_mul_i32 s13, ttmp9, s13
	s_wait_xcnt 0x0
	s_add_nc_u64 s[0:1], s[0:1], 64
	s_add_co_i32 s18, s15, s13
	s_wait_kmcnt 0x0
	s_ashr_i32 s13, s12, 31
	s_ashr_i32 s15, s14, 31
	s_cmp_eq_u32 s17, 0
	s_cselect_b32 s17, ttmp9, s18
	s_lshl_b64 s[10:11], s[10:11], 2
	s_branch .LBB196_6
.LBB196_2:                              ;   in Loop: Header=BB196_6 Depth=1
	flat_load_b32 v2, v[4:5]
	s_wait_loadcnt_dscnt 0x0
	v_mul_f32_e32 v1, v1, v2
.LBB196_3:                              ;   in Loop: Header=BB196_6 Depth=1
	flat_store_b32 v[4:5], v1
.LBB196_4:                              ;   in Loop: Header=BB196_6 Depth=1
	s_wait_xcnt 0x0
	s_or_b32 exec_lo, exec_lo, s18
.LBB196_5:                              ;   in Loop: Header=BB196_6 Depth=1
	s_add_co_i32 s2, s2, 0x10000
	s_delay_alu instid0(SALU_CYCLE_1)
	s_cmp_lt_u32 s2, s16
	s_cbranch_scc0 .LBB196_10
.LBB196_6:                              ; =>This Inner Loop Header: Depth=1
	s_wait_xcnt 0x0
	s_mul_u64 s[18:19], s[6:7], s[2:3]
	s_delay_alu instid0(SALU_CYCLE_1) | instskip(NEXT) | instid1(SALU_CYCLE_1)
	s_lshl_b64 s[18:19], s[18:19], 2
	s_add_nc_u64 s[18:19], s[4:5], s[18:19]
	global_load_b32 v1, v3, s[18:19]
	s_wait_loadcnt 0x0
	v_cmp_eq_f32_e32 vcc_lo, 1.0, v1
	s_cbranch_vccnz .LBB196_5
; %bb.7:                                ;   in Loop: Header=BB196_6 Depth=1
	s_wait_xcnt 0x0
	s_load_b32 s18, s[0:1], 0xc
	s_wait_kmcnt 0x0
	s_and_b32 s18, s18, 0xffff
	s_delay_alu instid0(SALU_CYCLE_1) | instskip(SKIP_1) | instid1(VALU_DEP_1)
	v_mad_u32 v2, s17, s18, v0
	s_mov_b32 s18, exec_lo
	v_cmpx_gt_i64_e64 s[12:13], v[2:3]
	s_cbranch_execz .LBB196_4
; %bb.8:                                ;   in Loop: Header=BB196_6 Depth=1
	v_mul_u64_e32 v[4:5], s[14:15], v[2:3]
	s_lshl_b64 s[20:21], s[2:3], 3
	v_cmp_eq_f32_e32 vcc_lo, 0, v1
	s_add_nc_u64 s[20:21], s[8:9], s[20:21]
	s_load_b64 s[20:21], s[20:21], 0x0
	s_and_b32 vcc_lo, exec_lo, vcc_lo
	s_wait_kmcnt 0x0
	s_wait_xcnt 0x0
	s_add_nc_u64 s[20:21], s[20:21], s[10:11]
	s_delay_alu instid0(VALU_DEP_2) | instid1(SALU_CYCLE_1)
	v_lshl_add_u64 v[4:5], v[4:5], 2, s[20:21]
	s_cbranch_vccz .LBB196_2
; %bb.9:                                ;   in Loop: Header=BB196_6 Depth=1
	v_mov_b32_e32 v1, 0
	s_branch .LBB196_3
.LBB196_10:
	s_endpgm
	.section	.rodata,"a",@progbits
	.p2align	6, 0x0
	.amdhsa_kernel _ZL24rocblas_gemv_scal_kernelILi256EPKfPKPfEviT0_lT1_lili
		.amdhsa_group_segment_fixed_size 0
		.amdhsa_private_segment_fixed_size 0
		.amdhsa_kernarg_size 320
		.amdhsa_user_sgpr_count 2
		.amdhsa_user_sgpr_dispatch_ptr 0
		.amdhsa_user_sgpr_queue_ptr 0
		.amdhsa_user_sgpr_kernarg_segment_ptr 1
		.amdhsa_user_sgpr_dispatch_id 0
		.amdhsa_user_sgpr_kernarg_preload_length 0
		.amdhsa_user_sgpr_kernarg_preload_offset 0
		.amdhsa_user_sgpr_private_segment_size 0
		.amdhsa_wavefront_size32 1
		.amdhsa_uses_dynamic_stack 0
		.amdhsa_enable_private_segment 0
		.amdhsa_system_sgpr_workgroup_id_x 1
		.amdhsa_system_sgpr_workgroup_id_y 0
		.amdhsa_system_sgpr_workgroup_id_z 1
		.amdhsa_system_sgpr_workgroup_info 0
		.amdhsa_system_vgpr_workitem_id 0
		.amdhsa_next_free_vgpr 6
		.amdhsa_next_free_sgpr 22
		.amdhsa_named_barrier_count 0
		.amdhsa_reserve_vcc 1
		.amdhsa_float_round_mode_32 0
		.amdhsa_float_round_mode_16_64 0
		.amdhsa_float_denorm_mode_32 3
		.amdhsa_float_denorm_mode_16_64 3
		.amdhsa_fp16_overflow 0
		.amdhsa_memory_ordered 1
		.amdhsa_forward_progress 1
		.amdhsa_inst_pref_size 3
		.amdhsa_round_robin_scheduling 0
		.amdhsa_exception_fp_ieee_invalid_op 0
		.amdhsa_exception_fp_denorm_src 0
		.amdhsa_exception_fp_ieee_div_zero 0
		.amdhsa_exception_fp_ieee_overflow 0
		.amdhsa_exception_fp_ieee_underflow 0
		.amdhsa_exception_fp_ieee_inexact 0
		.amdhsa_exception_int_div_zero 0
	.end_amdhsa_kernel
	.section	.text._ZL24rocblas_gemv_scal_kernelILi256EPKfPKPfEviT0_lT1_lili,"axG",@progbits,_ZL24rocblas_gemv_scal_kernelILi256EPKfPKPfEviT0_lT1_lili,comdat
.Lfunc_end196:
	.size	_ZL24rocblas_gemv_scal_kernelILi256EPKfPKPfEviT0_lT1_lili, .Lfunc_end196-_ZL24rocblas_gemv_scal_kernelILi256EPKfPKPfEviT0_lT1_lili
                                        ; -- End function
	.set _ZL24rocblas_gemv_scal_kernelILi256EPKfPKPfEviT0_lT1_lili.num_vgpr, 6
	.set _ZL24rocblas_gemv_scal_kernelILi256EPKfPKPfEviT0_lT1_lili.num_agpr, 0
	.set _ZL24rocblas_gemv_scal_kernelILi256EPKfPKPfEviT0_lT1_lili.numbered_sgpr, 22
	.set _ZL24rocblas_gemv_scal_kernelILi256EPKfPKPfEviT0_lT1_lili.num_named_barrier, 0
	.set _ZL24rocblas_gemv_scal_kernelILi256EPKfPKPfEviT0_lT1_lili.private_seg_size, 0
	.set _ZL24rocblas_gemv_scal_kernelILi256EPKfPKPfEviT0_lT1_lili.uses_vcc, 1
	.set _ZL24rocblas_gemv_scal_kernelILi256EPKfPKPfEviT0_lT1_lili.uses_flat_scratch, 0
	.set _ZL24rocblas_gemv_scal_kernelILi256EPKfPKPfEviT0_lT1_lili.has_dyn_sized_stack, 0
	.set _ZL24rocblas_gemv_scal_kernelILi256EPKfPKPfEviT0_lT1_lili.has_recursion, 0
	.set _ZL24rocblas_gemv_scal_kernelILi256EPKfPKPfEviT0_lT1_lili.has_indirect_call, 0
	.section	.AMDGPU.csdata,"",@progbits
; Kernel info:
; codeLenInByte = 384
; TotalNumSgprs: 24
; NumVgprs: 6
; ScratchSize: 0
; MemoryBound: 0
; FloatMode: 240
; IeeeMode: 1
; LDSByteSize: 0 bytes/workgroup (compile time only)
; SGPRBlocks: 0
; VGPRBlocks: 0
; NumSGPRsForWavesPerEU: 24
; NumVGPRsForWavesPerEU: 6
; NamedBarCnt: 0
; Occupancy: 16
; WaveLimiterHint : 1
; COMPUTE_PGM_RSRC2:SCRATCH_EN: 0
; COMPUTE_PGM_RSRC2:USER_SGPR: 2
; COMPUTE_PGM_RSRC2:TRAP_HANDLER: 0
; COMPUTE_PGM_RSRC2:TGID_X_EN: 1
; COMPUTE_PGM_RSRC2:TGID_Y_EN: 0
; COMPUTE_PGM_RSRC2:TGID_Z_EN: 1
; COMPUTE_PGM_RSRC2:TIDIG_COMP_CNT: 0
	.section	.text._ZL24rocblas_gemv_scal_kernelILi256EfPKPfEviT0_lT1_lili,"axG",@progbits,_ZL24rocblas_gemv_scal_kernelILi256EfPKPfEviT0_lT1_lili,comdat
	.globl	_ZL24rocblas_gemv_scal_kernelILi256EfPKPfEviT0_lT1_lili ; -- Begin function _ZL24rocblas_gemv_scal_kernelILi256EfPKPfEviT0_lT1_lili
	.p2align	8
	.type	_ZL24rocblas_gemv_scal_kernelILi256EfPKPfEviT0_lT1_lili,@function
_ZL24rocblas_gemv_scal_kernelILi256EfPKPfEviT0_lT1_lili: ; @_ZL24rocblas_gemv_scal_kernelILi256EfPKPfEviT0_lT1_lili
; %bb.0:
	s_load_b32 s12, s[0:1], 0x30
	s_bfe_u32 s2, ttmp6, 0x40014
	s_lshr_b32 s3, ttmp7, 16
	s_add_co_i32 s2, s2, 1
	s_bfe_u32 s4, ttmp6, 0x40008
	s_mul_i32 s2, s3, s2
	s_getreg_b32 s10, hwreg(HW_REG_IB_STS2, 6, 4)
	s_add_co_i32 s4, s4, s2
	s_cmp_eq_u32 s10, 0
	s_cselect_b32 s13, s3, s4
	s_wait_kmcnt 0x0
	s_cmp_ge_u32 s13, s12
	s_cbranch_scc1 .LBB197_10
; %bb.1:
	s_clause 0x2
	s_load_b32 s2, s[0:1], 0x20
	s_load_b64 s[8:9], s[0:1], 0x0
	s_load_b128 s[4:7], s[0:1], 0x10
	v_mov_b32_e32 v3, 0
	s_wait_xcnt 0x0
	s_add_nc_u64 s[0:1], s[0:1], 56
	s_wait_kmcnt 0x0
	s_ashr_i32 s3, s2, 31
	s_cmp_neq_f32 s9, 1.0
	s_cselect_b32 s14, -1, 0
	s_bfe_u32 s11, ttmp6, 0x4000c
	s_and_b32 s15, ttmp6, 15
	s_add_co_i32 s11, s11, 1
	s_delay_alu instid0(SALU_CYCLE_1) | instskip(NEXT) | instid1(SALU_CYCLE_1)
	s_mul_i32 s11, ttmp9, s11
	s_add_co_i32 s15, s15, s11
	s_cmp_eq_u32 s10, 0
	s_mov_b32 s10, s8
	s_cselect_b32 s15, ttmp9, s15
	s_ashr_i32 s11, s8, 31
	s_cmp_neq_f32 s9, 0
	s_cselect_b32 s16, -1, 0
	s_lshl_b64 s[6:7], s[6:7], 2
	s_branch .LBB197_6
.LBB197_2:                              ;   in Loop: Header=BB197_6 Depth=1
	flat_load_b32 v1, v[4:5]
	s_wait_loadcnt_dscnt 0x0
	v_mul_f32_e32 v1, s9, v1
.LBB197_3:                              ;   in Loop: Header=BB197_6 Depth=1
	flat_store_b32 v[4:5], v1
.LBB197_4:                              ;   in Loop: Header=BB197_6 Depth=1
	s_wait_xcnt 0x0
	s_or_b32 exec_lo, exec_lo, s8
.LBB197_5:                              ;   in Loop: Header=BB197_6 Depth=1
	s_add_co_i32 s13, s13, 0x10000
	s_delay_alu instid0(SALU_CYCLE_1)
	s_cmp_lt_u32 s13, s12
	s_cbranch_scc0 .LBB197_10
.LBB197_6:                              ; =>This Inner Loop Header: Depth=1
	s_and_not1_b32 vcc_lo, exec_lo, s14
	s_cbranch_vccnz .LBB197_5
; %bb.7:                                ;   in Loop: Header=BB197_6 Depth=1
	s_load_b32 s8, s[0:1], 0xc
	s_wait_kmcnt 0x0
	s_and_b32 s8, s8, 0xffff
	s_delay_alu instid0(SALU_CYCLE_1) | instskip(SKIP_1) | instid1(VALU_DEP_1)
	v_mad_u32 v2, s15, s8, v0
	s_mov_b32 s8, exec_lo
	v_cmpx_gt_i64_e64 s[10:11], v[2:3]
	s_cbranch_execz .LBB197_4
; %bb.8:                                ;   in Loop: Header=BB197_6 Depth=1
	v_mul_u64_e32 v[4:5], s[2:3], v[2:3]
	s_load_b64 s[18:19], s[4:5], s13 offset:0x0 scale_offset
	s_and_not1_b32 vcc_lo, exec_lo, s16
	s_wait_kmcnt 0x0
	s_add_nc_u64 s[18:19], s[18:19], s[6:7]
	s_delay_alu instid0(VALU_DEP_1) | instid1(SALU_CYCLE_1)
	v_lshl_add_u64 v[4:5], v[4:5], 2, s[18:19]
	s_cbranch_vccz .LBB197_2
; %bb.9:                                ;   in Loop: Header=BB197_6 Depth=1
	v_mov_b32_e32 v1, 0
	s_branch .LBB197_3
.LBB197_10:
	s_endpgm
	.section	.rodata,"a",@progbits
	.p2align	6, 0x0
	.amdhsa_kernel _ZL24rocblas_gemv_scal_kernelILi256EfPKPfEviT0_lT1_lili
		.amdhsa_group_segment_fixed_size 0
		.amdhsa_private_segment_fixed_size 0
		.amdhsa_kernarg_size 312
		.amdhsa_user_sgpr_count 2
		.amdhsa_user_sgpr_dispatch_ptr 0
		.amdhsa_user_sgpr_queue_ptr 0
		.amdhsa_user_sgpr_kernarg_segment_ptr 1
		.amdhsa_user_sgpr_dispatch_id 0
		.amdhsa_user_sgpr_kernarg_preload_length 0
		.amdhsa_user_sgpr_kernarg_preload_offset 0
		.amdhsa_user_sgpr_private_segment_size 0
		.amdhsa_wavefront_size32 1
		.amdhsa_uses_dynamic_stack 0
		.amdhsa_enable_private_segment 0
		.amdhsa_system_sgpr_workgroup_id_x 1
		.amdhsa_system_sgpr_workgroup_id_y 0
		.amdhsa_system_sgpr_workgroup_id_z 1
		.amdhsa_system_sgpr_workgroup_info 0
		.amdhsa_system_vgpr_workitem_id 0
		.amdhsa_next_free_vgpr 6
		.amdhsa_next_free_sgpr 20
		.amdhsa_named_barrier_count 0
		.amdhsa_reserve_vcc 1
		.amdhsa_float_round_mode_32 0
		.amdhsa_float_round_mode_16_64 0
		.amdhsa_float_denorm_mode_32 3
		.amdhsa_float_denorm_mode_16_64 3
		.amdhsa_fp16_overflow 0
		.amdhsa_memory_ordered 1
		.amdhsa_forward_progress 1
		.amdhsa_inst_pref_size 3
		.amdhsa_round_robin_scheduling 0
		.amdhsa_exception_fp_ieee_invalid_op 0
		.amdhsa_exception_fp_denorm_src 0
		.amdhsa_exception_fp_ieee_div_zero 0
		.amdhsa_exception_fp_ieee_overflow 0
		.amdhsa_exception_fp_ieee_underflow 0
		.amdhsa_exception_fp_ieee_inexact 0
		.amdhsa_exception_int_div_zero 0
	.end_amdhsa_kernel
	.section	.text._ZL24rocblas_gemv_scal_kernelILi256EfPKPfEviT0_lT1_lili,"axG",@progbits,_ZL24rocblas_gemv_scal_kernelILi256EfPKPfEviT0_lT1_lili,comdat
.Lfunc_end197:
	.size	_ZL24rocblas_gemv_scal_kernelILi256EfPKPfEviT0_lT1_lili, .Lfunc_end197-_ZL24rocblas_gemv_scal_kernelILi256EfPKPfEviT0_lT1_lili
                                        ; -- End function
	.set _ZL24rocblas_gemv_scal_kernelILi256EfPKPfEviT0_lT1_lili.num_vgpr, 6
	.set _ZL24rocblas_gemv_scal_kernelILi256EfPKPfEviT0_lT1_lili.num_agpr, 0
	.set _ZL24rocblas_gemv_scal_kernelILi256EfPKPfEviT0_lT1_lili.numbered_sgpr, 20
	.set _ZL24rocblas_gemv_scal_kernelILi256EfPKPfEviT0_lT1_lili.num_named_barrier, 0
	.set _ZL24rocblas_gemv_scal_kernelILi256EfPKPfEviT0_lT1_lili.private_seg_size, 0
	.set _ZL24rocblas_gemv_scal_kernelILi256EfPKPfEviT0_lT1_lili.uses_vcc, 1
	.set _ZL24rocblas_gemv_scal_kernelILi256EfPKPfEviT0_lT1_lili.uses_flat_scratch, 0
	.set _ZL24rocblas_gemv_scal_kernelILi256EfPKPfEviT0_lT1_lili.has_dyn_sized_stack, 0
	.set _ZL24rocblas_gemv_scal_kernelILi256EfPKPfEviT0_lT1_lili.has_recursion, 0
	.set _ZL24rocblas_gemv_scal_kernelILi256EfPKPfEviT0_lT1_lili.has_indirect_call, 0
	.section	.AMDGPU.csdata,"",@progbits
; Kernel info:
; codeLenInByte = 348
; TotalNumSgprs: 22
; NumVgprs: 6
; ScratchSize: 0
; MemoryBound: 0
; FloatMode: 240
; IeeeMode: 1
; LDSByteSize: 0 bytes/workgroup (compile time only)
; SGPRBlocks: 0
; VGPRBlocks: 0
; NumSGPRsForWavesPerEU: 22
; NumVGPRsForWavesPerEU: 6
; NamedBarCnt: 0
; Occupancy: 16
; WaveLimiterHint : 1
; COMPUTE_PGM_RSRC2:SCRATCH_EN: 0
; COMPUTE_PGM_RSRC2:USER_SGPR: 2
; COMPUTE_PGM_RSRC2:TRAP_HANDLER: 0
; COMPUTE_PGM_RSRC2:TGID_X_EN: 1
; COMPUTE_PGM_RSRC2:TGID_Y_EN: 0
; COMPUTE_PGM_RSRC2:TGID_Z_EN: 1
; COMPUTE_PGM_RSRC2:TIDIG_COMP_CNT: 0
	.section	.text._ZL36rocblas_gemvn_double_buffered_kernelILi128ELi8ELi8EPKfS1_KPfEviiT3_lPKT2_lilS7_lilPT4_lili,"axG",@progbits,_ZL36rocblas_gemvn_double_buffered_kernelILi128ELi8ELi8EPKfS1_KPfEviiT3_lPKT2_lilS7_lilPT4_lili,comdat
	.globl	_ZL36rocblas_gemvn_double_buffered_kernelILi128ELi8ELi8EPKfS1_KPfEviiT3_lPKT2_lilS7_lilPT4_lili ; -- Begin function _ZL36rocblas_gemvn_double_buffered_kernelILi128ELi8ELi8EPKfS1_KPfEviiT3_lPKT2_lilS7_lilPT4_lili
	.p2align	8
	.type	_ZL36rocblas_gemvn_double_buffered_kernelILi128ELi8ELi8EPKfS1_KPfEviiT3_lPKT2_lilS7_lilPT4_lili,@function
_ZL36rocblas_gemvn_double_buffered_kernelILi128ELi8ELi8EPKfS1_KPfEviiT3_lPKT2_lilS7_lilPT4_lili: ; @_ZL36rocblas_gemvn_double_buffered_kernelILi128ELi8ELi8EPKfS1_KPfEviiT3_lPKT2_lilS7_lilPT4_lili
; %bb.0:
	s_load_b32 s33, s[0:1], 0x78
	s_bfe_u32 s2, ttmp6, 0x40014
	s_lshr_b32 s3, ttmp7, 16
	s_add_co_i32 s2, s2, 1
	s_bfe_u32 s5, ttmp6, 0x40008
	s_mul_i32 s2, s3, s2
	s_getreg_b32 s4, hwreg(HW_REG_IB_STS2, 6, 4)
	s_add_co_i32 s5, s5, s2
	s_cmp_eq_u32 s4, 0
	s_cselect_b32 s2, s3, s5
	s_mov_b32 s3, 0
	s_wait_kmcnt 0x0
	s_cmp_ge_u32 s2, s33
	s_cbranch_scc1 .LBB198_15
; %bb.1:
	s_clause 0x4
	s_load_b32 s5, s[0:1], 0x4
	s_load_b32 s20, s[0:1], 0x28
	;; [unrolled: 1-line block ×4, first 2 shown]
	s_load_b128 s[12:15], s[0:1], 0x38
	s_bfe_u32 s7, ttmp6, 0x4000c
	s_and_b32 s6, ttmp6, 15
	s_add_co_i32 s7, s7, 1
	s_bfe_u32 s9, ttmp6, 0x40010
	s_mul_i32 s7, ttmp9, s7
	s_and_b32 s8, ttmp7, 0xffff
	s_add_co_i32 s25, s6, s7
	s_add_co_i32 s9, s9, 1
	s_bfe_u32 s10, ttmp6, 0x40004
	s_mul_i32 s9, s8, s9
	v_and_b32_e32 v8, 0x3ff, v0
	s_add_co_i32 s10, s10, s9
	v_bfe_u32 v10, v0, 10, 10
	v_and_b32_e32 v0, 63, v0
	s_load_b128 s[16:19], s[0:1], 0x58
	s_wait_kmcnt 0x0
	s_ashr_i32 s6, s5, 31
	s_ashr_i32 s21, s20, 31
	s_lshr_b32 s6, s6, 25
	s_ashr_i32 s23, s22, 31
	s_add_co_i32 s5, s5, s6
	s_ashr_i32 s29, s28, 31
	s_ashr_i32 s24, s5, 7
	s_cmp_eq_u32 s4, 0
	v_lshl_add_u32 v2, v10, 7, v8
	s_cselect_b32 s48, s8, s10
	v_mov_b32_e32 v1, 0
	v_cvt_f64_i32_e32 v[4:5], s48
	s_load_b256 s[4:11], s[0:1], 0x8
	v_lshrrev_b32_e32 v11, 6, v2
	s_cselect_b32 s25, ttmp9, s25
	v_dual_mov_b32 v9, v1 :: v_dual_lshlrev_b32 v59, 2, v8
	s_lshl_b32 s30, s25, 7
	s_add_nc_u64 s[26:27], s[0:1], 0x80
	s_ashr_i32 s31, s30, 31
	s_delay_alu instid0(VALU_DEP_1)
	v_mul_u64_e32 v[2:3], s[28:29], v[8:9]
	s_wait_xcnt 0x0
	v_cmp_eq_u32_e64 s0, 0, v10
	s_mul_u64 s[44:45], s[28:29], s[30:31]
	s_lshl_b32 s40, s22, 7
	s_lshl_b64 s[30:31], s[30:31], 2
	s_ashr_i32 s41, s40, 31
	s_lshl_b64 s[28:29], s[20:21], 9
	s_mov_b32 s25, s3
	s_lshl_b64 s[34:35], s[20:21], 2
	s_lshl_b64 s[14:15], s[14:15], 2
	s_lshl_b64 s[40:41], s[40:41], 2
	s_lshl_b64 s[42:43], s[22:23], 2
	s_wait_kmcnt 0x0
	s_lshl_b64 s[10:11], s[10:11], 2
	s_lshl_b64 s[18:19], s[18:19], 2
	s_add_nc_u64 s[36:37], s[10:11], s[30:31]
	s_lshl_b64 s[44:45], s[44:45], 2
	s_add_nc_u64 s[38:39], s[36:37], 0x100
	v_dual_lshlrev_b32 v6, 3, v11 :: v_dual_lshlrev_b32 v8, 5, v11
	s_delay_alu instid0(VALU_DEP_1) | instskip(SKIP_2) | instid1(VALU_DEP_1)
	v_mad_nc_i64_i32 v[6:7], s20, v6, v[0:1]
	v_max_num_f64_e32 v[4:5], v[4:5], v[4:5]
	v_lshlrev_b32_e32 v0, 2, v0
	v_lshl_or_b32 v58, v11, 9, v0
	v_add_nc_u64_e32 v[10:11], 0x200, v[8:9]
	s_branch .LBB198_4
.LBB198_2:                              ;   in Loop: Header=BB198_4 Depth=1
	s_wait_xcnt 0x0
	s_or_b32 exec_lo, exec_lo, s1
.LBB198_3:                              ;   in Loop: Header=BB198_4 Depth=1
	s_add_co_i32 s2, s2, 0x10000
	s_delay_alu instid0(SALU_CYCLE_1)
	s_cmp_lt_u32 s2, s33
	s_cbranch_scc0 .LBB198_15
.LBB198_4:                              ; =>This Loop Header: Depth=1
                                        ;     Child Loop BB198_8 Depth 2
	s_wait_xcnt 0x0
	s_mul_u64 s[46:47], s[6:7], s[2:3]
	s_delay_alu instid0(SALU_CYCLE_1) | instskip(NEXT) | instid1(SALU_CYCLE_1)
	s_lshl_b64 s[46:47], s[46:47], 2
	s_add_nc_u64 s[46:47], s[4:5], s[46:47]
	global_load_b32 v60, v1, s[46:47]
	s_wait_loadcnt 0x0
	v_cmp_eq_f32_e32 vcc_lo, 0, v60
	s_cbranch_vccnz .LBB198_3
; %bb.5:                                ;   in Loop: Header=BB198_4 Depth=1
	s_load_b32 s1, s[26:27], 0x4
	s_wait_kmcnt 0x0
	s_cvt_f32_u32 s46, s1
	s_sub_co_i32 s47, 0, s1
	s_delay_alu instid0(SALU_CYCLE_2) | instskip(SKIP_1) | instid1(TRANS32_DEP_1)
	v_rcp_iflag_f32_e32 v12, s46
	v_nop
	v_readfirstlane_b32 s46, v12
	s_mul_f32 s46, s46, 0x4f7ffffe
	s_delay_alu instid0(SALU_CYCLE_3) | instskip(NEXT) | instid1(SALU_CYCLE_3)
	s_cvt_u32_f32 s46, s46
	s_mul_i32 s47, s47, s46
	s_delay_alu instid0(SALU_CYCLE_1) | instskip(NEXT) | instid1(SALU_CYCLE_1)
	s_mul_hi_u32 s47, s46, s47
	s_add_co_i32 s46, s46, s47
	s_mov_b32 s47, s3
	s_delay_alu instid0(SALU_CYCLE_1) | instskip(NEXT) | instid1(SALU_CYCLE_1)
	s_mul_u64 s[46:47], s[24:25], s[46:47]
	s_mul_i32 s46, s47, s1
	s_add_co_i32 s49, s47, 1
	s_sub_co_i32 s46, s24, s46
	s_delay_alu instid0(SALU_CYCLE_1)
	s_sub_co_i32 s50, s46, s1
	s_cmp_ge_u32 s46, s1
	s_cselect_b32 s47, s49, s47
	s_cselect_b32 s46, s50, s46
	s_add_co_i32 s49, s47, 1
	s_cmp_ge_u32 s46, s1
	s_cselect_b32 s49, s49, s47
	s_delay_alu instid0(SALU_CYCLE_1) | instskip(NEXT) | instid1(SALU_CYCLE_1)
	s_mul_i32 s1, s49, s1
	s_sub_co_i32 s50, s24, s1
	s_delay_alu instid0(SALU_CYCLE_1) | instskip(SKIP_1) | instid1(SALU_CYCLE_1)
	s_cmp_lt_u32 s48, s50
	s_cselect_b32 s1, -1, 0
	s_cmp_lg_u32 s1, 0
	s_add_co_ci_u32 s1, s49, 0
	s_delay_alu instid0(SALU_CYCLE_1)
	s_cmp_eq_u32 s1, 0
	s_cbranch_scc1 .LBB198_3
; %bb.6:                                ;   in Loop: Header=BB198_4 Depth=1
	s_lshl_b64 s[46:47], s[2:3], 3
	s_cmp_lt_i32 s1, 1
	s_add_nc_u64 s[52:53], s[16:17], s[46:47]
	global_load_b64 v[12:13], v1, s[52:53]
	s_cbranch_scc1 .LBB198_12
; %bb.7:                                ;   in Loop: Header=BB198_4 Depth=1
	s_wait_xcnt 0x0
	s_add_nc_u64 s[52:53], s[8:9], s[46:47]
	v_cvt_f64_u32_e32 v[14:15], s50
	global_load_b64 v[26:27], v1, s[52:53]
	s_mul_i32 s49, s49, s48
	s_add_nc_u64 s[46:47], s[12:13], s[46:47]
	v_cvt_f64_u32_e32 v[16:17], s49
	global_load_b64 v[28:29], v1, s[46:47]
	v_dual_min_num_f64 v[14:15], v[4:5], v[14:15] :: v_dual_mov_b32 v65, 0
	s_delay_alu instid0(VALU_DEP_1) | instskip(NEXT) | instid1(VALU_DEP_1)
	v_add_f64_e32 v[14:15], v[14:15], v[16:17]
	v_cvt_i32_f64_e32 v16, v[14:15]
	s_wait_xcnt 0x0
	s_delay_alu instid0(VALU_DEP_1) | instskip(SKIP_1) | instid1(SALU_CYCLE_1)
	v_readfirstlane_b32 s46, v16
	s_lshl_b32 s46, s46, 7
	s_ashr_i32 s47, s46, 31
	s_delay_alu instid0(SALU_CYCLE_1)
	s_mul_u64 s[50:51], s[46:47], s[20:21]
	s_lshl_b64 s[46:47], s[46:47], 2
	s_lshl_b64 s[50:51], s[50:51], 2
	v_add_nc_u64_e32 v[56:57], s[46:47], v[10:11]
	v_add_nc_u64_e32 v[62:63], s[46:47], v[8:9]
	s_wait_loadcnt 0x1
	v_add_nc_u64_e32 v[14:15], s[10:11], v[26:27]
	s_delay_alu instid0(VALU_DEP_1) | instskip(NEXT) | instid1(VALU_DEP_1)
	v_add_nc_u64_e32 v[14:15], s[30:31], v[14:15]
	v_add_nc_u64_e32 v[14:15], s[50:51], v[14:15]
	s_delay_alu instid0(VALU_DEP_1) | instskip(NEXT) | instid1(VALU_DEP_1)
	v_lshl_add_u64 v[20:21], v[6:7], 2, v[14:15]
	v_lshl_add_u64 v[22:23], s[20:21], 2, v[20:21]
	s_delay_alu instid0(VALU_DEP_1) | instskip(NEXT) | instid1(VALU_DEP_1)
	v_add_nc_u64_e32 v[24:25], s[34:35], v[22:23]
	v_add_nc_u64_e32 v[30:31], s[34:35], v[24:25]
	s_delay_alu instid0(VALU_DEP_1) | instskip(NEXT) | instid1(VALU_DEP_1)
	v_add_nc_u64_e32 v[32:33], s[34:35], v[30:31]
	v_add_nc_u64_e32 v[34:35], s[34:35], v[32:33]
	;; [unrolled: 3-line block ×3, first 2 shown]
	flat_load_b32 v61, v[38:39]
	s_clause 0x6
	flat_load_b32 v40, v[20:21]
	flat_load_b32 v18, v[22:23]
	;; [unrolled: 1-line block ×7, first 2 shown]
	s_wait_xcnt 0x6
	v_add_nc_u64_e32 v[20:21], 0x208, v[8:9]
	s_wait_xcnt 0x5
	v_add_nc_u64_e32 v[22:23], 0x20c, v[8:9]
	;; [unrolled: 2-line block ×6, first 2 shown]
	v_add_nc_u64_e32 v[38:39], 0x204, v[8:9]
	v_add_nc_u64_e32 v[34:35], s[36:37], v[26:27]
	;; [unrolled: 1-line block ×10, first 2 shown]
	s_wait_loadcnt 0x8
	v_add_nc_u64_e32 v[38:39], s[14:15], v[28:29]
	v_mad_nc_u64_u32 v[20:21], s20, v42, v[34:35]
	v_mad_nc_u64_u32 v[22:23], s20, v44, v[34:35]
	;; [unrolled: 1-line block ×10, first 2 shown]
	s_add_co_i32 s46, s1, -1
	v_mad_u32 v21, s21, v42, v21
	v_mad_u32 v23, s21, v44, v23
	;; [unrolled: 1-line block ×10, first 2 shown]
	s_mov_b32 s47, 0
	v_mad_u32 v21, s20, v43, v21
	v_mad_u32 v23, s20, v45, v23
	;; [unrolled: 1-line block ×10, first 2 shown]
	s_wait_loadcnt_dscnt 0x707
	v_dual_mov_b32 v63, 0 :: v_dual_mov_b32 v64, v61
	s_wait_loadcnt_dscnt 0x606
	v_mov_b32_e32 v62, v40
.LBB198_8:                              ;   Parent Loop BB198_4 Depth=1
                                        ; =>  This Inner Loop Header: Depth=2
	s_delay_alu instid0(VALU_DEP_4) | instskip(NEXT) | instid1(VALU_DEP_4)
	v_add_nc_u64_e32 v[42:43], v[36:37], v[0:1]
	v_add_nc_u64_e32 v[46:47], s[42:43], v[38:39]
	s_cmp_eq_u32 s46, s47
	s_delay_alu instid0(VALU_DEP_2) | instskip(NEXT) | instid1(VALU_DEP_2)
	v_add_nc_u64_e32 v[44:45], s[34:35], v[42:43]
	v_add_nc_u64_e32 v[50:51], s[42:43], v[46:47]
	s_delay_alu instid0(VALU_DEP_2) | instskip(NEXT) | instid1(VALU_DEP_2)
	v_add_nc_u64_e32 v[48:49], s[34:35], v[44:45]
	v_add_nc_u64_e32 v[66:67], s[42:43], v[50:51]
	s_delay_alu instid0(VALU_DEP_2) | instskip(NEXT) | instid1(VALU_DEP_2)
	v_add_nc_u64_e32 v[54:55], s[34:35], v[48:49]
	v_add_nc_u64_e32 v[68:69], s[42:43], v[66:67]
	s_delay_alu instid0(VALU_DEP_2) | instskip(NEXT) | instid1(VALU_DEP_2)
	v_add_nc_u64_e32 v[56:57], s[34:35], v[54:55]
	v_add_nc_u64_e32 v[70:71], s[42:43], v[68:69]
	s_wait_xcnt 0x4
	s_delay_alu instid0(VALU_DEP_2) | instskip(SKIP_1) | instid1(VALU_DEP_2)
	v_add_nc_u64_e32 v[72:73], s[34:35], v[56:57]
	s_wait_xcnt 0x1
	v_add_nc_u64_e32 v[74:75], s[42:43], v[70:71]
	s_delay_alu instid0(VALU_DEP_2) | instskip(SKIP_1) | instid1(VALU_DEP_2)
	v_add_nc_u64_e32 v[76:77], s[34:35], v[72:73]
	s_wait_xcnt 0x0
	v_add_nc_u64_e32 v[78:79], s[42:43], v[74:75]
	s_delay_alu instid0(VALU_DEP_2)
	v_add_nc_u64_e32 v[80:81], s[34:35], v[76:77]
	s_clause 0x7
	flat_load_b32 v52, v[42:43]
	flat_load_b32 v53, v[44:45]
	;; [unrolled: 1-line block ×8, first 2 shown]
	s_clause 0x7
	flat_load_b32 v56, v[38:39]
	flat_load_b32 v54, v[46:47]
	;; [unrolled: 1-line block ×8, first 2 shown]
	s_wait_loadcnt_dscnt 0x1414
	s_wait_xcnt 0x4
	v_dual_mov_b32 v66, v18 :: v_dual_mov_b32 v67, v19
	s_wait_loadcnt_dscnt 0x1212
	s_wait_xcnt 0x3
	v_dual_mov_b32 v68, v16 :: v_dual_mov_b32 v69, v17
	;; [unrolled: 3-line block ×3, first 2 shown]
	s_cbranch_scc1 .LBB198_10
; %bb.9:                                ;   in Loop: Header=BB198_8 Depth=2
	v_add_nc_u64_e32 v[66:67], v[34:35], v[0:1]
	v_add_nc_u64_e32 v[68:69], v[32:33], v[0:1]
	;; [unrolled: 1-line block ×4, first 2 shown]
	s_wait_xcnt 0x1
	v_add_nc_u64_e32 v[74:75], v[24:25], v[0:1]
	v_add_nc_u64_e32 v[76:77], v[26:27], v[0:1]
	s_wait_xcnt 0x0
	v_add_nc_u64_e32 v[78:79], v[28:29], v[0:1]
	v_add_nc_u64_e32 v[80:81], v[30:31], v[0:1]
	flat_load_b32 v62, v[66:67]
	flat_load_b32 v66, v[68:69]
	;; [unrolled: 1-line block ×8, first 2 shown]
.LBB198_10:                             ;   in Loop: Header=BB198_8 Depth=2
	s_wait_loadcnt_dscnt 0x606
	v_dual_mov_b32 v57, v54 :: v_dual_fmac_f32 v65, v40, v56
	s_wait_loadcnt_dscnt 0x505
	v_pk_mul_f32 v[18:19], v[18:19], v[54:55]
	s_wait_loadcnt_dscnt 0x404
	v_dual_mov_b32 v54, v55 :: v_dual_mov_b32 v55, v50
	v_pk_mul_f32 v[52:53], v[52:53], v[56:57]
	s_wait_loadcnt_dscnt 0x303
	v_pk_mul_f32 v[16:17], v[16:17], v[50:51]
	s_wait_loadcnt_dscnt 0x101
	v_pk_mul_f32 v[14:15], v[14:15], v[46:47]
	v_add_nc_u64_e32 v[20:21], s[28:29], v[20:21]
	v_pk_mul_f32 v[48:49], v[48:49], v[54:55]
	v_dual_add_f32 v40, v63, v52 :: v_dual_add_f32 v18, v65, v18
	v_add_nc_u64_e32 v[22:23], s[28:29], v[22:23]
	v_add_nc_u64_e32 v[24:25], s[28:29], v[24:25]
	;; [unrolled: 1-line block ×3, first 2 shown]
	s_delay_alu instid0(VALU_DEP_4) | instskip(SKIP_3) | instid1(VALU_DEP_4)
	v_dual_add_f32 v40, v40, v53 :: v_dual_mov_b32 v50, v51
	v_mov_b32_e32 v51, v46
	v_add_nc_u64_e32 v[28:29], s[28:29], v[28:29]
	v_add_nc_u64_e32 v[30:31], s[28:29], v[30:31]
	v_dual_add_f32 v40, v40, v48 :: v_dual_add_f32 v52, v18, v19
	s_delay_alu instid0(VALU_DEP_4) | instskip(SKIP_2) | instid1(VALU_DEP_4)
	v_pk_mul_f32 v[18:19], v[44:45], v[50:51]
	v_add_nc_u64_e32 v[32:33], s[28:29], v[32:33]
	v_add_nc_u64_e32 v[34:35], s[28:29], v[34:35]
	v_add_f32_e32 v44, v40, v49
	v_dual_add_f32 v16, v52, v16 :: v_dual_mov_b32 v40, v47
	v_add_nc_u64_e32 v[36:37], s[28:29], v[36:37]
	v_add_nc_u64_e32 v[38:39], s[40:41], v[38:39]
	s_delay_alu instid0(VALU_DEP_4) | instskip(NEXT) | instid1(VALU_DEP_4)
	v_add_f32_e32 v18, v44, v18
	v_add_f32_e32 v45, v16, v17
	s_wait_loadcnt_dscnt 0x0
	v_pk_mul_f32 v[16:17], v[42:43], v[40:41]
	s_add_co_i32 s47, s47, 1
	s_delay_alu instid0(SALU_CYCLE_1) | instskip(SKIP_1) | instid1(VALU_DEP_1)
	s_cmp_lt_i32 s47, s1
	v_dual_add_f32 v18, v18, v19 :: v_dual_add_f32 v14, v45, v14
	v_add_f32_e32 v65, v14, v15
	s_delay_alu instid0(VALU_DEP_1) | instskip(NEXT) | instid1(VALU_DEP_1)
	v_dual_add_f32 v14, v18, v16 :: v_dual_fmac_f32 v65, v61, v41
	v_add_f32_e32 v63, v14, v17
	s_cbranch_scc0 .LBB198_13
; %bb.11:                               ;   in Loop: Header=BB198_8 Depth=2
	v_dual_mov_b32 v40, v62 :: v_dual_mov_b32 v18, v66
	v_dual_mov_b32 v19, v67 :: v_dual_mov_b32 v16, v68
	v_dual_mov_b32 v17, v69 :: v_dual_mov_b32 v14, v70
	v_dual_mov_b32 v15, v71 :: v_dual_mov_b32 v61, v64
	s_branch .LBB198_8
.LBB198_12:                             ;   in Loop: Header=BB198_4 Depth=1
	v_dual_mov_b32 v63, 0 :: v_dual_mov_b32 v65, 0
.LBB198_13:                             ;   in Loop: Header=BB198_4 Depth=1
	ds_store_2addr_stride64_b32 v58, v65, v63 offset1:1
	s_wait_loadcnt_dscnt 0x0
	s_barrier_signal -1
	s_barrier_wait -1
	s_wait_xcnt 0x0
	s_and_saveexec_b32 s1, s0
	s_cbranch_execz .LBB198_2
; %bb.14:                               ;   in Loop: Header=BB198_4 Depth=1
	ds_load_2addr_stride64_b32 v[14:15], v59 offset1:2
	ds_load_2addr_stride64_b32 v[16:17], v59 offset0:4 offset1:6
	ds_load_2addr_stride64_b32 v[18:19], v59 offset0:8 offset1:10
	v_add_nc_u64_e32 v[12:13], s[18:19], v[12:13]
	s_delay_alu instid0(VALU_DEP_1) | instskip(NEXT) | instid1(VALU_DEP_1)
	v_add_nc_u64_e32 v[12:13], s[44:45], v[12:13]
	v_lshl_add_u64 v[12:13], v[2:3], 2, v[12:13]
	s_wait_dscnt 0x2
	v_add_f32_e32 v14, 0, v14
	s_delay_alu instid0(VALU_DEP_1) | instskip(SKIP_3) | instid1(VALU_DEP_1)
	v_add_f32_e32 v20, v14, v15
	ds_load_2addr_stride64_b32 v[14:15], v59 offset0:12 offset1:14
	s_wait_dscnt 0x2
	v_add_f32_e32 v16, v20, v16
	v_add_f32_e32 v20, v16, v17
	ds_load_2addr_stride64_b32 v[16:17], v59 offset0:16 offset1:18
	s_wait_dscnt 0x2
	v_add_f32_e32 v18, v20, v18
	s_delay_alu instid0(VALU_DEP_1) | instskip(SKIP_3) | instid1(VALU_DEP_1)
	v_add_f32_e32 v20, v18, v19
	ds_load_2addr_stride64_b32 v[18:19], v59 offset0:20 offset1:22
	s_wait_dscnt 0x2
	v_add_f32_e32 v14, v20, v14
	v_add_f32_e32 v14, v14, v15
	s_wait_dscnt 0x1
	s_delay_alu instid0(VALU_DEP_1) | instskip(SKIP_3) | instid1(VALU_DEP_1)
	v_add_f32_e32 v16, v14, v16
	ds_load_2addr_stride64_b32 v[14:15], v59 offset0:24 offset1:26
	v_add_f32_e32 v16, v16, v17
	s_wait_dscnt 0x1
	v_add_f32_e32 v18, v16, v18
	ds_load_2addr_stride64_b32 v[16:17], v59 offset0:28 offset1:30
	v_add_f32_e32 v18, v18, v19
	s_wait_dscnt 0x1
	s_delay_alu instid0(VALU_DEP_1) | instskip(NEXT) | instid1(VALU_DEP_1)
	v_add_f32_e32 v14, v18, v14
	v_add_f32_e32 v14, v14, v15
	s_wait_dscnt 0x0
	s_delay_alu instid0(VALU_DEP_1) | instskip(NEXT) | instid1(VALU_DEP_1)
	v_add_f32_e32 v14, v14, v16
	v_add_f32_e32 v14, v14, v17
	s_delay_alu instid0(VALU_DEP_1)
	v_mul_f32_e32 v14, v60, v14
	flat_atomic_add_f32 v[12:13], v14 scope:SCOPE_DEV
	s_branch .LBB198_2
.LBB198_15:
	s_sendmsg sendmsg(MSG_DEALLOC_VGPRS)
	s_endpgm
	.section	.rodata,"a",@progbits
	.p2align	6, 0x0
	.amdhsa_kernel _ZL36rocblas_gemvn_double_buffered_kernelILi128ELi8ELi8EPKfS1_KPfEviiT3_lPKT2_lilS7_lilPT4_lili
		.amdhsa_group_segment_fixed_size 8192
		.amdhsa_private_segment_fixed_size 0
		.amdhsa_kernarg_size 384
		.amdhsa_user_sgpr_count 2
		.amdhsa_user_sgpr_dispatch_ptr 0
		.amdhsa_user_sgpr_queue_ptr 0
		.amdhsa_user_sgpr_kernarg_segment_ptr 1
		.amdhsa_user_sgpr_dispatch_id 0
		.amdhsa_user_sgpr_kernarg_preload_length 0
		.amdhsa_user_sgpr_kernarg_preload_offset 0
		.amdhsa_user_sgpr_private_segment_size 0
		.amdhsa_wavefront_size32 1
		.amdhsa_uses_dynamic_stack 0
		.amdhsa_enable_private_segment 0
		.amdhsa_system_sgpr_workgroup_id_x 1
		.amdhsa_system_sgpr_workgroup_id_y 1
		.amdhsa_system_sgpr_workgroup_id_z 1
		.amdhsa_system_sgpr_workgroup_info 0
		.amdhsa_system_vgpr_workitem_id 1
		.amdhsa_next_free_vgpr 82
		.amdhsa_next_free_sgpr 54
		.amdhsa_named_barrier_count 0
		.amdhsa_reserve_vcc 1
		.amdhsa_float_round_mode_32 0
		.amdhsa_float_round_mode_16_64 0
		.amdhsa_float_denorm_mode_32 3
		.amdhsa_float_denorm_mode_16_64 3
		.amdhsa_fp16_overflow 0
		.amdhsa_memory_ordered 1
		.amdhsa_forward_progress 1
		.amdhsa_inst_pref_size 20
		.amdhsa_round_robin_scheduling 0
		.amdhsa_exception_fp_ieee_invalid_op 0
		.amdhsa_exception_fp_denorm_src 0
		.amdhsa_exception_fp_ieee_div_zero 0
		.amdhsa_exception_fp_ieee_overflow 0
		.amdhsa_exception_fp_ieee_underflow 0
		.amdhsa_exception_fp_ieee_inexact 0
		.amdhsa_exception_int_div_zero 0
	.end_amdhsa_kernel
	.section	.text._ZL36rocblas_gemvn_double_buffered_kernelILi128ELi8ELi8EPKfS1_KPfEviiT3_lPKT2_lilS7_lilPT4_lili,"axG",@progbits,_ZL36rocblas_gemvn_double_buffered_kernelILi128ELi8ELi8EPKfS1_KPfEviiT3_lPKT2_lilS7_lilPT4_lili,comdat
.Lfunc_end198:
	.size	_ZL36rocblas_gemvn_double_buffered_kernelILi128ELi8ELi8EPKfS1_KPfEviiT3_lPKT2_lilS7_lilPT4_lili, .Lfunc_end198-_ZL36rocblas_gemvn_double_buffered_kernelILi128ELi8ELi8EPKfS1_KPfEviiT3_lPKT2_lilS7_lilPT4_lili
                                        ; -- End function
	.set _ZL36rocblas_gemvn_double_buffered_kernelILi128ELi8ELi8EPKfS1_KPfEviiT3_lPKT2_lilS7_lilPT4_lili.num_vgpr, 82
	.set _ZL36rocblas_gemvn_double_buffered_kernelILi128ELi8ELi8EPKfS1_KPfEviiT3_lPKT2_lilS7_lilPT4_lili.num_agpr, 0
	.set _ZL36rocblas_gemvn_double_buffered_kernelILi128ELi8ELi8EPKfS1_KPfEviiT3_lPKT2_lilS7_lilPT4_lili.numbered_sgpr, 54
	.set _ZL36rocblas_gemvn_double_buffered_kernelILi128ELi8ELi8EPKfS1_KPfEviiT3_lPKT2_lilS7_lilPT4_lili.num_named_barrier, 0
	.set _ZL36rocblas_gemvn_double_buffered_kernelILi128ELi8ELi8EPKfS1_KPfEviiT3_lPKT2_lilS7_lilPT4_lili.private_seg_size, 0
	.set _ZL36rocblas_gemvn_double_buffered_kernelILi128ELi8ELi8EPKfS1_KPfEviiT3_lPKT2_lilS7_lilPT4_lili.uses_vcc, 1
	.set _ZL36rocblas_gemvn_double_buffered_kernelILi128ELi8ELi8EPKfS1_KPfEviiT3_lPKT2_lilS7_lilPT4_lili.uses_flat_scratch, 1
	.set _ZL36rocblas_gemvn_double_buffered_kernelILi128ELi8ELi8EPKfS1_KPfEviiT3_lPKT2_lilS7_lilPT4_lili.has_dyn_sized_stack, 0
	.set _ZL36rocblas_gemvn_double_buffered_kernelILi128ELi8ELi8EPKfS1_KPfEviiT3_lPKT2_lilS7_lilPT4_lili.has_recursion, 0
	.set _ZL36rocblas_gemvn_double_buffered_kernelILi128ELi8ELi8EPKfS1_KPfEviiT3_lPKT2_lilS7_lilPT4_lili.has_indirect_call, 0
	.section	.AMDGPU.csdata,"",@progbits
; Kernel info:
; codeLenInByte = 2472
; TotalNumSgprs: 56
; NumVgprs: 82
; ScratchSize: 0
; MemoryBound: 0
; FloatMode: 240
; IeeeMode: 1
; LDSByteSize: 8192 bytes/workgroup (compile time only)
; SGPRBlocks: 0
; VGPRBlocks: 5
; NumSGPRsForWavesPerEU: 56
; NumVGPRsForWavesPerEU: 82
; NamedBarCnt: 0
; Occupancy: 10
; WaveLimiterHint : 1
; COMPUTE_PGM_RSRC2:SCRATCH_EN: 0
; COMPUTE_PGM_RSRC2:USER_SGPR: 2
; COMPUTE_PGM_RSRC2:TRAP_HANDLER: 0
; COMPUTE_PGM_RSRC2:TGID_X_EN: 1
; COMPUTE_PGM_RSRC2:TGID_Y_EN: 1
; COMPUTE_PGM_RSRC2:TGID_Z_EN: 1
; COMPUTE_PGM_RSRC2:TIDIG_COMP_CNT: 1
	.section	.text._ZL36rocblas_gemvn_double_buffered_kernelILi128ELi8ELi8EPKffKPfEviiT3_lPKT2_lilS7_lilPT4_lili,"axG",@progbits,_ZL36rocblas_gemvn_double_buffered_kernelILi128ELi8ELi8EPKffKPfEviiT3_lPKT2_lilS7_lilPT4_lili,comdat
	.globl	_ZL36rocblas_gemvn_double_buffered_kernelILi128ELi8ELi8EPKffKPfEviiT3_lPKT2_lilS7_lilPT4_lili ; -- Begin function _ZL36rocblas_gemvn_double_buffered_kernelILi128ELi8ELi8EPKffKPfEviiT3_lPKT2_lilS7_lilPT4_lili
	.p2align	8
	.type	_ZL36rocblas_gemvn_double_buffered_kernelILi128ELi8ELi8EPKffKPfEviiT3_lPKT2_lilS7_lilPT4_lili,@function
_ZL36rocblas_gemvn_double_buffered_kernelILi128ELi8ELi8EPKffKPfEviiT3_lPKT2_lilS7_lilPT4_lili: ; @_ZL36rocblas_gemvn_double_buffered_kernelILi128ELi8ELi8EPKffKPfEviiT3_lPKT2_lilS7_lilPT4_lili
; %bb.0:
	s_load_b32 s33, s[0:1], 0x78
	s_bfe_u32 s2, ttmp6, 0x40014
	s_lshr_b32 s4, ttmp7, 16
	s_add_co_i32 s2, s2, 1
	s_bfe_u32 s5, ttmp6, 0x40008
	s_mul_i32 s2, s4, s2
	s_getreg_b32 s3, hwreg(HW_REG_IB_STS2, 6, 4)
	s_add_co_i32 s5, s5, s2
	s_cmp_eq_u32 s3, 0
	s_mov_b32 s17, 0
	s_cselect_b32 s2, s4, s5
	s_wait_kmcnt 0x0
	s_cmp_ge_u32 s2, s33
	s_cbranch_scc1 .LBB199_15
; %bb.1:
	s_clause 0x6
	s_load_b32 s18, s[0:1], 0x28
	s_load_b32 s20, s[0:1], 0x48
	;; [unrolled: 1-line block ×3, first 2 shown]
	s_load_b64 s[22:23], s[0:1], 0x4
	s_load_b128 s[4:7], s[0:1], 0x38
	s_load_b128 s[8:11], s[0:1], 0x18
	;; [unrolled: 1-line block ×3, first 2 shown]
	v_and_b32_e32 v8, 0x3ff, v0
	v_bfe_u32 v10, v0, 10, 10
	v_and_b32_e32 v0, 63, v0
	s_delay_alu instid0(VALU_DEP_3) | instskip(NEXT) | instid1(VALU_DEP_3)
	v_lshlrev_b32_e32 v59, 2, v8
	v_lshl_add_u32 v2, v10, 7, v8
	s_delay_alu instid0(VALU_DEP_1) | instskip(NEXT) | instid1(VALU_DEP_1)
	v_dual_mov_b32 v1, 0 :: v_dual_lshrrev_b32 v11, 6, v2
	v_mov_b32_e32 v9, v1
	s_wait_kmcnt 0x0
	s_ashr_i32 s19, s18, 31
	s_ashr_i32 s21, s20, 31
	;; [unrolled: 1-line block ×3, first 2 shown]
	s_cmp_neq_f32 s23, 0
	v_mul_u64_e32 v[2:3], s[28:29], v[8:9]
	v_dual_lshlrev_b32 v6, 3, v11 :: v_dual_lshlrev_b32 v8, 5, v11
	s_cselect_b32 s46, -1, 0
	s_ashr_i32 s16, s22, 31
	s_bfe_u32 s24, ttmp6, 0x4000c
	s_bfe_u32 s27, ttmp6, 0x40010
	s_and_b32 s26, ttmp7, 0xffff
	s_lshr_b32 s16, s16, 25
	s_add_co_i32 s24, s24, 1
	s_add_co_i32 s27, s27, 1
	s_and_b32 s25, ttmp6, 15
	s_bfe_u32 s30, ttmp6, 0x40004
	s_add_co_i32 s16, s22, s16
	s_mul_i32 s22, ttmp9, s24
	s_mul_i32 s27, s26, s27
	s_ashr_i32 s24, s16, 7
	s_add_co_i32 s25, s25, s22
	s_add_co_i32 s30, s30, s27
	s_cmp_eq_u32 s3, 0
	v_mad_nc_i64_i32 v[6:7], s18, v6, v[0:1]
	s_cselect_b32 s22, s26, s30
	s_cselect_b32 s3, ttmp9, s25
	v_cvt_f64_i32_e32 v[4:5], s22
	v_lshlrev_b32_e32 v0, 2, v0
	s_lshl_b32 s30, s3, 7
	s_add_nc_u64 s[26:27], s[0:1], 0x80
	s_ashr_i32 s31, s30, 31
	v_cmp_eq_u32_e64 s0, 0, v10
	s_mul_u64 s[44:45], s[28:29], s[30:31]
	s_lshl_b32 s40, s20, 7
	s_lshl_b64 s[10:11], s[10:11], 2
	s_lshl_b64 s[30:31], s[30:31], 2
	s_ashr_i32 s41, s40, 31
	s_add_nc_u64 s[36:37], s[10:11], s[30:31]
	s_lshl_b64 s[28:29], s[18:19], 9
	s_mov_b32 s25, s17
	s_lshl_b64 s[34:35], s[18:19], 2
	s_add_nc_u64 s[38:39], s[36:37], 0x100
	s_lshl_b64 s[6:7], s[6:7], 2
	s_lshl_b64 s[40:41], s[40:41], 2
	;; [unrolled: 1-line block ×5, first 2 shown]
	v_lshl_or_b32 v58, v11, 9, v0
	v_add_nc_u64_e32 v[10:11], 0x200, v[8:9]
	v_max_num_f64_e32 v[4:5], v[4:5], v[4:5]
	s_branch .LBB199_4
.LBB199_2:                              ;   in Loop: Header=BB199_4 Depth=1
	s_wait_xcnt 0x0
	s_or_b32 exec_lo, exec_lo, s1
.LBB199_3:                              ;   in Loop: Header=BB199_4 Depth=1
	s_add_co_i32 s2, s2, 0x10000
	s_delay_alu instid0(SALU_CYCLE_1)
	s_cmp_lt_u32 s2, s33
	s_cbranch_scc0 .LBB199_15
.LBB199_4:                              ; =>This Loop Header: Depth=1
                                        ;     Child Loop BB199_8 Depth 2
	s_and_not1_b32 vcc_lo, exec_lo, s46
	s_cbranch_vccnz .LBB199_3
; %bb.5:                                ;   in Loop: Header=BB199_4 Depth=1
	s_load_b32 s1, s[26:27], 0x4
	s_wait_kmcnt 0x0
	s_cvt_f32_u32 s3, s1
	s_sub_co_i32 s16, 0, s1
	s_delay_alu instid0(SALU_CYCLE_2) | instskip(SKIP_1) | instid1(TRANS32_DEP_1)
	v_rcp_iflag_f32_e32 v12, s3
	v_nop
	v_readfirstlane_b32 s3, v12
	s_mul_f32 s3, s3, 0x4f7ffffe
	s_delay_alu instid0(SALU_CYCLE_3) | instskip(NEXT) | instid1(SALU_CYCLE_3)
	s_cvt_u32_f32 s3, s3
	s_mul_i32 s16, s16, s3
	s_delay_alu instid0(SALU_CYCLE_1) | instskip(NEXT) | instid1(SALU_CYCLE_1)
	s_mul_hi_u32 s16, s3, s16
	s_add_co_i32 s16, s3, s16
	s_delay_alu instid0(SALU_CYCLE_1) | instskip(NEXT) | instid1(SALU_CYCLE_1)
	s_mul_u64 s[48:49], s[24:25], s[16:17]
	s_mul_i32 s3, s49, s1
	s_add_co_i32 s16, s49, 1
	s_sub_co_i32 s3, s24, s3
	s_delay_alu instid0(SALU_CYCLE_1)
	s_sub_co_i32 s47, s3, s1
	s_cmp_ge_u32 s3, s1
	s_cselect_b32 s16, s16, s49
	s_cselect_b32 s3, s47, s3
	s_add_co_i32 s47, s16, 1
	s_cmp_ge_u32 s3, s1
	s_cselect_b32 s16, s47, s16
	s_delay_alu instid0(SALU_CYCLE_1) | instskip(NEXT) | instid1(SALU_CYCLE_1)
	s_mul_i32 s1, s16, s1
	s_sub_co_i32 s47, s24, s1
	s_delay_alu instid0(SALU_CYCLE_1) | instskip(SKIP_1) | instid1(SALU_CYCLE_1)
	s_cmp_lt_u32 s22, s47
	s_cselect_b32 s1, -1, 0
	s_cmp_lg_u32 s1, 0
	s_add_co_ci_u32 s1, s16, 0
	s_delay_alu instid0(SALU_CYCLE_1)
	s_cmp_eq_u32 s1, 0
	s_cbranch_scc1 .LBB199_3
; %bb.6:                                ;   in Loop: Header=BB199_4 Depth=1
	v_mov_b32_e32 v12, s2
	s_cmp_lt_i32 s1, 1
	global_load_b64 v[12:13], v12, s[12:13] scale_offset
	s_cbranch_scc1 .LBB199_12
; %bb.7:                                ;   in Loop: Header=BB199_4 Depth=1
	s_mov_b32 s3, s17
	v_cvt_f64_u32_e32 v[14:15], s47
	s_lshl_b64 s[48:49], s[2:3], 3
	s_mul_i32 s16, s16, s22
	s_add_nc_u64 s[50:51], s[8:9], s[48:49]
	v_cvt_f64_u32_e32 v[16:17], s16
	global_load_b64 v[26:27], v1, s[50:51]
	s_add_nc_u64 s[48:49], s[4:5], s[48:49]
	s_mov_b32 s16, 0
	global_load_b64 v[28:29], v1, s[48:49]
	v_dual_min_num_f64 v[14:15], v[4:5], v[14:15] :: v_dual_mov_b32 v64, 0
	s_delay_alu instid0(VALU_DEP_1) | instskip(NEXT) | instid1(VALU_DEP_1)
	v_add_f64_e32 v[14:15], v[14:15], v[16:17]
	v_cvt_i32_f64_e32 v16, v[14:15]
	s_delay_alu instid0(VALU_DEP_1) | instskip(SKIP_4) | instid1(SALU_CYCLE_1)
	v_readfirstlane_b32 s3, v16
	s_wait_xcnt 0x0
	s_lshl_b32 s48, s3, 7
	s_add_co_i32 s3, s1, -1
	s_ashr_i32 s49, s48, 31
	s_mul_u64 s[50:51], s[48:49], s[18:19]
	s_lshl_b64 s[48:49], s[48:49], 2
	s_lshl_b64 s[50:51], s[50:51], 2
	v_add_nc_u64_e32 v[56:57], s[48:49], v[10:11]
	v_add_nc_u64_e32 v[62:63], s[48:49], v[8:9]
	s_wait_loadcnt 0x1
	v_add_nc_u64_e32 v[14:15], s[10:11], v[26:27]
	s_delay_alu instid0(VALU_DEP_1) | instskip(NEXT) | instid1(VALU_DEP_1)
	v_add_nc_u64_e32 v[14:15], s[30:31], v[14:15]
	v_add_nc_u64_e32 v[14:15], s[50:51], v[14:15]
	s_delay_alu instid0(VALU_DEP_1) | instskip(NEXT) | instid1(VALU_DEP_1)
	v_lshl_add_u64 v[20:21], v[6:7], 2, v[14:15]
	v_lshl_add_u64 v[22:23], s[18:19], 2, v[20:21]
	s_delay_alu instid0(VALU_DEP_1) | instskip(NEXT) | instid1(VALU_DEP_1)
	v_add_nc_u64_e32 v[24:25], s[34:35], v[22:23]
	v_add_nc_u64_e32 v[30:31], s[34:35], v[24:25]
	s_delay_alu instid0(VALU_DEP_1) | instskip(NEXT) | instid1(VALU_DEP_1)
	v_add_nc_u64_e32 v[32:33], s[34:35], v[30:31]
	v_add_nc_u64_e32 v[34:35], s[34:35], v[32:33]
	s_delay_alu instid0(VALU_DEP_1) | instskip(NEXT) | instid1(VALU_DEP_1)
	v_add_nc_u64_e32 v[36:37], s[34:35], v[34:35]
	v_add_nc_u64_e32 v[38:39], s[34:35], v[36:37]
	flat_load_b32 v60, v[38:39]
	s_clause 0x6
	flat_load_b32 v40, v[20:21]
	flat_load_b32 v18, v[22:23]
	;; [unrolled: 1-line block ×7, first 2 shown]
	s_wait_xcnt 0x6
	v_add_nc_u64_e32 v[20:21], 0x208, v[8:9]
	s_wait_xcnt 0x5
	v_add_nc_u64_e32 v[22:23], 0x20c, v[8:9]
	;; [unrolled: 2-line block ×6, first 2 shown]
	v_add_nc_u64_e32 v[38:39], 0x204, v[8:9]
	v_add_nc_u64_e32 v[34:35], s[36:37], v[26:27]
	;; [unrolled: 1-line block ×10, first 2 shown]
	s_wait_loadcnt 0x8
	v_add_nc_u64_e32 v[38:39], s[6:7], v[28:29]
	v_mad_nc_u64_u32 v[20:21], s18, v42, v[34:35]
	v_mad_nc_u64_u32 v[22:23], s18, v44, v[34:35]
	v_mad_nc_u64_u32 v[24:25], s18, v46, v[34:35]
	v_mad_nc_u64_u32 v[26:27], s18, v48, v[34:35]
	v_mad_nc_u64_u32 v[28:29], s18, v50, v[34:35]
	v_mad_nc_u64_u32 v[30:31], s18, v52, v[34:35]
	v_mad_nc_u64_u32 v[32:33], s18, v54, v[34:35]
	v_mad_nc_u64_u32 v[34:35], s18, v56, v[34:35]
	v_mad_nc_u64_u32 v[36:37], s18, v62, v[36:37]
	v_mad_nc_u64_u32 v[38:39], s20, v62, v[38:39]
	v_mad_u32 v21, s19, v42, v21
	v_mad_u32 v23, s19, v44, v23
	v_mad_u32 v25, s19, v46, v25
	v_mad_u32 v27, s19, v48, v27
	v_mad_u32 v29, s19, v50, v29
	v_mad_u32 v31, s19, v52, v31
	v_mad_u32 v33, s19, v54, v33
	v_mad_u32 v35, s19, v56, v35
	v_mad_u32 v37, s19, v62, v37
	v_mad_u32 v39, s21, v62, v39
	v_mov_b32_e32 v62, 0
	v_mad_u32 v21, s18, v43, v21
	v_mad_u32 v23, s18, v45, v23
	;; [unrolled: 1-line block ×10, first 2 shown]
	s_wait_loadcnt_dscnt 0x606
	v_dual_mov_b32 v63, v60 :: v_dual_mov_b32 v61, v40
.LBB199_8:                              ;   Parent Loop BB199_4 Depth=1
                                        ; =>  This Inner Loop Header: Depth=2
	s_delay_alu instid0(VALU_DEP_3) | instskip(NEXT) | instid1(VALU_DEP_3)
	v_add_nc_u64_e32 v[42:43], v[36:37], v[0:1]
	v_add_nc_u64_e32 v[46:47], s[42:43], v[38:39]
	s_wait_loadcnt_dscnt 0x505
	v_mov_b32_e32 v65, v18
	s_cmp_eq_u32 s3, s16
	s_delay_alu instid0(VALU_DEP_3) | instskip(NEXT) | instid1(VALU_DEP_3)
	v_add_nc_u64_e32 v[44:45], s[34:35], v[42:43]
	v_add_nc_u64_e32 v[50:51], s[42:43], v[46:47]
	s_delay_alu instid0(VALU_DEP_2) | instskip(NEXT) | instid1(VALU_DEP_2)
	v_add_nc_u64_e32 v[48:49], s[34:35], v[44:45]
	v_add_nc_u64_e32 v[66:67], s[42:43], v[50:51]
	s_delay_alu instid0(VALU_DEP_2) | instskip(NEXT) | instid1(VALU_DEP_2)
	;; [unrolled: 3-line block ×3, first 2 shown]
	v_add_nc_u64_e32 v[56:57], s[34:35], v[54:55]
	v_add_nc_u64_e32 v[70:71], s[42:43], v[68:69]
	s_wait_xcnt 0x4
	s_delay_alu instid0(VALU_DEP_2) | instskip(SKIP_1) | instid1(VALU_DEP_2)
	v_add_nc_u64_e32 v[72:73], s[34:35], v[56:57]
	s_wait_xcnt 0x1
	v_add_nc_u64_e32 v[74:75], s[42:43], v[70:71]
	s_delay_alu instid0(VALU_DEP_2) | instskip(SKIP_1) | instid1(VALU_DEP_2)
	v_add_nc_u64_e32 v[76:77], s[34:35], v[72:73]
	s_wait_xcnt 0x0
	v_add_nc_u64_e32 v[78:79], s[42:43], v[74:75]
	s_delay_alu instid0(VALU_DEP_2)
	v_add_nc_u64_e32 v[80:81], s[34:35], v[76:77]
	s_clause 0x7
	flat_load_b32 v52, v[42:43]
	flat_load_b32 v53, v[44:45]
	;; [unrolled: 1-line block ×8, first 2 shown]
	s_clause 0x7
	flat_load_b32 v56, v[38:39]
	flat_load_b32 v54, v[46:47]
	flat_load_b32 v55, v[50:51]
	flat_load_b32 v50, v[66:67]
	flat_load_b32 v51, v[68:69]
	flat_load_b32 v46, v[70:71]
	flat_load_b32 v47, v[74:75]
	flat_load_b32 v41, v[78:79]
	s_wait_loadcnt_dscnt 0x1313
	s_wait_xcnt 0x4
	v_dual_mov_b32 v66, v19 :: v_dual_mov_b32 v67, v16
	s_wait_loadcnt_dscnt 0x1111
	s_wait_xcnt 0x3
	v_dual_mov_b32 v68, v17 :: v_dual_mov_b32 v69, v14
	s_wait_loadcnt_dscnt 0x1010
	s_wait_xcnt 0x2
	v_mov_b32_e32 v70, v15
	s_cbranch_scc1 .LBB199_10
; %bb.9:                                ;   in Loop: Header=BB199_8 Depth=2
	v_add_nc_u64_e32 v[66:67], v[34:35], v[0:1]
	v_add_nc_u64_e32 v[68:69], v[32:33], v[0:1]
	;; [unrolled: 1-line block ×4, first 2 shown]
	s_wait_xcnt 0x1
	v_add_nc_u64_e32 v[74:75], v[24:25], v[0:1]
	v_add_nc_u64_e32 v[76:77], v[26:27], v[0:1]
	s_wait_xcnt 0x0
	v_add_nc_u64_e32 v[78:79], v[28:29], v[0:1]
	v_add_nc_u64_e32 v[80:81], v[30:31], v[0:1]
	flat_load_b32 v61, v[66:67]
	flat_load_b32 v65, v[68:69]
	;; [unrolled: 1-line block ×8, first 2 shown]
.LBB199_10:                             ;   in Loop: Header=BB199_8 Depth=2
	s_wait_loadcnt_dscnt 0x606
	v_dual_mov_b32 v57, v54 :: v_dual_fmac_f32 v64, v40, v56
	s_wait_loadcnt_dscnt 0x505
	v_pk_mul_f32 v[18:19], v[18:19], v[54:55]
	s_wait_loadcnt_dscnt 0x404
	v_dual_mov_b32 v54, v55 :: v_dual_mov_b32 v55, v50
	v_pk_mul_f32 v[52:53], v[52:53], v[56:57]
	s_wait_loadcnt_dscnt 0x303
	v_pk_mul_f32 v[16:17], v[16:17], v[50:51]
	s_wait_loadcnt_dscnt 0x101
	v_pk_mul_f32 v[14:15], v[14:15], v[46:47]
	v_add_nc_u64_e32 v[20:21], s[28:29], v[20:21]
	v_pk_mul_f32 v[48:49], v[48:49], v[54:55]
	v_dual_add_f32 v40, v62, v52 :: v_dual_add_f32 v18, v64, v18
	v_add_nc_u64_e32 v[22:23], s[28:29], v[22:23]
	v_add_nc_u64_e32 v[24:25], s[28:29], v[24:25]
	;; [unrolled: 1-line block ×3, first 2 shown]
	s_delay_alu instid0(VALU_DEP_4) | instskip(SKIP_3) | instid1(VALU_DEP_4)
	v_dual_add_f32 v40, v40, v53 :: v_dual_mov_b32 v50, v51
	v_mov_b32_e32 v51, v46
	v_add_nc_u64_e32 v[28:29], s[28:29], v[28:29]
	v_add_nc_u64_e32 v[30:31], s[28:29], v[30:31]
	v_dual_add_f32 v40, v40, v48 :: v_dual_add_f32 v52, v18, v19
	s_delay_alu instid0(VALU_DEP_4) | instskip(SKIP_2) | instid1(VALU_DEP_4)
	v_pk_mul_f32 v[18:19], v[44:45], v[50:51]
	v_add_nc_u64_e32 v[32:33], s[28:29], v[32:33]
	v_add_nc_u64_e32 v[34:35], s[28:29], v[34:35]
	v_add_f32_e32 v44, v40, v49
	v_dual_add_f32 v16, v52, v16 :: v_dual_mov_b32 v40, v47
	v_add_nc_u64_e32 v[36:37], s[28:29], v[36:37]
	v_add_nc_u64_e32 v[38:39], s[40:41], v[38:39]
	s_delay_alu instid0(VALU_DEP_4) | instskip(NEXT) | instid1(VALU_DEP_4)
	v_add_f32_e32 v18, v44, v18
	v_add_f32_e32 v45, v16, v17
	s_wait_loadcnt_dscnt 0x0
	v_pk_mul_f32 v[16:17], v[42:43], v[40:41]
	s_add_co_i32 s16, s16, 1
	s_delay_alu instid0(SALU_CYCLE_1) | instskip(SKIP_1) | instid1(VALU_DEP_1)
	s_cmp_lt_i32 s16, s1
	v_dual_add_f32 v18, v18, v19 :: v_dual_add_f32 v14, v45, v14
	v_add_f32_e32 v64, v14, v15
	s_delay_alu instid0(VALU_DEP_1) | instskip(NEXT) | instid1(VALU_DEP_1)
	v_dual_add_f32 v14, v18, v16 :: v_dual_fmac_f32 v64, v60, v41
	v_add_f32_e32 v62, v14, v17
	s_cbranch_scc0 .LBB199_13
; %bb.11:                               ;   in Loop: Header=BB199_8 Depth=2
	v_dual_mov_b32 v40, v61 :: v_dual_mov_b32 v18, v65
	v_dual_mov_b32 v19, v66 :: v_dual_mov_b32 v16, v67
	;; [unrolled: 1-line block ×4, first 2 shown]
	s_branch .LBB199_8
.LBB199_12:                             ;   in Loop: Header=BB199_4 Depth=1
	v_dual_mov_b32 v62, 0 :: v_dual_mov_b32 v64, 0
.LBB199_13:                             ;   in Loop: Header=BB199_4 Depth=1
	ds_store_2addr_stride64_b32 v58, v64, v62 offset1:1
	s_wait_loadcnt_dscnt 0x0
	s_barrier_signal -1
	s_barrier_wait -1
	s_wait_xcnt 0x0
	s_and_saveexec_b32 s1, s0
	s_cbranch_execz .LBB199_2
; %bb.14:                               ;   in Loop: Header=BB199_4 Depth=1
	ds_load_2addr_stride64_b32 v[14:15], v59 offset1:2
	ds_load_2addr_stride64_b32 v[16:17], v59 offset0:4 offset1:6
	ds_load_2addr_stride64_b32 v[18:19], v59 offset0:8 offset1:10
	v_add_nc_u64_e32 v[12:13], s[14:15], v[12:13]
	s_delay_alu instid0(VALU_DEP_1) | instskip(NEXT) | instid1(VALU_DEP_1)
	v_add_nc_u64_e32 v[12:13], s[44:45], v[12:13]
	v_lshl_add_u64 v[12:13], v[2:3], 2, v[12:13]
	s_wait_dscnt 0x2
	v_add_f32_e32 v14, 0, v14
	s_delay_alu instid0(VALU_DEP_1) | instskip(SKIP_3) | instid1(VALU_DEP_1)
	v_add_f32_e32 v20, v14, v15
	ds_load_2addr_stride64_b32 v[14:15], v59 offset0:12 offset1:14
	s_wait_dscnt 0x2
	v_add_f32_e32 v16, v20, v16
	v_add_f32_e32 v20, v16, v17
	ds_load_2addr_stride64_b32 v[16:17], v59 offset0:16 offset1:18
	s_wait_dscnt 0x2
	v_add_f32_e32 v18, v20, v18
	s_delay_alu instid0(VALU_DEP_1) | instskip(SKIP_3) | instid1(VALU_DEP_1)
	v_add_f32_e32 v20, v18, v19
	ds_load_2addr_stride64_b32 v[18:19], v59 offset0:20 offset1:22
	s_wait_dscnt 0x2
	v_add_f32_e32 v14, v20, v14
	v_add_f32_e32 v14, v14, v15
	s_wait_dscnt 0x1
	s_delay_alu instid0(VALU_DEP_1) | instskip(SKIP_3) | instid1(VALU_DEP_1)
	v_add_f32_e32 v16, v14, v16
	ds_load_2addr_stride64_b32 v[14:15], v59 offset0:24 offset1:26
	v_add_f32_e32 v16, v16, v17
	s_wait_dscnt 0x1
	v_add_f32_e32 v18, v16, v18
	ds_load_2addr_stride64_b32 v[16:17], v59 offset0:28 offset1:30
	v_add_f32_e32 v18, v18, v19
	s_wait_dscnt 0x1
	s_delay_alu instid0(VALU_DEP_1) | instskip(NEXT) | instid1(VALU_DEP_1)
	v_add_f32_e32 v14, v18, v14
	v_add_f32_e32 v14, v14, v15
	s_wait_dscnt 0x0
	s_delay_alu instid0(VALU_DEP_1) | instskip(NEXT) | instid1(VALU_DEP_1)
	v_add_f32_e32 v14, v14, v16
	v_add_f32_e32 v14, v14, v17
	s_delay_alu instid0(VALU_DEP_1)
	v_mul_f32_e32 v14, s23, v14
	flat_atomic_add_f32 v[12:13], v14 scope:SCOPE_DEV
	s_branch .LBB199_2
.LBB199_15:
	s_sendmsg sendmsg(MSG_DEALLOC_VGPRS)
	s_endpgm
	.section	.rodata,"a",@progbits
	.p2align	6, 0x0
	.amdhsa_kernel _ZL36rocblas_gemvn_double_buffered_kernelILi128ELi8ELi8EPKffKPfEviiT3_lPKT2_lilS7_lilPT4_lili
		.amdhsa_group_segment_fixed_size 8192
		.amdhsa_private_segment_fixed_size 0
		.amdhsa_kernarg_size 384
		.amdhsa_user_sgpr_count 2
		.amdhsa_user_sgpr_dispatch_ptr 0
		.amdhsa_user_sgpr_queue_ptr 0
		.amdhsa_user_sgpr_kernarg_segment_ptr 1
		.amdhsa_user_sgpr_dispatch_id 0
		.amdhsa_user_sgpr_kernarg_preload_length 0
		.amdhsa_user_sgpr_kernarg_preload_offset 0
		.amdhsa_user_sgpr_private_segment_size 0
		.amdhsa_wavefront_size32 1
		.amdhsa_uses_dynamic_stack 0
		.amdhsa_enable_private_segment 0
		.amdhsa_system_sgpr_workgroup_id_x 1
		.amdhsa_system_sgpr_workgroup_id_y 1
		.amdhsa_system_sgpr_workgroup_id_z 1
		.amdhsa_system_sgpr_workgroup_info 0
		.amdhsa_system_vgpr_workitem_id 1
		.amdhsa_next_free_vgpr 82
		.amdhsa_next_free_sgpr 52
		.amdhsa_named_barrier_count 0
		.amdhsa_reserve_vcc 1
		.amdhsa_float_round_mode_32 0
		.amdhsa_float_round_mode_16_64 0
		.amdhsa_float_denorm_mode_32 3
		.amdhsa_float_denorm_mode_16_64 3
		.amdhsa_fp16_overflow 0
		.amdhsa_memory_ordered 1
		.amdhsa_forward_progress 1
		.amdhsa_inst_pref_size 19
		.amdhsa_round_robin_scheduling 0
		.amdhsa_exception_fp_ieee_invalid_op 0
		.amdhsa_exception_fp_denorm_src 0
		.amdhsa_exception_fp_ieee_div_zero 0
		.amdhsa_exception_fp_ieee_overflow 0
		.amdhsa_exception_fp_ieee_underflow 0
		.amdhsa_exception_fp_ieee_inexact 0
		.amdhsa_exception_int_div_zero 0
	.end_amdhsa_kernel
	.section	.text._ZL36rocblas_gemvn_double_buffered_kernelILi128ELi8ELi8EPKffKPfEviiT3_lPKT2_lilS7_lilPT4_lili,"axG",@progbits,_ZL36rocblas_gemvn_double_buffered_kernelILi128ELi8ELi8EPKffKPfEviiT3_lPKT2_lilS7_lilPT4_lili,comdat
.Lfunc_end199:
	.size	_ZL36rocblas_gemvn_double_buffered_kernelILi128ELi8ELi8EPKffKPfEviiT3_lPKT2_lilS7_lilPT4_lili, .Lfunc_end199-_ZL36rocblas_gemvn_double_buffered_kernelILi128ELi8ELi8EPKffKPfEviiT3_lPKT2_lilS7_lilPT4_lili
                                        ; -- End function
	.set _ZL36rocblas_gemvn_double_buffered_kernelILi128ELi8ELi8EPKffKPfEviiT3_lPKT2_lilS7_lilPT4_lili.num_vgpr, 82
	.set _ZL36rocblas_gemvn_double_buffered_kernelILi128ELi8ELi8EPKffKPfEviiT3_lPKT2_lilS7_lilPT4_lili.num_agpr, 0
	.set _ZL36rocblas_gemvn_double_buffered_kernelILi128ELi8ELi8EPKffKPfEviiT3_lPKT2_lilS7_lilPT4_lili.numbered_sgpr, 52
	.set _ZL36rocblas_gemvn_double_buffered_kernelILi128ELi8ELi8EPKffKPfEviiT3_lPKT2_lilS7_lilPT4_lili.num_named_barrier, 0
	.set _ZL36rocblas_gemvn_double_buffered_kernelILi128ELi8ELi8EPKffKPfEviiT3_lPKT2_lilS7_lilPT4_lili.private_seg_size, 0
	.set _ZL36rocblas_gemvn_double_buffered_kernelILi128ELi8ELi8EPKffKPfEviiT3_lPKT2_lilS7_lilPT4_lili.uses_vcc, 1
	.set _ZL36rocblas_gemvn_double_buffered_kernelILi128ELi8ELi8EPKffKPfEviiT3_lPKT2_lilS7_lilPT4_lili.uses_flat_scratch, 1
	.set _ZL36rocblas_gemvn_double_buffered_kernelILi128ELi8ELi8EPKffKPfEviiT3_lPKT2_lilS7_lilPT4_lili.has_dyn_sized_stack, 0
	.set _ZL36rocblas_gemvn_double_buffered_kernelILi128ELi8ELi8EPKffKPfEviiT3_lPKT2_lilS7_lilPT4_lili.has_recursion, 0
	.set _ZL36rocblas_gemvn_double_buffered_kernelILi128ELi8ELi8EPKffKPfEviiT3_lPKT2_lilS7_lilPT4_lili.has_indirect_call, 0
	.section	.AMDGPU.csdata,"",@progbits
; Kernel info:
; codeLenInByte = 2428
; TotalNumSgprs: 54
; NumVgprs: 82
; ScratchSize: 0
; MemoryBound: 0
; FloatMode: 240
; IeeeMode: 1
; LDSByteSize: 8192 bytes/workgroup (compile time only)
; SGPRBlocks: 0
; VGPRBlocks: 5
; NumSGPRsForWavesPerEU: 54
; NumVGPRsForWavesPerEU: 82
; NamedBarCnt: 0
; Occupancy: 10
; WaveLimiterHint : 1
; COMPUTE_PGM_RSRC2:SCRATCH_EN: 0
; COMPUTE_PGM_RSRC2:USER_SGPR: 2
; COMPUTE_PGM_RSRC2:TRAP_HANDLER: 0
; COMPUTE_PGM_RSRC2:TGID_X_EN: 1
; COMPUTE_PGM_RSRC2:TGID_Y_EN: 1
; COMPUTE_PGM_RSRC2:TGID_Z_EN: 1
; COMPUTE_PGM_RSRC2:TIDIG_COMP_CNT: 1
	.section	.text._ZL20rocblas_gemvn_kernelILi32ELi16EiPKfS1_KPfEviiT3_lPKT2_lT1_lS7_lS8_lS4_lPT4_lS8_li,"axG",@progbits,_ZL20rocblas_gemvn_kernelILi32ELi16EiPKfS1_KPfEviiT3_lPKT2_lT1_lS7_lS8_lS4_lPT4_lS8_li,comdat
	.globl	_ZL20rocblas_gemvn_kernelILi32ELi16EiPKfS1_KPfEviiT3_lPKT2_lT1_lS7_lS8_lS4_lPT4_lS8_li ; -- Begin function _ZL20rocblas_gemvn_kernelILi32ELi16EiPKfS1_KPfEviiT3_lPKT2_lT1_lS7_lS8_lS4_lPT4_lS8_li
	.p2align	8
	.type	_ZL20rocblas_gemvn_kernelILi32ELi16EiPKfS1_KPfEviiT3_lPKT2_lT1_lS7_lS8_lS4_lPT4_lS8_li,@function
_ZL20rocblas_gemvn_kernelILi32ELi16EiPKfS1_KPfEviiT3_lPKT2_lT1_lS7_lS8_lS4_lPT4_lS8_li: ; @_ZL20rocblas_gemvn_kernelILi32ELi16EiPKfS1_KPfEviiT3_lPKT2_lT1_lS7_lS8_lS4_lPT4_lS8_li
; %bb.0:
	s_clause 0x1
	s_load_b64 s[4:5], s[0:1], 0x9c
	s_load_b32 s33, s[0:1], 0x88
	s_bfe_u32 s2, ttmp6, 0x40014
	s_lshr_b32 s3, ttmp7, 16
	s_add_co_i32 s2, s2, 1
	s_bfe_u32 s6, ttmp6, 0x40008
	s_mul_i32 s7, s3, s2
	s_getreg_b32 s2, hwreg(HW_REG_IB_STS2, 6, 4)
	s_add_co_i32 s6, s6, s7
	s_mov_b32 s11, 0
	s_wait_kmcnt 0x0
	s_lshr_b32 s7, s4, 16
	s_and_b32 s4, s4, 0xffff
	s_and_b32 s5, s5, 0xffff
	s_mul_i32 s4, s7, s4
	s_cmp_eq_u32 s2, 0
	s_mul_i32 s4, s4, s5
	s_cselect_b32 s10, s3, s6
	s_cmp_lg_u32 s4, 0x200
	s_cselect_b32 s3, -1, 0
	s_cmp_ge_u32 s10, s33
	s_cselect_b32 s4, -1, 0
	s_delay_alu instid0(SALU_CYCLE_1) | instskip(NEXT) | instid1(SALU_CYCLE_1)
	s_or_b32 s3, s3, s4
	s_and_b32 vcc_lo, exec_lo, s3
	s_cbranch_vccnz .LBB200_56
; %bb.1:
	s_clause 0x6
	s_load_b32 s4, s[0:1], 0x78
	s_load_b64 s[8:9], s[0:1], 0x0
	s_load_b256 s[12:19], s[0:1], 0x8
	s_load_b32 s34, s[0:1], 0x28
	s_load_b128 s[28:31], s[0:1], 0x38
	s_load_b32 s35, s[0:1], 0x48
	s_load_b256 s[20:27], s[0:1], 0x58
	s_wait_xcnt 0x0
	s_bfe_u32 s0, ttmp6, 0x4000c
	v_and_b32_e32 v6, 0x3ff, v0
	s_add_co_i32 s0, s0, 1
	v_bfe_u32 v7, v0, 10, 10
	s_and_b32 s1, ttmp6, 15
	s_mul_i32 s0, ttmp9, s0
	v_mov_b32_e32 v1, 0
	s_add_co_i32 s1, s1, s0
	v_lshl_add_u32 v5, v7, 5, v6
	v_lshlrev_b32_e32 v36, 2, v7
	s_wait_kmcnt 0x0
	s_ashr_i32 s5, s4, 31
	s_cmp_eq_u32 s2, 0
	s_mov_b32 s2, s8
	s_cselect_b32 s0, ttmp9, s1
	s_ashr_i32 s3, s8, 31
	s_lshl_b32 s36, s0, 7
	s_ashr_i32 s1, s9, 31
	v_dual_add_nc_u32 v0, s36, v5 :: v_dual_add_nc_u32 v37, s36, v6
	v_or_b32_e32 v8, s36, v5
	s_lshr_b32 s0, s1, 26
	v_mul_lo_u32 v11, v7, s34
	s_delay_alu instid0(VALU_DEP_3) | instskip(SKIP_4) | instid1(VALU_DEP_3)
	v_mul_u64_e32 v[2:3], s[4:5], v[0:1]
	v_dual_add_nc_u32 v4, 32, v37 :: v_dual_add_nc_u32 v9, 64, v37
	v_cmp_gt_i64_e32 vcc_lo, s[2:3], v[0:1]
	v_add_nc_u32_e32 v0, 0x60, v37
	s_add_co_i32 s37, s9, s0
	v_cmp_gt_i32_e64 s2, s8, v4
	v_cmp_gt_i32_e64 s3, s8, v9
	v_lshlrev_b32_e32 v9, 2, v6
	v_mul_lo_u32 v4, s4, v8
	v_cmp_gt_i32_e64 s4, s8, v0
	s_and_not1_b32 s37, s37, 63
	v_or_b32_e32 v10, 3, v36
	v_lshl_add_u32 v0, v7, 9, v9
	v_lshl_add_u32 v38, v7, 7, v9
	v_mul_lo_u32 v7, v7, s35
	s_sub_co_i32 s6, s9, s37
	v_or_b32_e32 v9, 2, v36
	s_cmp_gt_i32 s6, 0
	v_cmp_gt_i32_e64 s6, s8, v8
	v_mul_lo_u32 v8, s34, v36
	v_mad_u32 v40, s34, v10, v6
	v_mad_u32 v42, s35, v36, s35
	v_mul_lo_u32 v43, s35, v10
	v_cmp_gt_u32_e64 s5, 0x80, v5
	v_cmp_gt_i32_e64 s0, s37, v36
	v_lshlrev_b32_e32 v46, 2, v7
	v_mad_u32 v39, s34, v9, v6
	v_mul_lo_u32 v41, s35, v9
	v_cmp_gt_i32_e64 s1, s8, v37
	v_ashrrev_i32_e32 v5, 31, v4
	v_add3_u32 v44, v8, s34, v6
	v_lshl_add_u32 v45, v11, 2, v6
	s_cselect_b32 s38, -1, 0
	s_and_b32 s39, s5, vcc_lo
	s_lshl_b32 s40, s34, 6
	s_lshl_b32 s41, s35, 6
	s_lshl_b64 s[18:19], s[18:19], 2
	s_lshl_b64 s[30:31], s[30:31], 2
	;; [unrolled: 1-line block ×3, first 2 shown]
	s_branch .LBB200_4
.LBB200_2:                              ;   in Loop: Header=BB200_4 Depth=1
	s_wait_xcnt 0x0
	s_or_b32 exec_lo, exec_lo, s7
.LBB200_3:                              ;   in Loop: Header=BB200_4 Depth=1
	s_add_co_i32 s10, s10, 0x10000
	s_delay_alu instid0(SALU_CYCLE_1)
	s_cmp_lt_u32 s10, s33
	s_cbranch_scc0 .LBB200_56
.LBB200_4:                              ; =>This Loop Header: Depth=1
                                        ;     Child Loop BB200_24 Depth 2
	s_mul_u64 s[42:43], s[14:15], s[10:11]
	s_wait_xcnt 0x0
	s_mul_u64 s[44:45], s[22:23], s[10:11]
	s_lshl_b64 s[42:43], s[42:43], 2
	s_lshl_b64 s[44:45], s[44:45], 2
	s_add_nc_u64 s[42:43], s[12:13], s[42:43]
	s_add_nc_u64 s[44:45], s[20:21], s[44:45]
	s_clause 0x1
	global_load_b32 v47, v1, s[42:43]
	global_load_b32 v6, v1, s[44:45]
	s_wait_loadcnt 0x1
	v_cmp_eq_f32_e64 s7, 0, v47
	s_wait_loadcnt 0x0
	v_cmp_eq_f32_e32 vcc_lo, 1.0, v6
	s_wait_xcnt 0x1
	v_readfirstlane_b32 s42, v6
	s_and_b32 s8, s7, vcc_lo
	s_delay_alu instid0(SALU_CYCLE_1)
	s_and_b32 vcc_lo, exec_lo, s8
	s_cbranch_vccnz .LBB200_3
; %bb.5:                                ;   in Loop: Header=BB200_4 Depth=1
	v_mov_b64_e32 v[10:11], 0
	v_mov_b64_e32 v[8:9], 0
	v_cmp_neq_f32_e64 s8, 0, v47
	s_and_b32 vcc_lo, exec_lo, s7
	s_cbranch_vccnz .LBB200_7
; %bb.6:                                ;   in Loop: Header=BB200_4 Depth=1
	s_wait_xcnt 0x0
	s_lshl_b64 s[44:45], s[10:11], 3
	s_delay_alu instid0(SALU_CYCLE_1)
	s_add_nc_u64 s[44:45], s[16:17], s[44:45]
	global_load_b64 v[6:7], v1, s[44:45]
	s_wait_loadcnt 0x0
	v_add_nc_u64_e32 v[8:9], s[18:19], v[6:7]
.LBB200_7:                              ;   in Loop: Header=BB200_4 Depth=1
	s_and_not1_b32 vcc_lo, exec_lo, s8
	s_cbranch_vccnz .LBB200_9
; %bb.8:                                ;   in Loop: Header=BB200_4 Depth=1
	s_wait_xcnt 0x0
	s_lshl_b64 s[44:45], s[10:11], 3
	s_delay_alu instid0(SALU_CYCLE_1)
	s_add_nc_u64 s[44:45], s[28:29], s[44:45]
	global_load_b64 v[6:7], v1, s[44:45]
	s_wait_loadcnt 0x0
	v_add_nc_u64_e32 v[10:11], s[30:31], v[6:7]
.LBB200_9:                              ;   in Loop: Header=BB200_4 Depth=1
	s_wait_xcnt 0x0
	s_lshl_b64 s[44:45], s[10:11], 3
	s_and_not1_b32 vcc_lo, exec_lo, s7
	s_add_nc_u64 s[44:45], s[24:25], s[44:45]
	global_load_b64 v[6:7], v1, s[44:45]
	s_wait_loadcnt 0x0
	v_add_nc_u64_e32 v[6:7], s[26:27], v[6:7]
	s_cbranch_vccnz .LBB200_13
; %bb.10:                               ;   in Loop: Header=BB200_4 Depth=1
	s_mov_b32 s7, 0
	s_mov_b32 s8, 0
                                        ; implicit-def: $vgpr12
	s_wait_xcnt 0x0
	s_and_saveexec_b32 s43, s39
	s_cbranch_execz .LBB200_14
; %bb.11:                               ;   in Loop: Header=BB200_4 Depth=1
	s_cmp_eq_f32 s42, 0
	s_cbranch_scc1 .LBB200_16
; %bb.12:                               ;   in Loop: Header=BB200_4 Depth=1
	v_lshl_add_u64 v[12:13], v[2:3], 2, v[6:7]
	flat_load_b32 v12, v[12:13]
	s_wait_loadcnt_dscnt 0x0
	s_wait_xcnt 0x0
	v_mul_f32_e32 v12, s42, v12
	s_branch .LBB200_17
.LBB200_13:                             ;   in Loop: Header=BB200_4 Depth=1
	s_mov_b32 s8, 0
                                        ; implicit-def: $vgpr12
	s_cbranch_execz .LBB200_15
	s_branch .LBB200_18
.LBB200_14:                             ;   in Loop: Header=BB200_4 Depth=1
	s_or_b32 exec_lo, exec_lo, s43
	s_delay_alu instid0(SALU_CYCLE_1)
	s_and_b32 vcc_lo, exec_lo, s7
	s_cbranch_vccnz .LBB200_18
.LBB200_15:                             ;   in Loop: Header=BB200_4 Depth=1
	v_mov_b64_e32 v[8:9], v[2:3]
	s_wait_xcnt 0x0
	s_and_saveexec_b32 s7, s8
	s_cbranch_execz .LBB200_2
	s_branch .LBB200_55
.LBB200_16:                             ;   in Loop: Header=BB200_4 Depth=1
	v_mov_b32_e32 v12, 0
.LBB200_17:                             ;   in Loop: Header=BB200_4 Depth=1
	s_mov_b32 s8, exec_lo
	s_or_b32 exec_lo, exec_lo, s43
	s_delay_alu instid0(SALU_CYCLE_1)
	s_and_b32 vcc_lo, exec_lo, s7
	s_cbranch_vccz .LBB200_15
.LBB200_18:                             ;   in Loop: Header=BB200_4 Depth=1
	v_dual_mov_b32 v48, 0 :: v_dual_mov_b32 v52, v36
	v_dual_mov_b32 v49, 0 :: v_dual_mov_b32 v50, 0
	v_mov_b32_e32 v51, 0
	s_wait_xcnt 0x0
	s_and_saveexec_b32 s7, s0
	s_cbranch_execz .LBB200_30
; %bb.19:                               ;   in Loop: Header=BB200_4 Depth=1
	v_dual_mov_b32 v48, 0 :: v_dual_mov_b32 v53, v45
	v_dual_mov_b32 v54, v40 :: v_dual_mov_b32 v55, v39
	;; [unrolled: 1-line block ×4, first 2 shown]
	v_mov_b32_e32 v51, 0
	s_mov_b32 s43, 0
	s_mov_b32 s44, 0
	s_branch .LBB200_24
.LBB200_20:                             ;   in Loop: Header=BB200_24 Depth=2
	s_wait_xcnt 0x0
	s_or_b32 exec_lo, exec_lo, s48
	s_wait_loadcnt_dscnt 0x202
	v_pk_mul_f32 v[26:27], v[16:17], v[32:33]
	s_wait_loadcnt_dscnt 0x0
	v_pk_mul_f32 v[24:25], v[12:13], v[24:25]
	s_delay_alu instid0(VALU_DEP_2) | instskip(NEXT) | instid1(VALU_DEP_1)
	v_add_f32_e32 v26, v50, v26
	v_add_f32_e32 v26, v26, v27
	s_delay_alu instid0(VALU_DEP_1) | instskip(NEXT) | instid1(VALU_DEP_1)
	v_add_f32_e32 v24, v26, v24
	v_add_f32_e32 v50, v24, v25
.LBB200_21:                             ;   in Loop: Header=BB200_24 Depth=2
	s_or_b32 exec_lo, exec_lo, s47
	s_wait_loadcnt_dscnt 0x202
	v_pk_mul_f32 v[22:23], v[16:17], v[22:23]
	s_wait_loadcnt_dscnt 0x0
	v_pk_mul_f32 v[20:21], v[12:13], v[20:21]
	s_delay_alu instid0(VALU_DEP_2) | instskip(NEXT) | instid1(VALU_DEP_1)
	v_add_f32_e32 v22, v49, v22
	v_add_f32_e32 v22, v22, v23
	s_delay_alu instid0(VALU_DEP_1) | instskip(NEXT) | instid1(VALU_DEP_1)
	v_add_f32_e32 v20, v22, v20
	v_add_f32_e32 v49, v20, v21
.LBB200_22:                             ;   in Loop: Header=BB200_24 Depth=2
	s_or_b32 exec_lo, exec_lo, s46
	s_wait_loadcnt_dscnt 0x202
	v_pk_mul_f32 v[16:17], v[16:17], v[18:19]
	s_wait_loadcnt_dscnt 0x0
	v_pk_mul_f32 v[12:13], v[12:13], v[14:15]
	s_delay_alu instid0(VALU_DEP_2) | instskip(NEXT) | instid1(VALU_DEP_1)
	v_add_f32_e32 v16, v48, v16
	v_add_f32_e32 v16, v16, v17
	s_delay_alu instid0(VALU_DEP_1) | instskip(NEXT) | instid1(VALU_DEP_1)
	v_add_f32_e32 v12, v16, v12
	v_add_f32_e32 v48, v12, v13
.LBB200_23:                             ;   in Loop: Header=BB200_24 Depth=2
	s_or_b32 exec_lo, exec_lo, s45
	v_dual_add_nc_u32 v52, 64, v52 :: v_dual_add_nc_u32 v55, s40, v55
	v_dual_add_nc_u32 v56, s40, v56 :: v_dual_add_nc_u32 v54, s40, v54
	v_add_nc_u32_e32 v53, s40, v53
	s_delay_alu instid0(VALU_DEP_3) | instskip(SKIP_2) | instid1(SALU_CYCLE_1)
	v_cmp_le_i32_e32 vcc_lo, s37, v52
	s_add_co_i32 s44, s44, s41
	s_or_b32 s43, vcc_lo, s43
	s_and_not1_b32 exec_lo, exec_lo, s43
	s_cbranch_execz .LBB200_29
.LBB200_24:                             ;   Parent Loop BB200_4 Depth=1
                                        ; =>  This Inner Loop Header: Depth=2
	s_and_saveexec_b32 s45, s1
	s_cbranch_execz .LBB200_23
; %bb.25:                               ;   in Loop: Header=BB200_24 Depth=2
	v_dual_add_nc_u32 v21, s44, v43 :: v_dual_add_nc_u32 v23, s44, v41
	v_readfirstlane_b32 s46, v10
	v_readfirstlane_b32 s47, v11
	v_dual_add_nc_u32 v25, s44, v42 :: v_dual_add_nc_u32 v20, s36, v53
	v_dual_add_nc_u32 v27, s44, v46 :: v_dual_add_nc_u32 v22, s36, v56
	v_readfirstlane_b32 s48, v8
	v_readfirstlane_b32 s49, v9
	v_dual_add_nc_u32 v26, s36, v55 :: v_dual_add_nc_u32 v24, s36, v54
	s_clause 0x3
	flat_load_b32 v13, v21, s[46:47] scale_offset
	flat_load_b32 v12, v23, s[46:47] scale_offset
	;; [unrolled: 1-line block ×4, first 2 shown]
	s_clause 0x3
	flat_load_b32 v18, v20, s[48:49] scale_offset
	flat_load_b32 v19, v22, s[48:49] scale_offset
	;; [unrolled: 1-line block ×4, first 2 shown]
	s_wait_xcnt 0x0
	s_and_saveexec_b32 s46, s2
	s_cbranch_execz .LBB200_22
; %bb.26:                               ;   in Loop: Header=BB200_24 Depth=2
	v_dual_ashrrev_i32 v21, 31, v20 :: v_dual_ashrrev_i32 v23, 31, v22
	v_dual_ashrrev_i32 v27, 31, v26 :: v_dual_ashrrev_i32 v25, 31, v24
	s_delay_alu instid0(VALU_DEP_2) | instskip(NEXT) | instid1(VALU_DEP_3)
	v_lshl_add_u64 v[30:31], v[20:21], 2, v[8:9]
	v_lshl_add_u64 v[28:29], v[22:23], 2, v[8:9]
	s_delay_alu instid0(VALU_DEP_3) | instskip(NEXT) | instid1(VALU_DEP_4)
	v_lshl_add_u64 v[26:27], v[26:27], 2, v[8:9]
	v_lshl_add_u64 v[34:35], v[24:25], 2, v[8:9]
	s_clause 0x3
	flat_load_b32 v22, v[30:31] offset:128
	flat_load_b32 v23, v[28:29] offset:128
	;; [unrolled: 1-line block ×4, first 2 shown]
	s_wait_xcnt 0x0
	s_and_saveexec_b32 s47, s3
	s_cbranch_execz .LBB200_21
; %bb.27:                               ;   in Loop: Header=BB200_24 Depth=2
	s_clause 0x3
	flat_load_b32 v32, v[30:31] offset:256
	flat_load_b32 v33, v[28:29] offset:256
	flat_load_b32 v24, v[26:27] offset:256
	flat_load_b32 v25, v[34:35] offset:256
	s_wait_xcnt 0x0
	s_and_saveexec_b32 s48, s4
	s_cbranch_execz .LBB200_20
; %bb.28:                               ;   in Loop: Header=BB200_24 Depth=2
	s_clause 0x3
	flat_load_b32 v58, v[30:31] offset:384
	flat_load_b32 v59, v[28:29] offset:384
	;; [unrolled: 1-line block ×4, first 2 shown]
	s_wait_loadcnt_dscnt 0x202
	s_wait_xcnt 0x1
	v_pk_mul_f32 v[26:27], v[16:17], v[58:59]
	s_delay_alu instid0(VALU_DEP_1) | instskip(NEXT) | instid1(VALU_DEP_1)
	v_add_f32_e32 v26, v51, v26
	v_add_f32_e32 v28, v26, v27
	s_wait_loadcnt_dscnt 0x0
	v_pk_mul_f32 v[26:27], v[12:13], v[60:61]
	s_delay_alu instid0(VALU_DEP_1) | instskip(NEXT) | instid1(VALU_DEP_1)
	v_add_f32_e32 v26, v28, v26
	v_add_f32_e32 v51, v26, v27
	s_branch .LBB200_20
.LBB200_29:                             ;   in Loop: Header=BB200_4 Depth=1
	s_or_b32 exec_lo, exec_lo, s43
.LBB200_30:                             ;   in Loop: Header=BB200_4 Depth=1
	s_delay_alu instid0(SALU_CYCLE_1) | instskip(NEXT) | instid1(SALU_CYCLE_1)
	s_or_b32 exec_lo, exec_lo, s7
	s_and_not1_b32 vcc_lo, exec_lo, s38
	s_cbranch_vccnz .LBB200_48
; %bb.31:                               ;   in Loop: Header=BB200_4 Depth=1
	v_dual_mov_b32 v14, 0 :: v_dual_bitop2_b32 v16, 1, v52 bitop3:0x54
	v_cmp_gt_i32_e32 vcc_lo, s9, v52
	s_delay_alu instid0(VALU_DEP_2)
	v_dual_mov_b32 v15, v14 :: v_dual_mov_b32 v12, v14
	v_mov_b32_e32 v13, v14
	s_and_saveexec_b32 s43, vcc_lo
	s_cbranch_execz .LBB200_39
; %bb.32:                               ;   in Loop: Header=BB200_4 Depth=1
	v_mul_lo_u32 v12, v52, s35
	v_readfirstlane_b32 s44, v10
	v_readfirstlane_b32 s45, v11
	v_dual_mov_b32 v13, 0 :: v_dual_mov_b32 v15, 0
	v_mov_b32_e32 v14, 0
	flat_load_b32 v12, v12, s[44:45] scale_offset
	s_wait_xcnt 0x0
	s_mov_b32 s44, exec_lo
	v_cmpx_gt_i32_e64 s9, v16
	s_cbranch_execz .LBB200_38
; %bb.33:                               ;   in Loop: Header=BB200_4 Depth=1
	v_mul_lo_u32 v13, v16, s35
	v_readfirstlane_b32 s46, v10
	v_readfirstlane_b32 s47, v11
	v_dual_mov_b32 v15, 0 :: v_dual_bitop2_b32 v17, 2, v52 bitop3:0x54
	v_mov_b32_e32 v14, 0
	s_mov_b32 s45, exec_lo
	flat_load_b32 v13, v13, s[46:47] scale_offset
	s_wait_xcnt 0x0
	v_cmpx_gt_i32_e64 s9, v17
	s_cbranch_execz .LBB200_37
; %bb.34:                               ;   in Loop: Header=BB200_4 Depth=1
	v_mul_lo_u32 v14, v17, s35
	v_readfirstlane_b32 s46, v10
	v_readfirstlane_b32 s47, v11
	v_dual_mov_b32 v15, 0 :: v_dual_bitop2_b32 v17, 3, v52 bitop3:0x54
	flat_load_b32 v14, v14, s[46:47] scale_offset
	s_wait_xcnt 0x0
	s_mov_b32 s46, exec_lo
	v_cmpx_gt_i32_e64 s9, v17
	s_cbranch_execz .LBB200_36
; %bb.35:                               ;   in Loop: Header=BB200_4 Depth=1
	v_mul_lo_u32 v15, v17, s35
	v_readfirstlane_b32 s48, v10
	v_readfirstlane_b32 s49, v11
	flat_load_b32 v15, v15, s[48:49] scale_offset
.LBB200_36:                             ;   in Loop: Header=BB200_4 Depth=1
	s_wait_xcnt 0x0
	s_or_b32 exec_lo, exec_lo, s46
.LBB200_37:                             ;   in Loop: Header=BB200_4 Depth=1
	s_delay_alu instid0(SALU_CYCLE_1)
	s_or_b32 exec_lo, exec_lo, s45
.LBB200_38:                             ;   in Loop: Header=BB200_4 Depth=1
	s_delay_alu instid0(SALU_CYCLE_1)
	s_or_b32 exec_lo, exec_lo, s44
.LBB200_39:                             ;   in Loop: Header=BB200_4 Depth=1
	s_delay_alu instid0(SALU_CYCLE_1)
	s_or_b32 exec_lo, exec_lo, s43
	s_and_saveexec_b32 s7, s1
	s_cbranch_execz .LBB200_47
; %bb.40:                               ;   in Loop: Header=BB200_4 Depth=1
	v_mul_lo_u32 v11, v52, s34
	v_mul_lo_u32 v18, v16, s34
	v_or_b32_e32 v10, 2, v52
	v_readfirstlane_b32 s44, v8
	v_readfirstlane_b32 s45, v9
	v_cndmask_b32_e32 v11, 0, v11, vcc_lo
	s_delay_alu instid0(VALU_DEP_4) | instskip(SKIP_2) | instid1(VALU_DEP_1)
	v_mul_lo_u32 v19, v10, s34
	v_cmp_gt_i32_e32 vcc_lo, s9, v16
	v_dual_cndmask_b32 v16, 0, v18, vcc_lo :: v_dual_bitop2_b32 v17, 3, v52 bitop3:0x54
	v_mul_lo_u32 v20, v17, s34
	v_cmp_gt_i32_e32 vcc_lo, s9, v10
	s_delay_alu instid0(VALU_DEP_3) | instskip(SKIP_1) | instid1(VALU_DEP_4)
	v_dual_add_nc_u32 v22, v16, v37 :: v_dual_cndmask_b32 v10, 0, v19, vcc_lo
	v_cmp_gt_i32_e32 vcc_lo, s9, v17
	v_dual_cndmask_b32 v17, 0, v20 :: v_dual_add_nc_u32 v20, v11, v37
	s_delay_alu instid0(VALU_DEP_1)
	v_dual_add_nc_u32 v26, v10, v37 :: v_dual_add_nc_u32 v18, v17, v37
	s_clause 0x3
	flat_load_b32 v16, v20, s[44:45] scale_offset
	flat_load_b32 v17, v22, s[44:45] scale_offset
	;; [unrolled: 1-line block ×4, first 2 shown]
	s_wait_xcnt 0x0
	s_and_saveexec_b32 s43, s2
	s_cbranch_execz .LBB200_46
; %bb.41:                               ;   in Loop: Header=BB200_4 Depth=1
	v_dual_ashrrev_i32 v21, 31, v20 :: v_dual_ashrrev_i32 v23, 31, v22
	v_ashrrev_i32_e32 v27, 31, v26
	v_ashrrev_i32_e32 v19, 31, v18
	s_delay_alu instid0(VALU_DEP_3) | instskip(NEXT) | instid1(VALU_DEP_4)
	v_lshl_add_u64 v[24:25], v[20:21], 2, v[8:9]
	v_lshl_add_u64 v[22:23], v[22:23], 2, v[8:9]
	s_delay_alu instid0(VALU_DEP_4) | instskip(NEXT) | instid1(VALU_DEP_4)
	v_lshl_add_u64 v[28:29], v[26:27], 2, v[8:9]
	v_lshl_add_u64 v[30:31], v[18:19], 2, v[8:9]
	s_clause 0x3
	flat_load_b32 v18, v[24:25] offset:128
	flat_load_b32 v19, v[22:23] offset:128
	;; [unrolled: 1-line block ×4, first 2 shown]
	s_wait_xcnt 0x0
	s_and_saveexec_b32 s44, s3
	s_cbranch_execz .LBB200_45
; %bb.42:                               ;   in Loop: Header=BB200_4 Depth=1
	s_clause 0x3
	flat_load_b32 v26, v[24:25] offset:256
	flat_load_b32 v27, v[22:23] offset:256
	;; [unrolled: 1-line block ×4, first 2 shown]
	s_wait_xcnt 0x0
	s_and_saveexec_b32 s45, s4
	s_cbranch_execz .LBB200_44
; %bb.43:                               ;   in Loop: Header=BB200_4 Depth=1
	s_clause 0x3
	flat_load_b32 v32, v[24:25] offset:384
	flat_load_b32 v33, v[22:23] offset:384
	;; [unrolled: 1-line block ×4, first 2 shown]
	s_wait_loadcnt_dscnt 0x202
	s_wait_xcnt 0x2
	v_pk_mul_f32 v[22:23], v[12:13], v[32:33]
	s_delay_alu instid0(VALU_DEP_1) | instskip(NEXT) | instid1(VALU_DEP_1)
	v_add_f32_e32 v22, v51, v22
	v_add_f32_e32 v24, v22, v23
	s_wait_loadcnt_dscnt 0x0
	v_pk_mul_f32 v[22:23], v[14:15], v[34:35]
	s_delay_alu instid0(VALU_DEP_1) | instskip(NEXT) | instid1(VALU_DEP_1)
	v_add_f32_e32 v22, v24, v22
	v_add_f32_e32 v51, v22, v23
.LBB200_44:                             ;   in Loop: Header=BB200_4 Depth=1
	s_wait_xcnt 0x0
	s_or_b32 exec_lo, exec_lo, s45
	s_wait_loadcnt_dscnt 0x202
	v_pk_mul_f32 v[22:23], v[12:13], v[26:27]
	s_wait_loadcnt_dscnt 0x0
	v_pk_mul_f32 v[20:21], v[14:15], v[20:21]
	s_delay_alu instid0(VALU_DEP_2) | instskip(NEXT) | instid1(VALU_DEP_1)
	v_add_f32_e32 v22, v50, v22
	v_add_f32_e32 v22, v22, v23
	s_delay_alu instid0(VALU_DEP_1) | instskip(NEXT) | instid1(VALU_DEP_1)
	v_add_f32_e32 v20, v22, v20
	v_add_f32_e32 v50, v20, v21
.LBB200_45:                             ;   in Loop: Header=BB200_4 Depth=1
	s_or_b32 exec_lo, exec_lo, s44
	s_wait_loadcnt_dscnt 0x202
	v_pk_mul_f32 v[18:19], v[12:13], v[18:19]
	s_wait_loadcnt_dscnt 0x0
	v_pk_mul_f32 v[8:9], v[14:15], v[8:9]
	s_delay_alu instid0(VALU_DEP_2) | instskip(NEXT) | instid1(VALU_DEP_1)
	v_add_f32_e32 v18, v49, v18
	v_add_f32_e32 v18, v18, v19
	s_delay_alu instid0(VALU_DEP_1) | instskip(NEXT) | instid1(VALU_DEP_1)
	v_add_f32_e32 v8, v18, v8
	v_add_f32_e32 v49, v8, v9
.LBB200_46:                             ;   in Loop: Header=BB200_4 Depth=1
	s_or_b32 exec_lo, exec_lo, s43
	s_wait_loadcnt_dscnt 0x202
	v_pk_mul_f32 v[8:9], v[12:13], v[16:17]
	s_delay_alu instid0(VALU_DEP_1) | instskip(NEXT) | instid1(VALU_DEP_1)
	v_add_f32_e32 v8, v48, v8
	v_add_f32_e32 v12, v8, v9
	s_wait_loadcnt_dscnt 0x0
	v_pk_mul_f32 v[8:9], v[14:15], v[10:11]
	s_delay_alu instid0(VALU_DEP_1) | instskip(NEXT) | instid1(VALU_DEP_1)
	v_add_f32_e32 v8, v12, v8
	v_add_f32_e32 v48, v8, v9
.LBB200_47:                             ;   in Loop: Header=BB200_4 Depth=1
	s_or_b32 exec_lo, exec_lo, s7
.LBB200_48:                             ;   in Loop: Header=BB200_4 Depth=1
	ds_store_2addr_b32 v0, v48, v49 offset1:32
	ds_store_2addr_b32 v0, v50, v51 offset0:64 offset1:96
	s_wait_loadcnt_dscnt 0x0
	s_barrier_signal -1
	s_barrier_wait -1
                                        ; implicit-def: $vgpr12
	s_and_saveexec_b32 s7, s5
	s_cbranch_execz .LBB200_54
; %bb.49:                               ;   in Loop: Header=BB200_4 Depth=1
	ds_load_2addr_stride64_b32 v[8:9], v38 offset1:2
	ds_load_2addr_stride64_b32 v[10:11], v38 offset0:4 offset1:6
	ds_load_2addr_stride64_b32 v[12:13], v38 offset0:8 offset1:10
	s_mov_b32 s44, s8
	s_wait_dscnt 0x2
	v_add_f32_e32 v14, v8, v9
	ds_load_2addr_stride64_b32 v[8:9], v38 offset0:12 offset1:14
	s_wait_dscnt 0x2
	v_add_f32_e32 v10, v10, v14
	s_delay_alu instid0(VALU_DEP_1) | instskip(SKIP_3) | instid1(VALU_DEP_1)
	v_add_f32_e32 v14, v11, v10
	ds_load_2addr_stride64_b32 v[10:11], v38 offset0:16 offset1:18
	s_wait_dscnt 0x2
	v_add_f32_e32 v12, v12, v14
	v_add_f32_e32 v14, v13, v12
	ds_load_2addr_stride64_b32 v[12:13], v38 offset0:20 offset1:22
	s_wait_dscnt 0x2
	v_add_f32_e32 v8, v8, v14
	s_delay_alu instid0(VALU_DEP_1) | instskip(SKIP_1) | instid1(VALU_DEP_1)
	v_add_f32_e32 v8, v9, v8
	s_wait_dscnt 0x1
	v_add_f32_e32 v10, v10, v8
	ds_load_2addr_stride64_b32 v[8:9], v38 offset0:24 offset1:26
	v_add_f32_e32 v10, v11, v10
	s_wait_dscnt 0x1
	s_delay_alu instid0(VALU_DEP_1) | instskip(SKIP_3) | instid1(VALU_DEP_1)
	v_add_f32_e32 v12, v12, v10
	ds_load_2addr_stride64_b32 v[10:11], v38 offset0:28 offset1:30
	v_add_f32_e32 v12, v13, v12
	s_wait_dscnt 0x1
	v_add_f32_e32 v8, v8, v12
                                        ; implicit-def: $vgpr12
	s_delay_alu instid0(VALU_DEP_1) | instskip(SKIP_1) | instid1(VALU_DEP_1)
	v_add_f32_e32 v8, v9, v8
	s_wait_dscnt 0x0
	v_add_f32_e32 v8, v10, v8
	s_delay_alu instid0(VALU_DEP_1)
	v_add_f32_e32 v8, v11, v8
	ds_store_b32 v38, v8
	s_and_saveexec_b32 s43, s6
	s_cbranch_execz .LBB200_53
; %bb.50:                               ;   in Loop: Header=BB200_4 Depth=1
	v_mul_f32_e32 v12, v47, v8
	s_cmp_eq_f32 s42, 0
	s_cbranch_scc1 .LBB200_52
; %bb.51:                               ;   in Loop: Header=BB200_4 Depth=1
	v_lshl_add_u64 v[8:9], v[4:5], 2, v[6:7]
	flat_load_b32 v8, v[8:9]
	s_wait_loadcnt_dscnt 0x0
	v_fmac_f32_e32 v12, s42, v8
.LBB200_52:                             ;   in Loop: Header=BB200_4 Depth=1
	s_or_b32 s44, s8, exec_lo
.LBB200_53:                             ;   in Loop: Header=BB200_4 Depth=1
	s_wait_xcnt 0x0
	s_or_b32 exec_lo, exec_lo, s43
	s_delay_alu instid0(SALU_CYCLE_1) | instskip(SKIP_1) | instid1(SALU_CYCLE_1)
	s_and_not1_b32 s8, s8, exec_lo
	s_and_b32 s42, s44, exec_lo
	s_or_b32 s8, s8, s42
.LBB200_54:                             ;   in Loop: Header=BB200_4 Depth=1
	s_or_b32 exec_lo, exec_lo, s7
	v_mov_b64_e32 v[8:9], v[4:5]
	s_and_saveexec_b32 s7, s8
	s_cbranch_execz .LBB200_2
.LBB200_55:                             ;   in Loop: Header=BB200_4 Depth=1
	s_delay_alu instid0(VALU_DEP_1)
	v_lshl_add_u64 v[6:7], v[8:9], 2, v[6:7]
	flat_store_b32 v[6:7], v12
	s_branch .LBB200_2
.LBB200_56:
	s_endpgm
	.section	.rodata,"a",@progbits
	.p2align	6, 0x0
	.amdhsa_kernel _ZL20rocblas_gemvn_kernelILi32ELi16EiPKfS1_KPfEviiT3_lPKT2_lT1_lS7_lS8_lS4_lPT4_lS8_li
		.amdhsa_group_segment_fixed_size 8192
		.amdhsa_private_segment_fixed_size 0
		.amdhsa_kernarg_size 400
		.amdhsa_user_sgpr_count 2
		.amdhsa_user_sgpr_dispatch_ptr 0
		.amdhsa_user_sgpr_queue_ptr 0
		.amdhsa_user_sgpr_kernarg_segment_ptr 1
		.amdhsa_user_sgpr_dispatch_id 0
		.amdhsa_user_sgpr_kernarg_preload_length 0
		.amdhsa_user_sgpr_kernarg_preload_offset 0
		.amdhsa_user_sgpr_private_segment_size 0
		.amdhsa_wavefront_size32 1
		.amdhsa_uses_dynamic_stack 0
		.amdhsa_enable_private_segment 0
		.amdhsa_system_sgpr_workgroup_id_x 1
		.amdhsa_system_sgpr_workgroup_id_y 0
		.amdhsa_system_sgpr_workgroup_id_z 1
		.amdhsa_system_sgpr_workgroup_info 0
		.amdhsa_system_vgpr_workitem_id 1
		.amdhsa_next_free_vgpr 62
		.amdhsa_next_free_sgpr 50
		.amdhsa_named_barrier_count 0
		.amdhsa_reserve_vcc 1
		.amdhsa_float_round_mode_32 0
		.amdhsa_float_round_mode_16_64 0
		.amdhsa_float_denorm_mode_32 3
		.amdhsa_float_denorm_mode_16_64 3
		.amdhsa_fp16_overflow 0
		.amdhsa_memory_ordered 1
		.amdhsa_forward_progress 1
		.amdhsa_inst_pref_size 24
		.amdhsa_round_robin_scheduling 0
		.amdhsa_exception_fp_ieee_invalid_op 0
		.amdhsa_exception_fp_denorm_src 0
		.amdhsa_exception_fp_ieee_div_zero 0
		.amdhsa_exception_fp_ieee_overflow 0
		.amdhsa_exception_fp_ieee_underflow 0
		.amdhsa_exception_fp_ieee_inexact 0
		.amdhsa_exception_int_div_zero 0
	.end_amdhsa_kernel
	.section	.text._ZL20rocblas_gemvn_kernelILi32ELi16EiPKfS1_KPfEviiT3_lPKT2_lT1_lS7_lS8_lS4_lPT4_lS8_li,"axG",@progbits,_ZL20rocblas_gemvn_kernelILi32ELi16EiPKfS1_KPfEviiT3_lPKT2_lT1_lS7_lS8_lS4_lPT4_lS8_li,comdat
.Lfunc_end200:
	.size	_ZL20rocblas_gemvn_kernelILi32ELi16EiPKfS1_KPfEviiT3_lPKT2_lT1_lS7_lS8_lS4_lPT4_lS8_li, .Lfunc_end200-_ZL20rocblas_gemvn_kernelILi32ELi16EiPKfS1_KPfEviiT3_lPKT2_lT1_lS7_lS8_lS4_lPT4_lS8_li
                                        ; -- End function
	.set _ZL20rocblas_gemvn_kernelILi32ELi16EiPKfS1_KPfEviiT3_lPKT2_lT1_lS7_lS8_lS4_lPT4_lS8_li.num_vgpr, 62
	.set _ZL20rocblas_gemvn_kernelILi32ELi16EiPKfS1_KPfEviiT3_lPKT2_lT1_lS7_lS8_lS4_lPT4_lS8_li.num_agpr, 0
	.set _ZL20rocblas_gemvn_kernelILi32ELi16EiPKfS1_KPfEviiT3_lPKT2_lT1_lS7_lS8_lS4_lPT4_lS8_li.numbered_sgpr, 50
	.set _ZL20rocblas_gemvn_kernelILi32ELi16EiPKfS1_KPfEviiT3_lPKT2_lT1_lS7_lS8_lS4_lPT4_lS8_li.num_named_barrier, 0
	.set _ZL20rocblas_gemvn_kernelILi32ELi16EiPKfS1_KPfEviiT3_lPKT2_lT1_lS7_lS8_lS4_lPT4_lS8_li.private_seg_size, 0
	.set _ZL20rocblas_gemvn_kernelILi32ELi16EiPKfS1_KPfEviiT3_lPKT2_lT1_lS7_lS8_lS4_lPT4_lS8_li.uses_vcc, 1
	.set _ZL20rocblas_gemvn_kernelILi32ELi16EiPKfS1_KPfEviiT3_lPKT2_lT1_lS7_lS8_lS4_lPT4_lS8_li.uses_flat_scratch, 1
	.set _ZL20rocblas_gemvn_kernelILi32ELi16EiPKfS1_KPfEviiT3_lPKT2_lT1_lS7_lS8_lS4_lPT4_lS8_li.has_dyn_sized_stack, 0
	.set _ZL20rocblas_gemvn_kernelILi32ELi16EiPKfS1_KPfEviiT3_lPKT2_lT1_lS7_lS8_lS4_lPT4_lS8_li.has_recursion, 0
	.set _ZL20rocblas_gemvn_kernelILi32ELi16EiPKfS1_KPfEviiT3_lPKT2_lT1_lS7_lS8_lS4_lPT4_lS8_li.has_indirect_call, 0
	.section	.AMDGPU.csdata,"",@progbits
; Kernel info:
; codeLenInByte = 3072
; TotalNumSgprs: 52
; NumVgprs: 62
; ScratchSize: 0
; MemoryBound: 0
; FloatMode: 240
; IeeeMode: 1
; LDSByteSize: 8192 bytes/workgroup (compile time only)
; SGPRBlocks: 0
; VGPRBlocks: 3
; NumSGPRsForWavesPerEU: 52
; NumVGPRsForWavesPerEU: 62
; NamedBarCnt: 0
; Occupancy: 16
; WaveLimiterHint : 1
; COMPUTE_PGM_RSRC2:SCRATCH_EN: 0
; COMPUTE_PGM_RSRC2:USER_SGPR: 2
; COMPUTE_PGM_RSRC2:TRAP_HANDLER: 0
; COMPUTE_PGM_RSRC2:TGID_X_EN: 1
; COMPUTE_PGM_RSRC2:TGID_Y_EN: 0
; COMPUTE_PGM_RSRC2:TGID_Z_EN: 1
; COMPUTE_PGM_RSRC2:TIDIG_COMP_CNT: 1
	.section	.text._ZL20rocblas_gemvn_kernelILi32ELi16ElPKfS1_KPfEviiT3_lPKT2_lT1_lS7_lS8_lS4_lPT4_lS8_li,"axG",@progbits,_ZL20rocblas_gemvn_kernelILi32ELi16ElPKfS1_KPfEviiT3_lPKT2_lT1_lS7_lS8_lS4_lPT4_lS8_li,comdat
	.globl	_ZL20rocblas_gemvn_kernelILi32ELi16ElPKfS1_KPfEviiT3_lPKT2_lT1_lS7_lS8_lS4_lPT4_lS8_li ; -- Begin function _ZL20rocblas_gemvn_kernelILi32ELi16ElPKfS1_KPfEviiT3_lPKT2_lT1_lS7_lS8_lS4_lPT4_lS8_li
	.p2align	8
	.type	_ZL20rocblas_gemvn_kernelILi32ELi16ElPKfS1_KPfEviiT3_lPKT2_lT1_lS7_lS8_lS4_lPT4_lS8_li,@function
_ZL20rocblas_gemvn_kernelILi32ELi16ElPKfS1_KPfEviiT3_lPKT2_lT1_lS7_lS8_lS4_lPT4_lS8_li: ; @_ZL20rocblas_gemvn_kernelILi32ELi16ElPKfS1_KPfEviiT3_lPKT2_lT1_lS7_lS8_lS4_lPT4_lS8_li
; %bb.0:
	s_clause 0x1
	s_load_b64 s[2:3], s[0:1], 0x9c
	s_load_b32 s33, s[0:1], 0x88
	s_bfe_u32 s4, ttmp6, 0x40014
	s_lshr_b32 s5, ttmp7, 16
	s_add_co_i32 s4, s4, 1
	s_bfe_u32 s6, ttmp6, 0x40008
	s_mul_i32 s7, s5, s4
	s_getreg_b32 s4, hwreg(HW_REG_IB_STS2, 6, 4)
	s_add_co_i32 s6, s6, s7
	s_mov_b32 s11, 0
	s_wait_kmcnt 0x0
	s_lshr_b32 s7, s2, 16
	s_and_b32 s2, s2, 0xffff
	s_and_b32 s3, s3, 0xffff
	s_mul_i32 s2, s7, s2
	s_cmp_eq_u32 s4, 0
	s_mul_i32 s2, s2, s3
	s_cselect_b32 s10, s5, s6
	s_cmp_lg_u32 s2, 0x200
	s_cselect_b32 s2, -1, 0
	s_cmp_ge_u32 s10, s33
	s_cselect_b32 s3, -1, 0
	s_delay_alu instid0(SALU_CYCLE_1) | instskip(NEXT) | instid1(SALU_CYCLE_1)
	s_or_b32 s2, s2, s3
	s_and_b32 vcc_lo, exec_lo, s2
	s_cbranch_vccnz .LBB201_56
; %bb.1:
	s_clause 0x2
	s_load_b64 s[34:35], s[0:1], 0x0
	s_load_b64 s[36:37], s[0:1], 0x28
	;; [unrolled: 1-line block ×3, first 2 shown]
	s_bfe_u32 s5, ttmp6, 0x4000c
	v_and_b32_e32 v28, 0x3ff, v0
	s_add_co_i32 s5, s5, 1
	v_bfe_u32 v6, v0, 10, 10
	s_clause 0x1
	s_load_b64 s[38:39], s[0:1], 0x48
	s_load_b128 s[28:31], s[0:1], 0x38
	s_and_b32 s6, ttmp6, 15
	s_mul_i32 s5, ttmp9, s5
	v_lshl_add_u32 v29, v6, 5, v28
	s_add_co_i32 s6, s6, s5
	s_cmp_eq_u32 s4, 0
	s_load_b256 s[12:19], s[0:1], 0x8
	s_cselect_b32 s4, ttmp9, s6
	s_load_b256 s[20:27], s[0:1], 0x58
	s_lshl_b32 s6, s4, 7
	s_delay_alu instid0(SALU_CYCLE_1)
	v_dual_mov_b32 v1, 0 :: v_dual_add_nc_u32 v0, s6, v29
	v_lshlrev_b32_e32 v64, 2, v6
	s_wait_kmcnt 0x0
	s_ashr_i32 s5, s34, 31
	s_mov_b32 s4, s34
	v_mov_b32_e32 v7, v1
	v_mul_u64_e32 v[2:3], s[2:3], v[0:1]
	v_cmp_gt_i64_e32 vcc_lo, s[4:5], v[0:1]
	v_dual_add_nc_u32 v14, s6, v28 :: v_dual_bitop2_b32 v16, s6, v29 bitop3:0x54
	v_or_b32_e32 v0, 3, v64
	v_mul_u64_e32 v[8:9], s[38:39], v[6:7]
	v_mul_u64_e32 v[18:19], s[36:37], v[6:7]
	s_delay_alu instid0(VALU_DEP_4) | instskip(NEXT) | instid1(VALU_DEP_4)
	v_dual_ashrrev_i32 v15, 31, v14 :: v_dual_add_nc_u32 v7, 64, v14
	v_mul_u64_e32 v[10:11], s[36:37], v[0:1]
	v_mul_u64_e32 v[12:13], s[38:39], v[0:1]
	v_or_b32_e32 v0, 2, v64
	v_ashrrev_i32_e32 v17, 31, v16
	v_mad_nc_u64_u32 v[24:25], s38, v64, s[38:39]
	v_mad_nc_u64_u32 v[26:27], s36, v64, s[36:37]
	s_ashr_i32 s4, s35, 31
	v_mul_u64_e32 v[20:21], s[36:37], v[0:1]
	v_mul_u64_e32 v[22:23], s[38:39], v[0:1]
	v_add_nc_u32_e32 v0, 32, v14
	v_mul_u64_e32 v[4:5], s[2:3], v[16:17]
	s_lshr_b32 s4, s4, 26
	v_add_nc_u32_e32 v17, 0x60, v14
	s_add_co_i32 s44, s35, s4
	v_cmp_gt_i32_e64 s2, s34, v0
	v_mad_u32 v25, s39, v64, v25
	v_mad_u32 v27, s37, v64, v27
	v_lshlrev_b32_e32 v0, 2, v28
	s_and_not1_b32 s44, s44, 63
	v_cmp_gt_i32_e64 s1, s34, v14
	s_sub_co_i32 s4, s35, s44
	v_cmp_gt_i32_e64 s3, s34, v7
	s_cmp_gt_i32 s4, 0
	v_cmp_gt_i32_e64 s4, s34, v17
	v_lshl_add_u32 v65, v6, 9, v0
	v_cmp_gt_u32_e64 s5, 0x80, v29
	v_lshl_add_u32 v66, v6, 7, v0
	v_cmp_gt_i32_e64 s6, s34, v16
	v_lshlrev_b64_e32 v[6:7], 4, v[8:9]
	v_lshlrev_b64_e32 v[8:9], 2, v[14:15]
	;; [unrolled: 1-line block ×3, first 2 shown]
	v_cmp_gt_i32_e64 s0, s44, v64
	v_lshlrev_b64_e32 v[10:11], 2, v[10:11]
	v_lshlrev_b64_e32 v[12:13], 2, v[12:13]
	s_cselect_b32 s45, -1, 0
	s_and_b32 s34, s5, vcc_lo
	s_lshl_b64 s[40:41], s[38:39], 8
	s_lshl_b64 s[42:43], s[36:37], 8
	s_lshl_b64 s[18:19], s[18:19], 2
	v_lshlrev_b64_e32 v[16:17], 2, v[20:21]
	v_lshlrev_b64_e32 v[18:19], 2, v[22:23]
	;; [unrolled: 1-line block ×4, first 2 shown]
	s_lshl_b64 s[30:31], s[30:31], 2
	s_lshl_b64 s[26:27], s[26:27], 2
	s_branch .LBB201_4
.LBB201_2:                              ;   in Loop: Header=BB201_4 Depth=1
	s_wait_xcnt 0x0
	s_or_b32 exec_lo, exec_lo, s7
.LBB201_3:                              ;   in Loop: Header=BB201_4 Depth=1
	s_add_co_i32 s10, s10, 0x10000
	s_delay_alu instid0(SALU_CYCLE_1)
	s_cmp_lt_u32 s10, s33
	s_cbranch_scc0 .LBB201_56
.LBB201_4:                              ; =>This Loop Header: Depth=1
                                        ;     Child Loop BB201_24 Depth 2
	s_mul_u64 s[8:9], s[14:15], s[10:11]
	s_mul_u64 s[46:47], s[22:23], s[10:11]
	s_lshl_b64 s[8:9], s[8:9], 2
	s_lshl_b64 s[46:47], s[46:47], 2
	s_add_nc_u64 s[8:9], s[12:13], s[8:9]
	s_add_nc_u64 s[46:47], s[20:21], s[46:47]
	s_clause 0x1
	global_load_b32 v67, v1, s[8:9]
	global_load_b32 v0, v1, s[46:47]
	s_wait_loadcnt 0x1
	v_cmp_eq_f32_e64 s7, 0, v67
	s_wait_loadcnt 0x0
	v_cmp_eq_f32_e32 vcc_lo, 1.0, v0
	s_wait_xcnt 0x0
	v_readfirstlane_b32 s46, v0
	s_and_b32 s8, s7, vcc_lo
	s_delay_alu instid0(SALU_CYCLE_1)
	s_and_b32 vcc_lo, exec_lo, s8
	s_cbranch_vccnz .LBB201_3
; %bb.5:                                ;   in Loop: Header=BB201_4 Depth=1
	v_mov_b64_e32 v[28:29], 0
	v_mov_b64_e32 v[26:27], 0
	v_cmp_neq_f32_e64 s8, 0, v67
	s_and_b32 vcc_lo, exec_lo, s7
	s_cbranch_vccnz .LBB201_7
; %bb.6:                                ;   in Loop: Header=BB201_4 Depth=1
	s_lshl_b64 s[48:49], s[10:11], 3
	s_delay_alu instid0(SALU_CYCLE_1)
	s_add_nc_u64 s[48:49], s[16:17], s[48:49]
	global_load_b64 v[24:25], v1, s[48:49]
	s_wait_loadcnt 0x0
	v_add_nc_u64_e32 v[26:27], s[18:19], v[24:25]
.LBB201_7:                              ;   in Loop: Header=BB201_4 Depth=1
	s_and_not1_b32 vcc_lo, exec_lo, s8
	s_cbranch_vccnz .LBB201_9
; %bb.8:                                ;   in Loop: Header=BB201_4 Depth=1
	s_lshl_b64 s[8:9], s[10:11], 3
	s_delay_alu instid0(SALU_CYCLE_1)
	s_add_nc_u64 s[8:9], s[28:29], s[8:9]
	global_load_b64 v[24:25], v1, s[8:9]
	s_wait_loadcnt 0x0
	v_add_nc_u64_e32 v[28:29], s[30:31], v[24:25]
.LBB201_9:                              ;   in Loop: Header=BB201_4 Depth=1
	s_wait_xcnt 0x0
	s_lshl_b64 s[8:9], s[10:11], 3
	s_and_not1_b32 vcc_lo, exec_lo, s7
	s_add_nc_u64 s[8:9], s[24:25], s[8:9]
	global_load_b64 v[24:25], v1, s[8:9]
	s_wait_loadcnt 0x0
	v_add_nc_u64_e32 v[24:25], s[26:27], v[24:25]
	s_cbranch_vccnz .LBB201_13
; %bb.10:                               ;   in Loop: Header=BB201_4 Depth=1
	s_mov_b32 s7, 0
	s_mov_b32 s47, 0
                                        ; implicit-def: $vgpr0
	s_wait_xcnt 0x0
	s_and_saveexec_b32 s8, s34
	s_cbranch_execz .LBB201_14
; %bb.11:                               ;   in Loop: Header=BB201_4 Depth=1
	s_cmp_eq_f32 s46, 0
	s_cbranch_scc1 .LBB201_16
; %bb.12:                               ;   in Loop: Header=BB201_4 Depth=1
	v_lshl_add_u64 v[30:31], v[2:3], 2, v[24:25]
	flat_load_b32 v0, v[30:31]
	s_wait_loadcnt_dscnt 0x0
	v_mul_f32_e32 v0, s46, v0
	s_branch .LBB201_17
.LBB201_13:                             ;   in Loop: Header=BB201_4 Depth=1
	s_mov_b32 s47, 0
                                        ; implicit-def: $vgpr0
	s_cbranch_execz .LBB201_15
	s_branch .LBB201_18
.LBB201_14:                             ;   in Loop: Header=BB201_4 Depth=1
	s_or_b32 exec_lo, exec_lo, s8
	s_delay_alu instid0(SALU_CYCLE_1)
	s_and_b32 vcc_lo, exec_lo, s7
	s_cbranch_vccnz .LBB201_18
.LBB201_15:                             ;   in Loop: Header=BB201_4 Depth=1
	v_mov_b64_e32 v[26:27], v[2:3]
	s_wait_xcnt 0x0
	s_and_saveexec_b32 s7, s47
	s_cbranch_execz .LBB201_2
	s_branch .LBB201_55
.LBB201_16:                             ;   in Loop: Header=BB201_4 Depth=1
	v_mov_b32_e32 v0, 0
.LBB201_17:                             ;   in Loop: Header=BB201_4 Depth=1
	s_mov_b32 s47, exec_lo
	s_wait_xcnt 0x0
	s_or_b32 exec_lo, exec_lo, s8
	s_delay_alu instid0(SALU_CYCLE_1)
	s_and_b32 vcc_lo, exec_lo, s7
	s_cbranch_vccz .LBB201_15
.LBB201_18:                             ;   in Loop: Header=BB201_4 Depth=1
	v_dual_mov_b32 v68, 0 :: v_dual_mov_b32 v0, v64
	v_dual_mov_b32 v69, 0 :: v_dual_mov_b32 v70, 0
	v_mov_b32_e32 v71, 0
	s_wait_xcnt 0x0
	s_and_saveexec_b32 s7, s0
	s_cbranch_execz .LBB201_30
; %bb.19:                               ;   in Loop: Header=BB201_4 Depth=1
	v_add_nc_u64_e32 v[30:31], v[26:27], v[10:11]
	v_add_nc_u64_e32 v[32:33], v[26:27], v[14:15]
	;; [unrolled: 1-line block ×4, first 2 shown]
	v_mov_b64_e32 v[38:39], v[28:29]
	v_dual_mov_b32 v68, 0 :: v_dual_mov_b32 v0, v64
	v_dual_mov_b32 v69, 0 :: v_dual_mov_b32 v70, 0
	v_mov_b32_e32 v71, 0
	s_mov_b32 s8, 0
	s_branch .LBB201_24
.LBB201_20:                             ;   in Loop: Header=BB201_24 Depth=2
	s_wait_xcnt 0x0
	s_or_b32 exec_lo, exec_lo, s50
	s_wait_loadcnt_dscnt 0x202
	v_pk_mul_f32 v[52:53], v[44:45], v[62:63]
	s_delay_alu instid0(VALU_DEP_1) | instskip(NEXT) | instid1(VALU_DEP_1)
	v_add_f32_e32 v52, v70, v52
	v_add_f32_e32 v54, v52, v53
	s_wait_loadcnt_dscnt 0x0
	v_pk_mul_f32 v[52:53], v[40:41], v[60:61]
	s_delay_alu instid0(VALU_DEP_1) | instskip(NEXT) | instid1(VALU_DEP_1)
	v_add_f32_e32 v52, v54, v52
	v_add_f32_e32 v70, v52, v53
.LBB201_21:                             ;   in Loop: Header=BB201_24 Depth=2
	s_or_b32 exec_lo, exec_lo, s49
	s_wait_loadcnt_dscnt 0x202
	v_pk_mul_f32 v[50:51], v[44:45], v[50:51]
	s_wait_loadcnt_dscnt 0x0
	v_pk_mul_f32 v[48:49], v[40:41], v[48:49]
	s_delay_alu instid0(VALU_DEP_2) | instskip(NEXT) | instid1(VALU_DEP_1)
	v_add_f32_e32 v50, v69, v50
	v_add_f32_e32 v50, v50, v51
	s_delay_alu instid0(VALU_DEP_1) | instskip(NEXT) | instid1(VALU_DEP_1)
	v_add_f32_e32 v48, v50, v48
	v_add_f32_e32 v69, v48, v49
.LBB201_22:                             ;   in Loop: Header=BB201_24 Depth=2
	s_or_b32 exec_lo, exec_lo, s48
	s_wait_loadcnt_dscnt 0x202
	v_pk_mul_f32 v[44:45], v[44:45], v[46:47]
	s_wait_loadcnt_dscnt 0x0
	v_pk_mul_f32 v[40:41], v[40:41], v[42:43]
	s_delay_alu instid0(VALU_DEP_2) | instskip(NEXT) | instid1(VALU_DEP_1)
	v_add_f32_e32 v44, v68, v44
	v_add_f32_e32 v44, v44, v45
	s_delay_alu instid0(VALU_DEP_1) | instskip(NEXT) | instid1(VALU_DEP_1)
	v_add_f32_e32 v40, v44, v40
	v_add_f32_e32 v68, v40, v41
.LBB201_23:                             ;   in Loop: Header=BB201_24 Depth=2
	s_or_b32 exec_lo, exec_lo, s9
	v_add_nc_u32_e32 v0, 64, v0
	v_add_nc_u64_e32 v[38:39], s[40:41], v[38:39]
	v_add_nc_u64_e32 v[30:31], s[42:43], v[30:31]
	;; [unrolled: 1-line block ×4, first 2 shown]
	v_cmp_le_i32_e32 vcc_lo, s44, v0
	v_add_nc_u64_e32 v[36:37], s[42:43], v[36:37]
	s_or_b32 s8, vcc_lo, s8
	s_delay_alu instid0(SALU_CYCLE_1)
	s_and_not1_b32 exec_lo, exec_lo, s8
	s_cbranch_execz .LBB201_29
.LBB201_24:                             ;   Parent Loop BB201_4 Depth=1
                                        ; =>  This Inner Loop Header: Depth=2
	s_and_saveexec_b32 s9, s1
	s_cbranch_execz .LBB201_23
; %bb.25:                               ;   in Loop: Header=BB201_24 Depth=2
	v_add_nc_u64_e32 v[48:49], v[38:39], v[12:13]
	v_add_nc_u64_e32 v[50:51], v[38:39], v[18:19]
	;; [unrolled: 1-line block ×8, first 2 shown]
	s_clause 0x3
	flat_load_b32 v41, v[48:49]
	flat_load_b32 v40, v[50:51]
	;; [unrolled: 1-line block ×8, first 2 shown]
	s_wait_xcnt 0x0
	s_and_saveexec_b32 s48, s2
	s_cbranch_execz .LBB201_22
; %bb.26:                               ;   in Loop: Header=BB201_24 Depth=2
	flat_load_b32 v50, v[52:53] offset:128
	flat_load_b32 v51, v[54:55] offset:128
	flat_load_b32 v48, v[56:57] offset:128
	flat_load_b32 v49, v[58:59] offset:128
	s_wait_xcnt 0x0
	s_and_saveexec_b32 s49, s3
	s_cbranch_execz .LBB201_21
; %bb.27:                               ;   in Loop: Header=BB201_24 Depth=2
	flat_load_b32 v62, v[52:53] offset:256
	flat_load_b32 v63, v[54:55] offset:256
	flat_load_b32 v60, v[56:57] offset:256
	flat_load_b32 v61, v[58:59] offset:256
	;; [unrolled: 8-line block ×3, first 2 shown]
	s_wait_loadcnt_dscnt 0x202
	s_wait_xcnt 0x3
	v_pk_mul_f32 v[52:53], v[44:45], v[72:73]
	s_delay_alu instid0(VALU_DEP_1) | instskip(SKIP_1) | instid1(VALU_DEP_1)
	v_add_f32_e32 v52, v71, v52
	s_wait_xcnt 0x2
	v_add_f32_e32 v54, v52, v53
	s_wait_loadcnt_dscnt 0x0
	v_pk_mul_f32 v[52:53], v[40:41], v[74:75]
	s_delay_alu instid0(VALU_DEP_1) | instskip(NEXT) | instid1(VALU_DEP_1)
	v_add_f32_e32 v52, v54, v52
	v_add_f32_e32 v71, v52, v53
	s_branch .LBB201_20
.LBB201_29:                             ;   in Loop: Header=BB201_4 Depth=1
	s_or_b32 exec_lo, exec_lo, s8
.LBB201_30:                             ;   in Loop: Header=BB201_4 Depth=1
	s_delay_alu instid0(SALU_CYCLE_1) | instskip(NEXT) | instid1(SALU_CYCLE_1)
	s_or_b32 exec_lo, exec_lo, s7
	s_and_not1_b32 vcc_lo, exec_lo, s45
	s_cbranch_vccnz .LBB201_48
; %bb.31:                               ;   in Loop: Header=BB201_4 Depth=1
	v_dual_mov_b32 v32, 0 :: v_dual_bitop2_b32 v34, 1, v0 bitop3:0x54
	v_cmp_gt_i32_e32 vcc_lo, s35, v0
	s_delay_alu instid0(VALU_DEP_2)
	v_dual_mov_b32 v33, v32 :: v_dual_mov_b32 v30, v32
	v_mov_b32_e32 v31, v32
	s_and_saveexec_b32 s8, vcc_lo
	s_cbranch_execz .LBB201_39
; %bb.32:                               ;   in Loop: Header=BB201_4 Depth=1
	v_mul_u64_e32 v[30:31], s[38:39], v[0:1]
	v_mov_b32_e32 v32, 0
	s_mov_b32 s9, exec_lo
	v_mov_b32_e32 v33, 0
	s_delay_alu instid0(VALU_DEP_3)
	v_lshl_add_u64 v[30:31], v[30:31], 2, v[28:29]
	flat_load_b32 v30, v[30:31]
	s_wait_xcnt 0x0
	v_mov_b32_e32 v31, 0
	v_cmpx_gt_i32_e64 s35, v34
	s_cbranch_execz .LBB201_38
; %bb.33:                               ;   in Loop: Header=BB201_4 Depth=1
	v_dual_mov_b32 v35, v1 :: v_dual_bitop2_b32 v36, 2, v0 bitop3:0x54
	s_mov_b32 s48, exec_lo
	s_delay_alu instid0(VALU_DEP_1) | instskip(NEXT) | instid1(VALU_DEP_1)
	v_mul_u64_e32 v[32:33], s[38:39], v[34:35]
	v_lshl_add_u64 v[32:33], v[32:33], 2, v[28:29]
	flat_load_b32 v31, v[32:33]
	s_wait_xcnt 0x0
	v_dual_mov_b32 v33, 0 :: v_dual_mov_b32 v32, 0
	v_cmpx_gt_i32_e64 s35, v36
	s_cbranch_execz .LBB201_37
; %bb.34:                               ;   in Loop: Header=BB201_4 Depth=1
	v_mov_b32_e32 v37, v1
	s_mov_b32 s49, exec_lo
	s_delay_alu instid0(VALU_DEP_1) | instskip(SKIP_1) | instid1(VALU_DEP_2)
	v_mul_u64_e32 v[32:33], s[38:39], v[36:37]
	v_or_b32_e32 v36, 3, v0
	v_lshl_add_u64 v[32:33], v[32:33], 2, v[28:29]
	flat_load_b32 v32, v[32:33]
	s_wait_xcnt 0x0
	v_mov_b32_e32 v33, 0
	v_cmpx_gt_i32_e64 s35, v36
	s_cbranch_execz .LBB201_36
; %bb.35:                               ;   in Loop: Header=BB201_4 Depth=1
	v_mov_b32_e32 v37, v1
	s_delay_alu instid0(VALU_DEP_1) | instskip(NEXT) | instid1(VALU_DEP_1)
	v_mul_u64_e32 v[36:37], s[38:39], v[36:37]
	v_lshl_add_u64 v[28:29], v[36:37], 2, v[28:29]
	flat_load_b32 v33, v[28:29]
.LBB201_36:                             ;   in Loop: Header=BB201_4 Depth=1
	s_wait_xcnt 0x0
	s_or_b32 exec_lo, exec_lo, s49
.LBB201_37:                             ;   in Loop: Header=BB201_4 Depth=1
	s_delay_alu instid0(SALU_CYCLE_1)
	s_or_b32 exec_lo, exec_lo, s48
.LBB201_38:                             ;   in Loop: Header=BB201_4 Depth=1
	s_delay_alu instid0(SALU_CYCLE_1)
	s_or_b32 exec_lo, exec_lo, s9
.LBB201_39:                             ;   in Loop: Header=BB201_4 Depth=1
	s_delay_alu instid0(SALU_CYCLE_1)
	s_or_b32 exec_lo, exec_lo, s8
	s_and_saveexec_b32 s48, s1
	s_cbranch_execz .LBB201_47
; %bb.40:                               ;   in Loop: Header=BB201_4 Depth=1
	v_dual_mov_b32 v35, v1 :: v_dual_bitop2_b32 v28, 2, v0 bitop3:0x54
	v_mov_b32_e32 v29, v1
	v_mul_u64_e32 v[36:37], s[36:37], v[0:1]
	v_or_b32_e32 v0, 3, v0
	s_delay_alu instid0(VALU_DEP_4)
	v_mul_u64_e32 v[38:39], s[36:37], v[34:35]
	v_cmp_gt_i32_e64 s7, s35, v34
	v_mul_u64_e32 v[40:41], s[36:37], v[28:29]
	v_cmp_gt_i32_e64 s8, s35, v28
	;; [unrolled: 2-line block ×3, first 2 shown]
	v_dual_cndmask_b32 v29, 0, v37 :: v_dual_cndmask_b32 v28, 0, v36
	v_dual_cndmask_b32 v35, 0, v39, s7 :: v_dual_cndmask_b32 v34, 0, v38, s7
	v_dual_cndmask_b32 v37, 0, v41, s8 :: v_dual_cndmask_b32 v36, 0, v40, s8
	s_delay_alu instid0(VALU_DEP_4) | instskip(NEXT) | instid1(VALU_DEP_4)
	v_dual_cndmask_b32 v39, 0, v43, s9 :: v_dual_cndmask_b32 v38, 0, v42, s9
	v_lshl_add_u64 v[28:29], v[28:29], 2, v[26:27]
	s_delay_alu instid0(VALU_DEP_4) | instskip(NEXT) | instid1(VALU_DEP_4)
	v_lshl_add_u64 v[34:35], v[34:35], 2, v[26:27]
	v_lshl_add_u64 v[36:37], v[36:37], 2, v[26:27]
	s_delay_alu instid0(VALU_DEP_4) | instskip(NEXT) | instid1(VALU_DEP_4)
	v_lshl_add_u64 v[26:27], v[38:39], 2, v[26:27]
	v_add_nc_u64_e32 v[42:43], v[28:29], v[8:9]
	s_delay_alu instid0(VALU_DEP_4) | instskip(NEXT) | instid1(VALU_DEP_4)
	v_add_nc_u64_e32 v[38:39], v[34:35], v[8:9]
	v_add_nc_u64_e32 v[40:41], v[36:37], v[8:9]
	s_delay_alu instid0(VALU_DEP_4)
	v_add_nc_u64_e32 v[44:45], v[26:27], v[8:9]
	s_clause 0x3
	flat_load_b32 v28, v[42:43]
	flat_load_b32 v29, v[38:39]
	;; [unrolled: 1-line block ×4, first 2 shown]
	s_wait_xcnt 0x0
	s_and_saveexec_b32 s7, s2
	s_cbranch_execz .LBB201_46
; %bb.41:                               ;   in Loop: Header=BB201_4 Depth=1
	s_clause 0x3
	flat_load_b32 v36, v[42:43] offset:128
	flat_load_b32 v37, v[38:39] offset:128
	flat_load_b32 v34, v[40:41] offset:128
	flat_load_b32 v35, v[44:45] offset:128
	s_wait_xcnt 0x0
	s_and_saveexec_b32 s8, s3
	s_cbranch_execz .LBB201_45
; %bb.42:                               ;   in Loop: Header=BB201_4 Depth=1
	s_clause 0x3
	flat_load_b32 v48, v[42:43] offset:256
	flat_load_b32 v49, v[38:39] offset:256
	flat_load_b32 v46, v[40:41] offset:256
	flat_load_b32 v47, v[44:45] offset:256
	;; [unrolled: 9-line block ×3, first 2 shown]
	s_wait_loadcnt_dscnt 0x202
	s_wait_xcnt 0x2
	v_pk_mul_f32 v[38:39], v[30:31], v[50:51]
	s_delay_alu instid0(VALU_DEP_1) | instskip(NEXT) | instid1(VALU_DEP_1)
	v_add_f32_e32 v0, v71, v38
	v_add_f32_e32 v0, v0, v39
	s_wait_loadcnt_dscnt 0x0
	v_pk_mul_f32 v[38:39], v[32:33], v[52:53]
	s_delay_alu instid0(VALU_DEP_1) | instskip(NEXT) | instid1(VALU_DEP_1)
	v_add_f32_e32 v0, v0, v38
	v_add_f32_e32 v71, v0, v39
.LBB201_44:                             ;   in Loop: Header=BB201_4 Depth=1
	s_wait_xcnt 0x0
	s_or_b32 exec_lo, exec_lo, s9
	s_wait_loadcnt_dscnt 0x202
	v_pk_mul_f32 v[38:39], v[30:31], v[48:49]
	s_delay_alu instid0(VALU_DEP_1) | instskip(NEXT) | instid1(VALU_DEP_1)
	v_add_f32_e32 v0, v70, v38
	v_add_f32_e32 v0, v0, v39
	s_wait_loadcnt_dscnt 0x0
	v_pk_mul_f32 v[38:39], v[32:33], v[46:47]
	s_delay_alu instid0(VALU_DEP_1) | instskip(NEXT) | instid1(VALU_DEP_1)
	v_add_f32_e32 v0, v0, v38
	v_add_f32_e32 v70, v0, v39
.LBB201_45:                             ;   in Loop: Header=BB201_4 Depth=1
	s_or_b32 exec_lo, exec_lo, s8
	s_wait_loadcnt_dscnt 0x202
	v_pk_mul_f32 v[36:37], v[30:31], v[36:37]
	s_wait_loadcnt_dscnt 0x0
	v_pk_mul_f32 v[34:35], v[32:33], v[34:35]
	s_delay_alu instid0(VALU_DEP_2) | instskip(NEXT) | instid1(VALU_DEP_1)
	v_add_f32_e32 v0, v69, v36
	v_add_f32_e32 v0, v0, v37
	s_delay_alu instid0(VALU_DEP_1) | instskip(NEXT) | instid1(VALU_DEP_1)
	v_add_f32_e32 v0, v0, v34
	v_add_f32_e32 v69, v0, v35
.LBB201_46:                             ;   in Loop: Header=BB201_4 Depth=1
	s_or_b32 exec_lo, exec_lo, s7
	s_wait_loadcnt_dscnt 0x202
	v_pk_mul_f32 v[28:29], v[30:31], v[28:29]
	s_wait_loadcnt_dscnt 0x0
	v_pk_mul_f32 v[26:27], v[32:33], v[26:27]
	s_delay_alu instid0(VALU_DEP_2) | instskip(NEXT) | instid1(VALU_DEP_1)
	v_add_f32_e32 v0, v68, v28
	v_add_f32_e32 v0, v0, v29
	s_delay_alu instid0(VALU_DEP_1) | instskip(NEXT) | instid1(VALU_DEP_1)
	v_add_f32_e32 v0, v0, v26
	v_add_f32_e32 v68, v0, v27
.LBB201_47:                             ;   in Loop: Header=BB201_4 Depth=1
	s_or_b32 exec_lo, exec_lo, s48
.LBB201_48:                             ;   in Loop: Header=BB201_4 Depth=1
	ds_store_2addr_b32 v65, v68, v69 offset1:32
	ds_store_2addr_b32 v65, v70, v71 offset0:64 offset1:96
	s_wait_loadcnt_dscnt 0x0
	s_barrier_signal -1
	s_barrier_wait -1
                                        ; implicit-def: $vgpr0
	s_and_saveexec_b32 s7, s5
	s_cbranch_execz .LBB201_54
; %bb.49:                               ;   in Loop: Header=BB201_4 Depth=1
	ds_load_2addr_stride64_b32 v[26:27], v66 offset1:2
	ds_load_2addr_stride64_b32 v[28:29], v66 offset0:4 offset1:6
	ds_load_2addr_stride64_b32 v[30:31], v66 offset0:8 offset1:10
	s_mov_b32 s9, s47
	s_wait_dscnt 0x2
	v_add_f32_e32 v0, v26, v27
	ds_load_2addr_stride64_b32 v[26:27], v66 offset0:12 offset1:14
	s_wait_dscnt 0x2
	v_add_f32_e32 v0, v28, v0
	s_delay_alu instid0(VALU_DEP_1) | instskip(SKIP_3) | instid1(VALU_DEP_1)
	v_add_f32_e32 v0, v29, v0
	ds_load_2addr_stride64_b32 v[28:29], v66 offset0:16 offset1:18
	s_wait_dscnt 0x2
	v_add_f32_e32 v0, v30, v0
	v_add_f32_e32 v0, v31, v0
	ds_load_2addr_stride64_b32 v[30:31], v66 offset0:20 offset1:22
	s_wait_dscnt 0x2
	v_add_f32_e32 v0, v26, v0
	s_delay_alu instid0(VALU_DEP_1) | instskip(SKIP_3) | instid1(VALU_DEP_1)
	v_add_f32_e32 v0, v27, v0
	ds_load_2addr_stride64_b32 v[26:27], v66 offset0:24 offset1:26
	s_wait_dscnt 0x2
	v_add_f32_e32 v0, v28, v0
	v_add_f32_e32 v0, v29, v0
	ds_load_2addr_stride64_b32 v[28:29], v66 offset0:28 offset1:30
	s_wait_dscnt 0x2
	v_add_f32_e32 v0, v30, v0
	s_delay_alu instid0(VALU_DEP_1) | instskip(SKIP_1) | instid1(VALU_DEP_1)
	v_add_f32_e32 v0, v31, v0
	s_wait_dscnt 0x1
	v_add_f32_e32 v0, v26, v0
	s_delay_alu instid0(VALU_DEP_1) | instskip(SKIP_1) | instid1(VALU_DEP_1)
	v_add_f32_e32 v0, v27, v0
	s_wait_dscnt 0x0
	v_add_f32_e32 v0, v28, v0
	s_delay_alu instid0(VALU_DEP_1)
	v_add_f32_e32 v26, v29, v0
                                        ; implicit-def: $vgpr0
	ds_store_b32 v66, v26
	s_and_saveexec_b32 s8, s6
	s_cbranch_execz .LBB201_53
; %bb.50:                               ;   in Loop: Header=BB201_4 Depth=1
	v_mul_f32_e32 v0, v67, v26
	s_cmp_eq_f32 s46, 0
	s_cbranch_scc1 .LBB201_52
; %bb.51:                               ;   in Loop: Header=BB201_4 Depth=1
	v_lshl_add_u64 v[26:27], v[4:5], 2, v[24:25]
	flat_load_b32 v26, v[26:27]
	s_wait_loadcnt_dscnt 0x0
	v_fmac_f32_e32 v0, s46, v26
.LBB201_52:                             ;   in Loop: Header=BB201_4 Depth=1
	s_or_b32 s9, s47, exec_lo
.LBB201_53:                             ;   in Loop: Header=BB201_4 Depth=1
	s_wait_xcnt 0x0
	s_or_b32 exec_lo, exec_lo, s8
	s_delay_alu instid0(SALU_CYCLE_1) | instskip(SKIP_1) | instid1(SALU_CYCLE_1)
	s_and_not1_b32 s8, s47, exec_lo
	s_and_b32 s9, s9, exec_lo
	s_or_b32 s47, s8, s9
.LBB201_54:                             ;   in Loop: Header=BB201_4 Depth=1
	s_or_b32 exec_lo, exec_lo, s7
	v_mov_b64_e32 v[26:27], v[4:5]
	s_and_saveexec_b32 s7, s47
	s_cbranch_execz .LBB201_2
.LBB201_55:                             ;   in Loop: Header=BB201_4 Depth=1
	s_delay_alu instid0(VALU_DEP_1)
	v_lshl_add_u64 v[24:25], v[26:27], 2, v[24:25]
	flat_store_b32 v[24:25], v0
	s_branch .LBB201_2
.LBB201_56:
	s_sendmsg sendmsg(MSG_DEALLOC_VGPRS)
	s_endpgm
	.section	.rodata,"a",@progbits
	.p2align	6, 0x0
	.amdhsa_kernel _ZL20rocblas_gemvn_kernelILi32ELi16ElPKfS1_KPfEviiT3_lPKT2_lT1_lS7_lS8_lS4_lPT4_lS8_li
		.amdhsa_group_segment_fixed_size 8192
		.amdhsa_private_segment_fixed_size 0
		.amdhsa_kernarg_size 400
		.amdhsa_user_sgpr_count 2
		.amdhsa_user_sgpr_dispatch_ptr 0
		.amdhsa_user_sgpr_queue_ptr 0
		.amdhsa_user_sgpr_kernarg_segment_ptr 1
		.amdhsa_user_sgpr_dispatch_id 0
		.amdhsa_user_sgpr_kernarg_preload_length 0
		.amdhsa_user_sgpr_kernarg_preload_offset 0
		.amdhsa_user_sgpr_private_segment_size 0
		.amdhsa_wavefront_size32 1
		.amdhsa_uses_dynamic_stack 0
		.amdhsa_enable_private_segment 0
		.amdhsa_system_sgpr_workgroup_id_x 1
		.amdhsa_system_sgpr_workgroup_id_y 0
		.amdhsa_system_sgpr_workgroup_id_z 1
		.amdhsa_system_sgpr_workgroup_info 0
		.amdhsa_system_vgpr_workitem_id 1
		.amdhsa_next_free_vgpr 76
		.amdhsa_next_free_sgpr 51
		.amdhsa_named_barrier_count 0
		.amdhsa_reserve_vcc 1
		.amdhsa_float_round_mode_32 0
		.amdhsa_float_round_mode_16_64 0
		.amdhsa_float_denorm_mode_32 3
		.amdhsa_float_denorm_mode_16_64 3
		.amdhsa_fp16_overflow 0
		.amdhsa_memory_ordered 1
		.amdhsa_forward_progress 1
		.amdhsa_inst_pref_size 24
		.amdhsa_round_robin_scheduling 0
		.amdhsa_exception_fp_ieee_invalid_op 0
		.amdhsa_exception_fp_denorm_src 0
		.amdhsa_exception_fp_ieee_div_zero 0
		.amdhsa_exception_fp_ieee_overflow 0
		.amdhsa_exception_fp_ieee_underflow 0
		.amdhsa_exception_fp_ieee_inexact 0
		.amdhsa_exception_int_div_zero 0
	.end_amdhsa_kernel
	.section	.text._ZL20rocblas_gemvn_kernelILi32ELi16ElPKfS1_KPfEviiT3_lPKT2_lT1_lS7_lS8_lS4_lPT4_lS8_li,"axG",@progbits,_ZL20rocblas_gemvn_kernelILi32ELi16ElPKfS1_KPfEviiT3_lPKT2_lT1_lS7_lS8_lS4_lPT4_lS8_li,comdat
.Lfunc_end201:
	.size	_ZL20rocblas_gemvn_kernelILi32ELi16ElPKfS1_KPfEviiT3_lPKT2_lT1_lS7_lS8_lS4_lPT4_lS8_li, .Lfunc_end201-_ZL20rocblas_gemvn_kernelILi32ELi16ElPKfS1_KPfEviiT3_lPKT2_lT1_lS7_lS8_lS4_lPT4_lS8_li
                                        ; -- End function
	.set _ZL20rocblas_gemvn_kernelILi32ELi16ElPKfS1_KPfEviiT3_lPKT2_lT1_lS7_lS8_lS4_lPT4_lS8_li.num_vgpr, 76
	.set _ZL20rocblas_gemvn_kernelILi32ELi16ElPKfS1_KPfEviiT3_lPKT2_lT1_lS7_lS8_lS4_lPT4_lS8_li.num_agpr, 0
	.set _ZL20rocblas_gemvn_kernelILi32ELi16ElPKfS1_KPfEviiT3_lPKT2_lT1_lS7_lS8_lS4_lPT4_lS8_li.numbered_sgpr, 51
	.set _ZL20rocblas_gemvn_kernelILi32ELi16ElPKfS1_KPfEviiT3_lPKT2_lT1_lS7_lS8_lS4_lPT4_lS8_li.num_named_barrier, 0
	.set _ZL20rocblas_gemvn_kernelILi32ELi16ElPKfS1_KPfEviiT3_lPKT2_lT1_lS7_lS8_lS4_lPT4_lS8_li.private_seg_size, 0
	.set _ZL20rocblas_gemvn_kernelILi32ELi16ElPKfS1_KPfEviiT3_lPKT2_lT1_lS7_lS8_lS4_lPT4_lS8_li.uses_vcc, 1
	.set _ZL20rocblas_gemvn_kernelILi32ELi16ElPKfS1_KPfEviiT3_lPKT2_lT1_lS7_lS8_lS4_lPT4_lS8_li.uses_flat_scratch, 1
	.set _ZL20rocblas_gemvn_kernelILi32ELi16ElPKfS1_KPfEviiT3_lPKT2_lT1_lS7_lS8_lS4_lPT4_lS8_li.has_dyn_sized_stack, 0
	.set _ZL20rocblas_gemvn_kernelILi32ELi16ElPKfS1_KPfEviiT3_lPKT2_lT1_lS7_lS8_lS4_lPT4_lS8_li.has_recursion, 0
	.set _ZL20rocblas_gemvn_kernelILi32ELi16ElPKfS1_KPfEviiT3_lPKT2_lT1_lS7_lS8_lS4_lPT4_lS8_li.has_indirect_call, 0
	.section	.AMDGPU.csdata,"",@progbits
; Kernel info:
; codeLenInByte = 2964
; TotalNumSgprs: 53
; NumVgprs: 76
; ScratchSize: 0
; MemoryBound: 0
; FloatMode: 240
; IeeeMode: 1
; LDSByteSize: 8192 bytes/workgroup (compile time only)
; SGPRBlocks: 0
; VGPRBlocks: 4
; NumSGPRsForWavesPerEU: 53
; NumVGPRsForWavesPerEU: 76
; NamedBarCnt: 0
; Occupancy: 12
; WaveLimiterHint : 1
; COMPUTE_PGM_RSRC2:SCRATCH_EN: 0
; COMPUTE_PGM_RSRC2:USER_SGPR: 2
; COMPUTE_PGM_RSRC2:TRAP_HANDLER: 0
; COMPUTE_PGM_RSRC2:TGID_X_EN: 1
; COMPUTE_PGM_RSRC2:TGID_Y_EN: 0
; COMPUTE_PGM_RSRC2:TGID_Z_EN: 1
; COMPUTE_PGM_RSRC2:TIDIG_COMP_CNT: 1
	.section	.text._ZL20rocblas_gemvn_kernelILi32ELi16EiPKffKPfEviiT3_lPKT2_lT1_lS7_lS8_lS4_lPT4_lS8_li,"axG",@progbits,_ZL20rocblas_gemvn_kernelILi32ELi16EiPKffKPfEviiT3_lPKT2_lT1_lS7_lS8_lS4_lPT4_lS8_li,comdat
	.globl	_ZL20rocblas_gemvn_kernelILi32ELi16EiPKffKPfEviiT3_lPKT2_lT1_lS7_lS8_lS4_lPT4_lS8_li ; -- Begin function _ZL20rocblas_gemvn_kernelILi32ELi16EiPKffKPfEviiT3_lPKT2_lT1_lS7_lS8_lS4_lPT4_lS8_li
	.p2align	8
	.type	_ZL20rocblas_gemvn_kernelILi32ELi16EiPKffKPfEviiT3_lPKT2_lT1_lS7_lS8_lS4_lPT4_lS8_li,@function
_ZL20rocblas_gemvn_kernelILi32ELi16EiPKffKPfEviiT3_lPKT2_lT1_lS7_lS8_lS4_lPT4_lS8_li: ; @_ZL20rocblas_gemvn_kernelILi32ELi16EiPKffKPfEviiT3_lPKT2_lT1_lS7_lS8_lS4_lPT4_lS8_li
; %bb.0:
	s_clause 0x1
	s_load_b64 s[2:3], s[0:1], 0x9c
	s_load_b32 s23, s[0:1], 0x88
	s_bfe_u32 s4, ttmp6, 0x40014
	s_lshr_b32 s5, ttmp7, 16
	s_add_co_i32 s4, s4, 1
	s_bfe_u32 s6, ttmp6, 0x40008
	s_mul_i32 s7, s5, s4
	s_getreg_b32 s4, hwreg(HW_REG_IB_STS2, 6, 4)
	s_add_co_i32 s6, s6, s7
	s_mov_b32 s25, 0
	s_wait_kmcnt 0x0
	s_lshr_b32 s7, s2, 16
	s_and_b32 s2, s2, 0xffff
	s_and_b32 s3, s3, 0xffff
	s_mul_i32 s2, s7, s2
	s_cmp_eq_u32 s4, 0
	s_mul_i32 s2, s2, s3
	s_cselect_b32 s24, s5, s6
	s_cmp_lg_u32 s2, 0x200
	s_cselect_b32 s2, -1, 0
	s_cmp_ge_u32 s24, s23
	s_cselect_b32 s3, -1, 0
	s_delay_alu instid0(SALU_CYCLE_1) | instskip(NEXT) | instid1(SALU_CYCLE_1)
	s_or_b32 s2, s2, s3
	s_and_b32 vcc_lo, exec_lo, s2
	s_cbranch_vccnz .LBB202_58
; %bb.1:
	s_clause 0x7
	s_load_b32 s2, s[0:1], 0x78
	s_load_b96 s[20:22], s[0:1], 0x0
	s_load_b32 s26, s[0:1], 0x58
	s_load_b128 s[8:11], s[0:1], 0x68
	s_load_b32 s27, s[0:1], 0x28
	s_load_b128 s[12:15], s[0:1], 0x38
	;; [unrolled: 2-line block ×3, first 2 shown]
	v_and_b32_e32 v6, 0x3ff, v0
	v_bfe_u32 v7, v0, 10, 10
	s_delay_alu instid0(VALU_DEP_2) | instskip(NEXT) | instid1(VALU_DEP_2)
	v_dual_mov_b32 v1, 0 :: v_dual_lshlrev_b32 v0, 2, v6
	v_lshl_add_u32 v2, v7, 5, v6
	s_delay_alu instid0(VALU_DEP_2)
	v_lshl_add_u32 v37, v7, 9, v0
	v_lshl_add_u32 v38, v7, 7, v0
	s_wait_kmcnt 0x0
	s_ashr_i32 s3, s2, 31
	s_cmp_eq_f32 s22, 0
	v_cmp_gt_u32_e64 s0, 0x80, v2
	s_mov_b32 s6, s20
	s_cselect_b32 s29, -1, 0
	s_cmp_neq_f32 s26, 1.0
	s_cselect_b32 s1, -1, 0
	s_cmp_neq_f32 s22, 0
	s_cselect_b32 s5, -1, 0
	s_bfe_u32 s7, ttmp6, 0x4000c
	s_and_b32 s31, ttmp6, 15
	s_add_co_i32 s7, s7, 1
	s_or_b32 s30, s5, s1
	s_mul_i32 s7, ttmp9, s7
	v_cndmask_b32_e64 v39, 0, 1, s5
	s_add_co_i32 s31, s31, s7
	s_cmp_eq_u32 s4, 0
	s_cselect_b32 s1, ttmp9, s31
	s_ashr_i32 s7, s20, 31
	s_lshl_b32 s31, s1, 7
	s_delay_alu instid0(SALU_CYCLE_1) | instskip(SKIP_3) | instid1(VALU_DEP_3)
	v_dual_lshlrev_b32 v36, 2, v7 :: v_dual_add_nc_u32 v0, s31, v2
	v_add_nc_u32_e32 v40, s31, v6
	v_or_b32_e32 v5, s31, v2
	s_cmp_neq_f32 s26, 0
	v_or_b32_e32 v8, 2, v36
	v_mul_u64_e32 v[2:3], s[2:3], v[0:1]
	v_add_nc_u32_e32 v10, 64, v40
	v_add_nc_u32_e32 v11, 0x60, v40
	v_mul_lo_u32 v9, s27, v36
	v_cmp_gt_i64_e32 vcc_lo, s[6:7], v[0:1]
	v_add_nc_u32_e32 v0, 32, v40
	v_mul_lo_u32 v4, s2, v5
	v_cmp_gt_i32_e64 s4, s20, v10
	v_cmp_gt_i32_e64 s5, s20, v11
	v_mul_lo_u32 v10, v7, s27
	v_or_b32_e32 v11, 3, v36
	v_mul_lo_u32 v7, v7, s28
	s_cselect_b32 s33, -1, 0
	s_ashr_i32 s1, s21, 31
	v_mad_u32 v41, s27, v8, v6
	s_lshr_b32 s3, s1, 26
	v_mad_u32 v42, s27, v11, v6
	s_add_co_i32 s34, s21, s3
	v_mul_lo_u32 v43, s28, v8
	v_mad_u32 v44, s28, v36, s28
	v_mul_lo_u32 v45, s28, v11
	s_and_not1_b32 s34, s34, 63
	v_cmp_gt_i32_e64 s1, s20, v40
	s_sub_co_i32 s6, s21, s34
	v_cmp_gt_i32_e64 s2, s20, v5
	v_cmp_gt_i32_e64 s3, s20, v0
	s_cmp_gt_i32 s6, 0
	v_cmp_gt_i32_e64 s6, s34, v36
	v_ashrrev_i32_e32 v5, 31, v4
	v_add3_u32 v0, v9, s27, v6
	v_lshl_add_u32 v46, v10, 2, v6
	v_lshlrev_b32_e32 v47, 2, v7
	s_cselect_b32 s20, -1, 0
	s_and_b32 s35, s0, vcc_lo
	s_lshl_b32 s36, s27, 6
	s_lshl_b32 s37, s28, 6
	s_lshl_b64 s[18:19], s[18:19], 2
	s_lshl_b64 s[14:15], s[14:15], 2
	s_lshl_b64 s[10:11], s[10:11], 2
	s_branch .LBB202_4
.LBB202_2:                              ;   in Loop: Header=BB202_4 Depth=1
	s_wait_xcnt 0x0
	s_or_b32 exec_lo, exec_lo, s7
.LBB202_3:                              ;   in Loop: Header=BB202_4 Depth=1
	s_add_co_i32 s24, s24, 0x10000
	s_delay_alu instid0(SALU_CYCLE_1)
	s_cmp_lt_u32 s24, s23
	s_cbranch_scc0 .LBB202_58
.LBB202_4:                              ; =>This Loop Header: Depth=1
                                        ;     Child Loop BB202_26 Depth 2
	s_and_not1_b32 vcc_lo, exec_lo, s30
	s_cbranch_vccnz .LBB202_3
; %bb.5:                                ;   in Loop: Header=BB202_4 Depth=1
	s_and_not1_b32 vcc_lo, exec_lo, s29
	s_cbranch_vccnz .LBB202_7
; %bb.6:                                ;   in Loop: Header=BB202_4 Depth=1
	v_mov_b64_e32 v[10:11], 0
	v_mov_b64_e32 v[8:9], 0
	s_cbranch_execz .LBB202_8
	s_branch .LBB202_9
.LBB202_7:                              ;   in Loop: Header=BB202_4 Depth=1
	v_mov_b64_e32 v[10:11], 0
	v_mov_b64_e32 v[8:9], 0
.LBB202_8:                              ;   in Loop: Header=BB202_4 Depth=1
	s_lshl_b64 s[38:39], s[24:25], 3
	s_delay_alu instid0(SALU_CYCLE_1)
	s_add_nc_u64 s[38:39], s[16:17], s[38:39]
	global_load_b64 v[6:7], v1, s[38:39]
	s_wait_loadcnt 0x0
	v_add_nc_u64_e32 v[8:9], s[18:19], v[6:7]
.LBB202_9:                              ;   in Loop: Header=BB202_4 Depth=1
	v_cmp_ne_u32_e32 vcc_lo, 1, v39
	s_cbranch_vccnz .LBB202_11
; %bb.10:                               ;   in Loop: Header=BB202_4 Depth=1
	s_wait_xcnt 0x0
	s_lshl_b64 s[38:39], s[24:25], 3
	s_delay_alu instid0(SALU_CYCLE_1)
	s_add_nc_u64 s[38:39], s[12:13], s[38:39]
	global_load_b64 v[6:7], v1, s[38:39]
	s_wait_loadcnt 0x0
	v_add_nc_u64_e32 v[10:11], s[14:15], v[6:7]
.LBB202_11:                             ;   in Loop: Header=BB202_4 Depth=1
	s_wait_xcnt 0x0
	s_lshl_b64 s[38:39], s[24:25], 3
	s_and_not1_b32 vcc_lo, exec_lo, s29
	s_add_nc_u64 s[38:39], s[8:9], s[38:39]
	global_load_b64 v[6:7], v1, s[38:39]
	s_wait_loadcnt 0x0
	v_add_nc_u64_e32 v[6:7], s[10:11], v[6:7]
	s_cbranch_vccnz .LBB202_15
; %bb.12:                               ;   in Loop: Header=BB202_4 Depth=1
	s_mov_b32 s7, 0
	s_wait_xcnt 0x0
	s_mov_b32 s38, 0
                                        ; implicit-def: $vgpr12
	s_and_saveexec_b32 s39, s35
	s_cbranch_execz .LBB202_16
; %bb.13:                               ;   in Loop: Header=BB202_4 Depth=1
	s_and_not1_b32 vcc_lo, exec_lo, s33
	s_cbranch_vccnz .LBB202_18
; %bb.14:                               ;   in Loop: Header=BB202_4 Depth=1
	v_lshl_add_u64 v[12:13], v[2:3], 2, v[6:7]
	flat_load_b32 v12, v[12:13]
	s_wait_loadcnt_dscnt 0x0
	s_wait_xcnt 0x0
	v_mul_f32_e32 v12, s26, v12
	s_branch .LBB202_19
.LBB202_15:                             ;   in Loop: Header=BB202_4 Depth=1
	s_wait_xcnt 0x0
	s_mov_b32 s38, 0
                                        ; implicit-def: $vgpr12
	s_cbranch_execz .LBB202_17
	s_branch .LBB202_20
.LBB202_16:                             ;   in Loop: Header=BB202_4 Depth=1
	s_or_b32 exec_lo, exec_lo, s39
	s_delay_alu instid0(SALU_CYCLE_1)
	s_and_b32 vcc_lo, exec_lo, s7
	s_cbranch_vccnz .LBB202_20
.LBB202_17:                             ;   in Loop: Header=BB202_4 Depth=1
	v_mov_b64_e32 v[8:9], v[2:3]
	s_and_saveexec_b32 s7, s38
	s_cbranch_execz .LBB202_2
	s_branch .LBB202_57
.LBB202_18:                             ;   in Loop: Header=BB202_4 Depth=1
	v_mov_b32_e32 v12, 0
.LBB202_19:                             ;   in Loop: Header=BB202_4 Depth=1
	s_mov_b32 s38, exec_lo
	s_or_b32 exec_lo, exec_lo, s39
	s_delay_alu instid0(SALU_CYCLE_1)
	s_and_b32 vcc_lo, exec_lo, s7
	s_cbranch_vccz .LBB202_17
.LBB202_20:                             ;   in Loop: Header=BB202_4 Depth=1
	v_dual_mov_b32 v48, 0 :: v_dual_mov_b32 v52, v36
	v_dual_mov_b32 v49, 0 :: v_dual_mov_b32 v50, 0
	v_mov_b32_e32 v51, 0
	s_and_saveexec_b32 s7, s6
	s_cbranch_execz .LBB202_32
; %bb.21:                               ;   in Loop: Header=BB202_4 Depth=1
	v_dual_mov_b32 v48, 0 :: v_dual_mov_b32 v53, v46
	v_dual_mov_b32 v54, v42 :: v_dual_mov_b32 v55, v41
	;; [unrolled: 1-line block ×4, first 2 shown]
	v_mov_b32_e32 v51, 0
	s_mov_b32 s39, 0
	s_mov_b32 s40, 0
	s_branch .LBB202_26
.LBB202_22:                             ;   in Loop: Header=BB202_26 Depth=2
	s_wait_xcnt 0x0
	s_or_b32 exec_lo, exec_lo, s44
	s_wait_loadcnt_dscnt 0x202
	v_pk_mul_f32 v[26:27], v[16:17], v[26:27]
	s_wait_loadcnt_dscnt 0x0
	v_pk_mul_f32 v[24:25], v[12:13], v[24:25]
	s_delay_alu instid0(VALU_DEP_2) | instskip(NEXT) | instid1(VALU_DEP_1)
	v_add_f32_e32 v26, v50, v26
	v_add_f32_e32 v26, v26, v27
	s_delay_alu instid0(VALU_DEP_1) | instskip(NEXT) | instid1(VALU_DEP_1)
	v_add_f32_e32 v24, v26, v24
	v_add_f32_e32 v50, v24, v25
.LBB202_23:                             ;   in Loop: Header=BB202_26 Depth=2
	s_or_b32 exec_lo, exec_lo, s43
	s_wait_loadcnt_dscnt 0x202
	v_pk_mul_f32 v[22:23], v[16:17], v[22:23]
	s_wait_loadcnt_dscnt 0x0
	v_pk_mul_f32 v[20:21], v[12:13], v[20:21]
	s_delay_alu instid0(VALU_DEP_2) | instskip(NEXT) | instid1(VALU_DEP_1)
	v_add_f32_e32 v22, v49, v22
	v_add_f32_e32 v22, v22, v23
	s_delay_alu instid0(VALU_DEP_1) | instskip(NEXT) | instid1(VALU_DEP_1)
	v_add_f32_e32 v20, v22, v20
	v_add_f32_e32 v49, v20, v21
.LBB202_24:                             ;   in Loop: Header=BB202_26 Depth=2
	s_or_b32 exec_lo, exec_lo, s42
	s_wait_loadcnt_dscnt 0x202
	v_pk_mul_f32 v[16:17], v[16:17], v[18:19]
	s_wait_loadcnt_dscnt 0x0
	v_pk_mul_f32 v[12:13], v[12:13], v[14:15]
	s_delay_alu instid0(VALU_DEP_2) | instskip(NEXT) | instid1(VALU_DEP_1)
	v_add_f32_e32 v16, v48, v16
	v_add_f32_e32 v16, v16, v17
	s_delay_alu instid0(VALU_DEP_1) | instskip(NEXT) | instid1(VALU_DEP_1)
	v_add_f32_e32 v12, v16, v12
	v_add_f32_e32 v48, v12, v13
.LBB202_25:                             ;   in Loop: Header=BB202_26 Depth=2
	s_or_b32 exec_lo, exec_lo, s41
	v_dual_add_nc_u32 v52, 64, v52 :: v_dual_add_nc_u32 v55, s36, v55
	v_dual_add_nc_u32 v56, s36, v56 :: v_dual_add_nc_u32 v54, s36, v54
	v_add_nc_u32_e32 v53, s36, v53
	s_delay_alu instid0(VALU_DEP_3) | instskip(SKIP_2) | instid1(SALU_CYCLE_1)
	v_cmp_le_i32_e32 vcc_lo, s34, v52
	s_add_co_i32 s40, s40, s37
	s_or_b32 s39, vcc_lo, s39
	s_and_not1_b32 exec_lo, exec_lo, s39
	s_cbranch_execz .LBB202_31
.LBB202_26:                             ;   Parent Loop BB202_4 Depth=1
                                        ; =>  This Inner Loop Header: Depth=2
	s_and_saveexec_b32 s41, s1
	s_cbranch_execz .LBB202_25
; %bb.27:                               ;   in Loop: Header=BB202_26 Depth=2
	v_dual_add_nc_u32 v21, s40, v45 :: v_dual_add_nc_u32 v23, s40, v43
	v_readfirstlane_b32 s42, v10
	v_readfirstlane_b32 s43, v11
	v_dual_add_nc_u32 v25, s40, v44 :: v_dual_add_nc_u32 v27, s40, v47
	v_dual_add_nc_u32 v20, s31, v53 :: v_dual_add_nc_u32 v22, s31, v56
	v_readfirstlane_b32 s44, v8
	v_readfirstlane_b32 s45, v9
	v_dual_add_nc_u32 v26, s31, v55 :: v_dual_add_nc_u32 v24, s31, v54
	s_clause 0x3
	flat_load_b32 v13, v21, s[42:43] scale_offset
	flat_load_b32 v12, v23, s[42:43] scale_offset
	;; [unrolled: 1-line block ×4, first 2 shown]
	s_clause 0x3
	flat_load_b32 v18, v20, s[44:45] scale_offset
	flat_load_b32 v19, v22, s[44:45] scale_offset
	;; [unrolled: 1-line block ×4, first 2 shown]
	s_wait_xcnt 0x0
	s_and_saveexec_b32 s42, s3
	s_cbranch_execz .LBB202_24
; %bb.28:                               ;   in Loop: Header=BB202_26 Depth=2
	v_dual_ashrrev_i32 v21, 31, v20 :: v_dual_ashrrev_i32 v23, 31, v22
	v_dual_ashrrev_i32 v27, 31, v26 :: v_dual_ashrrev_i32 v25, 31, v24
	s_delay_alu instid0(VALU_DEP_2) | instskip(NEXT) | instid1(VALU_DEP_3)
	v_lshl_add_u64 v[28:29], v[20:21], 2, v[8:9]
	v_lshl_add_u64 v[30:31], v[22:23], 2, v[8:9]
	s_delay_alu instid0(VALU_DEP_3) | instskip(NEXT) | instid1(VALU_DEP_4)
	v_lshl_add_u64 v[32:33], v[26:27], 2, v[8:9]
	v_lshl_add_u64 v[34:35], v[24:25], 2, v[8:9]
	s_clause 0x3
	flat_load_b32 v22, v[28:29] offset:128
	flat_load_b32 v23, v[30:31] offset:128
	;; [unrolled: 1-line block ×4, first 2 shown]
	s_wait_xcnt 0x0
	s_and_saveexec_b32 s43, s4
	s_cbranch_execz .LBB202_23
; %bb.29:                               ;   in Loop: Header=BB202_26 Depth=2
	s_clause 0x3
	flat_load_b32 v26, v[28:29] offset:256
	flat_load_b32 v27, v[30:31] offset:256
	;; [unrolled: 1-line block ×4, first 2 shown]
	s_wait_xcnt 0x0
	s_and_saveexec_b32 s44, s5
	s_cbranch_execz .LBB202_22
; %bb.30:                               ;   in Loop: Header=BB202_26 Depth=2
	s_clause 0x3
	flat_load_b32 v58, v[28:29] offset:384
	flat_load_b32 v59, v[30:31] offset:384
	flat_load_b32 v60, v[32:33] offset:384
	flat_load_b32 v61, v[34:35] offset:384
	s_wait_loadcnt_dscnt 0x202
	s_wait_xcnt 0x3
	v_pk_mul_f32 v[28:29], v[16:17], v[58:59]
	s_delay_alu instid0(VALU_DEP_1) | instskip(SKIP_1) | instid1(VALU_DEP_1)
	v_add_f32_e32 v28, v51, v28
	s_wait_xcnt 0x2
	v_add_f32_e32 v30, v28, v29
	s_wait_loadcnt_dscnt 0x0
	v_pk_mul_f32 v[28:29], v[12:13], v[60:61]
	s_delay_alu instid0(VALU_DEP_1) | instskip(NEXT) | instid1(VALU_DEP_1)
	v_add_f32_e32 v28, v30, v28
	v_add_f32_e32 v51, v28, v29
	s_branch .LBB202_22
.LBB202_31:                             ;   in Loop: Header=BB202_4 Depth=1
	s_or_b32 exec_lo, exec_lo, s39
.LBB202_32:                             ;   in Loop: Header=BB202_4 Depth=1
	s_delay_alu instid0(SALU_CYCLE_1) | instskip(NEXT) | instid1(SALU_CYCLE_1)
	s_or_b32 exec_lo, exec_lo, s7
	s_and_not1_b32 vcc_lo, exec_lo, s20
	s_cbranch_vccnz .LBB202_50
; %bb.33:                               ;   in Loop: Header=BB202_4 Depth=1
	v_dual_mov_b32 v14, 0 :: v_dual_bitop2_b32 v16, 1, v52 bitop3:0x54
	v_cmp_gt_i32_e32 vcc_lo, s21, v52
	s_delay_alu instid0(VALU_DEP_2)
	v_dual_mov_b32 v15, v14 :: v_dual_mov_b32 v12, v14
	v_mov_b32_e32 v13, v14
	s_and_saveexec_b32 s39, vcc_lo
	s_cbranch_execz .LBB202_41
; %bb.34:                               ;   in Loop: Header=BB202_4 Depth=1
	v_mul_lo_u32 v12, v52, s28
	v_readfirstlane_b32 s40, v10
	v_readfirstlane_b32 s41, v11
	v_dual_mov_b32 v13, 0 :: v_dual_mov_b32 v15, 0
	v_mov_b32_e32 v14, 0
	flat_load_b32 v12, v12, s[40:41] scale_offset
	s_wait_xcnt 0x0
	s_mov_b32 s40, exec_lo
	v_cmpx_gt_i32_e64 s21, v16
	s_cbranch_execz .LBB202_40
; %bb.35:                               ;   in Loop: Header=BB202_4 Depth=1
	v_mul_lo_u32 v13, v16, s28
	v_readfirstlane_b32 s42, v10
	v_readfirstlane_b32 s43, v11
	v_dual_mov_b32 v15, 0 :: v_dual_bitop2_b32 v17, 2, v52 bitop3:0x54
	v_mov_b32_e32 v14, 0
	s_mov_b32 s41, exec_lo
	flat_load_b32 v13, v13, s[42:43] scale_offset
	s_wait_xcnt 0x0
	v_cmpx_gt_i32_e64 s21, v17
	s_cbranch_execz .LBB202_39
; %bb.36:                               ;   in Loop: Header=BB202_4 Depth=1
	v_mul_lo_u32 v14, v17, s28
	v_readfirstlane_b32 s42, v10
	v_readfirstlane_b32 s43, v11
	v_dual_mov_b32 v15, 0 :: v_dual_bitop2_b32 v17, 3, v52 bitop3:0x54
	flat_load_b32 v14, v14, s[42:43] scale_offset
	s_wait_xcnt 0x0
	s_mov_b32 s42, exec_lo
	v_cmpx_gt_i32_e64 s21, v17
	s_cbranch_execz .LBB202_38
; %bb.37:                               ;   in Loop: Header=BB202_4 Depth=1
	v_mul_lo_u32 v15, v17, s28
	v_readfirstlane_b32 s44, v10
	v_readfirstlane_b32 s45, v11
	flat_load_b32 v15, v15, s[44:45] scale_offset
.LBB202_38:                             ;   in Loop: Header=BB202_4 Depth=1
	s_wait_xcnt 0x0
	s_or_b32 exec_lo, exec_lo, s42
.LBB202_39:                             ;   in Loop: Header=BB202_4 Depth=1
	s_delay_alu instid0(SALU_CYCLE_1)
	s_or_b32 exec_lo, exec_lo, s41
.LBB202_40:                             ;   in Loop: Header=BB202_4 Depth=1
	s_delay_alu instid0(SALU_CYCLE_1)
	s_or_b32 exec_lo, exec_lo, s40
.LBB202_41:                             ;   in Loop: Header=BB202_4 Depth=1
	s_delay_alu instid0(SALU_CYCLE_1)
	s_or_b32 exec_lo, exec_lo, s39
	s_and_saveexec_b32 s7, s1
	s_cbranch_execz .LBB202_49
; %bb.42:                               ;   in Loop: Header=BB202_4 Depth=1
	v_mul_lo_u32 v11, v52, s27
	v_mul_lo_u32 v18, v16, s27
	v_or_b32_e32 v10, 2, v52
	v_readfirstlane_b32 s40, v8
	v_readfirstlane_b32 s41, v9
	v_cndmask_b32_e32 v11, 0, v11, vcc_lo
	s_delay_alu instid0(VALU_DEP_4) | instskip(SKIP_2) | instid1(VALU_DEP_1)
	v_mul_lo_u32 v19, v10, s27
	v_cmp_gt_i32_e32 vcc_lo, s21, v16
	v_dual_cndmask_b32 v16, 0, v18, vcc_lo :: v_dual_bitop2_b32 v17, 3, v52 bitop3:0x54
	v_mul_lo_u32 v20, v17, s27
	v_cmp_gt_i32_e32 vcc_lo, s21, v10
	s_delay_alu instid0(VALU_DEP_3) | instskip(SKIP_1) | instid1(VALU_DEP_4)
	v_dual_add_nc_u32 v22, v16, v40 :: v_dual_cndmask_b32 v10, 0, v19, vcc_lo
	v_cmp_gt_i32_e32 vcc_lo, s21, v17
	v_cndmask_b32_e32 v17, 0, v20, vcc_lo
	s_delay_alu instid0(VALU_DEP_3) | instskip(NEXT) | instid1(VALU_DEP_2)
	v_dual_add_nc_u32 v20, v11, v40 :: v_dual_add_nc_u32 v26, v10, v40
	v_add_nc_u32_e32 v18, v17, v40
	s_clause 0x3
	flat_load_b32 v16, v20, s[40:41] scale_offset
	flat_load_b32 v17, v22, s[40:41] scale_offset
	;; [unrolled: 1-line block ×4, first 2 shown]
	s_wait_xcnt 0x0
	s_and_saveexec_b32 s39, s3
	s_cbranch_execz .LBB202_48
; %bb.43:                               ;   in Loop: Header=BB202_4 Depth=1
	v_dual_ashrrev_i32 v21, 31, v20 :: v_dual_ashrrev_i32 v23, 31, v22
	v_ashrrev_i32_e32 v27, 31, v26
	v_ashrrev_i32_e32 v19, 31, v18
	s_delay_alu instid0(VALU_DEP_3) | instskip(NEXT) | instid1(VALU_DEP_4)
	v_lshl_add_u64 v[20:21], v[20:21], 2, v[8:9]
	v_lshl_add_u64 v[24:25], v[22:23], 2, v[8:9]
	s_delay_alu instid0(VALU_DEP_4) | instskip(NEXT) | instid1(VALU_DEP_4)
	v_lshl_add_u64 v[26:27], v[26:27], 2, v[8:9]
	v_lshl_add_u64 v[30:31], v[18:19], 2, v[8:9]
	s_clause 0x3
	flat_load_b32 v18, v[20:21] offset:128
	flat_load_b32 v19, v[24:25] offset:128
	;; [unrolled: 1-line block ×4, first 2 shown]
	s_wait_xcnt 0x0
	s_and_saveexec_b32 s40, s4
	s_cbranch_execz .LBB202_47
; %bb.44:                               ;   in Loop: Header=BB202_4 Depth=1
	s_clause 0x3
	flat_load_b32 v28, v[20:21] offset:256
	flat_load_b32 v29, v[24:25] offset:256
	;; [unrolled: 1-line block ×4, first 2 shown]
	s_wait_xcnt 0x0
	s_and_saveexec_b32 s41, s5
	s_cbranch_execz .LBB202_46
; %bb.45:                               ;   in Loop: Header=BB202_4 Depth=1
	s_clause 0x3
	flat_load_b32 v32, v[20:21] offset:384
	flat_load_b32 v33, v[24:25] offset:384
	flat_load_b32 v34, v[26:27] offset:384
	flat_load_b32 v35, v[30:31] offset:384
	s_wait_loadcnt_dscnt 0x202
	s_wait_xcnt 0x3
	v_pk_mul_f32 v[20:21], v[12:13], v[32:33]
	s_delay_alu instid0(VALU_DEP_1) | instskip(SKIP_1) | instid1(VALU_DEP_1)
	v_add_f32_e32 v20, v51, v20
	s_wait_xcnt 0x2
	v_add_f32_e32 v24, v20, v21
	s_wait_loadcnt_dscnt 0x0
	v_pk_mul_f32 v[20:21], v[14:15], v[34:35]
	s_delay_alu instid0(VALU_DEP_1) | instskip(NEXT) | instid1(VALU_DEP_1)
	v_add_f32_e32 v20, v24, v20
	v_add_f32_e32 v51, v20, v21
.LBB202_46:                             ;   in Loop: Header=BB202_4 Depth=1
	s_wait_xcnt 0x0
	s_or_b32 exec_lo, exec_lo, s41
	s_wait_loadcnt_dscnt 0x202
	v_pk_mul_f32 v[20:21], v[12:13], v[28:29]
	s_delay_alu instid0(VALU_DEP_1) | instskip(NEXT) | instid1(VALU_DEP_1)
	v_add_f32_e32 v20, v50, v20
	v_add_f32_e32 v24, v20, v21
	s_wait_loadcnt_dscnt 0x0
	v_pk_mul_f32 v[20:21], v[14:15], v[22:23]
	s_delay_alu instid0(VALU_DEP_1) | instskip(NEXT) | instid1(VALU_DEP_1)
	v_add_f32_e32 v20, v24, v20
	v_add_f32_e32 v50, v20, v21
.LBB202_47:                             ;   in Loop: Header=BB202_4 Depth=1
	s_or_b32 exec_lo, exec_lo, s40
	s_wait_loadcnt_dscnt 0x202
	v_pk_mul_f32 v[18:19], v[12:13], v[18:19]
	s_wait_loadcnt_dscnt 0x0
	v_pk_mul_f32 v[8:9], v[14:15], v[8:9]
	s_delay_alu instid0(VALU_DEP_2) | instskip(NEXT) | instid1(VALU_DEP_1)
	v_add_f32_e32 v18, v49, v18
	v_add_f32_e32 v18, v18, v19
	s_delay_alu instid0(VALU_DEP_1) | instskip(NEXT) | instid1(VALU_DEP_1)
	v_add_f32_e32 v8, v18, v8
	v_add_f32_e32 v49, v8, v9
.LBB202_48:                             ;   in Loop: Header=BB202_4 Depth=1
	s_or_b32 exec_lo, exec_lo, s39
	s_wait_loadcnt_dscnt 0x202
	v_pk_mul_f32 v[8:9], v[12:13], v[16:17]
	s_delay_alu instid0(VALU_DEP_1) | instskip(NEXT) | instid1(VALU_DEP_1)
	v_add_f32_e32 v8, v48, v8
	v_add_f32_e32 v12, v8, v9
	s_wait_loadcnt_dscnt 0x0
	v_pk_mul_f32 v[8:9], v[14:15], v[10:11]
	s_delay_alu instid0(VALU_DEP_1) | instskip(NEXT) | instid1(VALU_DEP_1)
	v_add_f32_e32 v8, v12, v8
	v_add_f32_e32 v48, v8, v9
.LBB202_49:                             ;   in Loop: Header=BB202_4 Depth=1
	s_or_b32 exec_lo, exec_lo, s7
.LBB202_50:                             ;   in Loop: Header=BB202_4 Depth=1
	ds_store_2addr_b32 v37, v48, v49 offset1:32
	ds_store_2addr_b32 v37, v50, v51 offset0:64 offset1:96
	s_wait_loadcnt_dscnt 0x0
	s_barrier_signal -1
	s_barrier_wait -1
                                        ; implicit-def: $vgpr12
	s_and_saveexec_b32 s7, s0
	s_cbranch_execz .LBB202_56
; %bb.51:                               ;   in Loop: Header=BB202_4 Depth=1
	ds_load_2addr_stride64_b32 v[8:9], v38 offset1:2
	ds_load_2addr_stride64_b32 v[10:11], v38 offset0:4 offset1:6
	ds_load_2addr_stride64_b32 v[12:13], v38 offset0:8 offset1:10
	s_mov_b32 s40, s38
	s_wait_dscnt 0x2
	v_add_f32_e32 v14, v8, v9
	ds_load_2addr_stride64_b32 v[8:9], v38 offset0:12 offset1:14
	s_wait_dscnt 0x2
	v_add_f32_e32 v10, v10, v14
	s_delay_alu instid0(VALU_DEP_1) | instskip(SKIP_3) | instid1(VALU_DEP_1)
	v_add_f32_e32 v14, v11, v10
	ds_load_2addr_stride64_b32 v[10:11], v38 offset0:16 offset1:18
	s_wait_dscnt 0x2
	v_add_f32_e32 v12, v12, v14
	v_add_f32_e32 v14, v13, v12
	ds_load_2addr_stride64_b32 v[12:13], v38 offset0:20 offset1:22
	s_wait_dscnt 0x2
	v_add_f32_e32 v8, v8, v14
	s_delay_alu instid0(VALU_DEP_1) | instskip(SKIP_1) | instid1(VALU_DEP_1)
	v_add_f32_e32 v8, v9, v8
	s_wait_dscnt 0x1
	v_add_f32_e32 v10, v10, v8
	ds_load_2addr_stride64_b32 v[8:9], v38 offset0:24 offset1:26
	v_add_f32_e32 v10, v11, v10
	s_wait_dscnt 0x1
	s_delay_alu instid0(VALU_DEP_1) | instskip(SKIP_3) | instid1(VALU_DEP_1)
	v_add_f32_e32 v12, v12, v10
	ds_load_2addr_stride64_b32 v[10:11], v38 offset0:28 offset1:30
	v_add_f32_e32 v12, v13, v12
	s_wait_dscnt 0x1
	v_add_f32_e32 v8, v8, v12
                                        ; implicit-def: $vgpr12
	s_delay_alu instid0(VALU_DEP_1) | instskip(SKIP_1) | instid1(VALU_DEP_1)
	v_add_f32_e32 v8, v9, v8
	s_wait_dscnt 0x0
	v_add_f32_e32 v8, v10, v8
	s_delay_alu instid0(VALU_DEP_1)
	v_add_f32_e32 v8, v11, v8
	ds_store_b32 v38, v8
	s_and_saveexec_b32 s39, s2
	s_cbranch_execz .LBB202_55
; %bb.52:                               ;   in Loop: Header=BB202_4 Depth=1
	v_mul_f32_e32 v12, s22, v8
	s_and_not1_b32 vcc_lo, exec_lo, s33
	s_cbranch_vccnz .LBB202_54
; %bb.53:                               ;   in Loop: Header=BB202_4 Depth=1
	v_lshl_add_u64 v[8:9], v[4:5], 2, v[6:7]
	flat_load_b32 v8, v[8:9]
	s_wait_loadcnt_dscnt 0x0
	v_fmac_f32_e32 v12, s26, v8
.LBB202_54:                             ;   in Loop: Header=BB202_4 Depth=1
	s_or_b32 s40, s38, exec_lo
.LBB202_55:                             ;   in Loop: Header=BB202_4 Depth=1
	s_wait_xcnt 0x0
	s_or_b32 exec_lo, exec_lo, s39
	s_delay_alu instid0(SALU_CYCLE_1) | instskip(SKIP_1) | instid1(SALU_CYCLE_1)
	s_and_not1_b32 s38, s38, exec_lo
	s_and_b32 s39, s40, exec_lo
	s_or_b32 s38, s38, s39
.LBB202_56:                             ;   in Loop: Header=BB202_4 Depth=1
	s_or_b32 exec_lo, exec_lo, s7
	v_mov_b64_e32 v[8:9], v[4:5]
	s_and_saveexec_b32 s7, s38
	s_cbranch_execz .LBB202_2
.LBB202_57:                             ;   in Loop: Header=BB202_4 Depth=1
	s_delay_alu instid0(VALU_DEP_1)
	v_lshl_add_u64 v[6:7], v[8:9], 2, v[6:7]
	flat_store_b32 v[6:7], v12
	s_branch .LBB202_2
.LBB202_58:
	s_endpgm
	.section	.rodata,"a",@progbits
	.p2align	6, 0x0
	.amdhsa_kernel _ZL20rocblas_gemvn_kernelILi32ELi16EiPKffKPfEviiT3_lPKT2_lT1_lS7_lS8_lS4_lPT4_lS8_li
		.amdhsa_group_segment_fixed_size 8192
		.amdhsa_private_segment_fixed_size 0
		.amdhsa_kernarg_size 400
		.amdhsa_user_sgpr_count 2
		.amdhsa_user_sgpr_dispatch_ptr 0
		.amdhsa_user_sgpr_queue_ptr 0
		.amdhsa_user_sgpr_kernarg_segment_ptr 1
		.amdhsa_user_sgpr_dispatch_id 0
		.amdhsa_user_sgpr_kernarg_preload_length 0
		.amdhsa_user_sgpr_kernarg_preload_offset 0
		.amdhsa_user_sgpr_private_segment_size 0
		.amdhsa_wavefront_size32 1
		.amdhsa_uses_dynamic_stack 0
		.amdhsa_enable_private_segment 0
		.amdhsa_system_sgpr_workgroup_id_x 1
		.amdhsa_system_sgpr_workgroup_id_y 0
		.amdhsa_system_sgpr_workgroup_id_z 1
		.amdhsa_system_sgpr_workgroup_info 0
		.amdhsa_system_vgpr_workitem_id 1
		.amdhsa_next_free_vgpr 62
		.amdhsa_next_free_sgpr 46
		.amdhsa_named_barrier_count 0
		.amdhsa_reserve_vcc 1
		.amdhsa_float_round_mode_32 0
		.amdhsa_float_round_mode_16_64 0
		.amdhsa_float_denorm_mode_32 3
		.amdhsa_float_denorm_mode_16_64 3
		.amdhsa_fp16_overflow 0
		.amdhsa_memory_ordered 1
		.amdhsa_forward_progress 1
		.amdhsa_inst_pref_size 24
		.amdhsa_round_robin_scheduling 0
		.amdhsa_exception_fp_ieee_invalid_op 0
		.amdhsa_exception_fp_denorm_src 0
		.amdhsa_exception_fp_ieee_div_zero 0
		.amdhsa_exception_fp_ieee_overflow 0
		.amdhsa_exception_fp_ieee_underflow 0
		.amdhsa_exception_fp_ieee_inexact 0
		.amdhsa_exception_int_div_zero 0
	.end_amdhsa_kernel
	.section	.text._ZL20rocblas_gemvn_kernelILi32ELi16EiPKffKPfEviiT3_lPKT2_lT1_lS7_lS8_lS4_lPT4_lS8_li,"axG",@progbits,_ZL20rocblas_gemvn_kernelILi32ELi16EiPKffKPfEviiT3_lPKT2_lT1_lS7_lS8_lS4_lPT4_lS8_li,comdat
.Lfunc_end202:
	.size	_ZL20rocblas_gemvn_kernelILi32ELi16EiPKffKPfEviiT3_lPKT2_lT1_lS7_lS8_lS4_lPT4_lS8_li, .Lfunc_end202-_ZL20rocblas_gemvn_kernelILi32ELi16EiPKffKPfEviiT3_lPKT2_lT1_lS7_lS8_lS4_lPT4_lS8_li
                                        ; -- End function
	.set _ZL20rocblas_gemvn_kernelILi32ELi16EiPKffKPfEviiT3_lPKT2_lT1_lS7_lS8_lS4_lPT4_lS8_li.num_vgpr, 62
	.set _ZL20rocblas_gemvn_kernelILi32ELi16EiPKffKPfEviiT3_lPKT2_lT1_lS7_lS8_lS4_lPT4_lS8_li.num_agpr, 0
	.set _ZL20rocblas_gemvn_kernelILi32ELi16EiPKffKPfEviiT3_lPKT2_lT1_lS7_lS8_lS4_lPT4_lS8_li.numbered_sgpr, 46
	.set _ZL20rocblas_gemvn_kernelILi32ELi16EiPKffKPfEviiT3_lPKT2_lT1_lS7_lS8_lS4_lPT4_lS8_li.num_named_barrier, 0
	.set _ZL20rocblas_gemvn_kernelILi32ELi16EiPKffKPfEviiT3_lPKT2_lT1_lS7_lS8_lS4_lPT4_lS8_li.private_seg_size, 0
	.set _ZL20rocblas_gemvn_kernelILi32ELi16EiPKffKPfEviiT3_lPKT2_lT1_lS7_lS8_lS4_lPT4_lS8_li.uses_vcc, 1
	.set _ZL20rocblas_gemvn_kernelILi32ELi16EiPKffKPfEviiT3_lPKT2_lT1_lS7_lS8_lS4_lPT4_lS8_li.uses_flat_scratch, 1
	.set _ZL20rocblas_gemvn_kernelILi32ELi16EiPKffKPfEviiT3_lPKT2_lT1_lS7_lS8_lS4_lPT4_lS8_li.has_dyn_sized_stack, 0
	.set _ZL20rocblas_gemvn_kernelILi32ELi16EiPKffKPfEviiT3_lPKT2_lT1_lS7_lS8_lS4_lPT4_lS8_li.has_recursion, 0
	.set _ZL20rocblas_gemvn_kernelILi32ELi16EiPKffKPfEviiT3_lPKT2_lT1_lS7_lS8_lS4_lPT4_lS8_li.has_indirect_call, 0
	.section	.AMDGPU.csdata,"",@progbits
; Kernel info:
; codeLenInByte = 3040
; TotalNumSgprs: 48
; NumVgprs: 62
; ScratchSize: 0
; MemoryBound: 0
; FloatMode: 240
; IeeeMode: 1
; LDSByteSize: 8192 bytes/workgroup (compile time only)
; SGPRBlocks: 0
; VGPRBlocks: 3
; NumSGPRsForWavesPerEU: 48
; NumVGPRsForWavesPerEU: 62
; NamedBarCnt: 0
; Occupancy: 16
; WaveLimiterHint : 1
; COMPUTE_PGM_RSRC2:SCRATCH_EN: 0
; COMPUTE_PGM_RSRC2:USER_SGPR: 2
; COMPUTE_PGM_RSRC2:TRAP_HANDLER: 0
; COMPUTE_PGM_RSRC2:TGID_X_EN: 1
; COMPUTE_PGM_RSRC2:TGID_Y_EN: 0
; COMPUTE_PGM_RSRC2:TGID_Z_EN: 1
; COMPUTE_PGM_RSRC2:TIDIG_COMP_CNT: 1
	.section	.text._ZL20rocblas_gemvn_kernelILi32ELi16ElPKffKPfEviiT3_lPKT2_lT1_lS7_lS8_lS4_lPT4_lS8_li,"axG",@progbits,_ZL20rocblas_gemvn_kernelILi32ELi16ElPKffKPfEviiT3_lPKT2_lT1_lS7_lS8_lS4_lPT4_lS8_li,comdat
	.globl	_ZL20rocblas_gemvn_kernelILi32ELi16ElPKffKPfEviiT3_lPKT2_lT1_lS7_lS8_lS4_lPT4_lS8_li ; -- Begin function _ZL20rocblas_gemvn_kernelILi32ELi16ElPKffKPfEviiT3_lPKT2_lT1_lS7_lS8_lS4_lPT4_lS8_li
	.p2align	8
	.type	_ZL20rocblas_gemvn_kernelILi32ELi16ElPKffKPfEviiT3_lPKT2_lT1_lS7_lS8_lS4_lPT4_lS8_li,@function
_ZL20rocblas_gemvn_kernelILi32ELi16ElPKffKPfEviiT3_lPKT2_lT1_lS7_lS8_lS4_lPT4_lS8_li: ; @_ZL20rocblas_gemvn_kernelILi32ELi16ElPKffKPfEviiT3_lPKT2_lT1_lS7_lS8_lS4_lPT4_lS8_li
; %bb.0:
	s_clause 0x1
	s_load_b64 s[2:3], s[0:1], 0x9c
	s_load_b32 s27, s[0:1], 0x88
	s_bfe_u32 s4, ttmp6, 0x40014
	s_lshr_b32 s5, ttmp7, 16
	s_add_co_i32 s4, s4, 1
	s_bfe_u32 s6, ttmp6, 0x40008
	s_mul_i32 s7, s5, s4
	s_getreg_b32 s4, hwreg(HW_REG_IB_STS2, 6, 4)
	s_add_co_i32 s6, s6, s7
	s_mov_b32 s11, 0
	s_wait_kmcnt 0x0
	s_lshr_b32 s7, s2, 16
	s_and_b32 s2, s2, 0xffff
	s_and_b32 s3, s3, 0xffff
	s_mul_i32 s2, s7, s2
	s_cmp_eq_u32 s4, 0
	s_mul_i32 s2, s2, s3
	s_cselect_b32 s10, s5, s6
	s_cmp_lg_u32 s2, 0x200
	s_cselect_b32 s2, -1, 0
	s_cmp_ge_u32 s10, s27
	s_cselect_b32 s3, -1, 0
	s_delay_alu instid0(SALU_CYCLE_1) | instskip(NEXT) | instid1(SALU_CYCLE_1)
	s_or_b32 s2, s2, s3
	s_and_b32 vcc_lo, exec_lo, s2
	s_cbranch_vccnz .LBB203_58
; %bb.1:
	s_clause 0x7
	s_load_b96 s[24:26], s[0:1], 0x0
	s_load_b32 s33, s[0:1], 0x58
	s_load_b64 s[28:29], s[0:1], 0x48
	s_load_b128 s[12:15], s[0:1], 0x18
	s_load_b64 s[30:31], s[0:1], 0x28
	s_load_b128 s[16:19], s[0:1], 0x38
	;; [unrolled: 2-line block ×3, first 2 shown]
	v_bfe_u32 v4, v0, 10, 10
	v_and_b32_e32 v15, 0x3ff, v0
	s_delay_alu instid0(VALU_DEP_2) | instskip(NEXT) | instid1(VALU_DEP_2)
	v_dual_mov_b32 v1, 0 :: v_dual_lshlrev_b32 v64, 2, v4
	v_lshl_add_u32 v14, v4, 5, v15
	s_delay_alu instid0(VALU_DEP_2) | instskip(NEXT) | instid1(VALU_DEP_1)
	v_dual_mov_b32 v5, v1 :: v_dual_lshlrev_b32 v20, 2, v15
	v_lshl_add_u32 v66, v4, 9, v20
	s_wait_kmcnt 0x0
	s_cmp_eq_f32 s26, 0
	v_lshl_add_u32 v67, v4, 7, v20
	v_mad_nc_u64_u32 v[6:7], s28, v64, s[28:29]
	v_mul_u64_e32 v[10:11], s[28:29], v[4:5]
	s_cselect_b32 s38, -1, 0
	s_cmp_neq_f32 s33, 1.0
	v_mad_nc_u64_u32 v[8:9], s30, v64, s[30:31]
	v_mul_u64_e32 v[12:13], s[30:31], v[4:5]
	s_cselect_b32 s0, -1, 0
	s_cmp_neq_f32 s26, 0
	s_delay_alu instid0(VALU_DEP_4)
	v_mad_u32 v7, s29, v64, v7
	s_cselect_b32 s1, -1, 0
	s_bfe_u32 s5, ttmp6, 0x4000c
	s_and_b32 s6, ttmp6, 15
	s_add_co_i32 s5, s5, 1
	s_or_b32 s39, s1, s0
	s_mul_i32 s5, ttmp9, s5
	v_cndmask_b32_e64 v65, 0, 1, s1
	s_add_co_i32 s6, s6, s5
	s_cmp_eq_u32 s4, 0
	s_mov_b32 s0, s24
	s_cselect_b32 s1, ttmp9, s6
	v_mad_u32 v9, s31, v64, v9
	s_lshl_b32 s4, s1, 7
	s_ashr_i32 s1, s24, 31
	v_add_nc_u32_e32 v0, s4, v14
	v_lshlrev_b64_e32 v[4:5], 2, v[6:7]
	v_add_nc_u32_e32 v24, s4, v15
	s_cmp_neq_f32 s33, 0
	s_delay_alu instid0(VALU_DEP_3)
	v_cmp_gt_i64_e32 vcc_lo, s[0:1], v[0:1]
	v_cmp_gt_u32_e64 s0, 0x80, v14
	v_or_b32_e32 v14, s4, v14
	v_mul_u64_e32 v[2:3], s[2:3], v[0:1]
	v_or_b32_e32 v0, 3, v64
	v_lshlrev_b64_e32 v[6:7], 2, v[8:9]
	s_cselect_b32 s40, -1, 0
	v_ashrrev_i32_e32 v15, 31, v14
	s_ashr_i32 s1, s25, 31
	v_mul_u64_e32 v[16:17], s[30:31], v[0:1]
	v_mul_u64_e32 v[18:19], s[28:29], v[0:1]
	v_or_b32_e32 v0, 2, v64
	v_mul_u64_e32 v[8:9], s[2:3], v[14:15]
	s_lshr_b32 s4, s1, 26
	v_dual_ashrrev_i32 v25, 31, v24 :: v_dual_add_nc_u32 v15, 64, v24
	s_delay_alu instid0(VALU_DEP_3)
	v_mul_u64_e32 v[20:21], s[30:31], v[0:1]
	v_mul_u64_e32 v[22:23], s[28:29], v[0:1]
	s_add_co_i32 s41, s25, s4
	v_add_nc_u32_e32 v0, 32, v24
	v_add_nc_u32_e32 v26, 0x60, v24
	s_and_not1_b32 s41, s41, 63
	v_cmp_gt_i32_e64 s2, s24, v14
	v_lshlrev_b64_e32 v[10:11], 4, v[10:11]
	v_lshlrev_b64_e32 v[12:13], 4, v[12:13]
	v_cmp_gt_i32_e64 s4, s24, v15
	s_sub_co_i32 s6, s25, s41
	v_lshlrev_b64_e32 v[14:15], 2, v[24:25]
	v_cmp_gt_i32_e64 s1, s24, v24
	v_cmp_gt_i32_e64 s3, s24, v0
	;; [unrolled: 1-line block ×3, first 2 shown]
	s_cmp_gt_i32 s6, 0
	v_cmp_gt_i32_e64 s6, s41, v64
	s_cselect_b32 s24, -1, 0
	s_and_b32 s42, s0, vcc_lo
	s_lshl_b64 s[34:35], s[28:29], 8
	s_lshl_b64 s[36:37], s[30:31], 8
	;; [unrolled: 1-line block ×5, first 2 shown]
	v_lshlrev_b64_e32 v[16:17], 2, v[16:17]
	v_lshlrev_b64_e32 v[18:19], 2, v[18:19]
	;; [unrolled: 1-line block ×4, first 2 shown]
	s_branch .LBB203_4
.LBB203_2:                              ;   in Loop: Header=BB203_4 Depth=1
	s_wait_xcnt 0x0
	s_or_b32 exec_lo, exec_lo, s7
.LBB203_3:                              ;   in Loop: Header=BB203_4 Depth=1
	s_add_co_i32 s10, s10, 0x10000
	s_delay_alu instid0(SALU_CYCLE_1)
	s_cmp_lt_u32 s10, s27
	s_cbranch_scc0 .LBB203_58
.LBB203_4:                              ; =>This Loop Header: Depth=1
                                        ;     Child Loop BB203_26 Depth 2
	s_and_not1_b32 vcc_lo, exec_lo, s39
	s_cbranch_vccnz .LBB203_3
; %bb.5:                                ;   in Loop: Header=BB203_4 Depth=1
	s_and_not1_b32 vcc_lo, exec_lo, s38
	s_cbranch_vccnz .LBB203_7
; %bb.6:                                ;   in Loop: Header=BB203_4 Depth=1
	v_mov_b64_e32 v[28:29], 0
	v_mov_b64_e32 v[26:27], 0
	s_cbranch_execz .LBB203_8
	s_branch .LBB203_9
.LBB203_7:                              ;   in Loop: Header=BB203_4 Depth=1
	v_mov_b64_e32 v[28:29], 0
	v_mov_b64_e32 v[26:27], 0
.LBB203_8:                              ;   in Loop: Header=BB203_4 Depth=1
	s_lshl_b64 s[8:9], s[10:11], 3
	s_delay_alu instid0(SALU_CYCLE_1)
	s_add_nc_u64 s[8:9], s[12:13], s[8:9]
	global_load_b64 v[24:25], v1, s[8:9]
	s_wait_loadcnt 0x0
	v_add_nc_u64_e32 v[26:27], s[14:15], v[24:25]
.LBB203_9:                              ;   in Loop: Header=BB203_4 Depth=1
	v_cmp_ne_u32_e32 vcc_lo, 1, v65
	s_cbranch_vccnz .LBB203_11
; %bb.10:                               ;   in Loop: Header=BB203_4 Depth=1
	s_wait_xcnt 0x0
	s_lshl_b64 s[8:9], s[10:11], 3
	s_delay_alu instid0(SALU_CYCLE_1)
	s_add_nc_u64 s[8:9], s[16:17], s[8:9]
	global_load_b64 v[24:25], v1, s[8:9]
	s_wait_loadcnt 0x0
	v_add_nc_u64_e32 v[28:29], s[18:19], v[24:25]
.LBB203_11:                             ;   in Loop: Header=BB203_4 Depth=1
	s_wait_xcnt 0x0
	s_lshl_b64 s[8:9], s[10:11], 3
	s_and_not1_b32 vcc_lo, exec_lo, s38
	s_add_nc_u64 s[8:9], s[20:21], s[8:9]
	global_load_b64 v[24:25], v1, s[8:9]
	s_wait_loadcnt 0x0
	v_add_nc_u64_e32 v[24:25], s[22:23], v[24:25]
	s_cbranch_vccnz .LBB203_15
; %bb.12:                               ;   in Loop: Header=BB203_4 Depth=1
	s_mov_b32 s7, 0
	s_mov_b32 s43, 0
                                        ; implicit-def: $vgpr0
	s_wait_xcnt 0x0
	s_and_saveexec_b32 s8, s42
	s_cbranch_execz .LBB203_16
; %bb.13:                               ;   in Loop: Header=BB203_4 Depth=1
	s_and_not1_b32 vcc_lo, exec_lo, s40
	s_cbranch_vccnz .LBB203_18
; %bb.14:                               ;   in Loop: Header=BB203_4 Depth=1
	v_lshl_add_u64 v[30:31], v[2:3], 2, v[24:25]
	flat_load_b32 v0, v[30:31]
	s_wait_loadcnt_dscnt 0x0
	v_mul_f32_e32 v0, s33, v0
	s_branch .LBB203_19
.LBB203_15:                             ;   in Loop: Header=BB203_4 Depth=1
	s_mov_b32 s43, 0
                                        ; implicit-def: $vgpr0
	s_cbranch_execz .LBB203_17
	s_branch .LBB203_20
.LBB203_16:                             ;   in Loop: Header=BB203_4 Depth=1
	s_or_b32 exec_lo, exec_lo, s8
	s_delay_alu instid0(SALU_CYCLE_1)
	s_and_b32 vcc_lo, exec_lo, s7
	s_cbranch_vccnz .LBB203_20
.LBB203_17:                             ;   in Loop: Header=BB203_4 Depth=1
	v_mov_b64_e32 v[26:27], v[2:3]
	s_wait_xcnt 0x0
	s_and_saveexec_b32 s7, s43
	s_cbranch_execz .LBB203_2
	s_branch .LBB203_57
.LBB203_18:                             ;   in Loop: Header=BB203_4 Depth=1
	v_mov_b32_e32 v0, 0
.LBB203_19:                             ;   in Loop: Header=BB203_4 Depth=1
	s_mov_b32 s43, exec_lo
	s_wait_xcnt 0x0
	s_or_b32 exec_lo, exec_lo, s8
	s_delay_alu instid0(SALU_CYCLE_1)
	s_and_b32 vcc_lo, exec_lo, s7
	s_cbranch_vccz .LBB203_17
.LBB203_20:                             ;   in Loop: Header=BB203_4 Depth=1
	v_dual_mov_b32 v68, 0 :: v_dual_mov_b32 v0, v64
	v_dual_mov_b32 v69, 0 :: v_dual_mov_b32 v70, 0
	v_mov_b32_e32 v71, 0
	s_wait_xcnt 0x0
	s_and_saveexec_b32 s7, s6
	s_cbranch_execz .LBB203_32
; %bb.21:                               ;   in Loop: Header=BB203_4 Depth=1
	v_add_nc_u64_e32 v[30:31], v[26:27], v[16:17]
	v_add_nc_u64_e32 v[32:33], v[26:27], v[12:13]
	;; [unrolled: 1-line block ×4, first 2 shown]
	v_mov_b64_e32 v[38:39], v[28:29]
	v_dual_mov_b32 v68, 0 :: v_dual_mov_b32 v0, v64
	v_dual_mov_b32 v69, 0 :: v_dual_mov_b32 v70, 0
	v_mov_b32_e32 v71, 0
	s_mov_b32 s8, 0
	s_branch .LBB203_26
.LBB203_22:                             ;   in Loop: Header=BB203_26 Depth=2
	s_wait_xcnt 0x0
	s_or_b32 exec_lo, exec_lo, s46
	s_wait_loadcnt_dscnt 0x202
	v_pk_mul_f32 v[52:53], v[44:45], v[62:63]
	s_delay_alu instid0(VALU_DEP_1) | instskip(NEXT) | instid1(VALU_DEP_1)
	v_add_f32_e32 v52, v70, v52
	v_add_f32_e32 v54, v52, v53
	s_wait_loadcnt_dscnt 0x0
	v_pk_mul_f32 v[52:53], v[40:41], v[60:61]
	s_delay_alu instid0(VALU_DEP_1) | instskip(NEXT) | instid1(VALU_DEP_1)
	v_add_f32_e32 v52, v54, v52
	v_add_f32_e32 v70, v52, v53
.LBB203_23:                             ;   in Loop: Header=BB203_26 Depth=2
	s_or_b32 exec_lo, exec_lo, s45
	s_wait_loadcnt_dscnt 0x202
	v_pk_mul_f32 v[50:51], v[44:45], v[50:51]
	s_wait_loadcnt_dscnt 0x0
	v_pk_mul_f32 v[48:49], v[40:41], v[48:49]
	s_delay_alu instid0(VALU_DEP_2) | instskip(NEXT) | instid1(VALU_DEP_1)
	v_add_f32_e32 v50, v69, v50
	v_add_f32_e32 v50, v50, v51
	s_delay_alu instid0(VALU_DEP_1) | instskip(NEXT) | instid1(VALU_DEP_1)
	v_add_f32_e32 v48, v50, v48
	v_add_f32_e32 v69, v48, v49
.LBB203_24:                             ;   in Loop: Header=BB203_26 Depth=2
	s_or_b32 exec_lo, exec_lo, s44
	s_wait_loadcnt_dscnt 0x202
	v_pk_mul_f32 v[44:45], v[44:45], v[46:47]
	s_wait_loadcnt_dscnt 0x0
	v_pk_mul_f32 v[40:41], v[40:41], v[42:43]
	s_delay_alu instid0(VALU_DEP_2) | instskip(NEXT) | instid1(VALU_DEP_1)
	v_add_f32_e32 v44, v68, v44
	v_add_f32_e32 v44, v44, v45
	s_delay_alu instid0(VALU_DEP_1) | instskip(NEXT) | instid1(VALU_DEP_1)
	v_add_f32_e32 v40, v44, v40
	v_add_f32_e32 v68, v40, v41
.LBB203_25:                             ;   in Loop: Header=BB203_26 Depth=2
	s_or_b32 exec_lo, exec_lo, s9
	v_add_nc_u32_e32 v0, 64, v0
	v_add_nc_u64_e32 v[38:39], s[34:35], v[38:39]
	v_add_nc_u64_e32 v[30:31], s[36:37], v[30:31]
	;; [unrolled: 1-line block ×4, first 2 shown]
	v_cmp_le_i32_e32 vcc_lo, s41, v0
	v_add_nc_u64_e32 v[36:37], s[36:37], v[36:37]
	s_or_b32 s8, vcc_lo, s8
	s_delay_alu instid0(SALU_CYCLE_1)
	s_and_not1_b32 exec_lo, exec_lo, s8
	s_cbranch_execz .LBB203_31
.LBB203_26:                             ;   Parent Loop BB203_4 Depth=1
                                        ; =>  This Inner Loop Header: Depth=2
	s_and_saveexec_b32 s9, s1
	s_cbranch_execz .LBB203_25
; %bb.27:                               ;   in Loop: Header=BB203_26 Depth=2
	v_add_nc_u64_e32 v[48:49], v[38:39], v[18:19]
	v_add_nc_u64_e32 v[50:51], v[38:39], v[22:23]
	;; [unrolled: 1-line block ×8, first 2 shown]
	s_clause 0x3
	flat_load_b32 v41, v[48:49]
	flat_load_b32 v40, v[50:51]
	;; [unrolled: 1-line block ×8, first 2 shown]
	s_wait_xcnt 0x0
	s_and_saveexec_b32 s44, s3
	s_cbranch_execz .LBB203_24
; %bb.28:                               ;   in Loop: Header=BB203_26 Depth=2
	flat_load_b32 v50, v[52:53] offset:128
	flat_load_b32 v51, v[54:55] offset:128
	flat_load_b32 v48, v[56:57] offset:128
	flat_load_b32 v49, v[58:59] offset:128
	s_wait_xcnt 0x0
	s_and_saveexec_b32 s45, s4
	s_cbranch_execz .LBB203_23
; %bb.29:                               ;   in Loop: Header=BB203_26 Depth=2
	flat_load_b32 v62, v[52:53] offset:256
	flat_load_b32 v63, v[54:55] offset:256
	flat_load_b32 v60, v[56:57] offset:256
	flat_load_b32 v61, v[58:59] offset:256
	;; [unrolled: 8-line block ×3, first 2 shown]
	s_wait_loadcnt_dscnt 0x202
	s_wait_xcnt 0x3
	v_pk_mul_f32 v[52:53], v[44:45], v[72:73]
	s_delay_alu instid0(VALU_DEP_1) | instskip(SKIP_1) | instid1(VALU_DEP_1)
	v_add_f32_e32 v52, v71, v52
	s_wait_xcnt 0x2
	v_add_f32_e32 v54, v52, v53
	s_wait_loadcnt_dscnt 0x0
	v_pk_mul_f32 v[52:53], v[40:41], v[74:75]
	s_delay_alu instid0(VALU_DEP_1) | instskip(NEXT) | instid1(VALU_DEP_1)
	v_add_f32_e32 v52, v54, v52
	v_add_f32_e32 v71, v52, v53
	s_branch .LBB203_22
.LBB203_31:                             ;   in Loop: Header=BB203_4 Depth=1
	s_or_b32 exec_lo, exec_lo, s8
.LBB203_32:                             ;   in Loop: Header=BB203_4 Depth=1
	s_delay_alu instid0(SALU_CYCLE_1) | instskip(NEXT) | instid1(SALU_CYCLE_1)
	s_or_b32 exec_lo, exec_lo, s7
	s_and_not1_b32 vcc_lo, exec_lo, s24
	s_cbranch_vccnz .LBB203_50
; %bb.33:                               ;   in Loop: Header=BB203_4 Depth=1
	v_dual_mov_b32 v32, 0 :: v_dual_bitop2_b32 v34, 1, v0 bitop3:0x54
	v_cmp_gt_i32_e32 vcc_lo, s25, v0
	s_delay_alu instid0(VALU_DEP_2)
	v_dual_mov_b32 v33, v32 :: v_dual_mov_b32 v30, v32
	v_mov_b32_e32 v31, v32
	s_and_saveexec_b32 s8, vcc_lo
	s_cbranch_execz .LBB203_41
; %bb.34:                               ;   in Loop: Header=BB203_4 Depth=1
	v_mul_u64_e32 v[30:31], s[28:29], v[0:1]
	v_mov_b32_e32 v32, 0
	s_mov_b32 s9, exec_lo
	v_mov_b32_e32 v33, 0
	s_delay_alu instid0(VALU_DEP_3)
	v_lshl_add_u64 v[30:31], v[30:31], 2, v[28:29]
	flat_load_b32 v30, v[30:31]
	s_wait_xcnt 0x0
	v_mov_b32_e32 v31, 0
	v_cmpx_gt_i32_e64 s25, v34
	s_cbranch_execz .LBB203_40
; %bb.35:                               ;   in Loop: Header=BB203_4 Depth=1
	v_dual_mov_b32 v35, v1 :: v_dual_bitop2_b32 v36, 2, v0 bitop3:0x54
	s_mov_b32 s44, exec_lo
	s_delay_alu instid0(VALU_DEP_1) | instskip(NEXT) | instid1(VALU_DEP_1)
	v_mul_u64_e32 v[32:33], s[28:29], v[34:35]
	v_lshl_add_u64 v[32:33], v[32:33], 2, v[28:29]
	flat_load_b32 v31, v[32:33]
	s_wait_xcnt 0x0
	v_dual_mov_b32 v33, 0 :: v_dual_mov_b32 v32, 0
	v_cmpx_gt_i32_e64 s25, v36
	s_cbranch_execz .LBB203_39
; %bb.36:                               ;   in Loop: Header=BB203_4 Depth=1
	v_mov_b32_e32 v37, v1
	s_mov_b32 s45, exec_lo
	s_delay_alu instid0(VALU_DEP_1) | instskip(SKIP_1) | instid1(VALU_DEP_2)
	v_mul_u64_e32 v[32:33], s[28:29], v[36:37]
	v_or_b32_e32 v36, 3, v0
	v_lshl_add_u64 v[32:33], v[32:33], 2, v[28:29]
	flat_load_b32 v32, v[32:33]
	s_wait_xcnt 0x0
	v_mov_b32_e32 v33, 0
	v_cmpx_gt_i32_e64 s25, v36
	s_cbranch_execz .LBB203_38
; %bb.37:                               ;   in Loop: Header=BB203_4 Depth=1
	v_mov_b32_e32 v37, v1
	s_delay_alu instid0(VALU_DEP_1) | instskip(NEXT) | instid1(VALU_DEP_1)
	v_mul_u64_e32 v[36:37], s[28:29], v[36:37]
	v_lshl_add_u64 v[28:29], v[36:37], 2, v[28:29]
	flat_load_b32 v33, v[28:29]
.LBB203_38:                             ;   in Loop: Header=BB203_4 Depth=1
	s_wait_xcnt 0x0
	s_or_b32 exec_lo, exec_lo, s45
.LBB203_39:                             ;   in Loop: Header=BB203_4 Depth=1
	s_delay_alu instid0(SALU_CYCLE_1)
	s_or_b32 exec_lo, exec_lo, s44
.LBB203_40:                             ;   in Loop: Header=BB203_4 Depth=1
	s_delay_alu instid0(SALU_CYCLE_1)
	s_or_b32 exec_lo, exec_lo, s9
.LBB203_41:                             ;   in Loop: Header=BB203_4 Depth=1
	s_delay_alu instid0(SALU_CYCLE_1)
	s_or_b32 exec_lo, exec_lo, s8
	s_and_saveexec_b32 s44, s1
	s_cbranch_execz .LBB203_49
; %bb.42:                               ;   in Loop: Header=BB203_4 Depth=1
	v_dual_mov_b32 v35, v1 :: v_dual_bitop2_b32 v28, 2, v0 bitop3:0x54
	v_mov_b32_e32 v29, v1
	v_mul_u64_e32 v[36:37], s[30:31], v[0:1]
	v_or_b32_e32 v0, 3, v0
	s_delay_alu instid0(VALU_DEP_4)
	v_mul_u64_e32 v[38:39], s[30:31], v[34:35]
	v_cmp_gt_i32_e64 s7, s25, v34
	v_mul_u64_e32 v[40:41], s[30:31], v[28:29]
	v_cmp_gt_i32_e64 s8, s25, v28
	;; [unrolled: 2-line block ×3, first 2 shown]
	v_dual_cndmask_b32 v29, 0, v37 :: v_dual_cndmask_b32 v28, 0, v36
	v_dual_cndmask_b32 v35, 0, v39, s7 :: v_dual_cndmask_b32 v34, 0, v38, s7
	v_dual_cndmask_b32 v37, 0, v41, s8 :: v_dual_cndmask_b32 v36, 0, v40, s8
	s_delay_alu instid0(VALU_DEP_4) | instskip(NEXT) | instid1(VALU_DEP_4)
	v_dual_cndmask_b32 v39, 0, v43, s9 :: v_dual_cndmask_b32 v38, 0, v42, s9
	v_lshl_add_u64 v[28:29], v[28:29], 2, v[26:27]
	s_delay_alu instid0(VALU_DEP_4) | instskip(NEXT) | instid1(VALU_DEP_4)
	v_lshl_add_u64 v[34:35], v[34:35], 2, v[26:27]
	v_lshl_add_u64 v[36:37], v[36:37], 2, v[26:27]
	s_delay_alu instid0(VALU_DEP_4) | instskip(NEXT) | instid1(VALU_DEP_4)
	v_lshl_add_u64 v[26:27], v[38:39], 2, v[26:27]
	v_add_nc_u64_e32 v[40:41], v[28:29], v[14:15]
	s_delay_alu instid0(VALU_DEP_4) | instskip(NEXT) | instid1(VALU_DEP_4)
	v_add_nc_u64_e32 v[38:39], v[34:35], v[14:15]
	v_add_nc_u64_e32 v[44:45], v[36:37], v[14:15]
	s_delay_alu instid0(VALU_DEP_4)
	v_add_nc_u64_e32 v[42:43], v[26:27], v[14:15]
	s_clause 0x3
	flat_load_b32 v28, v[40:41]
	flat_load_b32 v29, v[38:39]
	;; [unrolled: 1-line block ×4, first 2 shown]
	s_wait_xcnt 0x0
	s_and_saveexec_b32 s7, s3
	s_cbranch_execz .LBB203_48
; %bb.43:                               ;   in Loop: Header=BB203_4 Depth=1
	s_clause 0x3
	flat_load_b32 v36, v[40:41] offset:128
	flat_load_b32 v37, v[38:39] offset:128
	flat_load_b32 v34, v[44:45] offset:128
	flat_load_b32 v35, v[42:43] offset:128
	s_wait_xcnt 0x0
	s_and_saveexec_b32 s8, s4
	s_cbranch_execz .LBB203_47
; %bb.44:                               ;   in Loop: Header=BB203_4 Depth=1
	s_clause 0x3
	flat_load_b32 v48, v[40:41] offset:256
	flat_load_b32 v49, v[38:39] offset:256
	flat_load_b32 v46, v[44:45] offset:256
	flat_load_b32 v47, v[42:43] offset:256
	;; [unrolled: 9-line block ×3, first 2 shown]
	s_wait_loadcnt_dscnt 0x202
	s_wait_xcnt 0x2
	v_pk_mul_f32 v[38:39], v[30:31], v[50:51]
	s_delay_alu instid0(VALU_DEP_1) | instskip(NEXT) | instid1(VALU_DEP_1)
	v_add_f32_e32 v0, v71, v38
	v_add_f32_e32 v0, v0, v39
	s_wait_loadcnt_dscnt 0x0
	v_pk_mul_f32 v[38:39], v[32:33], v[52:53]
	s_delay_alu instid0(VALU_DEP_1) | instskip(NEXT) | instid1(VALU_DEP_1)
	v_add_f32_e32 v0, v0, v38
	v_add_f32_e32 v71, v0, v39
.LBB203_46:                             ;   in Loop: Header=BB203_4 Depth=1
	s_wait_xcnt 0x0
	s_or_b32 exec_lo, exec_lo, s9
	s_wait_loadcnt_dscnt 0x202
	v_pk_mul_f32 v[38:39], v[30:31], v[48:49]
	s_delay_alu instid0(VALU_DEP_1) | instskip(NEXT) | instid1(VALU_DEP_1)
	v_add_f32_e32 v0, v70, v38
	v_add_f32_e32 v0, v0, v39
	s_wait_loadcnt_dscnt 0x0
	v_pk_mul_f32 v[38:39], v[32:33], v[46:47]
	s_delay_alu instid0(VALU_DEP_1) | instskip(NEXT) | instid1(VALU_DEP_1)
	v_add_f32_e32 v0, v0, v38
	v_add_f32_e32 v70, v0, v39
.LBB203_47:                             ;   in Loop: Header=BB203_4 Depth=1
	s_or_b32 exec_lo, exec_lo, s8
	s_wait_loadcnt_dscnt 0x202
	v_pk_mul_f32 v[36:37], v[30:31], v[36:37]
	s_wait_loadcnt_dscnt 0x0
	v_pk_mul_f32 v[34:35], v[32:33], v[34:35]
	s_delay_alu instid0(VALU_DEP_2) | instskip(NEXT) | instid1(VALU_DEP_1)
	v_add_f32_e32 v0, v69, v36
	v_add_f32_e32 v0, v0, v37
	s_delay_alu instid0(VALU_DEP_1) | instskip(NEXT) | instid1(VALU_DEP_1)
	v_add_f32_e32 v0, v0, v34
	v_add_f32_e32 v69, v0, v35
.LBB203_48:                             ;   in Loop: Header=BB203_4 Depth=1
	s_or_b32 exec_lo, exec_lo, s7
	s_wait_loadcnt_dscnt 0x202
	v_pk_mul_f32 v[28:29], v[30:31], v[28:29]
	s_wait_loadcnt_dscnt 0x0
	v_pk_mul_f32 v[26:27], v[32:33], v[26:27]
	s_delay_alu instid0(VALU_DEP_2) | instskip(NEXT) | instid1(VALU_DEP_1)
	v_add_f32_e32 v0, v68, v28
	v_add_f32_e32 v0, v0, v29
	s_delay_alu instid0(VALU_DEP_1) | instskip(NEXT) | instid1(VALU_DEP_1)
	v_add_f32_e32 v0, v0, v26
	v_add_f32_e32 v68, v0, v27
.LBB203_49:                             ;   in Loop: Header=BB203_4 Depth=1
	s_or_b32 exec_lo, exec_lo, s44
.LBB203_50:                             ;   in Loop: Header=BB203_4 Depth=1
	ds_store_2addr_b32 v66, v68, v69 offset1:32
	ds_store_2addr_b32 v66, v70, v71 offset0:64 offset1:96
	s_wait_loadcnt_dscnt 0x0
	s_barrier_signal -1
	s_barrier_wait -1
                                        ; implicit-def: $vgpr0
	s_and_saveexec_b32 s7, s0
	s_cbranch_execz .LBB203_56
; %bb.51:                               ;   in Loop: Header=BB203_4 Depth=1
	ds_load_2addr_stride64_b32 v[26:27], v67 offset1:2
	ds_load_2addr_stride64_b32 v[28:29], v67 offset0:4 offset1:6
	ds_load_2addr_stride64_b32 v[30:31], v67 offset0:8 offset1:10
	s_mov_b32 s9, s43
	s_wait_dscnt 0x2
	v_add_f32_e32 v0, v26, v27
	ds_load_2addr_stride64_b32 v[26:27], v67 offset0:12 offset1:14
	s_wait_dscnt 0x2
	v_add_f32_e32 v0, v28, v0
	s_delay_alu instid0(VALU_DEP_1) | instskip(SKIP_3) | instid1(VALU_DEP_1)
	v_add_f32_e32 v0, v29, v0
	ds_load_2addr_stride64_b32 v[28:29], v67 offset0:16 offset1:18
	s_wait_dscnt 0x2
	v_add_f32_e32 v0, v30, v0
	v_add_f32_e32 v0, v31, v0
	ds_load_2addr_stride64_b32 v[30:31], v67 offset0:20 offset1:22
	s_wait_dscnt 0x2
	v_add_f32_e32 v0, v26, v0
	s_delay_alu instid0(VALU_DEP_1) | instskip(SKIP_3) | instid1(VALU_DEP_1)
	v_add_f32_e32 v0, v27, v0
	ds_load_2addr_stride64_b32 v[26:27], v67 offset0:24 offset1:26
	s_wait_dscnt 0x2
	v_add_f32_e32 v0, v28, v0
	v_add_f32_e32 v0, v29, v0
	ds_load_2addr_stride64_b32 v[28:29], v67 offset0:28 offset1:30
	s_wait_dscnt 0x2
	v_add_f32_e32 v0, v30, v0
	s_delay_alu instid0(VALU_DEP_1) | instskip(SKIP_1) | instid1(VALU_DEP_1)
	v_add_f32_e32 v0, v31, v0
	s_wait_dscnt 0x1
	v_add_f32_e32 v0, v26, v0
	s_delay_alu instid0(VALU_DEP_1) | instskip(SKIP_1) | instid1(VALU_DEP_1)
	v_add_f32_e32 v0, v27, v0
	s_wait_dscnt 0x0
	v_add_f32_e32 v0, v28, v0
	s_delay_alu instid0(VALU_DEP_1)
	v_add_f32_e32 v26, v29, v0
                                        ; implicit-def: $vgpr0
	ds_store_b32 v67, v26
	s_and_saveexec_b32 s8, s2
	s_cbranch_execz .LBB203_55
; %bb.52:                               ;   in Loop: Header=BB203_4 Depth=1
	v_mul_f32_e32 v0, s26, v26
	s_and_not1_b32 vcc_lo, exec_lo, s40
	s_cbranch_vccnz .LBB203_54
; %bb.53:                               ;   in Loop: Header=BB203_4 Depth=1
	v_lshl_add_u64 v[26:27], v[8:9], 2, v[24:25]
	flat_load_b32 v26, v[26:27]
	s_wait_loadcnt_dscnt 0x0
	v_fmac_f32_e32 v0, s33, v26
.LBB203_54:                             ;   in Loop: Header=BB203_4 Depth=1
	s_or_b32 s9, s43, exec_lo
.LBB203_55:                             ;   in Loop: Header=BB203_4 Depth=1
	s_wait_xcnt 0x0
	s_or_b32 exec_lo, exec_lo, s8
	s_delay_alu instid0(SALU_CYCLE_1) | instskip(SKIP_1) | instid1(SALU_CYCLE_1)
	s_and_not1_b32 s8, s43, exec_lo
	s_and_b32 s9, s9, exec_lo
	s_or_b32 s43, s8, s9
.LBB203_56:                             ;   in Loop: Header=BB203_4 Depth=1
	s_or_b32 exec_lo, exec_lo, s7
	v_mov_b64_e32 v[26:27], v[8:9]
	s_and_saveexec_b32 s7, s43
	s_cbranch_execz .LBB203_2
.LBB203_57:                             ;   in Loop: Header=BB203_4 Depth=1
	s_delay_alu instid0(VALU_DEP_1)
	v_lshl_add_u64 v[24:25], v[26:27], 2, v[24:25]
	flat_store_b32 v[24:25], v0
	s_branch .LBB203_2
.LBB203_58:
	s_sendmsg sendmsg(MSG_DEALLOC_VGPRS)
	s_endpgm
	.section	.rodata,"a",@progbits
	.p2align	6, 0x0
	.amdhsa_kernel _ZL20rocblas_gemvn_kernelILi32ELi16ElPKffKPfEviiT3_lPKT2_lT1_lS7_lS8_lS4_lPT4_lS8_li
		.amdhsa_group_segment_fixed_size 8192
		.amdhsa_private_segment_fixed_size 0
		.amdhsa_kernarg_size 400
		.amdhsa_user_sgpr_count 2
		.amdhsa_user_sgpr_dispatch_ptr 0
		.amdhsa_user_sgpr_queue_ptr 0
		.amdhsa_user_sgpr_kernarg_segment_ptr 1
		.amdhsa_user_sgpr_dispatch_id 0
		.amdhsa_user_sgpr_kernarg_preload_length 0
		.amdhsa_user_sgpr_kernarg_preload_offset 0
		.amdhsa_user_sgpr_private_segment_size 0
		.amdhsa_wavefront_size32 1
		.amdhsa_uses_dynamic_stack 0
		.amdhsa_enable_private_segment 0
		.amdhsa_system_sgpr_workgroup_id_x 1
		.amdhsa_system_sgpr_workgroup_id_y 0
		.amdhsa_system_sgpr_workgroup_id_z 1
		.amdhsa_system_sgpr_workgroup_info 0
		.amdhsa_system_vgpr_workitem_id 1
		.amdhsa_next_free_vgpr 76
		.amdhsa_next_free_sgpr 47
		.amdhsa_named_barrier_count 0
		.amdhsa_reserve_vcc 1
		.amdhsa_float_round_mode_32 0
		.amdhsa_float_round_mode_16_64 0
		.amdhsa_float_denorm_mode_32 3
		.amdhsa_float_denorm_mode_16_64 3
		.amdhsa_fp16_overflow 0
		.amdhsa_memory_ordered 1
		.amdhsa_forward_progress 1
		.amdhsa_inst_pref_size 23
		.amdhsa_round_robin_scheduling 0
		.amdhsa_exception_fp_ieee_invalid_op 0
		.amdhsa_exception_fp_denorm_src 0
		.amdhsa_exception_fp_ieee_div_zero 0
		.amdhsa_exception_fp_ieee_overflow 0
		.amdhsa_exception_fp_ieee_underflow 0
		.amdhsa_exception_fp_ieee_inexact 0
		.amdhsa_exception_int_div_zero 0
	.end_amdhsa_kernel
	.section	.text._ZL20rocblas_gemvn_kernelILi32ELi16ElPKffKPfEviiT3_lPKT2_lT1_lS7_lS8_lS4_lPT4_lS8_li,"axG",@progbits,_ZL20rocblas_gemvn_kernelILi32ELi16ElPKffKPfEviiT3_lPKT2_lT1_lS7_lS8_lS4_lPT4_lS8_li,comdat
.Lfunc_end203:
	.size	_ZL20rocblas_gemvn_kernelILi32ELi16ElPKffKPfEviiT3_lPKT2_lT1_lS7_lS8_lS4_lPT4_lS8_li, .Lfunc_end203-_ZL20rocblas_gemvn_kernelILi32ELi16ElPKffKPfEviiT3_lPKT2_lT1_lS7_lS8_lS4_lPT4_lS8_li
                                        ; -- End function
	.set _ZL20rocblas_gemvn_kernelILi32ELi16ElPKffKPfEviiT3_lPKT2_lT1_lS7_lS8_lS4_lPT4_lS8_li.num_vgpr, 76
	.set _ZL20rocblas_gemvn_kernelILi32ELi16ElPKffKPfEviiT3_lPKT2_lT1_lS7_lS8_lS4_lPT4_lS8_li.num_agpr, 0
	.set _ZL20rocblas_gemvn_kernelILi32ELi16ElPKffKPfEviiT3_lPKT2_lT1_lS7_lS8_lS4_lPT4_lS8_li.numbered_sgpr, 47
	.set _ZL20rocblas_gemvn_kernelILi32ELi16ElPKffKPfEviiT3_lPKT2_lT1_lS7_lS8_lS4_lPT4_lS8_li.num_named_barrier, 0
	.set _ZL20rocblas_gemvn_kernelILi32ELi16ElPKffKPfEviiT3_lPKT2_lT1_lS7_lS8_lS4_lPT4_lS8_li.private_seg_size, 0
	.set _ZL20rocblas_gemvn_kernelILi32ELi16ElPKffKPfEviiT3_lPKT2_lT1_lS7_lS8_lS4_lPT4_lS8_li.uses_vcc, 1
	.set _ZL20rocblas_gemvn_kernelILi32ELi16ElPKffKPfEviiT3_lPKT2_lT1_lS7_lS8_lS4_lPT4_lS8_li.uses_flat_scratch, 1
	.set _ZL20rocblas_gemvn_kernelILi32ELi16ElPKffKPfEviiT3_lPKT2_lT1_lS7_lS8_lS4_lPT4_lS8_li.has_dyn_sized_stack, 0
	.set _ZL20rocblas_gemvn_kernelILi32ELi16ElPKffKPfEviiT3_lPKT2_lT1_lS7_lS8_lS4_lPT4_lS8_li.has_recursion, 0
	.set _ZL20rocblas_gemvn_kernelILi32ELi16ElPKffKPfEviiT3_lPKT2_lT1_lS7_lS8_lS4_lPT4_lS8_li.has_indirect_call, 0
	.section	.AMDGPU.csdata,"",@progbits
; Kernel info:
; codeLenInByte = 2944
; TotalNumSgprs: 49
; NumVgprs: 76
; ScratchSize: 0
; MemoryBound: 0
; FloatMode: 240
; IeeeMode: 1
; LDSByteSize: 8192 bytes/workgroup (compile time only)
; SGPRBlocks: 0
; VGPRBlocks: 4
; NumSGPRsForWavesPerEU: 49
; NumVGPRsForWavesPerEU: 76
; NamedBarCnt: 0
; Occupancy: 12
; WaveLimiterHint : 1
; COMPUTE_PGM_RSRC2:SCRATCH_EN: 0
; COMPUTE_PGM_RSRC2:USER_SGPR: 2
; COMPUTE_PGM_RSRC2:TRAP_HANDLER: 0
; COMPUTE_PGM_RSRC2:TGID_X_EN: 1
; COMPUTE_PGM_RSRC2:TGID_Y_EN: 0
; COMPUTE_PGM_RSRC2:TGID_Z_EN: 1
; COMPUTE_PGM_RSRC2:TIDIG_COMP_CNT: 1
	.section	.text._ZL20rocblas_gemvn_kernelILi64ELi16EiPKfS1_KPfEviiT3_lPKT2_lT1_lS7_lS8_lS4_lPT4_lS8_li,"axG",@progbits,_ZL20rocblas_gemvn_kernelILi64ELi16EiPKfS1_KPfEviiT3_lPKT2_lT1_lS7_lS8_lS4_lPT4_lS8_li,comdat
	.globl	_ZL20rocblas_gemvn_kernelILi64ELi16EiPKfS1_KPfEviiT3_lPKT2_lT1_lS7_lS8_lS4_lPT4_lS8_li ; -- Begin function _ZL20rocblas_gemvn_kernelILi64ELi16EiPKfS1_KPfEviiT3_lPKT2_lT1_lS7_lS8_lS4_lPT4_lS8_li
	.p2align	8
	.type	_ZL20rocblas_gemvn_kernelILi64ELi16EiPKfS1_KPfEviiT3_lPKT2_lT1_lS7_lS8_lS4_lPT4_lS8_li,@function
_ZL20rocblas_gemvn_kernelILi64ELi16EiPKfS1_KPfEviiT3_lPKT2_lT1_lS7_lS8_lS4_lPT4_lS8_li: ; @_ZL20rocblas_gemvn_kernelILi64ELi16EiPKfS1_KPfEviiT3_lPKT2_lT1_lS7_lS8_lS4_lPT4_lS8_li
; %bb.0:
	s_clause 0x1
	s_load_b64 s[4:5], s[0:1], 0x9c
	s_load_b32 s33, s[0:1], 0x88
	s_bfe_u32 s2, ttmp6, 0x40014
	s_lshr_b32 s3, ttmp7, 16
	s_add_co_i32 s2, s2, 1
	s_bfe_u32 s6, ttmp6, 0x40008
	s_mul_i32 s7, s3, s2
	s_getreg_b32 s2, hwreg(HW_REG_IB_STS2, 6, 4)
	s_add_co_i32 s6, s6, s7
	s_mov_b32 s11, 0
	s_wait_kmcnt 0x0
	s_lshr_b32 s7, s4, 16
	s_and_b32 s4, s4, 0xffff
	s_and_b32 s5, s5, 0xffff
	s_mul_i32 s4, s7, s4
	s_cmp_eq_u32 s2, 0
	s_mul_i32 s4, s4, s5
	s_cselect_b32 s10, s3, s6
	s_cmp_lg_u32 s4, 0x400
	s_cselect_b32 s3, -1, 0
	s_cmp_ge_u32 s10, s33
	s_cselect_b32 s4, -1, 0
	s_delay_alu instid0(SALU_CYCLE_1) | instskip(NEXT) | instid1(SALU_CYCLE_1)
	s_or_b32 s3, s3, s4
	s_and_b32 vcc_lo, exec_lo, s3
	s_cbranch_vccnz .LBB204_56
; %bb.1:
	s_clause 0x6
	s_load_b32 s4, s[0:1], 0x78
	s_load_b64 s[8:9], s[0:1], 0x0
	s_load_b256 s[12:19], s[0:1], 0x8
	s_load_b32 s34, s[0:1], 0x28
	s_load_b128 s[28:31], s[0:1], 0x38
	s_load_b32 s35, s[0:1], 0x48
	s_load_b256 s[20:27], s[0:1], 0x58
	s_wait_xcnt 0x0
	s_bfe_u32 s0, ttmp6, 0x4000c
	v_and_b32_e32 v6, 0x3ff, v0
	s_add_co_i32 s0, s0, 1
	v_bfe_u32 v7, v0, 10, 10
	s_and_b32 s1, ttmp6, 15
	s_mul_i32 s0, ttmp9, s0
	v_mov_b32_e32 v1, 0
	s_add_co_i32 s1, s1, s0
	v_lshl_add_u32 v5, v7, 6, v6
	v_lshlrev_b32_e32 v36, 2, v7
	s_wait_kmcnt 0x0
	s_ashr_i32 s5, s4, 31
	s_cmp_eq_u32 s2, 0
	s_mov_b32 s2, s8
	s_cselect_b32 s0, ttmp9, s1
	s_ashr_i32 s3, s8, 31
	s_lshl_b32 s36, s0, 8
	s_ashr_i32 s1, s9, 31
	v_dual_add_nc_u32 v0, s36, v5 :: v_dual_add_nc_u32 v37, s36, v6
	v_or_b32_e32 v8, s36, v5
	s_lshr_b32 s0, s1, 26
	v_mul_lo_u32 v11, v7, s34
	s_delay_alu instid0(VALU_DEP_3)
	v_mul_u64_e32 v[2:3], s[4:5], v[0:1]
	v_add_nc_u32_e32 v9, 0x80, v37
	v_add_nc_u32_e32 v4, 64, v37
	v_cmp_gt_i64_e32 vcc_lo, s[2:3], v[0:1]
	v_add_nc_u32_e32 v0, 0xc0, v37
	s_add_co_i32 s37, s9, s0
	v_cmp_gt_i32_e64 s3, s8, v9
	v_lshlrev_b32_e32 v9, 2, v6
	v_cmp_gt_i32_e64 s2, s8, v4
	v_mul_lo_u32 v4, s4, v8
	v_cmp_gt_i32_e64 s4, s8, v0
	s_and_not1_b32 s37, s37, 63
	v_lshl_add_u32 v0, v7, 10, v9
	v_lshl_add_u32 v38, v7, 8, v9
	v_mul_lo_u32 v7, v7, s35
	s_sub_co_i32 s6, s9, s37
	v_or_b32_e32 v9, 2, v36
	s_cmp_gt_i32 s6, 0
	v_cmp_gt_i32_e64 s6, s8, v8
	v_mul_lo_u32 v8, s34, v36
	v_or_b32_e32 v10, 3, v36
	v_mad_u32 v39, s34, v9, v6
	v_mul_lo_u32 v41, s35, v9
	v_mad_u32 v42, s35, v36, s35
	v_cmp_gt_u32_e64 s5, 0x100, v5
	v_lshlrev_b32_e32 v46, 2, v7
	v_mad_u32 v40, s34, v10, v6
	v_mul_lo_u32 v43, s35, v10
	v_cmp_gt_i32_e64 s0, s37, v36
	v_cmp_gt_i32_e64 s1, s8, v37
	v_ashrrev_i32_e32 v5, 31, v4
	v_add3_u32 v44, v8, s34, v6
	v_lshl_add_u32 v45, v11, 2, v6
	s_cselect_b32 s38, -1, 0
	s_and_b32 s39, s5, vcc_lo
	s_lshl_b32 s40, s34, 6
	s_lshl_b32 s41, s35, 6
	s_lshl_b64 s[18:19], s[18:19], 2
	s_lshl_b64 s[30:31], s[30:31], 2
	;; [unrolled: 1-line block ×3, first 2 shown]
	s_branch .LBB204_4
.LBB204_2:                              ;   in Loop: Header=BB204_4 Depth=1
	s_wait_xcnt 0x0
	s_or_b32 exec_lo, exec_lo, s7
.LBB204_3:                              ;   in Loop: Header=BB204_4 Depth=1
	s_add_co_i32 s10, s10, 0x10000
	s_delay_alu instid0(SALU_CYCLE_1)
	s_cmp_lt_u32 s10, s33
	s_cbranch_scc0 .LBB204_56
.LBB204_4:                              ; =>This Loop Header: Depth=1
                                        ;     Child Loop BB204_24 Depth 2
	s_mul_u64 s[42:43], s[14:15], s[10:11]
	s_wait_xcnt 0x0
	s_mul_u64 s[44:45], s[22:23], s[10:11]
	s_lshl_b64 s[42:43], s[42:43], 2
	s_lshl_b64 s[44:45], s[44:45], 2
	s_add_nc_u64 s[42:43], s[12:13], s[42:43]
	s_add_nc_u64 s[44:45], s[20:21], s[44:45]
	s_clause 0x1
	global_load_b32 v47, v1, s[42:43]
	global_load_b32 v6, v1, s[44:45]
	s_wait_loadcnt 0x1
	v_cmp_eq_f32_e64 s7, 0, v47
	s_wait_loadcnt 0x0
	v_cmp_eq_f32_e32 vcc_lo, 1.0, v6
	s_wait_xcnt 0x1
	v_readfirstlane_b32 s42, v6
	s_and_b32 s8, s7, vcc_lo
	s_delay_alu instid0(SALU_CYCLE_1)
	s_and_b32 vcc_lo, exec_lo, s8
	s_cbranch_vccnz .LBB204_3
; %bb.5:                                ;   in Loop: Header=BB204_4 Depth=1
	v_mov_b64_e32 v[10:11], 0
	v_mov_b64_e32 v[8:9], 0
	v_cmp_neq_f32_e64 s8, 0, v47
	s_and_b32 vcc_lo, exec_lo, s7
	s_cbranch_vccnz .LBB204_7
; %bb.6:                                ;   in Loop: Header=BB204_4 Depth=1
	s_wait_xcnt 0x0
	s_lshl_b64 s[44:45], s[10:11], 3
	s_delay_alu instid0(SALU_CYCLE_1)
	s_add_nc_u64 s[44:45], s[16:17], s[44:45]
	global_load_b64 v[6:7], v1, s[44:45]
	s_wait_loadcnt 0x0
	v_add_nc_u64_e32 v[8:9], s[18:19], v[6:7]
.LBB204_7:                              ;   in Loop: Header=BB204_4 Depth=1
	s_and_not1_b32 vcc_lo, exec_lo, s8
	s_cbranch_vccnz .LBB204_9
; %bb.8:                                ;   in Loop: Header=BB204_4 Depth=1
	s_wait_xcnt 0x0
	s_lshl_b64 s[44:45], s[10:11], 3
	s_delay_alu instid0(SALU_CYCLE_1)
	s_add_nc_u64 s[44:45], s[28:29], s[44:45]
	global_load_b64 v[6:7], v1, s[44:45]
	s_wait_loadcnt 0x0
	v_add_nc_u64_e32 v[10:11], s[30:31], v[6:7]
.LBB204_9:                              ;   in Loop: Header=BB204_4 Depth=1
	s_wait_xcnt 0x0
	s_lshl_b64 s[44:45], s[10:11], 3
	s_and_not1_b32 vcc_lo, exec_lo, s7
	s_add_nc_u64 s[44:45], s[24:25], s[44:45]
	global_load_b64 v[6:7], v1, s[44:45]
	s_wait_loadcnt 0x0
	v_add_nc_u64_e32 v[6:7], s[26:27], v[6:7]
	s_cbranch_vccnz .LBB204_13
; %bb.10:                               ;   in Loop: Header=BB204_4 Depth=1
	s_mov_b32 s7, 0
	s_mov_b32 s8, 0
                                        ; implicit-def: $vgpr12
	s_wait_xcnt 0x0
	s_and_saveexec_b32 s43, s39
	s_cbranch_execz .LBB204_14
; %bb.11:                               ;   in Loop: Header=BB204_4 Depth=1
	s_cmp_eq_f32 s42, 0
	s_cbranch_scc1 .LBB204_16
; %bb.12:                               ;   in Loop: Header=BB204_4 Depth=1
	v_lshl_add_u64 v[12:13], v[2:3], 2, v[6:7]
	flat_load_b32 v12, v[12:13]
	s_wait_loadcnt_dscnt 0x0
	s_wait_xcnt 0x0
	v_mul_f32_e32 v12, s42, v12
	s_branch .LBB204_17
.LBB204_13:                             ;   in Loop: Header=BB204_4 Depth=1
	s_mov_b32 s8, 0
                                        ; implicit-def: $vgpr12
	s_cbranch_execz .LBB204_15
	s_branch .LBB204_18
.LBB204_14:                             ;   in Loop: Header=BB204_4 Depth=1
	s_or_b32 exec_lo, exec_lo, s43
	s_delay_alu instid0(SALU_CYCLE_1)
	s_and_b32 vcc_lo, exec_lo, s7
	s_cbranch_vccnz .LBB204_18
.LBB204_15:                             ;   in Loop: Header=BB204_4 Depth=1
	v_mov_b64_e32 v[8:9], v[2:3]
	s_wait_xcnt 0x0
	s_and_saveexec_b32 s7, s8
	s_cbranch_execz .LBB204_2
	s_branch .LBB204_55
.LBB204_16:                             ;   in Loop: Header=BB204_4 Depth=1
	v_mov_b32_e32 v12, 0
.LBB204_17:                             ;   in Loop: Header=BB204_4 Depth=1
	s_mov_b32 s8, exec_lo
	s_or_b32 exec_lo, exec_lo, s43
	s_delay_alu instid0(SALU_CYCLE_1)
	s_and_b32 vcc_lo, exec_lo, s7
	s_cbranch_vccz .LBB204_15
.LBB204_18:                             ;   in Loop: Header=BB204_4 Depth=1
	v_dual_mov_b32 v48, 0 :: v_dual_mov_b32 v52, v36
	v_dual_mov_b32 v49, 0 :: v_dual_mov_b32 v50, 0
	v_mov_b32_e32 v51, 0
	s_wait_xcnt 0x0
	s_and_saveexec_b32 s7, s0
	s_cbranch_execz .LBB204_30
; %bb.19:                               ;   in Loop: Header=BB204_4 Depth=1
	v_dual_mov_b32 v48, 0 :: v_dual_mov_b32 v53, v45
	v_dual_mov_b32 v54, v40 :: v_dual_mov_b32 v55, v39
	;; [unrolled: 1-line block ×4, first 2 shown]
	v_mov_b32_e32 v51, 0
	s_mov_b32 s43, 0
	s_mov_b32 s44, 0
	s_branch .LBB204_24
.LBB204_20:                             ;   in Loop: Header=BB204_24 Depth=2
	s_wait_xcnt 0x0
	s_or_b32 exec_lo, exec_lo, s48
	s_wait_loadcnt_dscnt 0x202
	v_pk_mul_f32 v[26:27], v[16:17], v[32:33]
	s_wait_loadcnt_dscnt 0x0
	v_pk_mul_f32 v[24:25], v[12:13], v[24:25]
	s_delay_alu instid0(VALU_DEP_2) | instskip(NEXT) | instid1(VALU_DEP_1)
	v_add_f32_e32 v26, v50, v26
	v_add_f32_e32 v26, v26, v27
	s_delay_alu instid0(VALU_DEP_1) | instskip(NEXT) | instid1(VALU_DEP_1)
	v_add_f32_e32 v24, v26, v24
	v_add_f32_e32 v50, v24, v25
.LBB204_21:                             ;   in Loop: Header=BB204_24 Depth=2
	s_or_b32 exec_lo, exec_lo, s47
	s_wait_loadcnt_dscnt 0x202
	v_pk_mul_f32 v[22:23], v[16:17], v[22:23]
	s_wait_loadcnt_dscnt 0x0
	v_pk_mul_f32 v[20:21], v[12:13], v[20:21]
	s_delay_alu instid0(VALU_DEP_2) | instskip(NEXT) | instid1(VALU_DEP_1)
	v_add_f32_e32 v22, v49, v22
	v_add_f32_e32 v22, v22, v23
	s_delay_alu instid0(VALU_DEP_1) | instskip(NEXT) | instid1(VALU_DEP_1)
	v_add_f32_e32 v20, v22, v20
	v_add_f32_e32 v49, v20, v21
.LBB204_22:                             ;   in Loop: Header=BB204_24 Depth=2
	s_or_b32 exec_lo, exec_lo, s46
	s_wait_loadcnt_dscnt 0x202
	v_pk_mul_f32 v[16:17], v[16:17], v[18:19]
	s_wait_loadcnt_dscnt 0x0
	v_pk_mul_f32 v[12:13], v[12:13], v[14:15]
	s_delay_alu instid0(VALU_DEP_2) | instskip(NEXT) | instid1(VALU_DEP_1)
	v_add_f32_e32 v16, v48, v16
	v_add_f32_e32 v16, v16, v17
	s_delay_alu instid0(VALU_DEP_1) | instskip(NEXT) | instid1(VALU_DEP_1)
	v_add_f32_e32 v12, v16, v12
	v_add_f32_e32 v48, v12, v13
.LBB204_23:                             ;   in Loop: Header=BB204_24 Depth=2
	s_or_b32 exec_lo, exec_lo, s45
	v_dual_add_nc_u32 v52, 64, v52 :: v_dual_add_nc_u32 v55, s40, v55
	v_dual_add_nc_u32 v56, s40, v56 :: v_dual_add_nc_u32 v54, s40, v54
	v_add_nc_u32_e32 v53, s40, v53
	s_delay_alu instid0(VALU_DEP_3) | instskip(SKIP_2) | instid1(SALU_CYCLE_1)
	v_cmp_le_i32_e32 vcc_lo, s37, v52
	s_add_co_i32 s44, s44, s41
	s_or_b32 s43, vcc_lo, s43
	s_and_not1_b32 exec_lo, exec_lo, s43
	s_cbranch_execz .LBB204_29
.LBB204_24:                             ;   Parent Loop BB204_4 Depth=1
                                        ; =>  This Inner Loop Header: Depth=2
	s_and_saveexec_b32 s45, s1
	s_cbranch_execz .LBB204_23
; %bb.25:                               ;   in Loop: Header=BB204_24 Depth=2
	v_dual_add_nc_u32 v21, s44, v43 :: v_dual_add_nc_u32 v23, s44, v41
	v_readfirstlane_b32 s46, v10
	v_readfirstlane_b32 s47, v11
	v_dual_add_nc_u32 v25, s44, v42 :: v_dual_add_nc_u32 v20, s36, v53
	v_dual_add_nc_u32 v27, s44, v46 :: v_dual_add_nc_u32 v22, s36, v56
	v_readfirstlane_b32 s48, v8
	v_readfirstlane_b32 s49, v9
	v_dual_add_nc_u32 v26, s36, v55 :: v_dual_add_nc_u32 v24, s36, v54
	s_clause 0x3
	flat_load_b32 v13, v21, s[46:47] scale_offset
	flat_load_b32 v12, v23, s[46:47] scale_offset
	;; [unrolled: 1-line block ×4, first 2 shown]
	s_clause 0x3
	flat_load_b32 v18, v20, s[48:49] scale_offset
	flat_load_b32 v19, v22, s[48:49] scale_offset
	;; [unrolled: 1-line block ×4, first 2 shown]
	s_wait_xcnt 0x0
	s_and_saveexec_b32 s46, s2
	s_cbranch_execz .LBB204_22
; %bb.26:                               ;   in Loop: Header=BB204_24 Depth=2
	v_dual_ashrrev_i32 v21, 31, v20 :: v_dual_ashrrev_i32 v23, 31, v22
	v_dual_ashrrev_i32 v27, 31, v26 :: v_dual_ashrrev_i32 v25, 31, v24
	s_delay_alu instid0(VALU_DEP_2) | instskip(NEXT) | instid1(VALU_DEP_3)
	v_lshl_add_u64 v[30:31], v[20:21], 2, v[8:9]
	v_lshl_add_u64 v[28:29], v[22:23], 2, v[8:9]
	s_delay_alu instid0(VALU_DEP_3) | instskip(NEXT) | instid1(VALU_DEP_4)
	v_lshl_add_u64 v[26:27], v[26:27], 2, v[8:9]
	v_lshl_add_u64 v[34:35], v[24:25], 2, v[8:9]
	s_clause 0x3
	flat_load_b32 v22, v[30:31] offset:256
	flat_load_b32 v23, v[28:29] offset:256
	;; [unrolled: 1-line block ×4, first 2 shown]
	s_wait_xcnt 0x0
	s_and_saveexec_b32 s47, s3
	s_cbranch_execz .LBB204_21
; %bb.27:                               ;   in Loop: Header=BB204_24 Depth=2
	s_clause 0x3
	flat_load_b32 v32, v[30:31] offset:512
	flat_load_b32 v33, v[28:29] offset:512
	;; [unrolled: 1-line block ×4, first 2 shown]
	s_wait_xcnt 0x0
	s_and_saveexec_b32 s48, s4
	s_cbranch_execz .LBB204_20
; %bb.28:                               ;   in Loop: Header=BB204_24 Depth=2
	s_clause 0x3
	flat_load_b32 v58, v[30:31] offset:768
	flat_load_b32 v59, v[28:29] offset:768
	;; [unrolled: 1-line block ×4, first 2 shown]
	s_wait_loadcnt_dscnt 0x202
	s_wait_xcnt 0x1
	v_pk_mul_f32 v[26:27], v[16:17], v[58:59]
	s_delay_alu instid0(VALU_DEP_1) | instskip(NEXT) | instid1(VALU_DEP_1)
	v_add_f32_e32 v26, v51, v26
	v_add_f32_e32 v28, v26, v27
	s_wait_loadcnt_dscnt 0x0
	v_pk_mul_f32 v[26:27], v[12:13], v[60:61]
	s_delay_alu instid0(VALU_DEP_1) | instskip(NEXT) | instid1(VALU_DEP_1)
	v_add_f32_e32 v26, v28, v26
	v_add_f32_e32 v51, v26, v27
	s_branch .LBB204_20
.LBB204_29:                             ;   in Loop: Header=BB204_4 Depth=1
	s_or_b32 exec_lo, exec_lo, s43
.LBB204_30:                             ;   in Loop: Header=BB204_4 Depth=1
	s_delay_alu instid0(SALU_CYCLE_1) | instskip(NEXT) | instid1(SALU_CYCLE_1)
	s_or_b32 exec_lo, exec_lo, s7
	s_and_not1_b32 vcc_lo, exec_lo, s38
	s_cbranch_vccnz .LBB204_48
; %bb.31:                               ;   in Loop: Header=BB204_4 Depth=1
	v_dual_mov_b32 v14, 0 :: v_dual_bitop2_b32 v16, 1, v52 bitop3:0x54
	v_cmp_gt_i32_e32 vcc_lo, s9, v52
	s_delay_alu instid0(VALU_DEP_2)
	v_dual_mov_b32 v15, v14 :: v_dual_mov_b32 v12, v14
	v_mov_b32_e32 v13, v14
	s_and_saveexec_b32 s43, vcc_lo
	s_cbranch_execz .LBB204_39
; %bb.32:                               ;   in Loop: Header=BB204_4 Depth=1
	v_mul_lo_u32 v12, v52, s35
	v_readfirstlane_b32 s44, v10
	v_readfirstlane_b32 s45, v11
	v_dual_mov_b32 v13, 0 :: v_dual_mov_b32 v15, 0
	v_mov_b32_e32 v14, 0
	flat_load_b32 v12, v12, s[44:45] scale_offset
	s_wait_xcnt 0x0
	s_mov_b32 s44, exec_lo
	v_cmpx_gt_i32_e64 s9, v16
	s_cbranch_execz .LBB204_38
; %bb.33:                               ;   in Loop: Header=BB204_4 Depth=1
	v_mul_lo_u32 v13, v16, s35
	v_readfirstlane_b32 s46, v10
	v_readfirstlane_b32 s47, v11
	v_dual_mov_b32 v15, 0 :: v_dual_bitop2_b32 v17, 2, v52 bitop3:0x54
	v_mov_b32_e32 v14, 0
	s_mov_b32 s45, exec_lo
	flat_load_b32 v13, v13, s[46:47] scale_offset
	s_wait_xcnt 0x0
	v_cmpx_gt_i32_e64 s9, v17
	s_cbranch_execz .LBB204_37
; %bb.34:                               ;   in Loop: Header=BB204_4 Depth=1
	v_mul_lo_u32 v14, v17, s35
	v_readfirstlane_b32 s46, v10
	v_readfirstlane_b32 s47, v11
	v_dual_mov_b32 v15, 0 :: v_dual_bitop2_b32 v17, 3, v52 bitop3:0x54
	flat_load_b32 v14, v14, s[46:47] scale_offset
	s_wait_xcnt 0x0
	s_mov_b32 s46, exec_lo
	v_cmpx_gt_i32_e64 s9, v17
	s_cbranch_execz .LBB204_36
; %bb.35:                               ;   in Loop: Header=BB204_4 Depth=1
	v_mul_lo_u32 v15, v17, s35
	v_readfirstlane_b32 s48, v10
	v_readfirstlane_b32 s49, v11
	flat_load_b32 v15, v15, s[48:49] scale_offset
.LBB204_36:                             ;   in Loop: Header=BB204_4 Depth=1
	s_wait_xcnt 0x0
	s_or_b32 exec_lo, exec_lo, s46
.LBB204_37:                             ;   in Loop: Header=BB204_4 Depth=1
	s_delay_alu instid0(SALU_CYCLE_1)
	s_or_b32 exec_lo, exec_lo, s45
.LBB204_38:                             ;   in Loop: Header=BB204_4 Depth=1
	s_delay_alu instid0(SALU_CYCLE_1)
	s_or_b32 exec_lo, exec_lo, s44
.LBB204_39:                             ;   in Loop: Header=BB204_4 Depth=1
	s_delay_alu instid0(SALU_CYCLE_1)
	s_or_b32 exec_lo, exec_lo, s43
	s_and_saveexec_b32 s7, s1
	s_cbranch_execz .LBB204_47
; %bb.40:                               ;   in Loop: Header=BB204_4 Depth=1
	v_mul_lo_u32 v11, v52, s34
	v_mul_lo_u32 v18, v16, s34
	v_or_b32_e32 v10, 2, v52
	v_readfirstlane_b32 s44, v8
	v_readfirstlane_b32 s45, v9
	v_cndmask_b32_e32 v11, 0, v11, vcc_lo
	s_delay_alu instid0(VALU_DEP_4) | instskip(SKIP_2) | instid1(VALU_DEP_1)
	v_mul_lo_u32 v19, v10, s34
	v_cmp_gt_i32_e32 vcc_lo, s9, v16
	v_dual_cndmask_b32 v16, 0, v18, vcc_lo :: v_dual_bitop2_b32 v17, 3, v52 bitop3:0x54
	v_mul_lo_u32 v20, v17, s34
	v_cmp_gt_i32_e32 vcc_lo, s9, v10
	s_delay_alu instid0(VALU_DEP_3) | instskip(SKIP_1) | instid1(VALU_DEP_4)
	v_dual_add_nc_u32 v22, v16, v37 :: v_dual_cndmask_b32 v10, 0, v19, vcc_lo
	v_cmp_gt_i32_e32 vcc_lo, s9, v17
	v_dual_cndmask_b32 v17, 0, v20 :: v_dual_add_nc_u32 v20, v11, v37
	s_delay_alu instid0(VALU_DEP_1)
	v_dual_add_nc_u32 v26, v10, v37 :: v_dual_add_nc_u32 v18, v17, v37
	s_clause 0x3
	flat_load_b32 v16, v20, s[44:45] scale_offset
	flat_load_b32 v17, v22, s[44:45] scale_offset
	;; [unrolled: 1-line block ×4, first 2 shown]
	s_wait_xcnt 0x0
	s_and_saveexec_b32 s43, s2
	s_cbranch_execz .LBB204_46
; %bb.41:                               ;   in Loop: Header=BB204_4 Depth=1
	v_dual_ashrrev_i32 v21, 31, v20 :: v_dual_ashrrev_i32 v23, 31, v22
	v_ashrrev_i32_e32 v27, 31, v26
	v_ashrrev_i32_e32 v19, 31, v18
	s_delay_alu instid0(VALU_DEP_3) | instskip(NEXT) | instid1(VALU_DEP_4)
	v_lshl_add_u64 v[24:25], v[20:21], 2, v[8:9]
	v_lshl_add_u64 v[22:23], v[22:23], 2, v[8:9]
	s_delay_alu instid0(VALU_DEP_4) | instskip(NEXT) | instid1(VALU_DEP_4)
	v_lshl_add_u64 v[28:29], v[26:27], 2, v[8:9]
	v_lshl_add_u64 v[30:31], v[18:19], 2, v[8:9]
	s_clause 0x3
	flat_load_b32 v18, v[24:25] offset:256
	flat_load_b32 v19, v[22:23] offset:256
	;; [unrolled: 1-line block ×4, first 2 shown]
	s_wait_xcnt 0x0
	s_and_saveexec_b32 s44, s3
	s_cbranch_execz .LBB204_45
; %bb.42:                               ;   in Loop: Header=BB204_4 Depth=1
	s_clause 0x3
	flat_load_b32 v26, v[24:25] offset:512
	flat_load_b32 v27, v[22:23] offset:512
	flat_load_b32 v20, v[28:29] offset:512
	flat_load_b32 v21, v[30:31] offset:512
	s_wait_xcnt 0x0
	s_and_saveexec_b32 s45, s4
	s_cbranch_execz .LBB204_44
; %bb.43:                               ;   in Loop: Header=BB204_4 Depth=1
	s_clause 0x3
	flat_load_b32 v32, v[24:25] offset:768
	flat_load_b32 v33, v[22:23] offset:768
	;; [unrolled: 1-line block ×4, first 2 shown]
	s_wait_loadcnt_dscnt 0x202
	s_wait_xcnt 0x2
	v_pk_mul_f32 v[22:23], v[12:13], v[32:33]
	s_delay_alu instid0(VALU_DEP_1) | instskip(NEXT) | instid1(VALU_DEP_1)
	v_add_f32_e32 v22, v51, v22
	v_add_f32_e32 v24, v22, v23
	s_wait_loadcnt_dscnt 0x0
	v_pk_mul_f32 v[22:23], v[14:15], v[34:35]
	s_delay_alu instid0(VALU_DEP_1) | instskip(NEXT) | instid1(VALU_DEP_1)
	v_add_f32_e32 v22, v24, v22
	v_add_f32_e32 v51, v22, v23
.LBB204_44:                             ;   in Loop: Header=BB204_4 Depth=1
	s_wait_xcnt 0x0
	s_or_b32 exec_lo, exec_lo, s45
	s_wait_loadcnt_dscnt 0x202
	v_pk_mul_f32 v[22:23], v[12:13], v[26:27]
	s_wait_loadcnt_dscnt 0x0
	v_pk_mul_f32 v[20:21], v[14:15], v[20:21]
	s_delay_alu instid0(VALU_DEP_2) | instskip(NEXT) | instid1(VALU_DEP_1)
	v_add_f32_e32 v22, v50, v22
	v_add_f32_e32 v22, v22, v23
	s_delay_alu instid0(VALU_DEP_1) | instskip(NEXT) | instid1(VALU_DEP_1)
	v_add_f32_e32 v20, v22, v20
	v_add_f32_e32 v50, v20, v21
.LBB204_45:                             ;   in Loop: Header=BB204_4 Depth=1
	s_or_b32 exec_lo, exec_lo, s44
	s_wait_loadcnt_dscnt 0x202
	v_pk_mul_f32 v[18:19], v[12:13], v[18:19]
	s_wait_loadcnt_dscnt 0x0
	v_pk_mul_f32 v[8:9], v[14:15], v[8:9]
	s_delay_alu instid0(VALU_DEP_2) | instskip(NEXT) | instid1(VALU_DEP_1)
	v_add_f32_e32 v18, v49, v18
	v_add_f32_e32 v18, v18, v19
	s_delay_alu instid0(VALU_DEP_1) | instskip(NEXT) | instid1(VALU_DEP_1)
	v_add_f32_e32 v8, v18, v8
	v_add_f32_e32 v49, v8, v9
.LBB204_46:                             ;   in Loop: Header=BB204_4 Depth=1
	s_or_b32 exec_lo, exec_lo, s43
	s_wait_loadcnt_dscnt 0x202
	v_pk_mul_f32 v[8:9], v[12:13], v[16:17]
	s_delay_alu instid0(VALU_DEP_1) | instskip(NEXT) | instid1(VALU_DEP_1)
	v_add_f32_e32 v8, v48, v8
	v_add_f32_e32 v12, v8, v9
	s_wait_loadcnt_dscnt 0x0
	v_pk_mul_f32 v[8:9], v[14:15], v[10:11]
	s_delay_alu instid0(VALU_DEP_1) | instskip(NEXT) | instid1(VALU_DEP_1)
	v_add_f32_e32 v8, v12, v8
	v_add_f32_e32 v48, v8, v9
.LBB204_47:                             ;   in Loop: Header=BB204_4 Depth=1
	s_or_b32 exec_lo, exec_lo, s7
.LBB204_48:                             ;   in Loop: Header=BB204_4 Depth=1
	ds_store_2addr_stride64_b32 v0, v48, v49 offset1:1
	ds_store_2addr_stride64_b32 v0, v50, v51 offset0:2 offset1:3
	s_wait_loadcnt_dscnt 0x0
	s_barrier_signal -1
	s_barrier_wait -1
                                        ; implicit-def: $vgpr12
	s_and_saveexec_b32 s7, s5
	s_cbranch_execz .LBB204_54
; %bb.49:                               ;   in Loop: Header=BB204_4 Depth=1
	ds_load_2addr_stride64_b32 v[8:9], v38 offset1:4
	ds_load_2addr_stride64_b32 v[10:11], v38 offset0:8 offset1:12
	ds_load_2addr_stride64_b32 v[12:13], v38 offset0:16 offset1:20
	s_mov_b32 s44, s8
	s_wait_dscnt 0x2
	v_add_f32_e32 v14, v8, v9
	ds_load_2addr_stride64_b32 v[8:9], v38 offset0:24 offset1:28
	s_wait_dscnt 0x2
	v_add_f32_e32 v10, v10, v14
	s_delay_alu instid0(VALU_DEP_1) | instskip(SKIP_3) | instid1(VALU_DEP_1)
	v_add_f32_e32 v14, v11, v10
	ds_load_2addr_stride64_b32 v[10:11], v38 offset0:32 offset1:36
	s_wait_dscnt 0x2
	v_add_f32_e32 v12, v12, v14
	v_add_f32_e32 v14, v13, v12
	ds_load_2addr_stride64_b32 v[12:13], v38 offset0:40 offset1:44
	s_wait_dscnt 0x2
	v_add_f32_e32 v8, v8, v14
	s_delay_alu instid0(VALU_DEP_1) | instskip(SKIP_1) | instid1(VALU_DEP_1)
	v_add_f32_e32 v8, v9, v8
	s_wait_dscnt 0x1
	v_add_f32_e32 v10, v10, v8
	ds_load_2addr_stride64_b32 v[8:9], v38 offset0:48 offset1:52
	v_add_f32_e32 v10, v11, v10
	s_wait_dscnt 0x1
	s_delay_alu instid0(VALU_DEP_1) | instskip(SKIP_3) | instid1(VALU_DEP_1)
	v_add_f32_e32 v12, v12, v10
	ds_load_2addr_stride64_b32 v[10:11], v38 offset0:56 offset1:60
	v_add_f32_e32 v12, v13, v12
	s_wait_dscnt 0x1
	v_add_f32_e32 v8, v8, v12
                                        ; implicit-def: $vgpr12
	s_delay_alu instid0(VALU_DEP_1) | instskip(SKIP_1) | instid1(VALU_DEP_1)
	v_add_f32_e32 v8, v9, v8
	s_wait_dscnt 0x0
	v_add_f32_e32 v8, v10, v8
	s_delay_alu instid0(VALU_DEP_1)
	v_add_f32_e32 v8, v11, v8
	ds_store_b32 v38, v8
	s_and_saveexec_b32 s43, s6
	s_cbranch_execz .LBB204_53
; %bb.50:                               ;   in Loop: Header=BB204_4 Depth=1
	v_mul_f32_e32 v12, v47, v8
	s_cmp_eq_f32 s42, 0
	s_cbranch_scc1 .LBB204_52
; %bb.51:                               ;   in Loop: Header=BB204_4 Depth=1
	v_lshl_add_u64 v[8:9], v[4:5], 2, v[6:7]
	flat_load_b32 v8, v[8:9]
	s_wait_loadcnt_dscnt 0x0
	v_fmac_f32_e32 v12, s42, v8
.LBB204_52:                             ;   in Loop: Header=BB204_4 Depth=1
	s_or_b32 s44, s8, exec_lo
.LBB204_53:                             ;   in Loop: Header=BB204_4 Depth=1
	s_wait_xcnt 0x0
	s_or_b32 exec_lo, exec_lo, s43
	s_delay_alu instid0(SALU_CYCLE_1) | instskip(SKIP_1) | instid1(SALU_CYCLE_1)
	s_and_not1_b32 s8, s8, exec_lo
	s_and_b32 s42, s44, exec_lo
	s_or_b32 s8, s8, s42
.LBB204_54:                             ;   in Loop: Header=BB204_4 Depth=1
	s_or_b32 exec_lo, exec_lo, s7
	v_mov_b64_e32 v[8:9], v[4:5]
	s_and_saveexec_b32 s7, s8
	s_cbranch_execz .LBB204_2
.LBB204_55:                             ;   in Loop: Header=BB204_4 Depth=1
	s_delay_alu instid0(VALU_DEP_1)
	v_lshl_add_u64 v[6:7], v[8:9], 2, v[6:7]
	flat_store_b32 v[6:7], v12
	s_branch .LBB204_2
.LBB204_56:
	s_endpgm
	.section	.rodata,"a",@progbits
	.p2align	6, 0x0
	.amdhsa_kernel _ZL20rocblas_gemvn_kernelILi64ELi16EiPKfS1_KPfEviiT3_lPKT2_lT1_lS7_lS8_lS4_lPT4_lS8_li
		.amdhsa_group_segment_fixed_size 16384
		.amdhsa_private_segment_fixed_size 0
		.amdhsa_kernarg_size 400
		.amdhsa_user_sgpr_count 2
		.amdhsa_user_sgpr_dispatch_ptr 0
		.amdhsa_user_sgpr_queue_ptr 0
		.amdhsa_user_sgpr_kernarg_segment_ptr 1
		.amdhsa_user_sgpr_dispatch_id 0
		.amdhsa_user_sgpr_kernarg_preload_length 0
		.amdhsa_user_sgpr_kernarg_preload_offset 0
		.amdhsa_user_sgpr_private_segment_size 0
		.amdhsa_wavefront_size32 1
		.amdhsa_uses_dynamic_stack 0
		.amdhsa_enable_private_segment 0
		.amdhsa_system_sgpr_workgroup_id_x 1
		.amdhsa_system_sgpr_workgroup_id_y 0
		.amdhsa_system_sgpr_workgroup_id_z 1
		.amdhsa_system_sgpr_workgroup_info 0
		.amdhsa_system_vgpr_workitem_id 1
		.amdhsa_next_free_vgpr 62
		.amdhsa_next_free_sgpr 50
		.amdhsa_named_barrier_count 0
		.amdhsa_reserve_vcc 1
		.amdhsa_float_round_mode_32 0
		.amdhsa_float_round_mode_16_64 0
		.amdhsa_float_denorm_mode_32 3
		.amdhsa_float_denorm_mode_16_64 3
		.amdhsa_fp16_overflow 0
		.amdhsa_memory_ordered 1
		.amdhsa_forward_progress 1
		.amdhsa_inst_pref_size 24
		.amdhsa_round_robin_scheduling 0
		.amdhsa_exception_fp_ieee_invalid_op 0
		.amdhsa_exception_fp_denorm_src 0
		.amdhsa_exception_fp_ieee_div_zero 0
		.amdhsa_exception_fp_ieee_overflow 0
		.amdhsa_exception_fp_ieee_underflow 0
		.amdhsa_exception_fp_ieee_inexact 0
		.amdhsa_exception_int_div_zero 0
	.end_amdhsa_kernel
	.section	.text._ZL20rocblas_gemvn_kernelILi64ELi16EiPKfS1_KPfEviiT3_lPKT2_lT1_lS7_lS8_lS4_lPT4_lS8_li,"axG",@progbits,_ZL20rocblas_gemvn_kernelILi64ELi16EiPKfS1_KPfEviiT3_lPKT2_lT1_lS7_lS8_lS4_lPT4_lS8_li,comdat
.Lfunc_end204:
	.size	_ZL20rocblas_gemvn_kernelILi64ELi16EiPKfS1_KPfEviiT3_lPKT2_lT1_lS7_lS8_lS4_lPT4_lS8_li, .Lfunc_end204-_ZL20rocblas_gemvn_kernelILi64ELi16EiPKfS1_KPfEviiT3_lPKT2_lT1_lS7_lS8_lS4_lPT4_lS8_li
                                        ; -- End function
	.set _ZL20rocblas_gemvn_kernelILi64ELi16EiPKfS1_KPfEviiT3_lPKT2_lT1_lS7_lS8_lS4_lPT4_lS8_li.num_vgpr, 62
	.set _ZL20rocblas_gemvn_kernelILi64ELi16EiPKfS1_KPfEviiT3_lPKT2_lT1_lS7_lS8_lS4_lPT4_lS8_li.num_agpr, 0
	.set _ZL20rocblas_gemvn_kernelILi64ELi16EiPKfS1_KPfEviiT3_lPKT2_lT1_lS7_lS8_lS4_lPT4_lS8_li.numbered_sgpr, 50
	.set _ZL20rocblas_gemvn_kernelILi64ELi16EiPKfS1_KPfEviiT3_lPKT2_lT1_lS7_lS8_lS4_lPT4_lS8_li.num_named_barrier, 0
	.set _ZL20rocblas_gemvn_kernelILi64ELi16EiPKfS1_KPfEviiT3_lPKT2_lT1_lS7_lS8_lS4_lPT4_lS8_li.private_seg_size, 0
	.set _ZL20rocblas_gemvn_kernelILi64ELi16EiPKfS1_KPfEviiT3_lPKT2_lT1_lS7_lS8_lS4_lPT4_lS8_li.uses_vcc, 1
	.set _ZL20rocblas_gemvn_kernelILi64ELi16EiPKfS1_KPfEviiT3_lPKT2_lT1_lS7_lS8_lS4_lPT4_lS8_li.uses_flat_scratch, 1
	.set _ZL20rocblas_gemvn_kernelILi64ELi16EiPKfS1_KPfEviiT3_lPKT2_lT1_lS7_lS8_lS4_lPT4_lS8_li.has_dyn_sized_stack, 0
	.set _ZL20rocblas_gemvn_kernelILi64ELi16EiPKfS1_KPfEviiT3_lPKT2_lT1_lS7_lS8_lS4_lPT4_lS8_li.has_recursion, 0
	.set _ZL20rocblas_gemvn_kernelILi64ELi16EiPKfS1_KPfEviiT3_lPKT2_lT1_lS7_lS8_lS4_lPT4_lS8_li.has_indirect_call, 0
	.section	.AMDGPU.csdata,"",@progbits
; Kernel info:
; codeLenInByte = 3072
; TotalNumSgprs: 52
; NumVgprs: 62
; ScratchSize: 0
; MemoryBound: 0
; FloatMode: 240
; IeeeMode: 1
; LDSByteSize: 16384 bytes/workgroup (compile time only)
; SGPRBlocks: 0
; VGPRBlocks: 3
; NumSGPRsForWavesPerEU: 52
; NumVGPRsForWavesPerEU: 62
; NamedBarCnt: 0
; Occupancy: 16
; WaveLimiterHint : 1
; COMPUTE_PGM_RSRC2:SCRATCH_EN: 0
; COMPUTE_PGM_RSRC2:USER_SGPR: 2
; COMPUTE_PGM_RSRC2:TRAP_HANDLER: 0
; COMPUTE_PGM_RSRC2:TGID_X_EN: 1
; COMPUTE_PGM_RSRC2:TGID_Y_EN: 0
; COMPUTE_PGM_RSRC2:TGID_Z_EN: 1
; COMPUTE_PGM_RSRC2:TIDIG_COMP_CNT: 1
	.section	.text._ZL20rocblas_gemvn_kernelILi64ELi16ElPKfS1_KPfEviiT3_lPKT2_lT1_lS7_lS8_lS4_lPT4_lS8_li,"axG",@progbits,_ZL20rocblas_gemvn_kernelILi64ELi16ElPKfS1_KPfEviiT3_lPKT2_lT1_lS7_lS8_lS4_lPT4_lS8_li,comdat
	.globl	_ZL20rocblas_gemvn_kernelILi64ELi16ElPKfS1_KPfEviiT3_lPKT2_lT1_lS7_lS8_lS4_lPT4_lS8_li ; -- Begin function _ZL20rocblas_gemvn_kernelILi64ELi16ElPKfS1_KPfEviiT3_lPKT2_lT1_lS7_lS8_lS4_lPT4_lS8_li
	.p2align	8
	.type	_ZL20rocblas_gemvn_kernelILi64ELi16ElPKfS1_KPfEviiT3_lPKT2_lT1_lS7_lS8_lS4_lPT4_lS8_li,@function
_ZL20rocblas_gemvn_kernelILi64ELi16ElPKfS1_KPfEviiT3_lPKT2_lT1_lS7_lS8_lS4_lPT4_lS8_li: ; @_ZL20rocblas_gemvn_kernelILi64ELi16ElPKfS1_KPfEviiT3_lPKT2_lT1_lS7_lS8_lS4_lPT4_lS8_li
; %bb.0:
	s_clause 0x1
	s_load_b64 s[2:3], s[0:1], 0x9c
	s_load_b32 s33, s[0:1], 0x88
	s_bfe_u32 s4, ttmp6, 0x40014
	s_lshr_b32 s5, ttmp7, 16
	s_add_co_i32 s4, s4, 1
	s_bfe_u32 s6, ttmp6, 0x40008
	s_mul_i32 s7, s5, s4
	s_getreg_b32 s4, hwreg(HW_REG_IB_STS2, 6, 4)
	s_add_co_i32 s6, s6, s7
	s_mov_b32 s11, 0
	s_wait_kmcnt 0x0
	s_lshr_b32 s7, s2, 16
	s_and_b32 s2, s2, 0xffff
	s_and_b32 s3, s3, 0xffff
	s_mul_i32 s2, s7, s2
	s_cmp_eq_u32 s4, 0
	s_mul_i32 s2, s2, s3
	s_cselect_b32 s10, s5, s6
	s_cmp_lg_u32 s2, 0x400
	s_cselect_b32 s2, -1, 0
	s_cmp_ge_u32 s10, s33
	s_cselect_b32 s3, -1, 0
	s_delay_alu instid0(SALU_CYCLE_1) | instskip(NEXT) | instid1(SALU_CYCLE_1)
	s_or_b32 s2, s2, s3
	s_and_b32 vcc_lo, exec_lo, s2
	s_cbranch_vccnz .LBB205_56
; %bb.1:
	s_clause 0x2
	s_load_b64 s[34:35], s[0:1], 0x0
	s_load_b64 s[36:37], s[0:1], 0x28
	;; [unrolled: 1-line block ×3, first 2 shown]
	s_bfe_u32 s5, ttmp6, 0x4000c
	v_and_b32_e32 v28, 0x3ff, v0
	s_add_co_i32 s5, s5, 1
	v_bfe_u32 v6, v0, 10, 10
	s_clause 0x1
	s_load_b64 s[38:39], s[0:1], 0x48
	s_load_b128 s[28:31], s[0:1], 0x38
	s_and_b32 s6, ttmp6, 15
	s_mul_i32 s5, ttmp9, s5
	v_lshl_add_u32 v29, v6, 6, v28
	s_add_co_i32 s6, s6, s5
	s_cmp_eq_u32 s4, 0
	s_load_b256 s[12:19], s[0:1], 0x8
	s_cselect_b32 s4, ttmp9, s6
	s_load_b256 s[20:27], s[0:1], 0x58
	s_lshl_b32 s6, s4, 8
	s_delay_alu instid0(SALU_CYCLE_1)
	v_dual_mov_b32 v1, 0 :: v_dual_add_nc_u32 v0, s6, v29
	v_lshlrev_b32_e32 v64, 2, v6
	s_wait_kmcnt 0x0
	s_ashr_i32 s5, s34, 31
	s_mov_b32 s4, s34
	v_mov_b32_e32 v7, v1
	v_mul_u64_e32 v[2:3], s[2:3], v[0:1]
	v_cmp_gt_i64_e32 vcc_lo, s[4:5], v[0:1]
	v_dual_add_nc_u32 v14, s6, v28 :: v_dual_bitop2_b32 v16, s6, v29 bitop3:0x54
	v_or_b32_e32 v0, 3, v64
	v_mul_u64_e32 v[8:9], s[38:39], v[6:7]
	v_mul_u64_e32 v[18:19], s[36:37], v[6:7]
	s_delay_alu instid0(VALU_DEP_4) | instskip(NEXT) | instid1(VALU_DEP_4)
	v_dual_ashrrev_i32 v15, 31, v14 :: v_dual_ashrrev_i32 v17, 31, v16
	v_mul_u64_e32 v[10:11], s[36:37], v[0:1]
	v_mul_u64_e32 v[12:13], s[38:39], v[0:1]
	v_or_b32_e32 v0, 2, v64
	v_mad_nc_u64_u32 v[24:25], s38, v64, s[38:39]
	v_mad_nc_u64_u32 v[26:27], s36, v64, s[36:37]
	s_ashr_i32 s4, s35, 31
	v_add_nc_u32_e32 v7, 0x80, v14
	v_mul_u64_e32 v[20:21], s[36:37], v[0:1]
	v_mul_u64_e32 v[22:23], s[38:39], v[0:1]
	v_add_nc_u32_e32 v0, 64, v14
	v_mul_u64_e32 v[4:5], s[2:3], v[16:17]
	s_lshr_b32 s4, s4, 26
	v_add_nc_u32_e32 v17, 0xc0, v14
	s_add_co_i32 s44, s35, s4
	v_mad_u32 v25, s39, v64, v25
	v_mad_u32 v27, s37, v64, v27
	v_cmp_gt_i32_e64 s2, s34, v0
	v_lshlrev_b32_e32 v0, 2, v28
	s_and_not1_b32 s44, s44, 63
	v_cmp_gt_i32_e64 s1, s34, v14
	s_sub_co_i32 s4, s35, s44
	v_cmp_gt_i32_e64 s3, s34, v7
	s_cmp_gt_i32 s4, 0
	v_cmp_gt_i32_e64 s4, s34, v17
	v_lshl_add_u32 v65, v6, 10, v0
	v_cmp_gt_u32_e64 s5, 0x100, v29
	v_lshl_add_u32 v66, v6, 8, v0
	v_cmp_gt_i32_e64 s6, s34, v16
	v_lshlrev_b64_e32 v[6:7], 4, v[8:9]
	v_lshlrev_b64_e32 v[8:9], 2, v[14:15]
	;; [unrolled: 1-line block ×3, first 2 shown]
	v_cmp_gt_i32_e64 s0, s44, v64
	v_lshlrev_b64_e32 v[10:11], 2, v[10:11]
	v_lshlrev_b64_e32 v[12:13], 2, v[12:13]
	s_cselect_b32 s45, -1, 0
	s_and_b32 s34, s5, vcc_lo
	s_lshl_b64 s[40:41], s[38:39], 8
	s_lshl_b64 s[42:43], s[36:37], 8
	;; [unrolled: 1-line block ×3, first 2 shown]
	v_lshlrev_b64_e32 v[16:17], 2, v[20:21]
	v_lshlrev_b64_e32 v[18:19], 2, v[22:23]
	;; [unrolled: 1-line block ×4, first 2 shown]
	s_lshl_b64 s[30:31], s[30:31], 2
	s_lshl_b64 s[26:27], s[26:27], 2
	s_branch .LBB205_4
.LBB205_2:                              ;   in Loop: Header=BB205_4 Depth=1
	s_wait_xcnt 0x0
	s_or_b32 exec_lo, exec_lo, s7
.LBB205_3:                              ;   in Loop: Header=BB205_4 Depth=1
	s_add_co_i32 s10, s10, 0x10000
	s_delay_alu instid0(SALU_CYCLE_1)
	s_cmp_lt_u32 s10, s33
	s_cbranch_scc0 .LBB205_56
.LBB205_4:                              ; =>This Loop Header: Depth=1
                                        ;     Child Loop BB205_24 Depth 2
	s_mul_u64 s[8:9], s[14:15], s[10:11]
	s_mul_u64 s[46:47], s[22:23], s[10:11]
	s_lshl_b64 s[8:9], s[8:9], 2
	s_lshl_b64 s[46:47], s[46:47], 2
	s_add_nc_u64 s[8:9], s[12:13], s[8:9]
	s_add_nc_u64 s[46:47], s[20:21], s[46:47]
	s_clause 0x1
	global_load_b32 v67, v1, s[8:9]
	global_load_b32 v0, v1, s[46:47]
	s_wait_loadcnt 0x1
	v_cmp_eq_f32_e64 s7, 0, v67
	s_wait_loadcnt 0x0
	v_cmp_eq_f32_e32 vcc_lo, 1.0, v0
	s_wait_xcnt 0x0
	v_readfirstlane_b32 s46, v0
	s_and_b32 s8, s7, vcc_lo
	s_delay_alu instid0(SALU_CYCLE_1)
	s_and_b32 vcc_lo, exec_lo, s8
	s_cbranch_vccnz .LBB205_3
; %bb.5:                                ;   in Loop: Header=BB205_4 Depth=1
	v_mov_b64_e32 v[28:29], 0
	v_mov_b64_e32 v[26:27], 0
	v_cmp_neq_f32_e64 s8, 0, v67
	s_and_b32 vcc_lo, exec_lo, s7
	s_cbranch_vccnz .LBB205_7
; %bb.6:                                ;   in Loop: Header=BB205_4 Depth=1
	s_lshl_b64 s[48:49], s[10:11], 3
	s_delay_alu instid0(SALU_CYCLE_1)
	s_add_nc_u64 s[48:49], s[16:17], s[48:49]
	global_load_b64 v[24:25], v1, s[48:49]
	s_wait_loadcnt 0x0
	v_add_nc_u64_e32 v[26:27], s[18:19], v[24:25]
.LBB205_7:                              ;   in Loop: Header=BB205_4 Depth=1
	s_and_not1_b32 vcc_lo, exec_lo, s8
	s_cbranch_vccnz .LBB205_9
; %bb.8:                                ;   in Loop: Header=BB205_4 Depth=1
	s_lshl_b64 s[8:9], s[10:11], 3
	s_delay_alu instid0(SALU_CYCLE_1)
	s_add_nc_u64 s[8:9], s[28:29], s[8:9]
	global_load_b64 v[24:25], v1, s[8:9]
	s_wait_loadcnt 0x0
	v_add_nc_u64_e32 v[28:29], s[30:31], v[24:25]
.LBB205_9:                              ;   in Loop: Header=BB205_4 Depth=1
	s_wait_xcnt 0x0
	s_lshl_b64 s[8:9], s[10:11], 3
	s_and_not1_b32 vcc_lo, exec_lo, s7
	s_add_nc_u64 s[8:9], s[24:25], s[8:9]
	global_load_b64 v[24:25], v1, s[8:9]
	s_wait_loadcnt 0x0
	v_add_nc_u64_e32 v[24:25], s[26:27], v[24:25]
	s_cbranch_vccnz .LBB205_13
; %bb.10:                               ;   in Loop: Header=BB205_4 Depth=1
	s_mov_b32 s7, 0
	s_mov_b32 s47, 0
                                        ; implicit-def: $vgpr0
	s_wait_xcnt 0x0
	s_and_saveexec_b32 s8, s34
	s_cbranch_execz .LBB205_14
; %bb.11:                               ;   in Loop: Header=BB205_4 Depth=1
	s_cmp_eq_f32 s46, 0
	s_cbranch_scc1 .LBB205_16
; %bb.12:                               ;   in Loop: Header=BB205_4 Depth=1
	v_lshl_add_u64 v[30:31], v[2:3], 2, v[24:25]
	flat_load_b32 v0, v[30:31]
	s_wait_loadcnt_dscnt 0x0
	v_mul_f32_e32 v0, s46, v0
	s_branch .LBB205_17
.LBB205_13:                             ;   in Loop: Header=BB205_4 Depth=1
	s_mov_b32 s47, 0
                                        ; implicit-def: $vgpr0
	s_cbranch_execz .LBB205_15
	s_branch .LBB205_18
.LBB205_14:                             ;   in Loop: Header=BB205_4 Depth=1
	s_or_b32 exec_lo, exec_lo, s8
	s_delay_alu instid0(SALU_CYCLE_1)
	s_and_b32 vcc_lo, exec_lo, s7
	s_cbranch_vccnz .LBB205_18
.LBB205_15:                             ;   in Loop: Header=BB205_4 Depth=1
	v_mov_b64_e32 v[26:27], v[2:3]
	s_wait_xcnt 0x0
	s_and_saveexec_b32 s7, s47
	s_cbranch_execz .LBB205_2
	s_branch .LBB205_55
.LBB205_16:                             ;   in Loop: Header=BB205_4 Depth=1
	v_mov_b32_e32 v0, 0
.LBB205_17:                             ;   in Loop: Header=BB205_4 Depth=1
	s_mov_b32 s47, exec_lo
	s_wait_xcnt 0x0
	s_or_b32 exec_lo, exec_lo, s8
	s_delay_alu instid0(SALU_CYCLE_1)
	s_and_b32 vcc_lo, exec_lo, s7
	s_cbranch_vccz .LBB205_15
.LBB205_18:                             ;   in Loop: Header=BB205_4 Depth=1
	v_dual_mov_b32 v68, 0 :: v_dual_mov_b32 v0, v64
	v_dual_mov_b32 v69, 0 :: v_dual_mov_b32 v70, 0
	v_mov_b32_e32 v71, 0
	s_wait_xcnt 0x0
	s_and_saveexec_b32 s7, s0
	s_cbranch_execz .LBB205_30
; %bb.19:                               ;   in Loop: Header=BB205_4 Depth=1
	v_add_nc_u64_e32 v[30:31], v[26:27], v[10:11]
	v_add_nc_u64_e32 v[32:33], v[26:27], v[14:15]
	;; [unrolled: 1-line block ×4, first 2 shown]
	v_mov_b64_e32 v[38:39], v[28:29]
	v_dual_mov_b32 v68, 0 :: v_dual_mov_b32 v0, v64
	v_dual_mov_b32 v69, 0 :: v_dual_mov_b32 v70, 0
	v_mov_b32_e32 v71, 0
	s_mov_b32 s8, 0
	s_branch .LBB205_24
.LBB205_20:                             ;   in Loop: Header=BB205_24 Depth=2
	s_wait_xcnt 0x0
	s_or_b32 exec_lo, exec_lo, s50
	s_wait_loadcnt_dscnt 0x202
	v_pk_mul_f32 v[52:53], v[42:43], v[62:63]
	s_delay_alu instid0(VALU_DEP_1) | instskip(NEXT) | instid1(VALU_DEP_1)
	v_add_f32_e32 v52, v70, v52
	v_add_f32_e32 v54, v52, v53
	s_wait_loadcnt_dscnt 0x0
	v_pk_mul_f32 v[52:53], v[40:41], v[60:61]
	s_delay_alu instid0(VALU_DEP_1) | instskip(NEXT) | instid1(VALU_DEP_1)
	v_add_f32_e32 v52, v54, v52
	v_add_f32_e32 v70, v52, v53
.LBB205_21:                             ;   in Loop: Header=BB205_24 Depth=2
	s_or_b32 exec_lo, exec_lo, s49
	s_wait_loadcnt_dscnt 0x202
	v_pk_mul_f32 v[50:51], v[42:43], v[50:51]
	s_wait_loadcnt_dscnt 0x0
	v_pk_mul_f32 v[48:49], v[40:41], v[48:49]
	s_delay_alu instid0(VALU_DEP_2) | instskip(NEXT) | instid1(VALU_DEP_1)
	v_add_f32_e32 v50, v69, v50
	v_add_f32_e32 v50, v50, v51
	s_delay_alu instid0(VALU_DEP_1) | instskip(NEXT) | instid1(VALU_DEP_1)
	v_add_f32_e32 v48, v50, v48
	v_add_f32_e32 v69, v48, v49
.LBB205_22:                             ;   in Loop: Header=BB205_24 Depth=2
	s_or_b32 exec_lo, exec_lo, s48
	s_wait_loadcnt_dscnt 0x202
	v_pk_mul_f32 v[42:43], v[42:43], v[46:47]
	s_wait_loadcnt_dscnt 0x0
	v_pk_mul_f32 v[40:41], v[40:41], v[44:45]
	s_delay_alu instid0(VALU_DEP_2) | instskip(NEXT) | instid1(VALU_DEP_1)
	v_add_f32_e32 v42, v68, v42
	v_add_f32_e32 v42, v42, v43
	s_delay_alu instid0(VALU_DEP_1) | instskip(NEXT) | instid1(VALU_DEP_1)
	v_add_f32_e32 v40, v42, v40
	v_add_f32_e32 v68, v40, v41
.LBB205_23:                             ;   in Loop: Header=BB205_24 Depth=2
	s_or_b32 exec_lo, exec_lo, s9
	v_add_nc_u32_e32 v0, 64, v0
	v_add_nc_u64_e32 v[38:39], s[40:41], v[38:39]
	v_add_nc_u64_e32 v[30:31], s[42:43], v[30:31]
	;; [unrolled: 1-line block ×4, first 2 shown]
	v_cmp_le_i32_e32 vcc_lo, s44, v0
	v_add_nc_u64_e32 v[36:37], s[42:43], v[36:37]
	s_or_b32 s8, vcc_lo, s8
	s_delay_alu instid0(SALU_CYCLE_1)
	s_and_not1_b32 exec_lo, exec_lo, s8
	s_cbranch_execz .LBB205_29
.LBB205_24:                             ;   Parent Loop BB205_4 Depth=1
                                        ; =>  This Inner Loop Header: Depth=2
	s_and_saveexec_b32 s9, s1
	s_cbranch_execz .LBB205_23
; %bb.25:                               ;   in Loop: Header=BB205_24 Depth=2
	v_add_nc_u64_e32 v[40:41], v[38:39], v[12:13]
	v_add_nc_u64_e32 v[42:43], v[38:39], v[18:19]
	;; [unrolled: 1-line block ×8, first 2 shown]
	s_clause 0x3
	flat_load_b32 v41, v[40:41]
	flat_load_b32 v40, v[42:43]
	;; [unrolled: 1-line block ×4, first 2 shown]
                                        ; kill: killed $vgpr46_vgpr47
                                        ; kill: killed $vgpr44_vgpr45
	flat_load_b32 v46, v[54:55]
	flat_load_b32 v47, v[58:59]
	;; [unrolled: 1-line block ×4, first 2 shown]
	s_wait_xcnt 0x0
	s_and_saveexec_b32 s48, s2
	s_cbranch_execz .LBB205_22
; %bb.26:                               ;   in Loop: Header=BB205_24 Depth=2
	flat_load_b32 v50, v[54:55] offset:256
	flat_load_b32 v51, v[58:59] offset:256
	flat_load_b32 v48, v[52:53] offset:256
	flat_load_b32 v49, v[56:57] offset:256
	s_wait_xcnt 0x0
	s_and_saveexec_b32 s49, s3
	s_cbranch_execz .LBB205_21
; %bb.27:                               ;   in Loop: Header=BB205_24 Depth=2
	flat_load_b32 v62, v[54:55] offset:512
	flat_load_b32 v63, v[58:59] offset:512
	flat_load_b32 v60, v[52:53] offset:512
	flat_load_b32 v61, v[56:57] offset:512
	;; [unrolled: 8-line block ×3, first 2 shown]
	s_wait_loadcnt_dscnt 0x202
	v_pk_mul_f32 v[54:55], v[42:43], v[54:55]
	s_wait_loadcnt_dscnt 0x0
	v_pk_mul_f32 v[52:53], v[40:41], v[52:53]
	s_delay_alu instid0(VALU_DEP_2) | instskip(NEXT) | instid1(VALU_DEP_1)
	v_add_f32_e32 v54, v71, v54
	v_add_f32_e32 v54, v54, v55
	s_delay_alu instid0(VALU_DEP_1) | instskip(NEXT) | instid1(VALU_DEP_1)
	v_add_f32_e32 v52, v54, v52
	v_add_f32_e32 v71, v52, v53
	s_branch .LBB205_20
.LBB205_29:                             ;   in Loop: Header=BB205_4 Depth=1
	s_or_b32 exec_lo, exec_lo, s8
.LBB205_30:                             ;   in Loop: Header=BB205_4 Depth=1
	s_delay_alu instid0(SALU_CYCLE_1) | instskip(NEXT) | instid1(SALU_CYCLE_1)
	s_or_b32 exec_lo, exec_lo, s7
	s_and_not1_b32 vcc_lo, exec_lo, s45
	s_cbranch_vccnz .LBB205_48
; %bb.31:                               ;   in Loop: Header=BB205_4 Depth=1
	v_dual_mov_b32 v32, 0 :: v_dual_bitop2_b32 v34, 1, v0 bitop3:0x54
	v_cmp_gt_i32_e32 vcc_lo, s35, v0
	s_delay_alu instid0(VALU_DEP_2)
	v_dual_mov_b32 v33, v32 :: v_dual_mov_b32 v30, v32
	v_mov_b32_e32 v31, v32
	s_and_saveexec_b32 s8, vcc_lo
	s_cbranch_execz .LBB205_39
; %bb.32:                               ;   in Loop: Header=BB205_4 Depth=1
	v_mul_u64_e32 v[30:31], s[38:39], v[0:1]
	v_mov_b32_e32 v32, 0
	s_mov_b32 s9, exec_lo
	v_mov_b32_e32 v33, 0
	s_delay_alu instid0(VALU_DEP_3)
	v_lshl_add_u64 v[30:31], v[30:31], 2, v[28:29]
	flat_load_b32 v30, v[30:31]
	s_wait_xcnt 0x0
	v_mov_b32_e32 v31, 0
	v_cmpx_gt_i32_e64 s35, v34
	s_cbranch_execz .LBB205_38
; %bb.33:                               ;   in Loop: Header=BB205_4 Depth=1
	v_dual_mov_b32 v35, v1 :: v_dual_bitop2_b32 v36, 2, v0 bitop3:0x54
	s_mov_b32 s48, exec_lo
	s_delay_alu instid0(VALU_DEP_1) | instskip(NEXT) | instid1(VALU_DEP_1)
	v_mul_u64_e32 v[32:33], s[38:39], v[34:35]
	v_lshl_add_u64 v[32:33], v[32:33], 2, v[28:29]
	flat_load_b32 v31, v[32:33]
	s_wait_xcnt 0x0
	v_dual_mov_b32 v33, 0 :: v_dual_mov_b32 v32, 0
	v_cmpx_gt_i32_e64 s35, v36
	s_cbranch_execz .LBB205_37
; %bb.34:                               ;   in Loop: Header=BB205_4 Depth=1
	v_mov_b32_e32 v37, v1
	s_mov_b32 s49, exec_lo
	s_delay_alu instid0(VALU_DEP_1) | instskip(SKIP_1) | instid1(VALU_DEP_2)
	v_mul_u64_e32 v[32:33], s[38:39], v[36:37]
	v_or_b32_e32 v36, 3, v0
	v_lshl_add_u64 v[32:33], v[32:33], 2, v[28:29]
	flat_load_b32 v32, v[32:33]
	s_wait_xcnt 0x0
	v_mov_b32_e32 v33, 0
	v_cmpx_gt_i32_e64 s35, v36
	s_cbranch_execz .LBB205_36
; %bb.35:                               ;   in Loop: Header=BB205_4 Depth=1
	v_mov_b32_e32 v37, v1
	s_delay_alu instid0(VALU_DEP_1) | instskip(NEXT) | instid1(VALU_DEP_1)
	v_mul_u64_e32 v[36:37], s[38:39], v[36:37]
	v_lshl_add_u64 v[28:29], v[36:37], 2, v[28:29]
	flat_load_b32 v33, v[28:29]
.LBB205_36:                             ;   in Loop: Header=BB205_4 Depth=1
	s_wait_xcnt 0x0
	s_or_b32 exec_lo, exec_lo, s49
.LBB205_37:                             ;   in Loop: Header=BB205_4 Depth=1
	s_delay_alu instid0(SALU_CYCLE_1)
	s_or_b32 exec_lo, exec_lo, s48
.LBB205_38:                             ;   in Loop: Header=BB205_4 Depth=1
	s_delay_alu instid0(SALU_CYCLE_1)
	s_or_b32 exec_lo, exec_lo, s9
.LBB205_39:                             ;   in Loop: Header=BB205_4 Depth=1
	s_delay_alu instid0(SALU_CYCLE_1)
	s_or_b32 exec_lo, exec_lo, s8
	s_and_saveexec_b32 s48, s1
	s_cbranch_execz .LBB205_47
; %bb.40:                               ;   in Loop: Header=BB205_4 Depth=1
	v_dual_mov_b32 v35, v1 :: v_dual_bitop2_b32 v28, 2, v0 bitop3:0x54
	v_mov_b32_e32 v29, v1
	v_mul_u64_e32 v[36:37], s[36:37], v[0:1]
	v_or_b32_e32 v0, 3, v0
	s_delay_alu instid0(VALU_DEP_4)
	v_mul_u64_e32 v[38:39], s[36:37], v[34:35]
	v_cmp_gt_i32_e64 s7, s35, v34
	v_mul_u64_e32 v[40:41], s[36:37], v[28:29]
	v_cmp_gt_i32_e64 s8, s35, v28
	;; [unrolled: 2-line block ×3, first 2 shown]
	v_dual_cndmask_b32 v29, 0, v37 :: v_dual_cndmask_b32 v28, 0, v36
	v_dual_cndmask_b32 v35, 0, v39, s7 :: v_dual_cndmask_b32 v34, 0, v38, s7
	v_dual_cndmask_b32 v37, 0, v41, s8 :: v_dual_cndmask_b32 v36, 0, v40, s8
	s_delay_alu instid0(VALU_DEP_4) | instskip(NEXT) | instid1(VALU_DEP_4)
	v_dual_cndmask_b32 v39, 0, v43, s9 :: v_dual_cndmask_b32 v38, 0, v42, s9
	v_lshl_add_u64 v[28:29], v[28:29], 2, v[26:27]
	s_delay_alu instid0(VALU_DEP_4) | instskip(NEXT) | instid1(VALU_DEP_4)
	v_lshl_add_u64 v[34:35], v[34:35], 2, v[26:27]
	v_lshl_add_u64 v[36:37], v[36:37], 2, v[26:27]
	s_delay_alu instid0(VALU_DEP_4) | instskip(NEXT) | instid1(VALU_DEP_4)
	v_lshl_add_u64 v[26:27], v[38:39], 2, v[26:27]
	v_add_nc_u64_e32 v[42:43], v[28:29], v[8:9]
	s_delay_alu instid0(VALU_DEP_4) | instskip(NEXT) | instid1(VALU_DEP_4)
	v_add_nc_u64_e32 v[38:39], v[34:35], v[8:9]
	v_add_nc_u64_e32 v[40:41], v[36:37], v[8:9]
	s_delay_alu instid0(VALU_DEP_4)
	v_add_nc_u64_e32 v[44:45], v[26:27], v[8:9]
	s_clause 0x3
	flat_load_b32 v28, v[42:43]
	flat_load_b32 v29, v[38:39]
	;; [unrolled: 1-line block ×4, first 2 shown]
	s_wait_xcnt 0x0
	s_and_saveexec_b32 s7, s2
	s_cbranch_execz .LBB205_46
; %bb.41:                               ;   in Loop: Header=BB205_4 Depth=1
	s_clause 0x3
	flat_load_b32 v36, v[42:43] offset:256
	flat_load_b32 v37, v[38:39] offset:256
	flat_load_b32 v34, v[40:41] offset:256
	flat_load_b32 v35, v[44:45] offset:256
	s_wait_xcnt 0x0
	s_and_saveexec_b32 s8, s3
	s_cbranch_execz .LBB205_45
; %bb.42:                               ;   in Loop: Header=BB205_4 Depth=1
	s_clause 0x3
	flat_load_b32 v48, v[42:43] offset:512
	flat_load_b32 v49, v[38:39] offset:512
	flat_load_b32 v46, v[40:41] offset:512
	flat_load_b32 v47, v[44:45] offset:512
	s_wait_xcnt 0x0
	s_and_saveexec_b32 s9, s4
	s_cbranch_execz .LBB205_44
; %bb.43:                               ;   in Loop: Header=BB205_4 Depth=1
	s_clause 0x3
	flat_load_b32 v50, v[42:43] offset:768
	flat_load_b32 v51, v[38:39] offset:768
	flat_load_b32 v52, v[40:41] offset:768
	flat_load_b32 v53, v[44:45] offset:768
	s_wait_loadcnt_dscnt 0x202
	s_wait_xcnt 0x2
	v_pk_mul_f32 v[38:39], v[30:31], v[50:51]
	s_delay_alu instid0(VALU_DEP_1) | instskip(NEXT) | instid1(VALU_DEP_1)
	v_add_f32_e32 v0, v71, v38
	v_add_f32_e32 v0, v0, v39
	s_wait_loadcnt_dscnt 0x0
	v_pk_mul_f32 v[38:39], v[32:33], v[52:53]
	s_delay_alu instid0(VALU_DEP_1) | instskip(NEXT) | instid1(VALU_DEP_1)
	v_add_f32_e32 v0, v0, v38
	v_add_f32_e32 v71, v0, v39
.LBB205_44:                             ;   in Loop: Header=BB205_4 Depth=1
	s_wait_xcnt 0x0
	s_or_b32 exec_lo, exec_lo, s9
	s_wait_loadcnt_dscnt 0x202
	v_pk_mul_f32 v[38:39], v[30:31], v[48:49]
	s_delay_alu instid0(VALU_DEP_1) | instskip(NEXT) | instid1(VALU_DEP_1)
	v_add_f32_e32 v0, v70, v38
	v_add_f32_e32 v0, v0, v39
	s_wait_loadcnt_dscnt 0x0
	v_pk_mul_f32 v[38:39], v[32:33], v[46:47]
	s_delay_alu instid0(VALU_DEP_1) | instskip(NEXT) | instid1(VALU_DEP_1)
	v_add_f32_e32 v0, v0, v38
	v_add_f32_e32 v70, v0, v39
.LBB205_45:                             ;   in Loop: Header=BB205_4 Depth=1
	s_or_b32 exec_lo, exec_lo, s8
	s_wait_loadcnt_dscnt 0x202
	v_pk_mul_f32 v[36:37], v[30:31], v[36:37]
	s_wait_loadcnt_dscnt 0x0
	v_pk_mul_f32 v[34:35], v[32:33], v[34:35]
	s_delay_alu instid0(VALU_DEP_2) | instskip(NEXT) | instid1(VALU_DEP_1)
	v_add_f32_e32 v0, v69, v36
	v_add_f32_e32 v0, v0, v37
	s_delay_alu instid0(VALU_DEP_1) | instskip(NEXT) | instid1(VALU_DEP_1)
	v_add_f32_e32 v0, v0, v34
	v_add_f32_e32 v69, v0, v35
.LBB205_46:                             ;   in Loop: Header=BB205_4 Depth=1
	s_or_b32 exec_lo, exec_lo, s7
	s_wait_loadcnt_dscnt 0x202
	v_pk_mul_f32 v[28:29], v[30:31], v[28:29]
	s_wait_loadcnt_dscnt 0x0
	v_pk_mul_f32 v[26:27], v[32:33], v[26:27]
	s_delay_alu instid0(VALU_DEP_2) | instskip(NEXT) | instid1(VALU_DEP_1)
	v_add_f32_e32 v0, v68, v28
	v_add_f32_e32 v0, v0, v29
	s_delay_alu instid0(VALU_DEP_1) | instskip(NEXT) | instid1(VALU_DEP_1)
	v_add_f32_e32 v0, v0, v26
	v_add_f32_e32 v68, v0, v27
.LBB205_47:                             ;   in Loop: Header=BB205_4 Depth=1
	s_or_b32 exec_lo, exec_lo, s48
.LBB205_48:                             ;   in Loop: Header=BB205_4 Depth=1
	ds_store_2addr_stride64_b32 v65, v68, v69 offset1:1
	ds_store_2addr_stride64_b32 v65, v70, v71 offset0:2 offset1:3
	s_wait_loadcnt_dscnt 0x0
	s_barrier_signal -1
	s_barrier_wait -1
                                        ; implicit-def: $vgpr0
	s_and_saveexec_b32 s7, s5
	s_cbranch_execz .LBB205_54
; %bb.49:                               ;   in Loop: Header=BB205_4 Depth=1
	ds_load_2addr_stride64_b32 v[26:27], v66 offset1:4
	ds_load_2addr_stride64_b32 v[28:29], v66 offset0:8 offset1:12
	ds_load_2addr_stride64_b32 v[30:31], v66 offset0:16 offset1:20
	s_mov_b32 s9, s47
	s_wait_dscnt 0x2
	v_add_f32_e32 v0, v26, v27
	ds_load_2addr_stride64_b32 v[26:27], v66 offset0:24 offset1:28
	s_wait_dscnt 0x2
	v_add_f32_e32 v0, v28, v0
	s_delay_alu instid0(VALU_DEP_1) | instskip(SKIP_3) | instid1(VALU_DEP_1)
	v_add_f32_e32 v0, v29, v0
	ds_load_2addr_stride64_b32 v[28:29], v66 offset0:32 offset1:36
	s_wait_dscnt 0x2
	v_add_f32_e32 v0, v30, v0
	v_add_f32_e32 v0, v31, v0
	ds_load_2addr_stride64_b32 v[30:31], v66 offset0:40 offset1:44
	s_wait_dscnt 0x2
	v_add_f32_e32 v0, v26, v0
	s_delay_alu instid0(VALU_DEP_1) | instskip(SKIP_3) | instid1(VALU_DEP_1)
	v_add_f32_e32 v0, v27, v0
	ds_load_2addr_stride64_b32 v[26:27], v66 offset0:48 offset1:52
	s_wait_dscnt 0x2
	v_add_f32_e32 v0, v28, v0
	v_add_f32_e32 v0, v29, v0
	ds_load_2addr_stride64_b32 v[28:29], v66 offset0:56 offset1:60
	s_wait_dscnt 0x2
	v_add_f32_e32 v0, v30, v0
	s_delay_alu instid0(VALU_DEP_1) | instskip(SKIP_1) | instid1(VALU_DEP_1)
	v_add_f32_e32 v0, v31, v0
	s_wait_dscnt 0x1
	v_add_f32_e32 v0, v26, v0
	s_delay_alu instid0(VALU_DEP_1) | instskip(SKIP_1) | instid1(VALU_DEP_1)
	v_add_f32_e32 v0, v27, v0
	s_wait_dscnt 0x0
	v_add_f32_e32 v0, v28, v0
	s_delay_alu instid0(VALU_DEP_1)
	v_add_f32_e32 v26, v29, v0
                                        ; implicit-def: $vgpr0
	ds_store_b32 v66, v26
	s_and_saveexec_b32 s8, s6
	s_cbranch_execz .LBB205_53
; %bb.50:                               ;   in Loop: Header=BB205_4 Depth=1
	v_mul_f32_e32 v0, v67, v26
	s_cmp_eq_f32 s46, 0
	s_cbranch_scc1 .LBB205_52
; %bb.51:                               ;   in Loop: Header=BB205_4 Depth=1
	v_lshl_add_u64 v[26:27], v[4:5], 2, v[24:25]
	flat_load_b32 v26, v[26:27]
	s_wait_loadcnt_dscnt 0x0
	v_fmac_f32_e32 v0, s46, v26
.LBB205_52:                             ;   in Loop: Header=BB205_4 Depth=1
	s_or_b32 s9, s47, exec_lo
.LBB205_53:                             ;   in Loop: Header=BB205_4 Depth=1
	s_wait_xcnt 0x0
	s_or_b32 exec_lo, exec_lo, s8
	s_delay_alu instid0(SALU_CYCLE_1) | instskip(SKIP_1) | instid1(SALU_CYCLE_1)
	s_and_not1_b32 s8, s47, exec_lo
	s_and_b32 s9, s9, exec_lo
	s_or_b32 s47, s8, s9
.LBB205_54:                             ;   in Loop: Header=BB205_4 Depth=1
	s_or_b32 exec_lo, exec_lo, s7
	v_mov_b64_e32 v[26:27], v[4:5]
	s_and_saveexec_b32 s7, s47
	s_cbranch_execz .LBB205_2
.LBB205_55:                             ;   in Loop: Header=BB205_4 Depth=1
	s_delay_alu instid0(VALU_DEP_1)
	v_lshl_add_u64 v[24:25], v[26:27], 2, v[24:25]
	flat_store_b32 v[24:25], v0
	s_branch .LBB205_2
.LBB205_56:
	s_sendmsg sendmsg(MSG_DEALLOC_VGPRS)
	s_endpgm
	.section	.rodata,"a",@progbits
	.p2align	6, 0x0
	.amdhsa_kernel _ZL20rocblas_gemvn_kernelILi64ELi16ElPKfS1_KPfEviiT3_lPKT2_lT1_lS7_lS8_lS4_lPT4_lS8_li
		.amdhsa_group_segment_fixed_size 16384
		.amdhsa_private_segment_fixed_size 0
		.amdhsa_kernarg_size 400
		.amdhsa_user_sgpr_count 2
		.amdhsa_user_sgpr_dispatch_ptr 0
		.amdhsa_user_sgpr_queue_ptr 0
		.amdhsa_user_sgpr_kernarg_segment_ptr 1
		.amdhsa_user_sgpr_dispatch_id 0
		.amdhsa_user_sgpr_kernarg_preload_length 0
		.amdhsa_user_sgpr_kernarg_preload_offset 0
		.amdhsa_user_sgpr_private_segment_size 0
		.amdhsa_wavefront_size32 1
		.amdhsa_uses_dynamic_stack 0
		.amdhsa_enable_private_segment 0
		.amdhsa_system_sgpr_workgroup_id_x 1
		.amdhsa_system_sgpr_workgroup_id_y 0
		.amdhsa_system_sgpr_workgroup_id_z 1
		.amdhsa_system_sgpr_workgroup_info 0
		.amdhsa_system_vgpr_workitem_id 1
		.amdhsa_next_free_vgpr 72
		.amdhsa_next_free_sgpr 51
		.amdhsa_named_barrier_count 0
		.amdhsa_reserve_vcc 1
		.amdhsa_float_round_mode_32 0
		.amdhsa_float_round_mode_16_64 0
		.amdhsa_float_denorm_mode_32 3
		.amdhsa_float_denorm_mode_16_64 3
		.amdhsa_fp16_overflow 0
		.amdhsa_memory_ordered 1
		.amdhsa_forward_progress 1
		.amdhsa_inst_pref_size 24
		.amdhsa_round_robin_scheduling 0
		.amdhsa_exception_fp_ieee_invalid_op 0
		.amdhsa_exception_fp_denorm_src 0
		.amdhsa_exception_fp_ieee_div_zero 0
		.amdhsa_exception_fp_ieee_overflow 0
		.amdhsa_exception_fp_ieee_underflow 0
		.amdhsa_exception_fp_ieee_inexact 0
		.amdhsa_exception_int_div_zero 0
	.end_amdhsa_kernel
	.section	.text._ZL20rocblas_gemvn_kernelILi64ELi16ElPKfS1_KPfEviiT3_lPKT2_lT1_lS7_lS8_lS4_lPT4_lS8_li,"axG",@progbits,_ZL20rocblas_gemvn_kernelILi64ELi16ElPKfS1_KPfEviiT3_lPKT2_lT1_lS7_lS8_lS4_lPT4_lS8_li,comdat
.Lfunc_end205:
	.size	_ZL20rocblas_gemvn_kernelILi64ELi16ElPKfS1_KPfEviiT3_lPKT2_lT1_lS7_lS8_lS4_lPT4_lS8_li, .Lfunc_end205-_ZL20rocblas_gemvn_kernelILi64ELi16ElPKfS1_KPfEviiT3_lPKT2_lT1_lS7_lS8_lS4_lPT4_lS8_li
                                        ; -- End function
	.set _ZL20rocblas_gemvn_kernelILi64ELi16ElPKfS1_KPfEviiT3_lPKT2_lT1_lS7_lS8_lS4_lPT4_lS8_li.num_vgpr, 72
	.set _ZL20rocblas_gemvn_kernelILi64ELi16ElPKfS1_KPfEviiT3_lPKT2_lT1_lS7_lS8_lS4_lPT4_lS8_li.num_agpr, 0
	.set _ZL20rocblas_gemvn_kernelILi64ELi16ElPKfS1_KPfEviiT3_lPKT2_lT1_lS7_lS8_lS4_lPT4_lS8_li.numbered_sgpr, 51
	.set _ZL20rocblas_gemvn_kernelILi64ELi16ElPKfS1_KPfEviiT3_lPKT2_lT1_lS7_lS8_lS4_lPT4_lS8_li.num_named_barrier, 0
	.set _ZL20rocblas_gemvn_kernelILi64ELi16ElPKfS1_KPfEviiT3_lPKT2_lT1_lS7_lS8_lS4_lPT4_lS8_li.private_seg_size, 0
	.set _ZL20rocblas_gemvn_kernelILi64ELi16ElPKfS1_KPfEviiT3_lPKT2_lT1_lS7_lS8_lS4_lPT4_lS8_li.uses_vcc, 1
	.set _ZL20rocblas_gemvn_kernelILi64ELi16ElPKfS1_KPfEviiT3_lPKT2_lT1_lS7_lS8_lS4_lPT4_lS8_li.uses_flat_scratch, 1
	.set _ZL20rocblas_gemvn_kernelILi64ELi16ElPKfS1_KPfEviiT3_lPKT2_lT1_lS7_lS8_lS4_lPT4_lS8_li.has_dyn_sized_stack, 0
	.set _ZL20rocblas_gemvn_kernelILi64ELi16ElPKfS1_KPfEviiT3_lPKT2_lT1_lS7_lS8_lS4_lPT4_lS8_li.has_recursion, 0
	.set _ZL20rocblas_gemvn_kernelILi64ELi16ElPKfS1_KPfEviiT3_lPKT2_lT1_lS7_lS8_lS4_lPT4_lS8_li.has_indirect_call, 0
	.section	.AMDGPU.csdata,"",@progbits
; Kernel info:
; codeLenInByte = 2960
; TotalNumSgprs: 53
; NumVgprs: 72
; ScratchSize: 0
; MemoryBound: 0
; FloatMode: 240
; IeeeMode: 1
; LDSByteSize: 16384 bytes/workgroup (compile time only)
; SGPRBlocks: 0
; VGPRBlocks: 4
; NumSGPRsForWavesPerEU: 53
; NumVGPRsForWavesPerEU: 72
; NamedBarCnt: 0
; Occupancy: 12
; WaveLimiterHint : 1
; COMPUTE_PGM_RSRC2:SCRATCH_EN: 0
; COMPUTE_PGM_RSRC2:USER_SGPR: 2
; COMPUTE_PGM_RSRC2:TRAP_HANDLER: 0
; COMPUTE_PGM_RSRC2:TGID_X_EN: 1
; COMPUTE_PGM_RSRC2:TGID_Y_EN: 0
; COMPUTE_PGM_RSRC2:TGID_Z_EN: 1
; COMPUTE_PGM_RSRC2:TIDIG_COMP_CNT: 1
	.section	.text._ZL20rocblas_gemvn_kernelILi64ELi16EiPKffKPfEviiT3_lPKT2_lT1_lS7_lS8_lS4_lPT4_lS8_li,"axG",@progbits,_ZL20rocblas_gemvn_kernelILi64ELi16EiPKffKPfEviiT3_lPKT2_lT1_lS7_lS8_lS4_lPT4_lS8_li,comdat
	.globl	_ZL20rocblas_gemvn_kernelILi64ELi16EiPKffKPfEviiT3_lPKT2_lT1_lS7_lS8_lS4_lPT4_lS8_li ; -- Begin function _ZL20rocblas_gemvn_kernelILi64ELi16EiPKffKPfEviiT3_lPKT2_lT1_lS7_lS8_lS4_lPT4_lS8_li
	.p2align	8
	.type	_ZL20rocblas_gemvn_kernelILi64ELi16EiPKffKPfEviiT3_lPKT2_lT1_lS7_lS8_lS4_lPT4_lS8_li,@function
_ZL20rocblas_gemvn_kernelILi64ELi16EiPKffKPfEviiT3_lPKT2_lT1_lS7_lS8_lS4_lPT4_lS8_li: ; @_ZL20rocblas_gemvn_kernelILi64ELi16EiPKffKPfEviiT3_lPKT2_lT1_lS7_lS8_lS4_lPT4_lS8_li
; %bb.0:
	s_clause 0x1
	s_load_b64 s[2:3], s[0:1], 0x9c
	s_load_b32 s23, s[0:1], 0x88
	s_bfe_u32 s4, ttmp6, 0x40014
	s_lshr_b32 s5, ttmp7, 16
	s_add_co_i32 s4, s4, 1
	s_bfe_u32 s6, ttmp6, 0x40008
	s_mul_i32 s7, s5, s4
	s_getreg_b32 s4, hwreg(HW_REG_IB_STS2, 6, 4)
	s_add_co_i32 s6, s6, s7
	s_mov_b32 s25, 0
	s_wait_kmcnt 0x0
	s_lshr_b32 s7, s2, 16
	s_and_b32 s2, s2, 0xffff
	s_and_b32 s3, s3, 0xffff
	s_mul_i32 s2, s7, s2
	s_cmp_eq_u32 s4, 0
	s_mul_i32 s2, s2, s3
	s_cselect_b32 s24, s5, s6
	s_cmp_lg_u32 s2, 0x400
	s_cselect_b32 s2, -1, 0
	s_cmp_ge_u32 s24, s23
	s_cselect_b32 s3, -1, 0
	s_delay_alu instid0(SALU_CYCLE_1) | instskip(NEXT) | instid1(SALU_CYCLE_1)
	s_or_b32 s2, s2, s3
	s_and_b32 vcc_lo, exec_lo, s2
	s_cbranch_vccnz .LBB206_58
; %bb.1:
	s_clause 0x7
	s_load_b32 s2, s[0:1], 0x78
	s_load_b96 s[20:22], s[0:1], 0x0
	s_load_b32 s26, s[0:1], 0x58
	s_load_b128 s[8:11], s[0:1], 0x68
	s_load_b32 s27, s[0:1], 0x28
	s_load_b128 s[12:15], s[0:1], 0x38
	;; [unrolled: 2-line block ×3, first 2 shown]
	v_and_b32_e32 v6, 0x3ff, v0
	v_bfe_u32 v7, v0, 10, 10
	s_delay_alu instid0(VALU_DEP_2) | instskip(NEXT) | instid1(VALU_DEP_2)
	v_dual_mov_b32 v1, 0 :: v_dual_lshlrev_b32 v0, 2, v6
	v_lshl_add_u32 v2, v7, 6, v6
	s_delay_alu instid0(VALU_DEP_2)
	v_lshl_add_u32 v37, v7, 10, v0
	v_lshl_add_u32 v38, v7, 8, v0
	s_wait_kmcnt 0x0
	s_ashr_i32 s3, s2, 31
	s_cmp_eq_f32 s22, 0
	v_cmp_gt_u32_e64 s0, 0x100, v2
	s_mov_b32 s6, s20
	s_cselect_b32 s29, -1, 0
	s_cmp_neq_f32 s26, 1.0
	s_cselect_b32 s1, -1, 0
	s_cmp_neq_f32 s22, 0
	s_cselect_b32 s5, -1, 0
	s_bfe_u32 s7, ttmp6, 0x4000c
	s_and_b32 s31, ttmp6, 15
	s_add_co_i32 s7, s7, 1
	s_or_b32 s30, s5, s1
	s_mul_i32 s7, ttmp9, s7
	v_cndmask_b32_e64 v39, 0, 1, s5
	s_add_co_i32 s31, s31, s7
	s_cmp_eq_u32 s4, 0
	s_cselect_b32 s1, ttmp9, s31
	s_ashr_i32 s7, s20, 31
	s_lshl_b32 s31, s1, 8
	s_delay_alu instid0(SALU_CYCLE_1) | instskip(SKIP_3) | instid1(VALU_DEP_3)
	v_dual_lshlrev_b32 v36, 2, v7 :: v_dual_add_nc_u32 v0, s31, v2
	v_add_nc_u32_e32 v40, s31, v6
	v_or_b32_e32 v5, s31, v2
	s_cmp_neq_f32 s26, 0
	v_or_b32_e32 v8, 2, v36
	v_mul_u64_e32 v[2:3], s[2:3], v[0:1]
	v_add_nc_u32_e32 v10, 0x80, v40
	v_add_nc_u32_e32 v11, 0xc0, v40
	v_mul_lo_u32 v9, s27, v36
	v_cmp_gt_i64_e32 vcc_lo, s[6:7], v[0:1]
	v_add_nc_u32_e32 v0, 64, v40
	v_mul_lo_u32 v4, s2, v5
	v_cmp_gt_i32_e64 s4, s20, v10
	v_cmp_gt_i32_e64 s5, s20, v11
	v_mul_lo_u32 v10, v7, s27
	v_or_b32_e32 v11, 3, v36
	v_mul_lo_u32 v7, v7, s28
	s_cselect_b32 s33, -1, 0
	s_ashr_i32 s1, s21, 31
	v_mad_u32 v41, s27, v8, v6
	s_lshr_b32 s3, s1, 26
	v_mad_u32 v42, s27, v11, v6
	s_add_co_i32 s34, s21, s3
	v_mul_lo_u32 v43, s28, v8
	v_mad_u32 v44, s28, v36, s28
	v_mul_lo_u32 v45, s28, v11
	s_and_not1_b32 s34, s34, 63
	v_cmp_gt_i32_e64 s1, s20, v40
	s_sub_co_i32 s6, s21, s34
	v_cmp_gt_i32_e64 s2, s20, v5
	v_cmp_gt_i32_e64 s3, s20, v0
	s_cmp_gt_i32 s6, 0
	v_cmp_gt_i32_e64 s6, s34, v36
	v_dual_ashrrev_i32 v5, 31, v4 :: v_dual_lshlrev_b32 v47, 2, v7
	v_add3_u32 v0, v9, s27, v6
	v_lshl_add_u32 v46, v10, 2, v6
	s_cselect_b32 s20, -1, 0
	s_and_b32 s35, s0, vcc_lo
	s_lshl_b32 s36, s27, 6
	s_lshl_b32 s37, s28, 6
	s_lshl_b64 s[18:19], s[18:19], 2
	s_lshl_b64 s[14:15], s[14:15], 2
	;; [unrolled: 1-line block ×3, first 2 shown]
	s_branch .LBB206_4
.LBB206_2:                              ;   in Loop: Header=BB206_4 Depth=1
	s_wait_xcnt 0x0
	s_or_b32 exec_lo, exec_lo, s7
.LBB206_3:                              ;   in Loop: Header=BB206_4 Depth=1
	s_add_co_i32 s24, s24, 0x10000
	s_delay_alu instid0(SALU_CYCLE_1)
	s_cmp_lt_u32 s24, s23
	s_cbranch_scc0 .LBB206_58
.LBB206_4:                              ; =>This Loop Header: Depth=1
                                        ;     Child Loop BB206_26 Depth 2
	s_and_not1_b32 vcc_lo, exec_lo, s30
	s_cbranch_vccnz .LBB206_3
; %bb.5:                                ;   in Loop: Header=BB206_4 Depth=1
	s_and_not1_b32 vcc_lo, exec_lo, s29
	s_cbranch_vccnz .LBB206_7
; %bb.6:                                ;   in Loop: Header=BB206_4 Depth=1
	v_mov_b64_e32 v[10:11], 0
	v_mov_b64_e32 v[8:9], 0
	s_cbranch_execz .LBB206_8
	s_branch .LBB206_9
.LBB206_7:                              ;   in Loop: Header=BB206_4 Depth=1
	v_mov_b64_e32 v[10:11], 0
	v_mov_b64_e32 v[8:9], 0
.LBB206_8:                              ;   in Loop: Header=BB206_4 Depth=1
	s_lshl_b64 s[38:39], s[24:25], 3
	s_delay_alu instid0(SALU_CYCLE_1)
	s_add_nc_u64 s[38:39], s[16:17], s[38:39]
	global_load_b64 v[6:7], v1, s[38:39]
	s_wait_loadcnt 0x0
	v_add_nc_u64_e32 v[8:9], s[18:19], v[6:7]
.LBB206_9:                              ;   in Loop: Header=BB206_4 Depth=1
	v_cmp_ne_u32_e32 vcc_lo, 1, v39
	s_cbranch_vccnz .LBB206_11
; %bb.10:                               ;   in Loop: Header=BB206_4 Depth=1
	s_wait_xcnt 0x0
	s_lshl_b64 s[38:39], s[24:25], 3
	s_delay_alu instid0(SALU_CYCLE_1)
	s_add_nc_u64 s[38:39], s[12:13], s[38:39]
	global_load_b64 v[6:7], v1, s[38:39]
	s_wait_loadcnt 0x0
	v_add_nc_u64_e32 v[10:11], s[14:15], v[6:7]
.LBB206_11:                             ;   in Loop: Header=BB206_4 Depth=1
	s_wait_xcnt 0x0
	s_lshl_b64 s[38:39], s[24:25], 3
	s_and_not1_b32 vcc_lo, exec_lo, s29
	s_add_nc_u64 s[38:39], s[8:9], s[38:39]
	global_load_b64 v[6:7], v1, s[38:39]
	s_wait_loadcnt 0x0
	v_add_nc_u64_e32 v[6:7], s[10:11], v[6:7]
	s_cbranch_vccnz .LBB206_15
; %bb.12:                               ;   in Loop: Header=BB206_4 Depth=1
	s_mov_b32 s7, 0
	s_wait_xcnt 0x0
	s_mov_b32 s38, 0
                                        ; implicit-def: $vgpr12
	s_and_saveexec_b32 s39, s35
	s_cbranch_execz .LBB206_16
; %bb.13:                               ;   in Loop: Header=BB206_4 Depth=1
	s_and_not1_b32 vcc_lo, exec_lo, s33
	s_cbranch_vccnz .LBB206_18
; %bb.14:                               ;   in Loop: Header=BB206_4 Depth=1
	v_lshl_add_u64 v[12:13], v[2:3], 2, v[6:7]
	flat_load_b32 v12, v[12:13]
	s_wait_loadcnt_dscnt 0x0
	s_wait_xcnt 0x0
	v_mul_f32_e32 v12, s26, v12
	s_branch .LBB206_19
.LBB206_15:                             ;   in Loop: Header=BB206_4 Depth=1
	s_wait_xcnt 0x0
	s_mov_b32 s38, 0
                                        ; implicit-def: $vgpr12
	s_cbranch_execz .LBB206_17
	s_branch .LBB206_20
.LBB206_16:                             ;   in Loop: Header=BB206_4 Depth=1
	s_or_b32 exec_lo, exec_lo, s39
	s_delay_alu instid0(SALU_CYCLE_1)
	s_and_b32 vcc_lo, exec_lo, s7
	s_cbranch_vccnz .LBB206_20
.LBB206_17:                             ;   in Loop: Header=BB206_4 Depth=1
	v_mov_b64_e32 v[8:9], v[2:3]
	s_and_saveexec_b32 s7, s38
	s_cbranch_execz .LBB206_2
	s_branch .LBB206_57
.LBB206_18:                             ;   in Loop: Header=BB206_4 Depth=1
	v_mov_b32_e32 v12, 0
.LBB206_19:                             ;   in Loop: Header=BB206_4 Depth=1
	s_mov_b32 s38, exec_lo
	s_or_b32 exec_lo, exec_lo, s39
	s_delay_alu instid0(SALU_CYCLE_1)
	s_and_b32 vcc_lo, exec_lo, s7
	s_cbranch_vccz .LBB206_17
.LBB206_20:                             ;   in Loop: Header=BB206_4 Depth=1
	v_dual_mov_b32 v48, 0 :: v_dual_mov_b32 v52, v36
	v_dual_mov_b32 v49, 0 :: v_dual_mov_b32 v50, 0
	v_mov_b32_e32 v51, 0
	s_and_saveexec_b32 s7, s6
	s_cbranch_execz .LBB206_32
; %bb.21:                               ;   in Loop: Header=BB206_4 Depth=1
	v_dual_mov_b32 v48, 0 :: v_dual_mov_b32 v53, v46
	v_dual_mov_b32 v54, v42 :: v_dual_mov_b32 v55, v41
	v_dual_mov_b32 v56, v0 :: v_dual_mov_b32 v52, v36
	v_dual_mov_b32 v49, 0 :: v_dual_mov_b32 v50, 0
	v_mov_b32_e32 v51, 0
	s_mov_b32 s39, 0
	s_mov_b32 s40, 0
	s_branch .LBB206_26
.LBB206_22:                             ;   in Loop: Header=BB206_26 Depth=2
	s_wait_xcnt 0x0
	s_or_b32 exec_lo, exec_lo, s44
	s_wait_loadcnt_dscnt 0x202
	v_pk_mul_f32 v[26:27], v[16:17], v[26:27]
	s_wait_loadcnt_dscnt 0x0
	v_pk_mul_f32 v[24:25], v[12:13], v[24:25]
	s_delay_alu instid0(VALU_DEP_2) | instskip(NEXT) | instid1(VALU_DEP_1)
	v_add_f32_e32 v26, v50, v26
	v_add_f32_e32 v26, v26, v27
	s_delay_alu instid0(VALU_DEP_1) | instskip(NEXT) | instid1(VALU_DEP_1)
	v_add_f32_e32 v24, v26, v24
	v_add_f32_e32 v50, v24, v25
.LBB206_23:                             ;   in Loop: Header=BB206_26 Depth=2
	s_or_b32 exec_lo, exec_lo, s43
	s_wait_loadcnt_dscnt 0x202
	v_pk_mul_f32 v[22:23], v[16:17], v[22:23]
	s_wait_loadcnt_dscnt 0x0
	v_pk_mul_f32 v[20:21], v[12:13], v[20:21]
	s_delay_alu instid0(VALU_DEP_2) | instskip(NEXT) | instid1(VALU_DEP_1)
	v_add_f32_e32 v22, v49, v22
	v_add_f32_e32 v22, v22, v23
	s_delay_alu instid0(VALU_DEP_1) | instskip(NEXT) | instid1(VALU_DEP_1)
	v_add_f32_e32 v20, v22, v20
	v_add_f32_e32 v49, v20, v21
.LBB206_24:                             ;   in Loop: Header=BB206_26 Depth=2
	s_or_b32 exec_lo, exec_lo, s42
	s_wait_loadcnt_dscnt 0x202
	v_pk_mul_f32 v[16:17], v[16:17], v[18:19]
	s_wait_loadcnt_dscnt 0x0
	v_pk_mul_f32 v[12:13], v[12:13], v[14:15]
	s_delay_alu instid0(VALU_DEP_2) | instskip(NEXT) | instid1(VALU_DEP_1)
	v_add_f32_e32 v16, v48, v16
	v_add_f32_e32 v16, v16, v17
	s_delay_alu instid0(VALU_DEP_1) | instskip(NEXT) | instid1(VALU_DEP_1)
	v_add_f32_e32 v12, v16, v12
	v_add_f32_e32 v48, v12, v13
.LBB206_25:                             ;   in Loop: Header=BB206_26 Depth=2
	s_or_b32 exec_lo, exec_lo, s41
	v_dual_add_nc_u32 v52, 64, v52 :: v_dual_add_nc_u32 v55, s36, v55
	v_dual_add_nc_u32 v56, s36, v56 :: v_dual_add_nc_u32 v54, s36, v54
	v_add_nc_u32_e32 v53, s36, v53
	s_delay_alu instid0(VALU_DEP_3) | instskip(SKIP_2) | instid1(SALU_CYCLE_1)
	v_cmp_le_i32_e32 vcc_lo, s34, v52
	s_add_co_i32 s40, s40, s37
	s_or_b32 s39, vcc_lo, s39
	s_and_not1_b32 exec_lo, exec_lo, s39
	s_cbranch_execz .LBB206_31
.LBB206_26:                             ;   Parent Loop BB206_4 Depth=1
                                        ; =>  This Inner Loop Header: Depth=2
	s_and_saveexec_b32 s41, s1
	s_cbranch_execz .LBB206_25
; %bb.27:                               ;   in Loop: Header=BB206_26 Depth=2
	v_dual_add_nc_u32 v21, s40, v45 :: v_dual_add_nc_u32 v23, s40, v43
	v_readfirstlane_b32 s42, v10
	v_readfirstlane_b32 s43, v11
	v_dual_add_nc_u32 v25, s40, v44 :: v_dual_add_nc_u32 v27, s40, v47
	v_dual_add_nc_u32 v20, s31, v53 :: v_dual_add_nc_u32 v22, s31, v56
	v_readfirstlane_b32 s44, v8
	v_readfirstlane_b32 s45, v9
	v_dual_add_nc_u32 v26, s31, v55 :: v_dual_add_nc_u32 v24, s31, v54
	s_clause 0x3
	flat_load_b32 v13, v21, s[42:43] scale_offset
	flat_load_b32 v12, v23, s[42:43] scale_offset
	flat_load_b32 v17, v25, s[42:43] scale_offset
	flat_load_b32 v16, v27, s[42:43] scale_offset
	s_clause 0x3
	flat_load_b32 v18, v20, s[44:45] scale_offset
	flat_load_b32 v19, v22, s[44:45] scale_offset
	flat_load_b32 v14, v26, s[44:45] scale_offset
	flat_load_b32 v15, v24, s[44:45] scale_offset
	s_wait_xcnt 0x0
	s_and_saveexec_b32 s42, s3
	s_cbranch_execz .LBB206_24
; %bb.28:                               ;   in Loop: Header=BB206_26 Depth=2
	v_dual_ashrrev_i32 v21, 31, v20 :: v_dual_ashrrev_i32 v23, 31, v22
	v_dual_ashrrev_i32 v27, 31, v26 :: v_dual_ashrrev_i32 v25, 31, v24
	s_delay_alu instid0(VALU_DEP_2) | instskip(NEXT) | instid1(VALU_DEP_3)
	v_lshl_add_u64 v[28:29], v[20:21], 2, v[8:9]
	v_lshl_add_u64 v[30:31], v[22:23], 2, v[8:9]
	s_delay_alu instid0(VALU_DEP_3) | instskip(NEXT) | instid1(VALU_DEP_4)
	v_lshl_add_u64 v[32:33], v[26:27], 2, v[8:9]
	v_lshl_add_u64 v[34:35], v[24:25], 2, v[8:9]
	s_clause 0x3
	flat_load_b32 v22, v[28:29] offset:256
	flat_load_b32 v23, v[30:31] offset:256
	;; [unrolled: 1-line block ×4, first 2 shown]
	s_wait_xcnt 0x0
	s_and_saveexec_b32 s43, s4
	s_cbranch_execz .LBB206_23
; %bb.29:                               ;   in Loop: Header=BB206_26 Depth=2
	s_clause 0x3
	flat_load_b32 v26, v[28:29] offset:512
	flat_load_b32 v27, v[30:31] offset:512
	;; [unrolled: 1-line block ×4, first 2 shown]
	s_wait_xcnt 0x0
	s_and_saveexec_b32 s44, s5
	s_cbranch_execz .LBB206_22
; %bb.30:                               ;   in Loop: Header=BB206_26 Depth=2
	s_clause 0x3
	flat_load_b32 v58, v[28:29] offset:768
	flat_load_b32 v59, v[30:31] offset:768
	flat_load_b32 v60, v[32:33] offset:768
	flat_load_b32 v61, v[34:35] offset:768
	s_wait_loadcnt_dscnt 0x202
	s_wait_xcnt 0x3
	v_pk_mul_f32 v[28:29], v[16:17], v[58:59]
	s_delay_alu instid0(VALU_DEP_1) | instskip(SKIP_1) | instid1(VALU_DEP_1)
	v_add_f32_e32 v28, v51, v28
	s_wait_xcnt 0x2
	v_add_f32_e32 v30, v28, v29
	s_wait_loadcnt_dscnt 0x0
	v_pk_mul_f32 v[28:29], v[12:13], v[60:61]
	s_delay_alu instid0(VALU_DEP_1) | instskip(NEXT) | instid1(VALU_DEP_1)
	v_add_f32_e32 v28, v30, v28
	v_add_f32_e32 v51, v28, v29
	s_branch .LBB206_22
.LBB206_31:                             ;   in Loop: Header=BB206_4 Depth=1
	s_or_b32 exec_lo, exec_lo, s39
.LBB206_32:                             ;   in Loop: Header=BB206_4 Depth=1
	s_delay_alu instid0(SALU_CYCLE_1) | instskip(NEXT) | instid1(SALU_CYCLE_1)
	s_or_b32 exec_lo, exec_lo, s7
	s_and_not1_b32 vcc_lo, exec_lo, s20
	s_cbranch_vccnz .LBB206_50
; %bb.33:                               ;   in Loop: Header=BB206_4 Depth=1
	v_dual_mov_b32 v14, 0 :: v_dual_bitop2_b32 v16, 1, v52 bitop3:0x54
	v_cmp_gt_i32_e32 vcc_lo, s21, v52
	s_delay_alu instid0(VALU_DEP_2)
	v_dual_mov_b32 v15, v14 :: v_dual_mov_b32 v12, v14
	v_mov_b32_e32 v13, v14
	s_and_saveexec_b32 s39, vcc_lo
	s_cbranch_execz .LBB206_41
; %bb.34:                               ;   in Loop: Header=BB206_4 Depth=1
	v_mul_lo_u32 v12, v52, s28
	v_readfirstlane_b32 s40, v10
	v_readfirstlane_b32 s41, v11
	v_dual_mov_b32 v13, 0 :: v_dual_mov_b32 v15, 0
	v_mov_b32_e32 v14, 0
	flat_load_b32 v12, v12, s[40:41] scale_offset
	s_wait_xcnt 0x0
	s_mov_b32 s40, exec_lo
	v_cmpx_gt_i32_e64 s21, v16
	s_cbranch_execz .LBB206_40
; %bb.35:                               ;   in Loop: Header=BB206_4 Depth=1
	v_mul_lo_u32 v13, v16, s28
	v_readfirstlane_b32 s42, v10
	v_readfirstlane_b32 s43, v11
	v_dual_mov_b32 v15, 0 :: v_dual_bitop2_b32 v17, 2, v52 bitop3:0x54
	v_mov_b32_e32 v14, 0
	s_mov_b32 s41, exec_lo
	flat_load_b32 v13, v13, s[42:43] scale_offset
	s_wait_xcnt 0x0
	v_cmpx_gt_i32_e64 s21, v17
	s_cbranch_execz .LBB206_39
; %bb.36:                               ;   in Loop: Header=BB206_4 Depth=1
	v_mul_lo_u32 v14, v17, s28
	v_readfirstlane_b32 s42, v10
	v_readfirstlane_b32 s43, v11
	v_dual_mov_b32 v15, 0 :: v_dual_bitop2_b32 v17, 3, v52 bitop3:0x54
	flat_load_b32 v14, v14, s[42:43] scale_offset
	s_wait_xcnt 0x0
	s_mov_b32 s42, exec_lo
	v_cmpx_gt_i32_e64 s21, v17
	s_cbranch_execz .LBB206_38
; %bb.37:                               ;   in Loop: Header=BB206_4 Depth=1
	v_mul_lo_u32 v15, v17, s28
	v_readfirstlane_b32 s44, v10
	v_readfirstlane_b32 s45, v11
	flat_load_b32 v15, v15, s[44:45] scale_offset
.LBB206_38:                             ;   in Loop: Header=BB206_4 Depth=1
	s_wait_xcnt 0x0
	s_or_b32 exec_lo, exec_lo, s42
.LBB206_39:                             ;   in Loop: Header=BB206_4 Depth=1
	s_delay_alu instid0(SALU_CYCLE_1)
	s_or_b32 exec_lo, exec_lo, s41
.LBB206_40:                             ;   in Loop: Header=BB206_4 Depth=1
	s_delay_alu instid0(SALU_CYCLE_1)
	s_or_b32 exec_lo, exec_lo, s40
.LBB206_41:                             ;   in Loop: Header=BB206_4 Depth=1
	s_delay_alu instid0(SALU_CYCLE_1)
	s_or_b32 exec_lo, exec_lo, s39
	s_and_saveexec_b32 s7, s1
	s_cbranch_execz .LBB206_49
; %bb.42:                               ;   in Loop: Header=BB206_4 Depth=1
	v_mul_lo_u32 v11, v52, s27
	v_mul_lo_u32 v18, v16, s27
	v_or_b32_e32 v10, 2, v52
	v_readfirstlane_b32 s40, v8
	v_readfirstlane_b32 s41, v9
	v_cndmask_b32_e32 v11, 0, v11, vcc_lo
	s_delay_alu instid0(VALU_DEP_4) | instskip(SKIP_2) | instid1(VALU_DEP_1)
	v_mul_lo_u32 v19, v10, s27
	v_cmp_gt_i32_e32 vcc_lo, s21, v16
	v_dual_cndmask_b32 v16, 0, v18, vcc_lo :: v_dual_bitop2_b32 v17, 3, v52 bitop3:0x54
	v_mul_lo_u32 v20, v17, s27
	v_cmp_gt_i32_e32 vcc_lo, s21, v10
	s_delay_alu instid0(VALU_DEP_3) | instskip(SKIP_1) | instid1(VALU_DEP_4)
	v_dual_add_nc_u32 v22, v16, v40 :: v_dual_cndmask_b32 v10, 0, v19, vcc_lo
	v_cmp_gt_i32_e32 vcc_lo, s21, v17
	v_cndmask_b32_e32 v17, 0, v20, vcc_lo
	s_delay_alu instid0(VALU_DEP_3) | instskip(NEXT) | instid1(VALU_DEP_2)
	v_dual_add_nc_u32 v20, v11, v40 :: v_dual_add_nc_u32 v26, v10, v40
	v_add_nc_u32_e32 v18, v17, v40
	s_clause 0x3
	flat_load_b32 v16, v20, s[40:41] scale_offset
	flat_load_b32 v17, v22, s[40:41] scale_offset
	flat_load_b32 v10, v26, s[40:41] scale_offset
	flat_load_b32 v11, v18, s[40:41] scale_offset
	s_wait_xcnt 0x0
	s_and_saveexec_b32 s39, s3
	s_cbranch_execz .LBB206_48
; %bb.43:                               ;   in Loop: Header=BB206_4 Depth=1
	v_dual_ashrrev_i32 v21, 31, v20 :: v_dual_ashrrev_i32 v23, 31, v22
	v_ashrrev_i32_e32 v27, 31, v26
	v_ashrrev_i32_e32 v19, 31, v18
	s_delay_alu instid0(VALU_DEP_3) | instskip(NEXT) | instid1(VALU_DEP_4)
	v_lshl_add_u64 v[20:21], v[20:21], 2, v[8:9]
	v_lshl_add_u64 v[24:25], v[22:23], 2, v[8:9]
	s_delay_alu instid0(VALU_DEP_4) | instskip(NEXT) | instid1(VALU_DEP_4)
	v_lshl_add_u64 v[26:27], v[26:27], 2, v[8:9]
	v_lshl_add_u64 v[30:31], v[18:19], 2, v[8:9]
	s_clause 0x3
	flat_load_b32 v18, v[20:21] offset:256
	flat_load_b32 v19, v[24:25] offset:256
	;; [unrolled: 1-line block ×4, first 2 shown]
	s_wait_xcnt 0x0
	s_and_saveexec_b32 s40, s4
	s_cbranch_execz .LBB206_47
; %bb.44:                               ;   in Loop: Header=BB206_4 Depth=1
	s_clause 0x3
	flat_load_b32 v28, v[20:21] offset:512
	flat_load_b32 v29, v[24:25] offset:512
	;; [unrolled: 1-line block ×4, first 2 shown]
	s_wait_xcnt 0x0
	s_and_saveexec_b32 s41, s5
	s_cbranch_execz .LBB206_46
; %bb.45:                               ;   in Loop: Header=BB206_4 Depth=1
	s_clause 0x3
	flat_load_b32 v32, v[20:21] offset:768
	flat_load_b32 v33, v[24:25] offset:768
	;; [unrolled: 1-line block ×4, first 2 shown]
	s_wait_loadcnt_dscnt 0x202
	s_wait_xcnt 0x3
	v_pk_mul_f32 v[20:21], v[12:13], v[32:33]
	s_delay_alu instid0(VALU_DEP_1) | instskip(SKIP_1) | instid1(VALU_DEP_1)
	v_add_f32_e32 v20, v51, v20
	s_wait_xcnt 0x2
	v_add_f32_e32 v24, v20, v21
	s_wait_loadcnt_dscnt 0x0
	v_pk_mul_f32 v[20:21], v[14:15], v[34:35]
	s_delay_alu instid0(VALU_DEP_1) | instskip(NEXT) | instid1(VALU_DEP_1)
	v_add_f32_e32 v20, v24, v20
	v_add_f32_e32 v51, v20, v21
.LBB206_46:                             ;   in Loop: Header=BB206_4 Depth=1
	s_wait_xcnt 0x0
	s_or_b32 exec_lo, exec_lo, s41
	s_wait_loadcnt_dscnt 0x202
	v_pk_mul_f32 v[20:21], v[12:13], v[28:29]
	s_delay_alu instid0(VALU_DEP_1) | instskip(NEXT) | instid1(VALU_DEP_1)
	v_add_f32_e32 v20, v50, v20
	v_add_f32_e32 v24, v20, v21
	s_wait_loadcnt_dscnt 0x0
	v_pk_mul_f32 v[20:21], v[14:15], v[22:23]
	s_delay_alu instid0(VALU_DEP_1) | instskip(NEXT) | instid1(VALU_DEP_1)
	v_add_f32_e32 v20, v24, v20
	v_add_f32_e32 v50, v20, v21
.LBB206_47:                             ;   in Loop: Header=BB206_4 Depth=1
	s_or_b32 exec_lo, exec_lo, s40
	s_wait_loadcnt_dscnt 0x202
	v_pk_mul_f32 v[18:19], v[12:13], v[18:19]
	s_wait_loadcnt_dscnt 0x0
	v_pk_mul_f32 v[8:9], v[14:15], v[8:9]
	s_delay_alu instid0(VALU_DEP_2) | instskip(NEXT) | instid1(VALU_DEP_1)
	v_add_f32_e32 v18, v49, v18
	v_add_f32_e32 v18, v18, v19
	s_delay_alu instid0(VALU_DEP_1) | instskip(NEXT) | instid1(VALU_DEP_1)
	v_add_f32_e32 v8, v18, v8
	v_add_f32_e32 v49, v8, v9
.LBB206_48:                             ;   in Loop: Header=BB206_4 Depth=1
	s_or_b32 exec_lo, exec_lo, s39
	s_wait_loadcnt_dscnt 0x202
	v_pk_mul_f32 v[8:9], v[12:13], v[16:17]
	s_delay_alu instid0(VALU_DEP_1) | instskip(NEXT) | instid1(VALU_DEP_1)
	v_add_f32_e32 v8, v48, v8
	v_add_f32_e32 v12, v8, v9
	s_wait_loadcnt_dscnt 0x0
	v_pk_mul_f32 v[8:9], v[14:15], v[10:11]
	s_delay_alu instid0(VALU_DEP_1) | instskip(NEXT) | instid1(VALU_DEP_1)
	v_add_f32_e32 v8, v12, v8
	v_add_f32_e32 v48, v8, v9
.LBB206_49:                             ;   in Loop: Header=BB206_4 Depth=1
	s_or_b32 exec_lo, exec_lo, s7
.LBB206_50:                             ;   in Loop: Header=BB206_4 Depth=1
	ds_store_2addr_stride64_b32 v37, v48, v49 offset1:1
	ds_store_2addr_stride64_b32 v37, v50, v51 offset0:2 offset1:3
	s_wait_loadcnt_dscnt 0x0
	s_barrier_signal -1
	s_barrier_wait -1
                                        ; implicit-def: $vgpr12
	s_and_saveexec_b32 s7, s0
	s_cbranch_execz .LBB206_56
; %bb.51:                               ;   in Loop: Header=BB206_4 Depth=1
	ds_load_2addr_stride64_b32 v[8:9], v38 offset1:4
	ds_load_2addr_stride64_b32 v[10:11], v38 offset0:8 offset1:12
	ds_load_2addr_stride64_b32 v[12:13], v38 offset0:16 offset1:20
	s_mov_b32 s40, s38
	s_wait_dscnt 0x2
	v_add_f32_e32 v14, v8, v9
	ds_load_2addr_stride64_b32 v[8:9], v38 offset0:24 offset1:28
	s_wait_dscnt 0x2
	v_add_f32_e32 v10, v10, v14
	s_delay_alu instid0(VALU_DEP_1) | instskip(SKIP_3) | instid1(VALU_DEP_1)
	v_add_f32_e32 v14, v11, v10
	ds_load_2addr_stride64_b32 v[10:11], v38 offset0:32 offset1:36
	s_wait_dscnt 0x2
	v_add_f32_e32 v12, v12, v14
	v_add_f32_e32 v14, v13, v12
	ds_load_2addr_stride64_b32 v[12:13], v38 offset0:40 offset1:44
	s_wait_dscnt 0x2
	v_add_f32_e32 v8, v8, v14
	s_delay_alu instid0(VALU_DEP_1) | instskip(SKIP_1) | instid1(VALU_DEP_1)
	v_add_f32_e32 v8, v9, v8
	s_wait_dscnt 0x1
	v_add_f32_e32 v10, v10, v8
	ds_load_2addr_stride64_b32 v[8:9], v38 offset0:48 offset1:52
	v_add_f32_e32 v10, v11, v10
	s_wait_dscnt 0x1
	s_delay_alu instid0(VALU_DEP_1) | instskip(SKIP_3) | instid1(VALU_DEP_1)
	v_add_f32_e32 v12, v12, v10
	ds_load_2addr_stride64_b32 v[10:11], v38 offset0:56 offset1:60
	v_add_f32_e32 v12, v13, v12
	s_wait_dscnt 0x1
	v_add_f32_e32 v8, v8, v12
                                        ; implicit-def: $vgpr12
	s_delay_alu instid0(VALU_DEP_1) | instskip(SKIP_1) | instid1(VALU_DEP_1)
	v_add_f32_e32 v8, v9, v8
	s_wait_dscnt 0x0
	v_add_f32_e32 v8, v10, v8
	s_delay_alu instid0(VALU_DEP_1)
	v_add_f32_e32 v8, v11, v8
	ds_store_b32 v38, v8
	s_and_saveexec_b32 s39, s2
	s_cbranch_execz .LBB206_55
; %bb.52:                               ;   in Loop: Header=BB206_4 Depth=1
	v_mul_f32_e32 v12, s22, v8
	s_and_not1_b32 vcc_lo, exec_lo, s33
	s_cbranch_vccnz .LBB206_54
; %bb.53:                               ;   in Loop: Header=BB206_4 Depth=1
	v_lshl_add_u64 v[8:9], v[4:5], 2, v[6:7]
	flat_load_b32 v8, v[8:9]
	s_wait_loadcnt_dscnt 0x0
	v_fmac_f32_e32 v12, s26, v8
.LBB206_54:                             ;   in Loop: Header=BB206_4 Depth=1
	s_or_b32 s40, s38, exec_lo
.LBB206_55:                             ;   in Loop: Header=BB206_4 Depth=1
	s_wait_xcnt 0x0
	s_or_b32 exec_lo, exec_lo, s39
	s_delay_alu instid0(SALU_CYCLE_1) | instskip(SKIP_1) | instid1(SALU_CYCLE_1)
	s_and_not1_b32 s38, s38, exec_lo
	s_and_b32 s39, s40, exec_lo
	s_or_b32 s38, s38, s39
.LBB206_56:                             ;   in Loop: Header=BB206_4 Depth=1
	s_or_b32 exec_lo, exec_lo, s7
	v_mov_b64_e32 v[8:9], v[4:5]
	s_and_saveexec_b32 s7, s38
	s_cbranch_execz .LBB206_2
.LBB206_57:                             ;   in Loop: Header=BB206_4 Depth=1
	s_delay_alu instid0(VALU_DEP_1)
	v_lshl_add_u64 v[6:7], v[8:9], 2, v[6:7]
	flat_store_b32 v[6:7], v12
	s_branch .LBB206_2
.LBB206_58:
	s_endpgm
	.section	.rodata,"a",@progbits
	.p2align	6, 0x0
	.amdhsa_kernel _ZL20rocblas_gemvn_kernelILi64ELi16EiPKffKPfEviiT3_lPKT2_lT1_lS7_lS8_lS4_lPT4_lS8_li
		.amdhsa_group_segment_fixed_size 16384
		.amdhsa_private_segment_fixed_size 0
		.amdhsa_kernarg_size 400
		.amdhsa_user_sgpr_count 2
		.amdhsa_user_sgpr_dispatch_ptr 0
		.amdhsa_user_sgpr_queue_ptr 0
		.amdhsa_user_sgpr_kernarg_segment_ptr 1
		.amdhsa_user_sgpr_dispatch_id 0
		.amdhsa_user_sgpr_kernarg_preload_length 0
		.amdhsa_user_sgpr_kernarg_preload_offset 0
		.amdhsa_user_sgpr_private_segment_size 0
		.amdhsa_wavefront_size32 1
		.amdhsa_uses_dynamic_stack 0
		.amdhsa_enable_private_segment 0
		.amdhsa_system_sgpr_workgroup_id_x 1
		.amdhsa_system_sgpr_workgroup_id_y 0
		.amdhsa_system_sgpr_workgroup_id_z 1
		.amdhsa_system_sgpr_workgroup_info 0
		.amdhsa_system_vgpr_workitem_id 1
		.amdhsa_next_free_vgpr 62
		.amdhsa_next_free_sgpr 46
		.amdhsa_named_barrier_count 0
		.amdhsa_reserve_vcc 1
		.amdhsa_float_round_mode_32 0
		.amdhsa_float_round_mode_16_64 0
		.amdhsa_float_denorm_mode_32 3
		.amdhsa_float_denorm_mode_16_64 3
		.amdhsa_fp16_overflow 0
		.amdhsa_memory_ordered 1
		.amdhsa_forward_progress 1
		.amdhsa_inst_pref_size 24
		.amdhsa_round_robin_scheduling 0
		.amdhsa_exception_fp_ieee_invalid_op 0
		.amdhsa_exception_fp_denorm_src 0
		.amdhsa_exception_fp_ieee_div_zero 0
		.amdhsa_exception_fp_ieee_overflow 0
		.amdhsa_exception_fp_ieee_underflow 0
		.amdhsa_exception_fp_ieee_inexact 0
		.amdhsa_exception_int_div_zero 0
	.end_amdhsa_kernel
	.section	.text._ZL20rocblas_gemvn_kernelILi64ELi16EiPKffKPfEviiT3_lPKT2_lT1_lS7_lS8_lS4_lPT4_lS8_li,"axG",@progbits,_ZL20rocblas_gemvn_kernelILi64ELi16EiPKffKPfEviiT3_lPKT2_lT1_lS7_lS8_lS4_lPT4_lS8_li,comdat
.Lfunc_end206:
	.size	_ZL20rocblas_gemvn_kernelILi64ELi16EiPKffKPfEviiT3_lPKT2_lT1_lS7_lS8_lS4_lPT4_lS8_li, .Lfunc_end206-_ZL20rocblas_gemvn_kernelILi64ELi16EiPKffKPfEviiT3_lPKT2_lT1_lS7_lS8_lS4_lPT4_lS8_li
                                        ; -- End function
	.set _ZL20rocblas_gemvn_kernelILi64ELi16EiPKffKPfEviiT3_lPKT2_lT1_lS7_lS8_lS4_lPT4_lS8_li.num_vgpr, 62
	.set _ZL20rocblas_gemvn_kernelILi64ELi16EiPKffKPfEviiT3_lPKT2_lT1_lS7_lS8_lS4_lPT4_lS8_li.num_agpr, 0
	.set _ZL20rocblas_gemvn_kernelILi64ELi16EiPKffKPfEviiT3_lPKT2_lT1_lS7_lS8_lS4_lPT4_lS8_li.numbered_sgpr, 46
	.set _ZL20rocblas_gemvn_kernelILi64ELi16EiPKffKPfEviiT3_lPKT2_lT1_lS7_lS8_lS4_lPT4_lS8_li.num_named_barrier, 0
	.set _ZL20rocblas_gemvn_kernelILi64ELi16EiPKffKPfEviiT3_lPKT2_lT1_lS7_lS8_lS4_lPT4_lS8_li.private_seg_size, 0
	.set _ZL20rocblas_gemvn_kernelILi64ELi16EiPKffKPfEviiT3_lPKT2_lT1_lS7_lS8_lS4_lPT4_lS8_li.uses_vcc, 1
	.set _ZL20rocblas_gemvn_kernelILi64ELi16EiPKffKPfEviiT3_lPKT2_lT1_lS7_lS8_lS4_lPT4_lS8_li.uses_flat_scratch, 1
	.set _ZL20rocblas_gemvn_kernelILi64ELi16EiPKffKPfEviiT3_lPKT2_lT1_lS7_lS8_lS4_lPT4_lS8_li.has_dyn_sized_stack, 0
	.set _ZL20rocblas_gemvn_kernelILi64ELi16EiPKffKPfEviiT3_lPKT2_lT1_lS7_lS8_lS4_lPT4_lS8_li.has_recursion, 0
	.set _ZL20rocblas_gemvn_kernelILi64ELi16EiPKffKPfEviiT3_lPKT2_lT1_lS7_lS8_lS4_lPT4_lS8_li.has_indirect_call, 0
	.section	.AMDGPU.csdata,"",@progbits
; Kernel info:
; codeLenInByte = 3048
; TotalNumSgprs: 48
; NumVgprs: 62
; ScratchSize: 0
; MemoryBound: 0
; FloatMode: 240
; IeeeMode: 1
; LDSByteSize: 16384 bytes/workgroup (compile time only)
; SGPRBlocks: 0
; VGPRBlocks: 3
; NumSGPRsForWavesPerEU: 48
; NumVGPRsForWavesPerEU: 62
; NamedBarCnt: 0
; Occupancy: 16
; WaveLimiterHint : 1
; COMPUTE_PGM_RSRC2:SCRATCH_EN: 0
; COMPUTE_PGM_RSRC2:USER_SGPR: 2
; COMPUTE_PGM_RSRC2:TRAP_HANDLER: 0
; COMPUTE_PGM_RSRC2:TGID_X_EN: 1
; COMPUTE_PGM_RSRC2:TGID_Y_EN: 0
; COMPUTE_PGM_RSRC2:TGID_Z_EN: 1
; COMPUTE_PGM_RSRC2:TIDIG_COMP_CNT: 1
	.section	.text._ZL20rocblas_gemvn_kernelILi64ELi16ElPKffKPfEviiT3_lPKT2_lT1_lS7_lS8_lS4_lPT4_lS8_li,"axG",@progbits,_ZL20rocblas_gemvn_kernelILi64ELi16ElPKffKPfEviiT3_lPKT2_lT1_lS7_lS8_lS4_lPT4_lS8_li,comdat
	.globl	_ZL20rocblas_gemvn_kernelILi64ELi16ElPKffKPfEviiT3_lPKT2_lT1_lS7_lS8_lS4_lPT4_lS8_li ; -- Begin function _ZL20rocblas_gemvn_kernelILi64ELi16ElPKffKPfEviiT3_lPKT2_lT1_lS7_lS8_lS4_lPT4_lS8_li
	.p2align	8
	.type	_ZL20rocblas_gemvn_kernelILi64ELi16ElPKffKPfEviiT3_lPKT2_lT1_lS7_lS8_lS4_lPT4_lS8_li,@function
_ZL20rocblas_gemvn_kernelILi64ELi16ElPKffKPfEviiT3_lPKT2_lT1_lS7_lS8_lS4_lPT4_lS8_li: ; @_ZL20rocblas_gemvn_kernelILi64ELi16ElPKffKPfEviiT3_lPKT2_lT1_lS7_lS8_lS4_lPT4_lS8_li
; %bb.0:
	s_clause 0x1
	s_load_b64 s[2:3], s[0:1], 0x9c
	s_load_b32 s27, s[0:1], 0x88
	s_bfe_u32 s4, ttmp6, 0x40014
	s_lshr_b32 s5, ttmp7, 16
	s_add_co_i32 s4, s4, 1
	s_bfe_u32 s6, ttmp6, 0x40008
	s_mul_i32 s7, s5, s4
	s_getreg_b32 s4, hwreg(HW_REG_IB_STS2, 6, 4)
	s_add_co_i32 s6, s6, s7
	s_mov_b32 s11, 0
	s_wait_kmcnt 0x0
	s_lshr_b32 s7, s2, 16
	s_and_b32 s2, s2, 0xffff
	s_and_b32 s3, s3, 0xffff
	s_mul_i32 s2, s7, s2
	s_cmp_eq_u32 s4, 0
	s_mul_i32 s2, s2, s3
	s_cselect_b32 s10, s5, s6
	s_cmp_lg_u32 s2, 0x400
	s_cselect_b32 s2, -1, 0
	s_cmp_ge_u32 s10, s27
	s_cselect_b32 s3, -1, 0
	s_delay_alu instid0(SALU_CYCLE_1) | instskip(NEXT) | instid1(SALU_CYCLE_1)
	s_or_b32 s2, s2, s3
	s_and_b32 vcc_lo, exec_lo, s2
	s_cbranch_vccnz .LBB207_58
; %bb.1:
	s_clause 0x7
	s_load_b96 s[24:26], s[0:1], 0x0
	s_load_b32 s33, s[0:1], 0x58
	s_load_b64 s[28:29], s[0:1], 0x48
	s_load_b128 s[12:15], s[0:1], 0x18
	s_load_b64 s[30:31], s[0:1], 0x28
	s_load_b128 s[16:19], s[0:1], 0x38
	;; [unrolled: 2-line block ×3, first 2 shown]
	v_bfe_u32 v4, v0, 10, 10
	v_and_b32_e32 v15, 0x3ff, v0
	s_delay_alu instid0(VALU_DEP_2) | instskip(NEXT) | instid1(VALU_DEP_2)
	v_dual_mov_b32 v1, 0 :: v_dual_lshlrev_b32 v64, 2, v4
	v_lshl_add_u32 v14, v4, 6, v15
	s_delay_alu instid0(VALU_DEP_2) | instskip(NEXT) | instid1(VALU_DEP_1)
	v_dual_mov_b32 v5, v1 :: v_dual_lshlrev_b32 v20, 2, v15
	v_lshl_add_u32 v66, v4, 10, v20
	s_wait_kmcnt 0x0
	s_cmp_eq_f32 s26, 0
	v_lshl_add_u32 v67, v4, 8, v20
	v_mad_nc_u64_u32 v[6:7], s28, v64, s[28:29]
	v_mul_u64_e32 v[10:11], s[28:29], v[4:5]
	s_cselect_b32 s38, -1, 0
	s_cmp_neq_f32 s33, 1.0
	v_mad_nc_u64_u32 v[8:9], s30, v64, s[30:31]
	v_mul_u64_e32 v[12:13], s[30:31], v[4:5]
	s_cselect_b32 s0, -1, 0
	s_cmp_neq_f32 s26, 0
	s_delay_alu instid0(VALU_DEP_4)
	v_mad_u32 v7, s29, v64, v7
	s_cselect_b32 s1, -1, 0
	s_bfe_u32 s5, ttmp6, 0x4000c
	s_and_b32 s6, ttmp6, 15
	s_add_co_i32 s5, s5, 1
	s_or_b32 s39, s1, s0
	s_mul_i32 s5, ttmp9, s5
	v_cndmask_b32_e64 v65, 0, 1, s1
	s_add_co_i32 s6, s6, s5
	s_cmp_eq_u32 s4, 0
	s_mov_b32 s0, s24
	s_cselect_b32 s1, ttmp9, s6
	v_mad_u32 v9, s31, v64, v9
	s_lshl_b32 s4, s1, 8
	s_ashr_i32 s1, s24, 31
	v_add_nc_u32_e32 v0, s4, v14
	v_lshlrev_b64_e32 v[4:5], 2, v[6:7]
	v_add_nc_u32_e32 v24, s4, v15
	s_cmp_neq_f32 s33, 0
	s_delay_alu instid0(VALU_DEP_3)
	v_cmp_gt_i64_e32 vcc_lo, s[0:1], v[0:1]
	v_cmp_gt_u32_e64 s0, 0x100, v14
	v_or_b32_e32 v14, s4, v14
	v_mul_u64_e32 v[2:3], s[2:3], v[0:1]
	v_or_b32_e32 v0, 3, v64
	v_lshlrev_b64_e32 v[6:7], 2, v[8:9]
	s_cselect_b32 s40, -1, 0
	v_ashrrev_i32_e32 v15, 31, v14
	s_ashr_i32 s1, s25, 31
	v_mul_u64_e32 v[16:17], s[30:31], v[0:1]
	v_mul_u64_e32 v[18:19], s[28:29], v[0:1]
	v_or_b32_e32 v0, 2, v64
	v_mul_u64_e32 v[8:9], s[2:3], v[14:15]
	s_lshr_b32 s4, s1, 26
	v_ashrrev_i32_e32 v25, 31, v24
	v_add_nc_u32_e32 v15, 0x80, v24
	v_mul_u64_e32 v[20:21], s[30:31], v[0:1]
	v_mul_u64_e32 v[22:23], s[28:29], v[0:1]
	s_add_co_i32 s41, s25, s4
	v_add_nc_u32_e32 v0, 64, v24
	v_add_nc_u32_e32 v26, 0xc0, v24
	s_and_not1_b32 s41, s41, 63
	v_cmp_gt_i32_e64 s2, s24, v14
	v_lshlrev_b64_e32 v[10:11], 4, v[10:11]
	v_lshlrev_b64_e32 v[12:13], 4, v[12:13]
	v_cmp_gt_i32_e64 s4, s24, v15
	s_sub_co_i32 s6, s25, s41
	v_lshlrev_b64_e32 v[14:15], 2, v[24:25]
	v_cmp_gt_i32_e64 s1, s24, v24
	v_cmp_gt_i32_e64 s3, s24, v0
	;; [unrolled: 1-line block ×3, first 2 shown]
	s_cmp_gt_i32 s6, 0
	v_cmp_gt_i32_e64 s6, s41, v64
	s_cselect_b32 s24, -1, 0
	s_and_b32 s42, s0, vcc_lo
	s_lshl_b64 s[34:35], s[28:29], 8
	s_lshl_b64 s[36:37], s[30:31], 8
	;; [unrolled: 1-line block ×5, first 2 shown]
	v_lshlrev_b64_e32 v[16:17], 2, v[16:17]
	v_lshlrev_b64_e32 v[18:19], 2, v[18:19]
	;; [unrolled: 1-line block ×4, first 2 shown]
	s_branch .LBB207_4
.LBB207_2:                              ;   in Loop: Header=BB207_4 Depth=1
	s_wait_xcnt 0x0
	s_or_b32 exec_lo, exec_lo, s7
.LBB207_3:                              ;   in Loop: Header=BB207_4 Depth=1
	s_add_co_i32 s10, s10, 0x10000
	s_delay_alu instid0(SALU_CYCLE_1)
	s_cmp_lt_u32 s10, s27
	s_cbranch_scc0 .LBB207_58
.LBB207_4:                              ; =>This Loop Header: Depth=1
                                        ;     Child Loop BB207_26 Depth 2
	s_and_not1_b32 vcc_lo, exec_lo, s39
	s_cbranch_vccnz .LBB207_3
; %bb.5:                                ;   in Loop: Header=BB207_4 Depth=1
	s_and_not1_b32 vcc_lo, exec_lo, s38
	s_cbranch_vccnz .LBB207_7
; %bb.6:                                ;   in Loop: Header=BB207_4 Depth=1
	v_mov_b64_e32 v[28:29], 0
	v_mov_b64_e32 v[26:27], 0
	s_cbranch_execz .LBB207_8
	s_branch .LBB207_9
.LBB207_7:                              ;   in Loop: Header=BB207_4 Depth=1
	v_mov_b64_e32 v[28:29], 0
	v_mov_b64_e32 v[26:27], 0
.LBB207_8:                              ;   in Loop: Header=BB207_4 Depth=1
	s_lshl_b64 s[8:9], s[10:11], 3
	s_delay_alu instid0(SALU_CYCLE_1)
	s_add_nc_u64 s[8:9], s[12:13], s[8:9]
	global_load_b64 v[24:25], v1, s[8:9]
	s_wait_loadcnt 0x0
	v_add_nc_u64_e32 v[26:27], s[14:15], v[24:25]
.LBB207_9:                              ;   in Loop: Header=BB207_4 Depth=1
	v_cmp_ne_u32_e32 vcc_lo, 1, v65
	s_cbranch_vccnz .LBB207_11
; %bb.10:                               ;   in Loop: Header=BB207_4 Depth=1
	s_wait_xcnt 0x0
	s_lshl_b64 s[8:9], s[10:11], 3
	s_delay_alu instid0(SALU_CYCLE_1)
	s_add_nc_u64 s[8:9], s[16:17], s[8:9]
	global_load_b64 v[24:25], v1, s[8:9]
	s_wait_loadcnt 0x0
	v_add_nc_u64_e32 v[28:29], s[18:19], v[24:25]
.LBB207_11:                             ;   in Loop: Header=BB207_4 Depth=1
	s_wait_xcnt 0x0
	s_lshl_b64 s[8:9], s[10:11], 3
	s_and_not1_b32 vcc_lo, exec_lo, s38
	s_add_nc_u64 s[8:9], s[20:21], s[8:9]
	global_load_b64 v[24:25], v1, s[8:9]
	s_wait_loadcnt 0x0
	v_add_nc_u64_e32 v[24:25], s[22:23], v[24:25]
	s_cbranch_vccnz .LBB207_15
; %bb.12:                               ;   in Loop: Header=BB207_4 Depth=1
	s_mov_b32 s7, 0
	s_mov_b32 s43, 0
                                        ; implicit-def: $vgpr0
	s_wait_xcnt 0x0
	s_and_saveexec_b32 s8, s42
	s_cbranch_execz .LBB207_16
; %bb.13:                               ;   in Loop: Header=BB207_4 Depth=1
	s_and_not1_b32 vcc_lo, exec_lo, s40
	s_cbranch_vccnz .LBB207_18
; %bb.14:                               ;   in Loop: Header=BB207_4 Depth=1
	v_lshl_add_u64 v[30:31], v[2:3], 2, v[24:25]
	flat_load_b32 v0, v[30:31]
	s_wait_loadcnt_dscnt 0x0
	v_mul_f32_e32 v0, s33, v0
	s_branch .LBB207_19
.LBB207_15:                             ;   in Loop: Header=BB207_4 Depth=1
	s_mov_b32 s43, 0
                                        ; implicit-def: $vgpr0
	s_cbranch_execz .LBB207_17
	s_branch .LBB207_20
.LBB207_16:                             ;   in Loop: Header=BB207_4 Depth=1
	s_or_b32 exec_lo, exec_lo, s8
	s_delay_alu instid0(SALU_CYCLE_1)
	s_and_b32 vcc_lo, exec_lo, s7
	s_cbranch_vccnz .LBB207_20
.LBB207_17:                             ;   in Loop: Header=BB207_4 Depth=1
	v_mov_b64_e32 v[26:27], v[2:3]
	s_wait_xcnt 0x0
	s_and_saveexec_b32 s7, s43
	s_cbranch_execz .LBB207_2
	s_branch .LBB207_57
.LBB207_18:                             ;   in Loop: Header=BB207_4 Depth=1
	v_mov_b32_e32 v0, 0
.LBB207_19:                             ;   in Loop: Header=BB207_4 Depth=1
	s_mov_b32 s43, exec_lo
	s_wait_xcnt 0x0
	s_or_b32 exec_lo, exec_lo, s8
	s_delay_alu instid0(SALU_CYCLE_1)
	s_and_b32 vcc_lo, exec_lo, s7
	s_cbranch_vccz .LBB207_17
.LBB207_20:                             ;   in Loop: Header=BB207_4 Depth=1
	v_dual_mov_b32 v68, 0 :: v_dual_mov_b32 v0, v64
	v_dual_mov_b32 v69, 0 :: v_dual_mov_b32 v70, 0
	v_mov_b32_e32 v71, 0
	s_wait_xcnt 0x0
	s_and_saveexec_b32 s7, s6
	s_cbranch_execz .LBB207_32
; %bb.21:                               ;   in Loop: Header=BB207_4 Depth=1
	v_add_nc_u64_e32 v[30:31], v[26:27], v[16:17]
	v_add_nc_u64_e32 v[32:33], v[26:27], v[12:13]
	;; [unrolled: 1-line block ×4, first 2 shown]
	v_mov_b64_e32 v[38:39], v[28:29]
	v_dual_mov_b32 v68, 0 :: v_dual_mov_b32 v0, v64
	v_dual_mov_b32 v69, 0 :: v_dual_mov_b32 v70, 0
	v_mov_b32_e32 v71, 0
	s_mov_b32 s8, 0
	s_branch .LBB207_26
.LBB207_22:                             ;   in Loop: Header=BB207_26 Depth=2
	s_wait_xcnt 0x0
	s_or_b32 exec_lo, exec_lo, s46
	s_wait_loadcnt_dscnt 0x202
	v_pk_mul_f32 v[52:53], v[42:43], v[62:63]
	s_delay_alu instid0(VALU_DEP_1) | instskip(NEXT) | instid1(VALU_DEP_1)
	v_add_f32_e32 v52, v70, v52
	v_add_f32_e32 v54, v52, v53
	s_wait_loadcnt_dscnt 0x0
	v_pk_mul_f32 v[52:53], v[40:41], v[60:61]
	s_delay_alu instid0(VALU_DEP_1) | instskip(NEXT) | instid1(VALU_DEP_1)
	v_add_f32_e32 v52, v54, v52
	v_add_f32_e32 v70, v52, v53
.LBB207_23:                             ;   in Loop: Header=BB207_26 Depth=2
	s_or_b32 exec_lo, exec_lo, s45
	s_wait_loadcnt_dscnt 0x202
	v_pk_mul_f32 v[50:51], v[42:43], v[50:51]
	s_wait_loadcnt_dscnt 0x0
	v_pk_mul_f32 v[48:49], v[40:41], v[48:49]
	s_delay_alu instid0(VALU_DEP_2) | instskip(NEXT) | instid1(VALU_DEP_1)
	v_add_f32_e32 v50, v69, v50
	v_add_f32_e32 v50, v50, v51
	s_delay_alu instid0(VALU_DEP_1) | instskip(NEXT) | instid1(VALU_DEP_1)
	v_add_f32_e32 v48, v50, v48
	v_add_f32_e32 v69, v48, v49
.LBB207_24:                             ;   in Loop: Header=BB207_26 Depth=2
	s_or_b32 exec_lo, exec_lo, s44
	s_wait_loadcnt_dscnt 0x202
	v_pk_mul_f32 v[42:43], v[42:43], v[46:47]
	s_wait_loadcnt_dscnt 0x0
	v_pk_mul_f32 v[40:41], v[40:41], v[44:45]
	s_delay_alu instid0(VALU_DEP_2) | instskip(NEXT) | instid1(VALU_DEP_1)
	v_add_f32_e32 v42, v68, v42
	v_add_f32_e32 v42, v42, v43
	s_delay_alu instid0(VALU_DEP_1) | instskip(NEXT) | instid1(VALU_DEP_1)
	v_add_f32_e32 v40, v42, v40
	v_add_f32_e32 v68, v40, v41
.LBB207_25:                             ;   in Loop: Header=BB207_26 Depth=2
	s_or_b32 exec_lo, exec_lo, s9
	v_add_nc_u32_e32 v0, 64, v0
	v_add_nc_u64_e32 v[38:39], s[34:35], v[38:39]
	v_add_nc_u64_e32 v[30:31], s[36:37], v[30:31]
	;; [unrolled: 1-line block ×4, first 2 shown]
	v_cmp_le_i32_e32 vcc_lo, s41, v0
	v_add_nc_u64_e32 v[36:37], s[36:37], v[36:37]
	s_or_b32 s8, vcc_lo, s8
	s_delay_alu instid0(SALU_CYCLE_1)
	s_and_not1_b32 exec_lo, exec_lo, s8
	s_cbranch_execz .LBB207_31
.LBB207_26:                             ;   Parent Loop BB207_4 Depth=1
                                        ; =>  This Inner Loop Header: Depth=2
	s_and_saveexec_b32 s9, s1
	s_cbranch_execz .LBB207_25
; %bb.27:                               ;   in Loop: Header=BB207_26 Depth=2
	v_add_nc_u64_e32 v[40:41], v[38:39], v[18:19]
	v_add_nc_u64_e32 v[42:43], v[38:39], v[22:23]
	;; [unrolled: 1-line block ×8, first 2 shown]
	s_clause 0x3
	flat_load_b32 v41, v[40:41]
	flat_load_b32 v40, v[42:43]
	;; [unrolled: 1-line block ×4, first 2 shown]
                                        ; kill: killed $vgpr44_vgpr45
                                        ; kill: killed $vgpr46_vgpr47
	flat_load_b32 v46, v[54:55]
	flat_load_b32 v47, v[58:59]
	flat_load_b32 v44, v[52:53]
	flat_load_b32 v45, v[56:57]
	s_wait_xcnt 0x0
	s_and_saveexec_b32 s44, s3
	s_cbranch_execz .LBB207_24
; %bb.28:                               ;   in Loop: Header=BB207_26 Depth=2
	flat_load_b32 v50, v[54:55] offset:256
	flat_load_b32 v51, v[58:59] offset:256
	flat_load_b32 v48, v[52:53] offset:256
	flat_load_b32 v49, v[56:57] offset:256
	s_wait_xcnt 0x0
	s_and_saveexec_b32 s45, s4
	s_cbranch_execz .LBB207_23
; %bb.29:                               ;   in Loop: Header=BB207_26 Depth=2
	flat_load_b32 v62, v[54:55] offset:512
	flat_load_b32 v63, v[58:59] offset:512
	flat_load_b32 v60, v[52:53] offset:512
	flat_load_b32 v61, v[56:57] offset:512
	;; [unrolled: 8-line block ×3, first 2 shown]
	s_wait_loadcnt_dscnt 0x202
	v_pk_mul_f32 v[54:55], v[42:43], v[54:55]
	s_wait_loadcnt_dscnt 0x0
	v_pk_mul_f32 v[52:53], v[40:41], v[52:53]
	s_delay_alu instid0(VALU_DEP_2) | instskip(NEXT) | instid1(VALU_DEP_1)
	v_add_f32_e32 v54, v71, v54
	v_add_f32_e32 v54, v54, v55
	s_delay_alu instid0(VALU_DEP_1) | instskip(NEXT) | instid1(VALU_DEP_1)
	v_add_f32_e32 v52, v54, v52
	v_add_f32_e32 v71, v52, v53
	s_branch .LBB207_22
.LBB207_31:                             ;   in Loop: Header=BB207_4 Depth=1
	s_or_b32 exec_lo, exec_lo, s8
.LBB207_32:                             ;   in Loop: Header=BB207_4 Depth=1
	s_delay_alu instid0(SALU_CYCLE_1) | instskip(NEXT) | instid1(SALU_CYCLE_1)
	s_or_b32 exec_lo, exec_lo, s7
	s_and_not1_b32 vcc_lo, exec_lo, s24
	s_cbranch_vccnz .LBB207_50
; %bb.33:                               ;   in Loop: Header=BB207_4 Depth=1
	v_dual_mov_b32 v32, 0 :: v_dual_bitop2_b32 v34, 1, v0 bitop3:0x54
	v_cmp_gt_i32_e32 vcc_lo, s25, v0
	s_delay_alu instid0(VALU_DEP_2)
	v_dual_mov_b32 v33, v32 :: v_dual_mov_b32 v30, v32
	v_mov_b32_e32 v31, v32
	s_and_saveexec_b32 s8, vcc_lo
	s_cbranch_execz .LBB207_41
; %bb.34:                               ;   in Loop: Header=BB207_4 Depth=1
	v_mul_u64_e32 v[30:31], s[28:29], v[0:1]
	v_mov_b32_e32 v32, 0
	s_mov_b32 s9, exec_lo
	v_mov_b32_e32 v33, 0
	s_delay_alu instid0(VALU_DEP_3)
	v_lshl_add_u64 v[30:31], v[30:31], 2, v[28:29]
	flat_load_b32 v30, v[30:31]
	s_wait_xcnt 0x0
	v_mov_b32_e32 v31, 0
	v_cmpx_gt_i32_e64 s25, v34
	s_cbranch_execz .LBB207_40
; %bb.35:                               ;   in Loop: Header=BB207_4 Depth=1
	v_dual_mov_b32 v35, v1 :: v_dual_bitop2_b32 v36, 2, v0 bitop3:0x54
	s_mov_b32 s44, exec_lo
	s_delay_alu instid0(VALU_DEP_1) | instskip(NEXT) | instid1(VALU_DEP_1)
	v_mul_u64_e32 v[32:33], s[28:29], v[34:35]
	v_lshl_add_u64 v[32:33], v[32:33], 2, v[28:29]
	flat_load_b32 v31, v[32:33]
	s_wait_xcnt 0x0
	v_dual_mov_b32 v33, 0 :: v_dual_mov_b32 v32, 0
	v_cmpx_gt_i32_e64 s25, v36
	s_cbranch_execz .LBB207_39
; %bb.36:                               ;   in Loop: Header=BB207_4 Depth=1
	v_mov_b32_e32 v37, v1
	s_mov_b32 s45, exec_lo
	s_delay_alu instid0(VALU_DEP_1) | instskip(SKIP_1) | instid1(VALU_DEP_2)
	v_mul_u64_e32 v[32:33], s[28:29], v[36:37]
	v_or_b32_e32 v36, 3, v0
	v_lshl_add_u64 v[32:33], v[32:33], 2, v[28:29]
	flat_load_b32 v32, v[32:33]
	s_wait_xcnt 0x0
	v_mov_b32_e32 v33, 0
	v_cmpx_gt_i32_e64 s25, v36
	s_cbranch_execz .LBB207_38
; %bb.37:                               ;   in Loop: Header=BB207_4 Depth=1
	v_mov_b32_e32 v37, v1
	s_delay_alu instid0(VALU_DEP_1) | instskip(NEXT) | instid1(VALU_DEP_1)
	v_mul_u64_e32 v[36:37], s[28:29], v[36:37]
	v_lshl_add_u64 v[28:29], v[36:37], 2, v[28:29]
	flat_load_b32 v33, v[28:29]
.LBB207_38:                             ;   in Loop: Header=BB207_4 Depth=1
	s_wait_xcnt 0x0
	s_or_b32 exec_lo, exec_lo, s45
.LBB207_39:                             ;   in Loop: Header=BB207_4 Depth=1
	s_delay_alu instid0(SALU_CYCLE_1)
	s_or_b32 exec_lo, exec_lo, s44
.LBB207_40:                             ;   in Loop: Header=BB207_4 Depth=1
	s_delay_alu instid0(SALU_CYCLE_1)
	s_or_b32 exec_lo, exec_lo, s9
.LBB207_41:                             ;   in Loop: Header=BB207_4 Depth=1
	s_delay_alu instid0(SALU_CYCLE_1)
	s_or_b32 exec_lo, exec_lo, s8
	s_and_saveexec_b32 s44, s1
	s_cbranch_execz .LBB207_49
; %bb.42:                               ;   in Loop: Header=BB207_4 Depth=1
	v_dual_mov_b32 v35, v1 :: v_dual_bitop2_b32 v28, 2, v0 bitop3:0x54
	v_mov_b32_e32 v29, v1
	v_mul_u64_e32 v[36:37], s[30:31], v[0:1]
	v_or_b32_e32 v0, 3, v0
	s_delay_alu instid0(VALU_DEP_4)
	v_mul_u64_e32 v[38:39], s[30:31], v[34:35]
	v_cmp_gt_i32_e64 s7, s25, v34
	v_mul_u64_e32 v[40:41], s[30:31], v[28:29]
	v_cmp_gt_i32_e64 s8, s25, v28
	;; [unrolled: 2-line block ×3, first 2 shown]
	v_dual_cndmask_b32 v29, 0, v37 :: v_dual_cndmask_b32 v28, 0, v36
	v_dual_cndmask_b32 v35, 0, v39, s7 :: v_dual_cndmask_b32 v34, 0, v38, s7
	v_dual_cndmask_b32 v37, 0, v41, s8 :: v_dual_cndmask_b32 v36, 0, v40, s8
	s_delay_alu instid0(VALU_DEP_4) | instskip(NEXT) | instid1(VALU_DEP_4)
	v_dual_cndmask_b32 v39, 0, v43, s9 :: v_dual_cndmask_b32 v38, 0, v42, s9
	v_lshl_add_u64 v[28:29], v[28:29], 2, v[26:27]
	s_delay_alu instid0(VALU_DEP_4) | instskip(NEXT) | instid1(VALU_DEP_4)
	v_lshl_add_u64 v[34:35], v[34:35], 2, v[26:27]
	v_lshl_add_u64 v[36:37], v[36:37], 2, v[26:27]
	s_delay_alu instid0(VALU_DEP_4) | instskip(NEXT) | instid1(VALU_DEP_4)
	v_lshl_add_u64 v[26:27], v[38:39], 2, v[26:27]
	v_add_nc_u64_e32 v[40:41], v[28:29], v[14:15]
	s_delay_alu instid0(VALU_DEP_4) | instskip(NEXT) | instid1(VALU_DEP_4)
	v_add_nc_u64_e32 v[38:39], v[34:35], v[14:15]
	v_add_nc_u64_e32 v[44:45], v[36:37], v[14:15]
	s_delay_alu instid0(VALU_DEP_4)
	v_add_nc_u64_e32 v[42:43], v[26:27], v[14:15]
	s_clause 0x3
	flat_load_b32 v28, v[40:41]
	flat_load_b32 v29, v[38:39]
	;; [unrolled: 1-line block ×4, first 2 shown]
	s_wait_xcnt 0x0
	s_and_saveexec_b32 s7, s3
	s_cbranch_execz .LBB207_48
; %bb.43:                               ;   in Loop: Header=BB207_4 Depth=1
	s_clause 0x3
	flat_load_b32 v36, v[40:41] offset:256
	flat_load_b32 v37, v[38:39] offset:256
	flat_load_b32 v34, v[44:45] offset:256
	flat_load_b32 v35, v[42:43] offset:256
	s_wait_xcnt 0x0
	s_and_saveexec_b32 s8, s4
	s_cbranch_execz .LBB207_47
; %bb.44:                               ;   in Loop: Header=BB207_4 Depth=1
	s_clause 0x3
	flat_load_b32 v48, v[40:41] offset:512
	flat_load_b32 v49, v[38:39] offset:512
	flat_load_b32 v46, v[44:45] offset:512
	flat_load_b32 v47, v[42:43] offset:512
	;; [unrolled: 9-line block ×3, first 2 shown]
	s_wait_loadcnt_dscnt 0x202
	s_wait_xcnt 0x2
	v_pk_mul_f32 v[38:39], v[30:31], v[50:51]
	s_delay_alu instid0(VALU_DEP_1) | instskip(NEXT) | instid1(VALU_DEP_1)
	v_add_f32_e32 v0, v71, v38
	v_add_f32_e32 v0, v0, v39
	s_wait_loadcnt_dscnt 0x0
	v_pk_mul_f32 v[38:39], v[32:33], v[52:53]
	s_delay_alu instid0(VALU_DEP_1) | instskip(NEXT) | instid1(VALU_DEP_1)
	v_add_f32_e32 v0, v0, v38
	v_add_f32_e32 v71, v0, v39
.LBB207_46:                             ;   in Loop: Header=BB207_4 Depth=1
	s_wait_xcnt 0x0
	s_or_b32 exec_lo, exec_lo, s9
	s_wait_loadcnt_dscnt 0x202
	v_pk_mul_f32 v[38:39], v[30:31], v[48:49]
	s_delay_alu instid0(VALU_DEP_1) | instskip(NEXT) | instid1(VALU_DEP_1)
	v_add_f32_e32 v0, v70, v38
	v_add_f32_e32 v0, v0, v39
	s_wait_loadcnt_dscnt 0x0
	v_pk_mul_f32 v[38:39], v[32:33], v[46:47]
	s_delay_alu instid0(VALU_DEP_1) | instskip(NEXT) | instid1(VALU_DEP_1)
	v_add_f32_e32 v0, v0, v38
	v_add_f32_e32 v70, v0, v39
.LBB207_47:                             ;   in Loop: Header=BB207_4 Depth=1
	s_or_b32 exec_lo, exec_lo, s8
	s_wait_loadcnt_dscnt 0x202
	v_pk_mul_f32 v[36:37], v[30:31], v[36:37]
	s_wait_loadcnt_dscnt 0x0
	v_pk_mul_f32 v[34:35], v[32:33], v[34:35]
	s_delay_alu instid0(VALU_DEP_2) | instskip(NEXT) | instid1(VALU_DEP_1)
	v_add_f32_e32 v0, v69, v36
	v_add_f32_e32 v0, v0, v37
	s_delay_alu instid0(VALU_DEP_1) | instskip(NEXT) | instid1(VALU_DEP_1)
	v_add_f32_e32 v0, v0, v34
	v_add_f32_e32 v69, v0, v35
.LBB207_48:                             ;   in Loop: Header=BB207_4 Depth=1
	s_or_b32 exec_lo, exec_lo, s7
	s_wait_loadcnt_dscnt 0x202
	v_pk_mul_f32 v[28:29], v[30:31], v[28:29]
	s_wait_loadcnt_dscnt 0x0
	v_pk_mul_f32 v[26:27], v[32:33], v[26:27]
	s_delay_alu instid0(VALU_DEP_2) | instskip(NEXT) | instid1(VALU_DEP_1)
	v_add_f32_e32 v0, v68, v28
	v_add_f32_e32 v0, v0, v29
	s_delay_alu instid0(VALU_DEP_1) | instskip(NEXT) | instid1(VALU_DEP_1)
	v_add_f32_e32 v0, v0, v26
	v_add_f32_e32 v68, v0, v27
.LBB207_49:                             ;   in Loop: Header=BB207_4 Depth=1
	s_or_b32 exec_lo, exec_lo, s44
.LBB207_50:                             ;   in Loop: Header=BB207_4 Depth=1
	ds_store_2addr_stride64_b32 v66, v68, v69 offset1:1
	ds_store_2addr_stride64_b32 v66, v70, v71 offset0:2 offset1:3
	s_wait_loadcnt_dscnt 0x0
	s_barrier_signal -1
	s_barrier_wait -1
                                        ; implicit-def: $vgpr0
	s_and_saveexec_b32 s7, s0
	s_cbranch_execz .LBB207_56
; %bb.51:                               ;   in Loop: Header=BB207_4 Depth=1
	ds_load_2addr_stride64_b32 v[26:27], v67 offset1:4
	ds_load_2addr_stride64_b32 v[28:29], v67 offset0:8 offset1:12
	ds_load_2addr_stride64_b32 v[30:31], v67 offset0:16 offset1:20
	s_mov_b32 s9, s43
	s_wait_dscnt 0x2
	v_add_f32_e32 v0, v26, v27
	ds_load_2addr_stride64_b32 v[26:27], v67 offset0:24 offset1:28
	s_wait_dscnt 0x2
	v_add_f32_e32 v0, v28, v0
	s_delay_alu instid0(VALU_DEP_1) | instskip(SKIP_3) | instid1(VALU_DEP_1)
	v_add_f32_e32 v0, v29, v0
	ds_load_2addr_stride64_b32 v[28:29], v67 offset0:32 offset1:36
	s_wait_dscnt 0x2
	v_add_f32_e32 v0, v30, v0
	v_add_f32_e32 v0, v31, v0
	ds_load_2addr_stride64_b32 v[30:31], v67 offset0:40 offset1:44
	s_wait_dscnt 0x2
	v_add_f32_e32 v0, v26, v0
	s_delay_alu instid0(VALU_DEP_1) | instskip(SKIP_3) | instid1(VALU_DEP_1)
	v_add_f32_e32 v0, v27, v0
	ds_load_2addr_stride64_b32 v[26:27], v67 offset0:48 offset1:52
	s_wait_dscnt 0x2
	v_add_f32_e32 v0, v28, v0
	v_add_f32_e32 v0, v29, v0
	ds_load_2addr_stride64_b32 v[28:29], v67 offset0:56 offset1:60
	s_wait_dscnt 0x2
	v_add_f32_e32 v0, v30, v0
	s_delay_alu instid0(VALU_DEP_1) | instskip(SKIP_1) | instid1(VALU_DEP_1)
	v_add_f32_e32 v0, v31, v0
	s_wait_dscnt 0x1
	v_add_f32_e32 v0, v26, v0
	s_delay_alu instid0(VALU_DEP_1) | instskip(SKIP_1) | instid1(VALU_DEP_1)
	v_add_f32_e32 v0, v27, v0
	s_wait_dscnt 0x0
	v_add_f32_e32 v0, v28, v0
	s_delay_alu instid0(VALU_DEP_1)
	v_add_f32_e32 v26, v29, v0
                                        ; implicit-def: $vgpr0
	ds_store_b32 v67, v26
	s_and_saveexec_b32 s8, s2
	s_cbranch_execz .LBB207_55
; %bb.52:                               ;   in Loop: Header=BB207_4 Depth=1
	v_mul_f32_e32 v0, s26, v26
	s_and_not1_b32 vcc_lo, exec_lo, s40
	s_cbranch_vccnz .LBB207_54
; %bb.53:                               ;   in Loop: Header=BB207_4 Depth=1
	v_lshl_add_u64 v[26:27], v[8:9], 2, v[24:25]
	flat_load_b32 v26, v[26:27]
	s_wait_loadcnt_dscnt 0x0
	v_fmac_f32_e32 v0, s33, v26
.LBB207_54:                             ;   in Loop: Header=BB207_4 Depth=1
	s_or_b32 s9, s43, exec_lo
.LBB207_55:                             ;   in Loop: Header=BB207_4 Depth=1
	s_wait_xcnt 0x0
	s_or_b32 exec_lo, exec_lo, s8
	s_delay_alu instid0(SALU_CYCLE_1) | instskip(SKIP_1) | instid1(SALU_CYCLE_1)
	s_and_not1_b32 s8, s43, exec_lo
	s_and_b32 s9, s9, exec_lo
	s_or_b32 s43, s8, s9
.LBB207_56:                             ;   in Loop: Header=BB207_4 Depth=1
	s_or_b32 exec_lo, exec_lo, s7
	v_mov_b64_e32 v[26:27], v[8:9]
	s_and_saveexec_b32 s7, s43
	s_cbranch_execz .LBB207_2
.LBB207_57:                             ;   in Loop: Header=BB207_4 Depth=1
	s_delay_alu instid0(VALU_DEP_1)
	v_lshl_add_u64 v[24:25], v[26:27], 2, v[24:25]
	flat_store_b32 v[24:25], v0
	s_branch .LBB207_2
.LBB207_58:
	s_sendmsg sendmsg(MSG_DEALLOC_VGPRS)
	s_endpgm
	.section	.rodata,"a",@progbits
	.p2align	6, 0x0
	.amdhsa_kernel _ZL20rocblas_gemvn_kernelILi64ELi16ElPKffKPfEviiT3_lPKT2_lT1_lS7_lS8_lS4_lPT4_lS8_li
		.amdhsa_group_segment_fixed_size 16384
		.amdhsa_private_segment_fixed_size 0
		.amdhsa_kernarg_size 400
		.amdhsa_user_sgpr_count 2
		.amdhsa_user_sgpr_dispatch_ptr 0
		.amdhsa_user_sgpr_queue_ptr 0
		.amdhsa_user_sgpr_kernarg_segment_ptr 1
		.amdhsa_user_sgpr_dispatch_id 0
		.amdhsa_user_sgpr_kernarg_preload_length 0
		.amdhsa_user_sgpr_kernarg_preload_offset 0
		.amdhsa_user_sgpr_private_segment_size 0
		.amdhsa_wavefront_size32 1
		.amdhsa_uses_dynamic_stack 0
		.amdhsa_enable_private_segment 0
		.amdhsa_system_sgpr_workgroup_id_x 1
		.amdhsa_system_sgpr_workgroup_id_y 0
		.amdhsa_system_sgpr_workgroup_id_z 1
		.amdhsa_system_sgpr_workgroup_info 0
		.amdhsa_system_vgpr_workitem_id 1
		.amdhsa_next_free_vgpr 72
		.amdhsa_next_free_sgpr 47
		.amdhsa_named_barrier_count 0
		.amdhsa_reserve_vcc 1
		.amdhsa_float_round_mode_32 0
		.amdhsa_float_round_mode_16_64 0
		.amdhsa_float_denorm_mode_32 3
		.amdhsa_float_denorm_mode_16_64 3
		.amdhsa_fp16_overflow 0
		.amdhsa_memory_ordered 1
		.amdhsa_forward_progress 1
		.amdhsa_inst_pref_size 23
		.amdhsa_round_robin_scheduling 0
		.amdhsa_exception_fp_ieee_invalid_op 0
		.amdhsa_exception_fp_denorm_src 0
		.amdhsa_exception_fp_ieee_div_zero 0
		.amdhsa_exception_fp_ieee_overflow 0
		.amdhsa_exception_fp_ieee_underflow 0
		.amdhsa_exception_fp_ieee_inexact 0
		.amdhsa_exception_int_div_zero 0
	.end_amdhsa_kernel
	.section	.text._ZL20rocblas_gemvn_kernelILi64ELi16ElPKffKPfEviiT3_lPKT2_lT1_lS7_lS8_lS4_lPT4_lS8_li,"axG",@progbits,_ZL20rocblas_gemvn_kernelILi64ELi16ElPKffKPfEviiT3_lPKT2_lT1_lS7_lS8_lS4_lPT4_lS8_li,comdat
.Lfunc_end207:
	.size	_ZL20rocblas_gemvn_kernelILi64ELi16ElPKffKPfEviiT3_lPKT2_lT1_lS7_lS8_lS4_lPT4_lS8_li, .Lfunc_end207-_ZL20rocblas_gemvn_kernelILi64ELi16ElPKffKPfEviiT3_lPKT2_lT1_lS7_lS8_lS4_lPT4_lS8_li
                                        ; -- End function
	.set _ZL20rocblas_gemvn_kernelILi64ELi16ElPKffKPfEviiT3_lPKT2_lT1_lS7_lS8_lS4_lPT4_lS8_li.num_vgpr, 72
	.set _ZL20rocblas_gemvn_kernelILi64ELi16ElPKffKPfEviiT3_lPKT2_lT1_lS7_lS8_lS4_lPT4_lS8_li.num_agpr, 0
	.set _ZL20rocblas_gemvn_kernelILi64ELi16ElPKffKPfEviiT3_lPKT2_lT1_lS7_lS8_lS4_lPT4_lS8_li.numbered_sgpr, 47
	.set _ZL20rocblas_gemvn_kernelILi64ELi16ElPKffKPfEviiT3_lPKT2_lT1_lS7_lS8_lS4_lPT4_lS8_li.num_named_barrier, 0
	.set _ZL20rocblas_gemvn_kernelILi64ELi16ElPKffKPfEviiT3_lPKT2_lT1_lS7_lS8_lS4_lPT4_lS8_li.private_seg_size, 0
	.set _ZL20rocblas_gemvn_kernelILi64ELi16ElPKffKPfEviiT3_lPKT2_lT1_lS7_lS8_lS4_lPT4_lS8_li.uses_vcc, 1
	.set _ZL20rocblas_gemvn_kernelILi64ELi16ElPKffKPfEviiT3_lPKT2_lT1_lS7_lS8_lS4_lPT4_lS8_li.uses_flat_scratch, 1
	.set _ZL20rocblas_gemvn_kernelILi64ELi16ElPKffKPfEviiT3_lPKT2_lT1_lS7_lS8_lS4_lPT4_lS8_li.has_dyn_sized_stack, 0
	.set _ZL20rocblas_gemvn_kernelILi64ELi16ElPKffKPfEviiT3_lPKT2_lT1_lS7_lS8_lS4_lPT4_lS8_li.has_recursion, 0
	.set _ZL20rocblas_gemvn_kernelILi64ELi16ElPKffKPfEviiT3_lPKT2_lT1_lS7_lS8_lS4_lPT4_lS8_li.has_indirect_call, 0
	.section	.AMDGPU.csdata,"",@progbits
; Kernel info:
; codeLenInByte = 2932
; TotalNumSgprs: 49
; NumVgprs: 72
; ScratchSize: 0
; MemoryBound: 0
; FloatMode: 240
; IeeeMode: 1
; LDSByteSize: 16384 bytes/workgroup (compile time only)
; SGPRBlocks: 0
; VGPRBlocks: 4
; NumSGPRsForWavesPerEU: 49
; NumVGPRsForWavesPerEU: 72
; NamedBarCnt: 0
; Occupancy: 12
; WaveLimiterHint : 1
; COMPUTE_PGM_RSRC2:SCRATCH_EN: 0
; COMPUTE_PGM_RSRC2:USER_SGPR: 2
; COMPUTE_PGM_RSRC2:TRAP_HANDLER: 0
; COMPUTE_PGM_RSRC2:TGID_X_EN: 1
; COMPUTE_PGM_RSRC2:TGID_Y_EN: 0
; COMPUTE_PGM_RSRC2:TGID_Z_EN: 1
; COMPUTE_PGM_RSRC2:TIDIG_COMP_CNT: 1
	.section	.text._ZL22rocblas_gemvtsm_kernelILb0ELi256EPKfS1_KPfEviiT2_lPKT1_lilS7_lilS4_lPT3_lil,"axG",@progbits,_ZL22rocblas_gemvtsm_kernelILb0ELi256EPKfS1_KPfEviiT2_lPKT1_lilS7_lilS4_lPT3_lil,comdat
	.globl	_ZL22rocblas_gemvtsm_kernelILb0ELi256EPKfS1_KPfEviiT2_lPKT1_lilS7_lilS4_lPT3_lil ; -- Begin function _ZL22rocblas_gemvtsm_kernelILb0ELi256EPKfS1_KPfEviiT2_lPKT1_lilS7_lilS4_lPT3_lil
	.p2align	8
	.type	_ZL22rocblas_gemvtsm_kernelILb0ELi256EPKfS1_KPfEviiT2_lPKT1_lilS7_lilS4_lPT3_lil,@function
_ZL22rocblas_gemvtsm_kernelILb0ELi256EPKfS1_KPfEviiT2_lPKT1_lilS7_lilS4_lPT3_lil: ; @_ZL22rocblas_gemvtsm_kernelILb0ELi256EPKfS1_KPfEviiT2_lPKT1_lilS7_lilS4_lPT3_lil
; %bb.0:
	s_clause 0x1
	s_load_b256 s[12:19], s[0:1], 0x8
	s_load_b256 s[4:11], s[0:1], 0x58
	s_bfe_u32 s2, ttmp6, 0x4000c
	s_and_b32 s3, ttmp6, 15
	s_add_co_i32 s2, s2, 1
	s_getreg_b32 s20, hwreg(HW_REG_IB_STS2, 6, 4)
	s_mul_i32 s2, ttmp9, s2
	s_delay_alu instid0(SALU_CYCLE_1)
	s_add_co_i32 s2, s3, s2
	s_cmp_eq_u32 s20, 0
	s_mov_b32 s3, 0
	s_cselect_b32 s2, ttmp9, s2
	s_wait_kmcnt 0x0
	s_mul_u64 s[14:15], s[14:15], s[2:3]
	s_mul_u64 s[6:7], s[6:7], s[2:3]
	s_lshl_b64 s[14:15], s[14:15], 2
	s_lshl_b64 s[6:7], s[6:7], 2
	s_add_nc_u64 s[12:13], s[12:13], s[14:15]
	s_add_nc_u64 s[4:5], s[4:5], s[6:7]
	s_load_b32 s21, s[12:13], 0x0
	s_load_b32 s20, s[4:5], 0x0
	s_wait_kmcnt 0x0
	s_cmp_eq_f32 s21, 0
	s_cselect_b32 s4, -1, 0
	s_cmp_eq_f32 s20, 1.0
	s_cselect_b32 s5, -1, 0
	s_delay_alu instid0(SALU_CYCLE_1) | instskip(NEXT) | instid1(SALU_CYCLE_1)
	s_and_b32 s4, s4, s5
	s_and_b32 vcc_lo, exec_lo, s4
	s_cbranch_vccnz .LBB208_38
; %bb.1:
	s_cmp_neq_f32 s21, 0
	s_mov_b64 s[12:13], 0
	s_mov_b64 s[6:7], 0
	s_cselect_b32 s4, -1, 0
	s_cmp_eq_f32 s21, 0
	s_cselect_b32 s5, -1, 0
	s_delay_alu instid0(SALU_CYCLE_1)
	s_and_b32 vcc_lo, exec_lo, s5
	s_cbranch_vccnz .LBB208_3
; %bb.2:
	s_lshl_b64 s[6:7], s[2:3], 3
	s_lshl_b64 s[14:15], s[18:19], 2
	s_add_nc_u64 s[6:7], s[16:17], s[6:7]
	s_load_b64 s[6:7], s[6:7], 0x0
	s_wait_kmcnt 0x0
	s_add_nc_u64 s[6:7], s[6:7], s[14:15]
.LBB208_3:
	s_and_not1_b32 vcc_lo, exec_lo, s4
	s_cbranch_vccnz .LBB208_5
; %bb.4:
	s_load_b128 s[12:15], s[0:1], 0x38
	s_lshl_b64 s[16:17], s[2:3], 3
	s_wait_kmcnt 0x0
	s_add_nc_u64 s[12:13], s[12:13], s[16:17]
	s_lshl_b64 s[14:15], s[14:15], 2
	s_load_b64 s[12:13], s[12:13], 0x0
	s_wait_kmcnt 0x0
	s_add_nc_u64 s[12:13], s[12:13], s[14:15]
.LBB208_5:
	s_lshl_b64 s[2:3], s[2:3], 3
	s_and_not1_b32 vcc_lo, exec_lo, s5
	s_add_nc_u64 s[14:15], s[8:9], s[2:3]
	s_clause 0x1
	s_load_b64 s[2:3], s[0:1], 0x0
	s_load_b32 s4, s[0:1], 0x78
	s_load_b64 s[8:9], s[14:15], 0x0
	s_mov_b32 s5, -1
	s_cbranch_vccnz .LBB208_20
; %bb.6:
	s_wait_kmcnt 0x0
	s_cmp_gt_i32 s3, 0
	s_cselect_b32 s16, -1, 0
	s_cmp_neq_f32 s20, 0
	v_cndmask_b32_e64 v1, 0, 1, s16
	s_delay_alu instid0(VALU_DEP_1)
	v_cmp_ne_u32_e32 vcc_lo, 1, v1
	s_cbranch_scc1 .LBB208_13
; %bb.7:
	s_and_b32 vcc_lo, exec_lo, vcc_lo
	s_cbranch_vccnz .LBB208_12
; %bb.8:
	v_mov_b32_e32 v1, 0
	s_ashr_i32 s5, s4, 31
	s_lshl_b64 s[14:15], s[10:11], 2
	s_delay_alu instid0(SALU_CYCLE_1) | instskip(NEXT) | instid1(VALU_DEP_1)
	s_add_nc_u64 s[14:15], s[8:9], s[14:15]
	v_mul_u64_e32 v[2:3], s[4:5], v[0:1]
	s_delay_alu instid0(VALU_DEP_1)
	v_lshl_add_u64 v[2:3], v[2:3], 2, s[14:15]
	s_lshl_b64 s[14:15], s[4:5], 10
	s_mov_b32 s5, 0
	s_branch .LBB208_10
.LBB208_9:                              ;   in Loop: Header=BB208_10 Depth=1
	s_wait_xcnt 0x0
	s_or_b32 exec_lo, exec_lo, s17
	v_add_nc_u64_e32 v[2:3], s[14:15], v[2:3]
	s_addk_co_i32 s5, 0x100
	s_delay_alu instid0(SALU_CYCLE_1)
	s_cmp_ge_i32 s5, s3
	s_cbranch_scc1 .LBB208_12
.LBB208_10:                             ; =>This Inner Loop Header: Depth=1
	v_add_nc_u32_e32 v4, s5, v0
	s_mov_b32 s17, exec_lo
	s_delay_alu instid0(VALU_DEP_1)
	v_cmpx_gt_i32_e64 s3, v4
	s_cbranch_execz .LBB208_9
; %bb.11:                               ;   in Loop: Header=BB208_10 Depth=1
	flat_store_b32 v[2:3], v1
	s_branch .LBB208_9
.LBB208_12:
	s_mov_b32 s5, 0
.LBB208_13:
	s_delay_alu instid0(SALU_CYCLE_1)
	s_and_not1_b32 vcc_lo, exec_lo, s5
	s_cbranch_vccnz .LBB208_19
; %bb.14:
	s_and_not1_b32 vcc_lo, exec_lo, s16
	s_cbranch_vccnz .LBB208_19
; %bb.15:
	v_mov_b32_e32 v1, 0
	s_ashr_i32 s5, s4, 31
	s_lshl_b64 s[14:15], s[10:11], 2
	s_delay_alu instid0(SALU_CYCLE_1) | instskip(NEXT) | instid1(VALU_DEP_1)
	s_add_nc_u64 s[14:15], s[8:9], s[14:15]
	v_mul_u64_e32 v[2:3], s[4:5], v[0:1]
	s_delay_alu instid0(VALU_DEP_1)
	v_lshl_add_u64 v[2:3], v[2:3], 2, s[14:15]
	s_lshl_b64 s[14:15], s[4:5], 10
	s_mov_b32 s5, 0
	s_branch .LBB208_17
.LBB208_16:                             ;   in Loop: Header=BB208_17 Depth=1
	s_wait_xcnt 0x0
	s_or_b32 exec_lo, exec_lo, s16
	v_add_nc_u64_e32 v[2:3], s[14:15], v[2:3]
	s_addk_co_i32 s5, 0x100
	s_delay_alu instid0(SALU_CYCLE_1)
	s_cmp_ge_i32 s5, s3
	s_cbranch_scc1 .LBB208_19
.LBB208_17:                             ; =>This Inner Loop Header: Depth=1
	v_add_nc_u32_e32 v1, s5, v0
	s_mov_b32 s16, exec_lo
	s_delay_alu instid0(VALU_DEP_1)
	v_cmpx_gt_i32_e64 s3, v1
	s_cbranch_execz .LBB208_16
; %bb.18:                               ;   in Loop: Header=BB208_17 Depth=1
	flat_load_b32 v1, v[2:3]
	s_wait_loadcnt_dscnt 0x0
	v_mul_f32_e32 v1, s20, v1
	flat_store_b32 v[2:3], v1
	s_branch .LBB208_16
.LBB208_19:
	s_mov_b32 s5, 0
.LBB208_20:
	s_delay_alu instid0(SALU_CYCLE_1)
	s_and_not1_b32 vcc_lo, exec_lo, s5
	s_cbranch_vccnz .LBB208_38
; %bb.21:
	s_mov_b32 s5, exec_lo
	s_wait_kmcnt 0x0
	v_cmpx_gt_i32_e64 s2, v0
	s_cbranch_execz .LBB208_23
; %bb.22:
	s_load_b32 s14, s[0:1], 0x48
	v_mov_b32_e32 v1, 0
	s_wait_kmcnt 0x0
	s_ashr_i32 s15, s14, 31
	s_delay_alu instid0(VALU_DEP_1) | instid1(SALU_CYCLE_1)
	v_mul_u64_e32 v[2:3], s[14:15], v[0:1]
	s_delay_alu instid0(VALU_DEP_1)
	v_lshl_add_u64 v[2:3], v[2:3], 2, s[12:13]
	flat_load_b32 v1, v[2:3]
	s_wait_loadcnt_dscnt 0x0
	v_dual_mul_f32 v1, s21, v1 :: v_dual_lshlrev_b32 v2, 2, v0
	ds_store_b32 v2, v1
.LBB208_23:
	s_or_b32 exec_lo, exec_lo, s5
	s_cmp_lt_i32 s3, 1
	s_wait_storecnt_dscnt 0x0
	s_barrier_signal -1
	s_barrier_wait -1
	s_cbranch_scc1 .LBB208_38
; %bb.24:
	s_load_b32 s16, s[0:1], 0x28
	v_mov_b32_e32 v3, 0
	s_wait_xcnt 0x0
	s_lshl_b64 s[0:1], s[10:11], 2
	s_ashr_i32 s5, s4, 31
	s_add_nc_u64 s[0:1], s[8:9], s[0:1]
	s_mov_b32 s15, 0
	v_mov_b32_e32 v1, v3
	s_wait_kmcnt 0x0
	s_ashr_i32 s17, s16, 31
	s_cmp_neq_f32 s20, 0
	s_delay_alu instid0(VALU_DEP_1)
	v_mul_u64_e32 v[4:5], s[16:17], v[0:1]
	s_cselect_b32 s10, -1, 0
	s_cmp_gt_i32 s2, 0
	s_cselect_b32 s11, -1, 0
	s_and_b32 s12, s2, 7
	s_cmp_gt_u32 s2, 7
	s_cselect_b32 s13, -1, 0
	s_and_b32 s2, s2, 0x7ffffff8
	s_cmp_lg_u32 s12, 0
	s_cselect_b32 s14, -1, 0
	s_lshl_b64 s[8:9], s[16:17], 10
	s_delay_alu instid0(VALU_DEP_1) | instskip(SKIP_1) | instid1(VALU_DEP_1)
	v_lshl_add_u64 v[4:5], v[4:5], 2, s[6:7]
	s_mov_b32 s7, 0
	v_add_nc_u64_e32 v[6:7], 28, v[4:5]
	s_branch .LBB208_27
.LBB208_25:                             ;   in Loop: Header=BB208_27 Depth=1
	flat_store_b32 v[8:9], v1
.LBB208_26:                             ;   in Loop: Header=BB208_27 Depth=1
	s_wait_xcnt 0x0
	s_or_b32 exec_lo, exec_lo, s16
	v_add_nc_u64_e32 v[6:7], s[8:9], v[6:7]
	v_add_nc_u64_e32 v[4:5], s[8:9], v[4:5]
	s_addk_co_i32 s15, 0x100
	s_delay_alu instid0(SALU_CYCLE_1)
	s_cmp_ge_i32 s15, s3
	s_cbranch_scc1 .LBB208_38
.LBB208_27:                             ; =>This Loop Header: Depth=1
                                        ;     Child Loop BB208_33 Depth 2
                                        ;     Child Loop BB208_37 Depth 2
	v_add_nc_u32_e32 v2, s15, v0
	s_mov_b32 s16, exec_lo
	s_delay_alu instid0(VALU_DEP_1)
	v_cmpx_gt_i32_e64 s3, v2
	s_cbranch_execz .LBB208_26
; %bb.28:                               ;   in Loop: Header=BB208_27 Depth=1
	v_mul_u64_e32 v[8:9], s[4:5], v[2:3]
	s_and_not1_b32 vcc_lo, exec_lo, s10
	s_delay_alu instid0(VALU_DEP_1)
	v_lshl_add_u64 v[8:9], v[8:9], 2, s[0:1]
	s_cbranch_vccnz .LBB208_30
; %bb.29:                               ;   in Loop: Header=BB208_27 Depth=1
	flat_load_b32 v1, v[8:9]
	s_wait_loadcnt_dscnt 0x0
	v_mul_f32_e32 v1, s20, v1
	s_and_not1_b32 vcc_lo, exec_lo, s11
	s_cbranch_vccz .LBB208_31
	s_branch .LBB208_25
.LBB208_30:                             ;   in Loop: Header=BB208_27 Depth=1
	v_mov_b32_e32 v1, 0
	s_and_not1_b32 vcc_lo, exec_lo, s11
	s_cbranch_vccnz .LBB208_25
.LBB208_31:                             ;   in Loop: Header=BB208_27 Depth=1
	s_and_not1_b32 vcc_lo, exec_lo, s13
	s_mov_b32 s6, 0
	s_cbranch_vccnz .LBB208_35
; %bb.32:                               ;   in Loop: Header=BB208_27 Depth=1
	v_mov_b64_e32 v[10:11], v[6:7]
	s_mov_b32 s17, 0
.LBB208_33:                             ;   Parent Loop BB208_27 Depth=1
                                        ; =>  This Inner Loop Header: Depth=2
	s_clause 0x1
	flat_load_b128 v[12:15], v[10:11] offset:-28
	flat_load_b128 v[16:19], v[10:11] offset:-12
	v_mov_b32_e32 v2, s6
	s_wait_xcnt 0x0
	v_add_nc_u64_e32 v[10:11], 32, v[10:11]
	s_add_co_i32 s17, s17, 8
	s_add_co_i32 s6, s6, 32
	ds_load_b128 v[20:23], v2
	ds_load_b128 v[24:27], v2 offset:16
	s_cmp_eq_u32 s2, s17
	s_wait_loadcnt_dscnt 0x101
	v_fmac_f32_e32 v1, v20, v12
	s_delay_alu instid0(VALU_DEP_1) | instskip(NEXT) | instid1(VALU_DEP_1)
	v_fmac_f32_e32 v1, v21, v13
	v_fmac_f32_e32 v1, v22, v14
	s_delay_alu instid0(VALU_DEP_1) | instskip(SKIP_1) | instid1(VALU_DEP_1)
	v_fmac_f32_e32 v1, v23, v15
	s_wait_loadcnt_dscnt 0x0
	v_fmac_f32_e32 v1, v24, v16
	s_delay_alu instid0(VALU_DEP_1) | instskip(NEXT) | instid1(VALU_DEP_1)
	v_fmac_f32_e32 v1, v25, v17
	v_fmac_f32_e32 v1, v26, v18
	s_delay_alu instid0(VALU_DEP_1)
	v_fmac_f32_e32 v1, v27, v19
	s_cbranch_scc0 .LBB208_33
; %bb.34:                               ;   in Loop: Header=BB208_27 Depth=1
	s_mov_b32 s6, s2
.LBB208_35:                             ;   in Loop: Header=BB208_27 Depth=1
	s_and_not1_b32 vcc_lo, exec_lo, s14
	s_cbranch_vccnz .LBB208_25
; %bb.36:                               ;   in Loop: Header=BB208_27 Depth=1
	v_lshl_add_u64 v[10:11], s[6:7], 2, v[4:5]
	s_lshl_b32 s6, s6, 2
	s_mov_b32 s17, s12
.LBB208_37:                             ;   Parent Loop BB208_27 Depth=1
                                        ; =>  This Inner Loop Header: Depth=2
	flat_load_b32 v2, v[10:11]
	v_mov_b32_e32 v12, s6
	s_wait_xcnt 0x0
	v_add_nc_u64_e32 v[10:11], 4, v[10:11]
	s_add_co_i32 s17, s17, -1
	s_add_co_i32 s6, s6, 4
	s_cmp_lg_u32 s17, 0
	ds_load_b32 v12, v12
	s_wait_loadcnt_dscnt 0x0
	v_fmac_f32_e32 v1, v12, v2
	s_cbranch_scc1 .LBB208_37
	s_branch .LBB208_25
.LBB208_38:
	s_endpgm
	.section	.rodata,"a",@progbits
	.p2align	6, 0x0
	.amdhsa_kernel _ZL22rocblas_gemvtsm_kernelILb0ELi256EPKfS1_KPfEviiT2_lPKT1_lilS7_lilS4_lPT3_lil
		.amdhsa_group_segment_fixed_size 256
		.amdhsa_private_segment_fixed_size 0
		.amdhsa_kernarg_size 136
		.amdhsa_user_sgpr_count 2
		.amdhsa_user_sgpr_dispatch_ptr 0
		.amdhsa_user_sgpr_queue_ptr 0
		.amdhsa_user_sgpr_kernarg_segment_ptr 1
		.amdhsa_user_sgpr_dispatch_id 0
		.amdhsa_user_sgpr_kernarg_preload_length 0
		.amdhsa_user_sgpr_kernarg_preload_offset 0
		.amdhsa_user_sgpr_private_segment_size 0
		.amdhsa_wavefront_size32 1
		.amdhsa_uses_dynamic_stack 0
		.amdhsa_enable_private_segment 0
		.amdhsa_system_sgpr_workgroup_id_x 1
		.amdhsa_system_sgpr_workgroup_id_y 0
		.amdhsa_system_sgpr_workgroup_id_z 0
		.amdhsa_system_sgpr_workgroup_info 0
		.amdhsa_system_vgpr_workitem_id 0
		.amdhsa_next_free_vgpr 28
		.amdhsa_next_free_sgpr 22
		.amdhsa_named_barrier_count 0
		.amdhsa_reserve_vcc 1
		.amdhsa_float_round_mode_32 0
		.amdhsa_float_round_mode_16_64 0
		.amdhsa_float_denorm_mode_32 3
		.amdhsa_float_denorm_mode_16_64 3
		.amdhsa_fp16_overflow 0
		.amdhsa_memory_ordered 1
		.amdhsa_forward_progress 1
		.amdhsa_inst_pref_size 10
		.amdhsa_round_robin_scheduling 0
		.amdhsa_exception_fp_ieee_invalid_op 0
		.amdhsa_exception_fp_denorm_src 0
		.amdhsa_exception_fp_ieee_div_zero 0
		.amdhsa_exception_fp_ieee_overflow 0
		.amdhsa_exception_fp_ieee_underflow 0
		.amdhsa_exception_fp_ieee_inexact 0
		.amdhsa_exception_int_div_zero 0
	.end_amdhsa_kernel
	.section	.text._ZL22rocblas_gemvtsm_kernelILb0ELi256EPKfS1_KPfEviiT2_lPKT1_lilS7_lilS4_lPT3_lil,"axG",@progbits,_ZL22rocblas_gemvtsm_kernelILb0ELi256EPKfS1_KPfEviiT2_lPKT1_lilS7_lilS4_lPT3_lil,comdat
.Lfunc_end208:
	.size	_ZL22rocblas_gemvtsm_kernelILb0ELi256EPKfS1_KPfEviiT2_lPKT1_lilS7_lilS4_lPT3_lil, .Lfunc_end208-_ZL22rocblas_gemvtsm_kernelILb0ELi256EPKfS1_KPfEviiT2_lPKT1_lilS7_lilS4_lPT3_lil
                                        ; -- End function
	.set _ZL22rocblas_gemvtsm_kernelILb0ELi256EPKfS1_KPfEviiT2_lPKT1_lilS7_lilS4_lPT3_lil.num_vgpr, 28
	.set _ZL22rocblas_gemvtsm_kernelILb0ELi256EPKfS1_KPfEviiT2_lPKT1_lilS7_lilS4_lPT3_lil.num_agpr, 0
	.set _ZL22rocblas_gemvtsm_kernelILb0ELi256EPKfS1_KPfEviiT2_lPKT1_lilS7_lilS4_lPT3_lil.numbered_sgpr, 22
	.set _ZL22rocblas_gemvtsm_kernelILb0ELi256EPKfS1_KPfEviiT2_lPKT1_lilS7_lilS4_lPT3_lil.num_named_barrier, 0
	.set _ZL22rocblas_gemvtsm_kernelILb0ELi256EPKfS1_KPfEviiT2_lPKT1_lilS7_lilS4_lPT3_lil.private_seg_size, 0
	.set _ZL22rocblas_gemvtsm_kernelILb0ELi256EPKfS1_KPfEviiT2_lPKT1_lilS7_lilS4_lPT3_lil.uses_vcc, 1
	.set _ZL22rocblas_gemvtsm_kernelILb0ELi256EPKfS1_KPfEviiT2_lPKT1_lilS7_lilS4_lPT3_lil.uses_flat_scratch, 1
	.set _ZL22rocblas_gemvtsm_kernelILb0ELi256EPKfS1_KPfEviiT2_lPKT1_lilS7_lilS4_lPT3_lil.has_dyn_sized_stack, 0
	.set _ZL22rocblas_gemvtsm_kernelILb0ELi256EPKfS1_KPfEviiT2_lPKT1_lilS7_lilS4_lPT3_lil.has_recursion, 0
	.set _ZL22rocblas_gemvtsm_kernelILb0ELi256EPKfS1_KPfEviiT2_lPKT1_lilS7_lilS4_lPT3_lil.has_indirect_call, 0
	.section	.AMDGPU.csdata,"",@progbits
; Kernel info:
; codeLenInByte = 1256
; TotalNumSgprs: 24
; NumVgprs: 28
; ScratchSize: 0
; MemoryBound: 0
; FloatMode: 240
; IeeeMode: 1
; LDSByteSize: 256 bytes/workgroup (compile time only)
; SGPRBlocks: 0
; VGPRBlocks: 1
; NumSGPRsForWavesPerEU: 24
; NumVGPRsForWavesPerEU: 28
; NamedBarCnt: 0
; Occupancy: 16
; WaveLimiterHint : 1
; COMPUTE_PGM_RSRC2:SCRATCH_EN: 0
; COMPUTE_PGM_RSRC2:USER_SGPR: 2
; COMPUTE_PGM_RSRC2:TRAP_HANDLER: 0
; COMPUTE_PGM_RSRC2:TGID_X_EN: 1
; COMPUTE_PGM_RSRC2:TGID_Y_EN: 0
; COMPUTE_PGM_RSRC2:TGID_Z_EN: 0
; COMPUTE_PGM_RSRC2:TIDIG_COMP_CNT: 0
	.section	.text._ZL22rocblas_gemvtsm_kernelILb0ELi256EPKffKPfEviiT2_lPKT1_lilS7_lilS4_lPT3_lil,"axG",@progbits,_ZL22rocblas_gemvtsm_kernelILb0ELi256EPKffKPfEviiT2_lPKT1_lilS7_lilS4_lPT3_lil,comdat
	.globl	_ZL22rocblas_gemvtsm_kernelILb0ELi256EPKffKPfEviiT2_lPKT1_lilS7_lilS4_lPT3_lil ; -- Begin function _ZL22rocblas_gemvtsm_kernelILb0ELi256EPKffKPfEviiT2_lPKT1_lilS7_lilS4_lPT3_lil
	.p2align	8
	.type	_ZL22rocblas_gemvtsm_kernelILb0ELi256EPKffKPfEviiT2_lPKT1_lilS7_lilS4_lPT3_lil,@function
_ZL22rocblas_gemvtsm_kernelILb0ELi256EPKffKPfEviiT2_lPKT1_lilS7_lilS4_lPT3_lil: ; @_ZL22rocblas_gemvtsm_kernelILb0ELi256EPKffKPfEviiT2_lPKT1_lilS7_lilS4_lPT3_lil
; %bb.0:
	s_clause 0x1
	s_load_b96 s[8:10], s[0:1], 0x0
	s_load_b32 s11, s[0:1], 0x58
	s_mov_b32 s5, 0
	s_wait_kmcnt 0x0
	s_cmp_eq_f32 s10, 0
	s_cselect_b32 s2, -1, 0
	s_cmp_eq_f32 s11, 1.0
	s_cselect_b32 s3, -1, 0
	s_delay_alu instid0(SALU_CYCLE_1) | instskip(NEXT) | instid1(SALU_CYCLE_1)
	s_and_b32 s2, s2, s3
	s_and_b32 vcc_lo, exec_lo, s2
	s_cbranch_vccnz .LBB209_40
; %bb.1:
	s_bfe_u32 s2, ttmp6, 0x4000c
	s_and_b32 s3, ttmp6, 15
	s_add_co_i32 s2, s2, 1
	s_getreg_b32 s4, hwreg(HW_REG_IB_STS2, 6, 4)
	s_mul_i32 s2, ttmp9, s2
	s_delay_alu instid0(SALU_CYCLE_1)
	s_add_co_i32 s3, s3, s2
	s_cmp_eq_u32 s4, 0
	s_cselect_b32 s4, ttmp9, s3
	s_cmp_neq_f32 s10, 0
	s_cselect_b32 s6, -1, 0
	s_cmp_eq_f32 s10, 0
	s_cselect_b32 s16, -1, 0
	s_and_b32 vcc_lo, exec_lo, s6
	s_cbranch_vccnz .LBB209_3
; %bb.2:
	s_mov_b32 s3, 0
	s_mov_b32 s2, s4
	;; [unrolled: 1-line block ×3, first 2 shown]
	s_mov_b64 s[14:15], 0
	s_and_not1_b32 vcc_lo, exec_lo, s7
	s_mov_b64 s[12:13], 0
	s_cbranch_vccz .LBB209_4
	s_branch .LBB209_5
.LBB209_3:
	s_mov_b64 s[2:3], s[4:5]
	s_mov_b64 s[14:15], 0
	;; [unrolled: 1-line block ×3, first 2 shown]
.LBB209_4:
	s_load_b128 s[20:23], s[0:1], 0x18
	s_lshl_b64 s[4:5], s[4:5], 3
	s_wait_kmcnt 0x0
	s_add_nc_u64 s[4:5], s[20:21], s[4:5]
	s_lshl_b64 s[12:13], s[22:23], 2
	s_load_b64 s[4:5], s[4:5], 0x0
	s_wait_kmcnt 0x0
	s_add_nc_u64 s[12:13], s[4:5], s[12:13]
.LBB209_5:
	s_and_not1_b32 vcc_lo, exec_lo, s6
	s_cbranch_vccnz .LBB209_7
; %bb.6:
	s_load_b128 s[4:7], s[0:1], 0x38
	s_lshl_b64 s[14:15], s[2:3], 3
	s_wait_kmcnt 0x0
	s_add_nc_u64 s[4:5], s[4:5], s[14:15]
	s_lshl_b64 s[6:7], s[6:7], 2
	s_load_b64 s[4:5], s[4:5], 0x0
	s_wait_kmcnt 0x0
	s_add_nc_u64 s[14:15], s[4:5], s[6:7]
.LBB209_7:
	s_load_b128 s[4:7], s[0:1], 0x68
	s_lshl_b64 s[18:19], s[2:3], 3
	s_load_b32 s2, s[0:1], 0x78
	s_and_not1_b32 vcc_lo, exec_lo, s16
	s_mov_b32 s3, -1
	s_wait_kmcnt 0x0
	s_add_nc_u64 s[4:5], s[4:5], s[18:19]
	s_load_b64 s[4:5], s[4:5], 0x0
	s_cbranch_vccnz .LBB209_22
; %bb.8:
	s_cmp_gt_i32 s9, 0
	s_cselect_b32 s18, -1, 0
	s_cmp_neq_f32 s11, 0
	v_cndmask_b32_e64 v1, 0, 1, s18
	s_delay_alu instid0(VALU_DEP_1)
	v_cmp_ne_u32_e32 vcc_lo, 1, v1
	s_cbranch_scc1 .LBB209_15
; %bb.9:
	s_and_b32 vcc_lo, exec_lo, vcc_lo
	s_cbranch_vccnz .LBB209_14
; %bb.10:
	v_mov_b32_e32 v1, 0
	s_ashr_i32 s3, s2, 31
	s_lshl_b64 s[16:17], s[6:7], 2
	s_wait_kmcnt 0x0
	s_add_nc_u64 s[16:17], s[4:5], s[16:17]
	v_mul_u64_e32 v[2:3], s[2:3], v[0:1]
	s_delay_alu instid0(VALU_DEP_1)
	v_lshl_add_u64 v[2:3], v[2:3], 2, s[16:17]
	s_lshl_b64 s[16:17], s[2:3], 10
	s_mov_b32 s3, 0
	s_branch .LBB209_12
.LBB209_11:                             ;   in Loop: Header=BB209_12 Depth=1
	s_wait_xcnt 0x0
	s_or_b32 exec_lo, exec_lo, s19
	v_add_nc_u64_e32 v[2:3], s[16:17], v[2:3]
	s_addk_co_i32 s3, 0x100
	s_delay_alu instid0(SALU_CYCLE_1)
	s_cmp_ge_i32 s3, s9
	s_cbranch_scc1 .LBB209_14
.LBB209_12:                             ; =>This Inner Loop Header: Depth=1
	v_add_nc_u32_e32 v4, s3, v0
	s_mov_b32 s19, exec_lo
	s_delay_alu instid0(VALU_DEP_1)
	v_cmpx_gt_i32_e64 s9, v4
	s_cbranch_execz .LBB209_11
; %bb.13:                               ;   in Loop: Header=BB209_12 Depth=1
	flat_store_b32 v[2:3], v1
	s_branch .LBB209_11
.LBB209_14:
	s_mov_b32 s3, 0
.LBB209_15:
	s_delay_alu instid0(SALU_CYCLE_1)
	s_and_not1_b32 vcc_lo, exec_lo, s3
	s_cbranch_vccnz .LBB209_21
; %bb.16:
	s_and_not1_b32 vcc_lo, exec_lo, s18
	s_cbranch_vccnz .LBB209_21
; %bb.17:
	v_mov_b32_e32 v1, 0
	s_ashr_i32 s3, s2, 31
	s_lshl_b64 s[16:17], s[6:7], 2
	s_wait_kmcnt 0x0
	s_add_nc_u64 s[16:17], s[4:5], s[16:17]
	v_mul_u64_e32 v[2:3], s[2:3], v[0:1]
	s_delay_alu instid0(VALU_DEP_1)
	v_lshl_add_u64 v[2:3], v[2:3], 2, s[16:17]
	s_lshl_b64 s[16:17], s[2:3], 10
	s_mov_b32 s3, 0
	s_branch .LBB209_19
.LBB209_18:                             ;   in Loop: Header=BB209_19 Depth=1
	s_wait_xcnt 0x0
	s_or_b32 exec_lo, exec_lo, s18
	v_add_nc_u64_e32 v[2:3], s[16:17], v[2:3]
	s_addk_co_i32 s3, 0x100
	s_delay_alu instid0(SALU_CYCLE_1)
	s_cmp_ge_i32 s3, s9
	s_cbranch_scc1 .LBB209_21
.LBB209_19:                             ; =>This Inner Loop Header: Depth=1
	v_add_nc_u32_e32 v1, s3, v0
	s_mov_b32 s18, exec_lo
	s_delay_alu instid0(VALU_DEP_1)
	v_cmpx_gt_i32_e64 s9, v1
	s_cbranch_execz .LBB209_18
; %bb.20:                               ;   in Loop: Header=BB209_19 Depth=1
	flat_load_b32 v1, v[2:3]
	s_wait_loadcnt_dscnt 0x0
	v_mul_f32_e32 v1, s11, v1
	flat_store_b32 v[2:3], v1
	s_branch .LBB209_18
.LBB209_21:
	s_mov_b32 s3, 0
.LBB209_22:
	s_delay_alu instid0(SALU_CYCLE_1)
	s_and_not1_b32 vcc_lo, exec_lo, s3
	s_cbranch_vccnz .LBB209_40
; %bb.23:
	s_mov_b32 s3, exec_lo
	v_cmpx_gt_i32_e64 s8, v0
	s_cbranch_execz .LBB209_25
; %bb.24:
	s_load_b32 s16, s[0:1], 0x48
	v_mov_b32_e32 v1, 0
	s_wait_kmcnt 0x0
	s_ashr_i32 s17, s16, 31
	s_delay_alu instid0(VALU_DEP_1) | instid1(SALU_CYCLE_1)
	v_mul_u64_e32 v[2:3], s[16:17], v[0:1]
	s_delay_alu instid0(VALU_DEP_1)
	v_lshl_add_u64 v[2:3], v[2:3], 2, s[14:15]
	flat_load_b32 v1, v[2:3]
	s_wait_loadcnt_dscnt 0x0
	v_dual_mul_f32 v1, s10, v1 :: v_dual_lshlrev_b32 v2, 2, v0
	ds_store_b32 v2, v1
.LBB209_25:
	s_or_b32 exec_lo, exec_lo, s3
	s_cmp_lt_i32 s9, 1
	s_wait_storecnt_dscnt 0x0
	s_barrier_signal -1
	s_barrier_wait -1
	s_cbranch_scc1 .LBB209_40
; %bb.26:
	s_load_b32 s16, s[0:1], 0x28
	v_mov_b32_e32 v3, 0
	s_wait_xcnt 0x0
	s_lshl_b64 s[0:1], s[6:7], 2
	s_ashr_i32 s3, s2, 31
	s_wait_kmcnt 0x0
	s_add_nc_u64 s[0:1], s[4:5], s[0:1]
	s_mov_b32 s5, 0
	v_mov_b32_e32 v1, v3
	s_ashr_i32 s17, s16, 31
	s_cmp_neq_f32 s11, 0
	s_delay_alu instid0(VALU_DEP_1)
	v_mul_u64_e32 v[4:5], s[16:17], v[0:1]
	s_cselect_b32 s10, -1, 0
	s_cmp_gt_i32 s8, 0
	s_cselect_b32 s14, -1, 0
	s_and_b32 s15, s8, 7
	s_cmp_gt_u32 s8, 7
	s_delay_alu instid0(VALU_DEP_1)
	v_lshl_add_u64 v[4:5], v[4:5], 2, s[12:13]
	s_cselect_b32 s12, -1, 0
	s_and_b32 s8, s8, 0x7ffffff8
	s_cmp_lg_u32 s15, 0
	s_cselect_b32 s13, -1, 0
	v_add_nc_u64_e32 v[6:7], 28, v[4:5]
	s_lshl_b64 s[6:7], s[16:17], 10
	s_mov_b32 s16, 0
	s_branch .LBB209_29
.LBB209_27:                             ;   in Loop: Header=BB209_29 Depth=1
	flat_store_b32 v[8:9], v1
.LBB209_28:                             ;   in Loop: Header=BB209_29 Depth=1
	s_wait_xcnt 0x0
	s_or_b32 exec_lo, exec_lo, s17
	v_add_nc_u64_e32 v[6:7], s[6:7], v[6:7]
	v_add_nc_u64_e32 v[4:5], s[6:7], v[4:5]
	s_addk_co_i32 s16, 0x100
	s_delay_alu instid0(SALU_CYCLE_1)
	s_cmp_ge_i32 s16, s9
	s_cbranch_scc1 .LBB209_40
.LBB209_29:                             ; =>This Loop Header: Depth=1
                                        ;     Child Loop BB209_35 Depth 2
                                        ;     Child Loop BB209_39 Depth 2
	v_add_nc_u32_e32 v2, s16, v0
	s_mov_b32 s17, exec_lo
	s_delay_alu instid0(VALU_DEP_1)
	v_cmpx_gt_i32_e64 s9, v2
	s_cbranch_execz .LBB209_28
; %bb.30:                               ;   in Loop: Header=BB209_29 Depth=1
	v_mul_u64_e32 v[8:9], s[2:3], v[2:3]
	s_and_not1_b32 vcc_lo, exec_lo, s10
	s_delay_alu instid0(VALU_DEP_1)
	v_lshl_add_u64 v[8:9], v[8:9], 2, s[0:1]
	s_cbranch_vccnz .LBB209_32
; %bb.31:                               ;   in Loop: Header=BB209_29 Depth=1
	flat_load_b32 v1, v[8:9]
	s_wait_loadcnt_dscnt 0x0
	v_mul_f32_e32 v1, s11, v1
	s_and_not1_b32 vcc_lo, exec_lo, s14
	s_cbranch_vccz .LBB209_33
	s_branch .LBB209_27
.LBB209_32:                             ;   in Loop: Header=BB209_29 Depth=1
	v_mov_b32_e32 v1, 0
	s_and_not1_b32 vcc_lo, exec_lo, s14
	s_cbranch_vccnz .LBB209_27
.LBB209_33:                             ;   in Loop: Header=BB209_29 Depth=1
	s_and_not1_b32 vcc_lo, exec_lo, s12
	s_mov_b32 s4, 0
	s_cbranch_vccnz .LBB209_37
; %bb.34:                               ;   in Loop: Header=BB209_29 Depth=1
	v_mov_b64_e32 v[10:11], v[6:7]
	s_mov_b32 s18, 0
.LBB209_35:                             ;   Parent Loop BB209_29 Depth=1
                                        ; =>  This Inner Loop Header: Depth=2
	s_clause 0x1
	flat_load_b128 v[12:15], v[10:11] offset:-28
	flat_load_b128 v[16:19], v[10:11] offset:-12
	v_mov_b32_e32 v2, s4
	s_wait_xcnt 0x0
	v_add_nc_u64_e32 v[10:11], 32, v[10:11]
	s_add_co_i32 s18, s18, 8
	s_add_co_i32 s4, s4, 32
	ds_load_b128 v[20:23], v2
	ds_load_b128 v[24:27], v2 offset:16
	s_cmp_eq_u32 s8, s18
	s_wait_loadcnt_dscnt 0x101
	v_fmac_f32_e32 v1, v20, v12
	s_delay_alu instid0(VALU_DEP_1) | instskip(NEXT) | instid1(VALU_DEP_1)
	v_fmac_f32_e32 v1, v21, v13
	v_fmac_f32_e32 v1, v22, v14
	s_delay_alu instid0(VALU_DEP_1) | instskip(SKIP_1) | instid1(VALU_DEP_1)
	v_fmac_f32_e32 v1, v23, v15
	s_wait_loadcnt_dscnt 0x0
	v_fmac_f32_e32 v1, v24, v16
	s_delay_alu instid0(VALU_DEP_1) | instskip(NEXT) | instid1(VALU_DEP_1)
	v_fmac_f32_e32 v1, v25, v17
	v_fmac_f32_e32 v1, v26, v18
	s_delay_alu instid0(VALU_DEP_1)
	v_fmac_f32_e32 v1, v27, v19
	s_cbranch_scc0 .LBB209_35
; %bb.36:                               ;   in Loop: Header=BB209_29 Depth=1
	s_mov_b32 s4, s8
.LBB209_37:                             ;   in Loop: Header=BB209_29 Depth=1
	s_and_not1_b32 vcc_lo, exec_lo, s13
	s_cbranch_vccnz .LBB209_27
; %bb.38:                               ;   in Loop: Header=BB209_29 Depth=1
	v_lshl_add_u64 v[10:11], s[4:5], 2, v[4:5]
	s_lshl_b32 s4, s4, 2
	s_mov_b32 s18, s15
.LBB209_39:                             ;   Parent Loop BB209_29 Depth=1
                                        ; =>  This Inner Loop Header: Depth=2
	flat_load_b32 v2, v[10:11]
	v_mov_b32_e32 v12, s4
	s_wait_xcnt 0x0
	v_add_nc_u64_e32 v[10:11], 4, v[10:11]
	s_add_co_i32 s18, s18, -1
	s_add_co_i32 s4, s4, 4
	s_cmp_lg_u32 s18, 0
	ds_load_b32 v12, v12
	s_wait_loadcnt_dscnt 0x0
	v_fmac_f32_e32 v1, v12, v2
	s_cbranch_scc1 .LBB209_39
	s_branch .LBB209_27
.LBB209_40:
	s_endpgm
	.section	.rodata,"a",@progbits
	.p2align	6, 0x0
	.amdhsa_kernel _ZL22rocblas_gemvtsm_kernelILb0ELi256EPKffKPfEviiT2_lPKT1_lilS7_lilS4_lPT3_lil
		.amdhsa_group_segment_fixed_size 256
		.amdhsa_private_segment_fixed_size 0
		.amdhsa_kernarg_size 136
		.amdhsa_user_sgpr_count 2
		.amdhsa_user_sgpr_dispatch_ptr 0
		.amdhsa_user_sgpr_queue_ptr 0
		.amdhsa_user_sgpr_kernarg_segment_ptr 1
		.amdhsa_user_sgpr_dispatch_id 0
		.amdhsa_user_sgpr_kernarg_preload_length 0
		.amdhsa_user_sgpr_kernarg_preload_offset 0
		.amdhsa_user_sgpr_private_segment_size 0
		.amdhsa_wavefront_size32 1
		.amdhsa_uses_dynamic_stack 0
		.amdhsa_enable_private_segment 0
		.amdhsa_system_sgpr_workgroup_id_x 1
		.amdhsa_system_sgpr_workgroup_id_y 0
		.amdhsa_system_sgpr_workgroup_id_z 0
		.amdhsa_system_sgpr_workgroup_info 0
		.amdhsa_system_vgpr_workitem_id 0
		.amdhsa_next_free_vgpr 28
		.amdhsa_next_free_sgpr 24
		.amdhsa_named_barrier_count 0
		.amdhsa_reserve_vcc 1
		.amdhsa_float_round_mode_32 0
		.amdhsa_float_round_mode_16_64 0
		.amdhsa_float_denorm_mode_32 3
		.amdhsa_float_denorm_mode_16_64 3
		.amdhsa_fp16_overflow 0
		.amdhsa_memory_ordered 1
		.amdhsa_forward_progress 1
		.amdhsa_inst_pref_size 10
		.amdhsa_round_robin_scheduling 0
		.amdhsa_exception_fp_ieee_invalid_op 0
		.amdhsa_exception_fp_denorm_src 0
		.amdhsa_exception_fp_ieee_div_zero 0
		.amdhsa_exception_fp_ieee_overflow 0
		.amdhsa_exception_fp_ieee_underflow 0
		.amdhsa_exception_fp_ieee_inexact 0
		.amdhsa_exception_int_div_zero 0
	.end_amdhsa_kernel
	.section	.text._ZL22rocblas_gemvtsm_kernelILb0ELi256EPKffKPfEviiT2_lPKT1_lilS7_lilS4_lPT3_lil,"axG",@progbits,_ZL22rocblas_gemvtsm_kernelILb0ELi256EPKffKPfEviiT2_lPKT1_lilS7_lilS4_lPT3_lil,comdat
.Lfunc_end209:
	.size	_ZL22rocblas_gemvtsm_kernelILb0ELi256EPKffKPfEviiT2_lPKT1_lilS7_lilS4_lPT3_lil, .Lfunc_end209-_ZL22rocblas_gemvtsm_kernelILb0ELi256EPKffKPfEviiT2_lPKT1_lilS7_lilS4_lPT3_lil
                                        ; -- End function
	.set _ZL22rocblas_gemvtsm_kernelILb0ELi256EPKffKPfEviiT2_lPKT1_lilS7_lilS4_lPT3_lil.num_vgpr, 28
	.set _ZL22rocblas_gemvtsm_kernelILb0ELi256EPKffKPfEviiT2_lPKT1_lilS7_lilS4_lPT3_lil.num_agpr, 0
	.set _ZL22rocblas_gemvtsm_kernelILb0ELi256EPKffKPfEviiT2_lPKT1_lilS7_lilS4_lPT3_lil.numbered_sgpr, 24
	.set _ZL22rocblas_gemvtsm_kernelILb0ELi256EPKffKPfEviiT2_lPKT1_lilS7_lilS4_lPT3_lil.num_named_barrier, 0
	.set _ZL22rocblas_gemvtsm_kernelILb0ELi256EPKffKPfEviiT2_lPKT1_lilS7_lilS4_lPT3_lil.private_seg_size, 0
	.set _ZL22rocblas_gemvtsm_kernelILb0ELi256EPKffKPfEviiT2_lPKT1_lilS7_lilS4_lPT3_lil.uses_vcc, 1
	.set _ZL22rocblas_gemvtsm_kernelILb0ELi256EPKffKPfEviiT2_lPKT1_lilS7_lilS4_lPT3_lil.uses_flat_scratch, 1
	.set _ZL22rocblas_gemvtsm_kernelILb0ELi256EPKffKPfEviiT2_lPKT1_lilS7_lilS4_lPT3_lil.has_dyn_sized_stack, 0
	.set _ZL22rocblas_gemvtsm_kernelILb0ELi256EPKffKPfEviiT2_lPKT1_lilS7_lilS4_lPT3_lil.has_recursion, 0
	.set _ZL22rocblas_gemvtsm_kernelILb0ELi256EPKffKPfEviiT2_lPKT1_lilS7_lilS4_lPT3_lil.has_indirect_call, 0
	.section	.AMDGPU.csdata,"",@progbits
; Kernel info:
; codeLenInByte = 1248
; TotalNumSgprs: 26
; NumVgprs: 28
; ScratchSize: 0
; MemoryBound: 0
; FloatMode: 240
; IeeeMode: 1
; LDSByteSize: 256 bytes/workgroup (compile time only)
; SGPRBlocks: 0
; VGPRBlocks: 1
; NumSGPRsForWavesPerEU: 26
; NumVGPRsForWavesPerEU: 28
; NamedBarCnt: 0
; Occupancy: 16
; WaveLimiterHint : 1
; COMPUTE_PGM_RSRC2:SCRATCH_EN: 0
; COMPUTE_PGM_RSRC2:USER_SGPR: 2
; COMPUTE_PGM_RSRC2:TRAP_HANDLER: 0
; COMPUTE_PGM_RSRC2:TGID_X_EN: 1
; COMPUTE_PGM_RSRC2:TGID_Y_EN: 0
; COMPUTE_PGM_RSRC2:TGID_Z_EN: 0
; COMPUTE_PGM_RSRC2:TIDIG_COMP_CNT: 0
	.section	.text._ZL23rocblas_gemvt_sn_kernelILb0ELi256ELi4EiPKfS1_fEviiT4_lPKT3_lilS5_lilPT5_i,"axG",@progbits,_ZL23rocblas_gemvt_sn_kernelILb0ELi256ELi4EiPKfS1_fEviiT4_lPKT3_lilS5_lilPT5_i,comdat
	.globl	_ZL23rocblas_gemvt_sn_kernelILb0ELi256ELi4EiPKfS1_fEviiT4_lPKT3_lilS5_lilPT5_i ; -- Begin function _ZL23rocblas_gemvt_sn_kernelILb0ELi256ELi4EiPKfS1_fEviiT4_lPKT3_lilS5_lilPT5_i
	.p2align	8
	.type	_ZL23rocblas_gemvt_sn_kernelILb0ELi256ELi4EiPKfS1_fEviiT4_lPKT3_lilS5_lilPT5_i,@function
_ZL23rocblas_gemvt_sn_kernelILb0ELi256ELi4EiPKfS1_fEviiT4_lPKT3_lilS5_lilPT5_i: ; @_ZL23rocblas_gemvt_sn_kernelILb0ELi256ELi4EiPKfS1_fEviiT4_lPKT3_lilS5_lilPT5_i
; %bb.0:
	s_load_b32 s33, s[0:1], 0x60
	s_bfe_u32 s2, ttmp6, 0x40014
	s_lshr_b32 s3, ttmp7, 16
	s_add_co_i32 s2, s2, 1
	s_bfe_u32 s5, ttmp6, 0x40008
	s_mul_i32 s2, s3, s2
	s_getreg_b32 s4, hwreg(HW_REG_IB_STS2, 6, 4)
	s_add_co_i32 s5, s5, s2
	s_cmp_eq_u32 s4, 0
	s_mov_b32 s25, 0
	s_cselect_b32 s10, s3, s5
	s_wait_kmcnt 0x0
	s_cmp_ge_u32 s10, s33
	s_cbranch_scc1 .LBB210_92
; %bb.1:
	s_clause 0x6
	s_load_b64 s[26:27], s[0:1], 0x0
	s_load_b256 s[12:19], s[0:1], 0x8
	s_load_b32 s28, s[0:1], 0x28
	s_load_b128 s[20:23], s[0:1], 0x38
	s_load_b32 s68, s[0:1], 0x48
	s_load_b64 s[30:31], s[0:1], 0x58
	s_load_b32 s34, s[0:1], 0x68
	s_wait_xcnt 0x0
	v_cmp_eq_u32_e64 s0, 0, v0
	v_dual_lshrrev_b32 v2, 3, v0 :: v_dual_bitop2_b32 v1, 31, v0 bitop3:0x40
	v_cmp_gt_u32_e64 s1, 32, v0
	v_cmp_gt_u32_e64 s2, 8, v0
	v_mbcnt_lo_u32_b32 v42, -1, 0
	s_delay_alu instid0(VALU_DEP_4)
	v_cmp_eq_u32_e64 s3, 0, v1
	v_dual_lshlrev_b32 v40, 2, v1 :: v_dual_bitop2_b32 v41, 28, v2 bitop3:0x40
	v_mov_b64_e32 v[20:21], 0
	s_mov_b32 s35, s25
	s_mov_b32 s37, s25
	v_lshl_or_b32 v43, v42, 2, 64
	s_wait_kmcnt 0x0
	s_ashr_i32 s7, s27, 31
	s_cmp_gt_i32 s27, 0
	s_mov_b32 s6, s27
	s_cselect_b32 s5, -1, 0
	s_bfe_u32 s8, ttmp6, 0x4000c
	s_and_b32 s9, ttmp6, 15
	s_add_co_i32 s8, s8, 1
	s_and_b32 s69, s0, s5
	s_mul_i32 s8, ttmp9, s8
	s_mul_u64 s[38:39], s[6:7], s[34:35]
	s_add_co_i32 s9, s9, s8
	s_cmp_eq_u32 s4, 0
	s_mov_b32 s29, s25
	s_cselect_b32 s36, ttmp9, s9
	s_ashr_i32 s5, s26, 31
	s_lshl_b32 s8, s36, 10
	s_lshr_b32 s5, s5, 30
	v_lshl_or_b32 v8, v0, 2, s8
	s_add_co_i32 s5, s26, s5
	s_lshr_b32 s4, s7, 30
	s_and_b32 s5, s5, -4
	s_add_co_i32 s4, s27, s4
	v_mul_lo_u32 v10, s68, v8
	s_sub_co_i32 s71, s26, s5
	s_and_b32 s70, s4, -4
	v_add_nc_u32_e32 v1, s71, v8
	s_cmp_gt_i32 s70, 0
	v_dual_ashrrev_i32 v9, 31, v8 :: v_dual_add_nc_u32 v0, 4, v8
	s_cselect_b32 s72, -1, 0
	s_cmp_gt_i32 s71, 0
	s_mov_b32 s51, s25
	s_cselect_b32 s73, -1, 0
	s_delay_alu instid0(VALU_DEP_3)
	v_add_nc_u32_e32 v12, s68, v10
	s_cmp_gt_u32 s27, 1
	v_cmp_ge_i32_e64 s4, s26, v0
	s_cselect_b32 s8, -1, 0
	s_cmp_eq_u32 s34, 1
	v_dual_add_nc_u32 v14, s68, v12 :: v_dual_ashrrev_i32 v11, 31, v10
	s_cselect_b32 s9, -1, 0
	v_cmp_ge_i32_e64 s5, s26, v1
	s_and_b32 s26, s27, 0x7ffffffe
	v_dual_add_nc_u32 v16, s68, v14 :: v_dual_ashrrev_i32 v13, 31, v12
	s_and_b32 s74, s8, s9
	s_cmp_lg_u32 s27, s26
	v_lshlrev_b64_e32 v[18:19], 2, v[8:9]
	s_cselect_b32 s75, -1, 0
	s_lshl_b32 s24, s28, 1
	v_dual_ashrrev_i32 v15, 31, v14 :: v_dual_ashrrev_i32 v17, 31, v16
	v_mov_b32_e32 v0, 0
	s_lshl_b64 s[40:41], s[36:37], 2
	s_mov_b64 s[52:53], s[24:25]
	s_mul_i32 s24, s28, 3
	s_lshl_b64 s[42:43], s[38:39], 2
	s_add_nc_u64 s[44:45], s[30:31], s[40:41]
	s_lshl_b64 s[46:47], s[6:7], 2
	s_lshl_b64 s[48:49], s[34:35], 2
	s_lshl_b32 s50, s28, 2
	s_mov_b64 s[54:55], s[24:25]
	s_lshl_b64 s[18:19], s[18:19], 2
	s_lshl_b64 s[22:23], s[22:23], 2
	s_branch .LBB210_3
.LBB210_2:                              ;   in Loop: Header=BB210_3 Depth=1
	s_add_co_i32 s10, s10, 0x10000
	s_delay_alu instid0(SALU_CYCLE_1)
	s_cmp_lt_u32 s10, s33
	s_cbranch_scc0 .LBB210_92
.LBB210_3:                              ; =>This Loop Header: Depth=1
                                        ;     Child Loop BB210_11 Depth 2
                                        ;     Child Loop BB210_15 Depth 2
	;; [unrolled: 1-line block ×3, first 2 shown]
                                        ;       Child Loop BB210_52 Depth 3
                                        ;       Child Loop BB210_55 Depth 3
                                        ;     Child Loop BB210_71 Depth 2
                                        ;       Child Loop BB210_84 Depth 3
                                        ;       Child Loop BB210_87 Depth 3
	s_mov_b32 s11, s25
	v_mov_b64_e32 v[2:3], 0
	s_mul_u64 s[6:7], s[14:15], s[10:11]
	s_delay_alu instid0(SALU_CYCLE_1) | instskip(NEXT) | instid1(SALU_CYCLE_1)
	s_lshl_b64 s[6:7], s[6:7], 2
	s_add_nc_u64 s[6:7], s[12:13], s[6:7]
	global_load_b32 v44, v0, s[6:7]
	s_wait_loadcnt 0x0
	s_wait_xcnt 0x0
	v_cmp_eq_f32_e64 s6, 0, v44
	v_cmp_neq_f32_e64 s7, 0, v44
	s_and_b32 vcc_lo, exec_lo, s6
	s_cbranch_vccnz .LBB210_5
; %bb.4:                                ;   in Loop: Header=BB210_3 Depth=1
	s_lshl_b64 s[8:9], s[10:11], 3
	s_delay_alu instid0(SALU_CYCLE_1)
	s_add_nc_u64 s[8:9], s[16:17], s[8:9]
	global_load_b64 v[2:3], v0, s[8:9]
	s_wait_loadcnt 0x0
	v_add_nc_u64_e32 v[2:3], s[18:19], v[2:3]
.LBB210_5:                              ;   in Loop: Header=BB210_3 Depth=1
	v_mov_b64_e32 v[22:23], 0
	s_and_not1_b32 vcc_lo, exec_lo, s7
	s_cbranch_vccnz .LBB210_7
; %bb.6:                                ;   in Loop: Header=BB210_3 Depth=1
	s_wait_xcnt 0x0
	s_lshl_b64 s[8:9], s[10:11], 3
	s_delay_alu instid0(SALU_CYCLE_1)
	s_add_nc_u64 s[8:9], s[20:21], s[8:9]
	global_load_b64 v[4:5], v0, s[8:9]
	s_wait_loadcnt 0x0
	v_add_nc_u64_e32 v[22:23], s[22:23], v[4:5]
.LBB210_7:                              ;   in Loop: Header=BB210_3 Depth=1
	s_and_not1_b32 vcc_lo, exec_lo, s6
	s_mov_b32 s6, -1
	s_cbranch_vccnz .LBB210_17
; %bb.8:                                ;   in Loop: Header=BB210_3 Depth=1
	s_wait_xcnt 0x0
	s_and_saveexec_b32 s8, s69
	s_cbranch_execz .LBB210_16
; %bb.9:                                ;   in Loop: Header=BB210_3 Depth=1
	s_and_not1_b32 vcc_lo, exec_lo, s74
	s_cbranch_vccnz .LBB210_13
; %bb.10:                               ;   in Loop: Header=BB210_3 Depth=1
	s_mul_u64 s[6:7], s[42:43], s[10:11]
	s_mov_b32 s9, s26
	s_add_nc_u64 s[6:7], s[44:45], s[6:7]
.LBB210_11:                             ;   Parent Loop BB210_3 Depth=1
                                        ; =>  This Inner Loop Header: Depth=2
	s_add_co_i32 s9, s9, -2
	global_store_b64 v0, v[20:21], s[6:7]
	s_wait_xcnt 0x0
	s_add_nc_u64 s[6:7], s[6:7], 8
	s_mov_b32 s24, s26
	s_cmp_lg_u32 s9, 0
	s_mov_b32 s37, s75
	s_cbranch_scc1 .LBB210_11
; %bb.12:                               ;   in Loop: Header=BB210_3 Depth=1
	s_and_b32 vcc_lo, exec_lo, s37
	s_cbranch_vccnz .LBB210_14
	s_branch .LBB210_16
.LBB210_13:                             ;   in Loop: Header=BB210_3 Depth=1
	s_mov_b32 s24, 0
	s_cbranch_execz .LBB210_16
.LBB210_14:                             ;   in Loop: Header=BB210_3 Depth=1
	s_mul_u64 s[6:7], s[46:47], s[10:11]
	s_lshl_b64 s[56:57], s[24:25], 2
	s_sub_co_i32 s9, s27, s24
	s_add_nc_u64 s[6:7], s[6:7], s[56:57]
	s_delay_alu instid0(SALU_CYCLE_1) | instskip(NEXT) | instid1(SALU_CYCLE_1)
	s_mul_u64 s[6:7], s[34:35], s[6:7]
	s_add_nc_u64 s[6:7], s[44:45], s[6:7]
.LBB210_15:                             ;   Parent Loop BB210_3 Depth=1
                                        ; =>  This Inner Loop Header: Depth=2
	s_add_co_i32 s9, s9, -1
	global_store_b32 v0, v0, s[6:7]
	s_cmp_eq_u32 s9, 0
	s_wait_xcnt 0x0
	s_add_nc_u64 s[6:7], s[6:7], s[48:49]
	s_cbranch_scc0 .LBB210_15
.LBB210_16:                             ;   in Loop: Header=BB210_3 Depth=1
	s_or_b32 exec_lo, exec_lo, s8
	s_mov_b32 s6, 0
.LBB210_17:                             ;   in Loop: Header=BB210_3 Depth=1
	s_delay_alu instid0(SALU_CYCLE_1)
	s_and_not1_b32 vcc_lo, exec_lo, s6
	s_cbranch_vccnz .LBB210_2
; %bb.18:                               ;   in Loop: Header=BB210_3 Depth=1
	v_add_nc_u64_e32 v[34:35], v[2:3], v[18:19]
	s_mul_u64 s[56:57], s[38:39], s[10:11]
	v_lshl_add_u64 v[24:25], v[8:9], 2, v[2:3]
	v_lshl_add_u64 v[26:27], v[10:11], 2, v[22:23]
	;; [unrolled: 1-line block ×5, first 2 shown]
	s_wait_xcnt 0x0
	v_cmp_gt_u32_e64 s9, 24, v42
	v_cmp_gt_u32_e64 s8, 28, v42
	;; [unrolled: 1-line block ×3, first 2 shown]
	v_cmp_ne_u32_e64 s6, 31, v42
	s_lshl_b64 s[56:57], s[56:57], 2
	s_and_not1_b32 vcc_lo, exec_lo, s72
	s_add_nc_u64 s[56:57], s[30:31], s[56:57]
	s_cbranch_vccnz .LBB210_67
; %bb.19:                               ;   in Loop: Header=BB210_3 Depth=1
	v_cndmask_b32_e64 v1, 0, 8, s9
	v_cndmask_b32_e64 v4, 0, 4, s8
	;; [unrolled: 1-line block ×3, first 2 shown]
	s_wait_dscnt 0x0
	v_add_co_ci_u32_e64 v6, null, 0, v42, s6
	v_add_lshl_u32 v45, v1, v42, 2
	v_dual_mov_b32 v1, v0 :: v_dual_mov_b32 v2, v0
	s_delay_alu instid0(VALU_DEP_3) | instskip(SKIP_3) | instid1(VALU_DEP_3)
	v_dual_mov_b32 v3, v0 :: v_dual_lshlrev_b32 v48, 2, v6
	v_add_lshl_u32 v46, v4, v42, 2
	v_add_lshl_u32 v47, v5, v42, 2
	s_mov_b32 s58, 0
	v_mov_b64_e32 v[4:5], v[2:3]
	v_mov_b64_e32 v[2:3], v[0:1]
	s_mov_b64 s[60:61], s[54:55]
	s_mov_b64 s[62:63], s[52:53]
	;; [unrolled: 1-line block ×3, first 2 shown]
	s_mov_b32 s24, s58
	s_branch .LBB210_21
.LBB210_20:                             ;   in Loop: Header=BB210_21 Depth=2
	s_wait_xcnt 0x0
	s_or_b32 exec_lo, exec_lo, s6
	s_add_co_i32 s24, s24, 4
	s_add_co_i32 s58, s58, s50
	s_add_nc_u64 s[64:65], s[64:65], s[50:51]
	s_add_nc_u64 s[62:63], s[62:63], s[50:51]
	s_cmp_ge_i32 s24, s70
	s_add_nc_u64 s[60:61], s[60:61], s[50:51]
	s_cbranch_scc1 .LBB210_68
.LBB210_21:                             ;   Parent Loop BB210_3 Depth=1
                                        ; =>  This Loop Header: Depth=2
                                        ;       Child Loop BB210_52 Depth 3
                                        ;       Child Loop BB210_55 Depth 3
                                        ; implicit-def: $vgpr7
                                        ; implicit-def: $vgpr37
	s_and_saveexec_b32 s6, s4
	s_delay_alu instid0(SALU_CYCLE_1)
	s_xor_b32 s6, exec_lo, s6
	s_cbranch_execnz .LBB210_48
; %bb.22:                               ;   in Loop: Header=BB210_21 Depth=2
	s_and_not1_saveexec_b32 s9, s6
	s_cbranch_execnz .LBB210_49
.LBB210_23:                             ;   in Loop: Header=BB210_21 Depth=2
	s_or_b32 exec_lo, exec_lo, s9
	s_and_saveexec_b32 s6, s1
.LBB210_24:                             ;   in Loop: Header=BB210_21 Depth=2
	ds_store_b32 v40, v0
.LBB210_25:                             ;   in Loop: Header=BB210_21 Depth=2
	s_or_b32 exec_lo, exec_lo, s6
	ds_bpermute_b32 v1, v43, v36
	s_wait_storecnt_dscnt 0x0
	s_barrier_signal -1
	s_barrier_wait -1
	v_add_f32_e32 v1, v36, v1
	ds_bpermute_b32 v36, v45, v1
	s_wait_dscnt 0x0
	v_add_f32_e32 v1, v1, v36
	ds_bpermute_b32 v36, v46, v1
	s_wait_dscnt 0x0
	;; [unrolled: 3-line block ×3, first 2 shown]
	v_add_f32_e32 v1, v1, v36
	ds_bpermute_b32 v36, v48, v1
	s_and_saveexec_b32 s6, s3
	s_cbranch_execz .LBB210_27
; %bb.26:                               ;   in Loop: Header=BB210_21 Depth=2
	s_wait_dscnt 0x0
	v_add_f32_e32 v1, v1, v36
	ds_store_b32 v41, v1
.LBB210_27:                             ;   in Loop: Header=BB210_21 Depth=2
	s_or_b32 exec_lo, exec_lo, s6
	v_mov_b32_e32 v1, 0
	s_wait_dscnt 0x0
	s_barrier_signal -1
	s_barrier_wait -1
	s_and_saveexec_b32 s6, s2
	s_cbranch_execnz .LBB210_56
; %bb.28:                               ;   in Loop: Header=BB210_21 Depth=2
	s_or_b32 exec_lo, exec_lo, s6
	s_and_saveexec_b32 s6, s1
	s_cbranch_execnz .LBB210_57
.LBB210_29:                             ;   in Loop: Header=BB210_21 Depth=2
	s_or_b32 exec_lo, exec_lo, s6
	s_and_saveexec_b32 s6, s1
.LBB210_30:                             ;   in Loop: Header=BB210_21 Depth=2
	ds_store_b32 v40, v0
.LBB210_31:                             ;   in Loop: Header=BB210_21 Depth=2
	s_or_b32 exec_lo, exec_lo, s6
	ds_bpermute_b32 v36, v43, v37
	s_wait_dscnt 0x0
	s_barrier_signal -1
	s_barrier_wait -1
	v_add_f32_e32 v36, v37, v36
	ds_bpermute_b32 v37, v45, v36
	s_wait_dscnt 0x0
	v_add_f32_e32 v36, v36, v37
	ds_bpermute_b32 v37, v46, v36
	s_wait_dscnt 0x0
	;; [unrolled: 3-line block ×3, first 2 shown]
	v_add_f32_e32 v36, v36, v37
	ds_bpermute_b32 v37, v48, v36
	s_and_saveexec_b32 s6, s3
	s_cbranch_execz .LBB210_33
; %bb.32:                               ;   in Loop: Header=BB210_21 Depth=2
	s_wait_dscnt 0x0
	v_add_f32_e32 v36, v36, v37
	ds_store_b32 v41, v36
.LBB210_33:                             ;   in Loop: Header=BB210_21 Depth=2
	s_or_b32 exec_lo, exec_lo, s6
	v_mov_b32_e32 v36, 0
	s_wait_dscnt 0x0
	s_barrier_signal -1
	s_barrier_wait -1
	s_and_saveexec_b32 s6, s2
	s_cbranch_execnz .LBB210_58
; %bb.34:                               ;   in Loop: Header=BB210_21 Depth=2
	s_or_b32 exec_lo, exec_lo, s6
	s_and_saveexec_b32 s6, s1
	s_cbranch_execnz .LBB210_59
.LBB210_35:                             ;   in Loop: Header=BB210_21 Depth=2
	s_or_b32 exec_lo, exec_lo, s6
	s_and_saveexec_b32 s6, s1
.LBB210_36:                             ;   in Loop: Header=BB210_21 Depth=2
	ds_store_b32 v40, v0
.LBB210_37:                             ;   in Loop: Header=BB210_21 Depth=2
	s_or_b32 exec_lo, exec_lo, s6
	ds_bpermute_b32 v37, v43, v6
	s_wait_dscnt 0x0
	s_barrier_signal -1
	s_barrier_wait -1
	v_add_f32_e32 v6, v6, v37
	ds_bpermute_b32 v37, v45, v6
	s_wait_dscnt 0x0
	v_add_f32_e32 v6, v6, v37
	ds_bpermute_b32 v37, v46, v6
	s_wait_dscnt 0x0
	;; [unrolled: 3-line block ×3, first 2 shown]
	v_add_f32_e32 v6, v6, v37
	ds_bpermute_b32 v37, v48, v6
	s_and_saveexec_b32 s6, s3
	s_cbranch_execz .LBB210_39
; %bb.38:                               ;   in Loop: Header=BB210_21 Depth=2
	s_wait_dscnt 0x0
	v_add_f32_e32 v6, v6, v37
	ds_store_b32 v41, v6
.LBB210_39:                             ;   in Loop: Header=BB210_21 Depth=2
	s_or_b32 exec_lo, exec_lo, s6
	v_mov_b32_e32 v6, 0
	s_wait_dscnt 0x0
	s_barrier_signal -1
	s_barrier_wait -1
	s_and_saveexec_b32 s6, s2
	s_cbranch_execnz .LBB210_60
; %bb.40:                               ;   in Loop: Header=BB210_21 Depth=2
	s_or_b32 exec_lo, exec_lo, s6
	s_and_saveexec_b32 s6, s1
	s_cbranch_execnz .LBB210_61
.LBB210_41:                             ;   in Loop: Header=BB210_21 Depth=2
	s_or_b32 exec_lo, exec_lo, s6
	s_and_saveexec_b32 s6, s1
.LBB210_42:                             ;   in Loop: Header=BB210_21 Depth=2
	ds_store_b32 v40, v0
.LBB210_43:                             ;   in Loop: Header=BB210_21 Depth=2
	s_or_b32 exec_lo, exec_lo, s6
	ds_bpermute_b32 v37, v43, v7
	s_wait_dscnt 0x0
	s_barrier_signal -1
	s_barrier_wait -1
	v_add_f32_e32 v7, v7, v37
	ds_bpermute_b32 v37, v45, v7
	s_wait_dscnt 0x0
	v_add_f32_e32 v7, v7, v37
	ds_bpermute_b32 v37, v46, v7
	s_wait_dscnt 0x0
	;; [unrolled: 3-line block ×3, first 2 shown]
	v_add_f32_e32 v7, v7, v37
	ds_bpermute_b32 v37, v48, v7
	s_and_saveexec_b32 s6, s3
	s_cbranch_execz .LBB210_45
; %bb.44:                               ;   in Loop: Header=BB210_21 Depth=2
	s_wait_dscnt 0x0
	v_add_f32_e32 v7, v7, v37
	ds_store_b32 v41, v7
.LBB210_45:                             ;   in Loop: Header=BB210_21 Depth=2
	s_or_b32 exec_lo, exec_lo, s6
	v_mov_b32_e32 v7, 0
	s_wait_dscnt 0x0
	s_barrier_signal -1
	s_barrier_wait -1
	s_and_saveexec_b32 s6, s2
	s_cbranch_execnz .LBB210_62
; %bb.46:                               ;   in Loop: Header=BB210_21 Depth=2
	s_or_b32 exec_lo, exec_lo, s6
	s_and_saveexec_b32 s6, s1
	s_cbranch_execnz .LBB210_63
.LBB210_47:                             ;   in Loop: Header=BB210_21 Depth=2
	s_or_b32 exec_lo, exec_lo, s6
	s_and_saveexec_b32 s6, s0
	s_cbranch_execz .LBB210_20
	s_branch .LBB210_64
.LBB210_48:                             ;   in Loop: Header=BB210_21 Depth=2
	s_mul_i32 s8, s24, s28
	s_delay_alu instid0(SALU_CYCLE_1)
	s_ashr_i32 s9, s8, 31
	s_add_co_i32 s66, s8, s28
	s_wait_dscnt 0x0
	v_lshl_add_u64 v[6:7], s[8:9], 2, v[24:25]
	s_add_co_i32 s8, s66, s28
	s_ashr_i32 s67, s66, 31
	s_add_co_i32 s76, s8, s28
	s_ashr_i32 s9, s8, 31
	s_ashr_i32 s77, s76, 31
	v_lshl_add_u64 v[54:55], s[66:67], 2, v[24:25]
	v_lshl_add_u64 v[36:37], s[76:77], 2, v[24:25]
	;; [unrolled: 1-line block ×3, first 2 shown]
	s_clause 0x2
	flat_load_b32 v2, v[26:27]
	flat_load_b32 v3, v[28:29]
	;; [unrolled: 1-line block ×3, first 2 shown]
	s_clause 0x3
	flat_load_b128 v[36:39], v[36:37]
	flat_load_b128 v[50:53], v[6:7]
	;; [unrolled: 1-line block ×4, first 2 shown]
	flat_load_b32 v4, v[30:31]
	s_wait_loadcnt_dscnt 0x505
	s_wait_xcnt 0x3
	v_dual_mov_b32 v6, v3 :: v_dual_mov_b32 v62, v5
	s_wait_loadcnt_dscnt 0x404
	v_pk_mul_f32 v[36:37], v[2:3], v[36:37]
	s_wait_loadcnt_dscnt 0x303
	v_dual_mov_b32 v64, v50 :: v_dual_mov_b32 v50, v52
	s_wait_loadcnt_dscnt 0x202
	v_mov_b32_e32 v65, v54
	s_wait_loadcnt_dscnt 0x101
	s_wait_xcnt 0x2
	v_dual_mul_f32 v66, v2, v58 :: v_dual_mov_b32 v54, v51
	v_dual_mov_b32 v67, v36 :: v_dual_mul_f32 v36, v3, v59
	v_mov_b32_e32 v51, v56
	s_wait_loadcnt_dscnt 0x0
	v_pk_mul_f32 v[38:39], v[4:5], v[38:39]
	v_pk_fma_f32 v[64:65], v[2:3], v[64:65], 0 op_sel_hi:[0,1,0]
	s_wait_xcnt 0x1
	v_pk_add_f32 v[58:59], v[66:67], 0 op_sel_hi:[1,0]
	v_dual_mul_f32 v66, v4, v60 :: v_dual_mov_b32 v56, v53
	v_mov_b32_e32 v67, v38
	v_pk_fma_f32 v[6:7], v[6:7], v[54:55], v[64:65] op_sel_hi:[0,1,1]
	s_delay_alu instid0(VALU_DEP_4) | instskip(SKIP_1) | instid1(VALU_DEP_3)
	v_pk_add_f32 v[36:37], v[58:59], v[36:37]
	v_mul_f32_e32 v38, v5, v61
	v_pk_fma_f32 v[50:51], v[4:5], v[50:51], v[6:7] op_sel_hi:[0,1,1]
	s_delay_alu instid0(VALU_DEP_3) | instskip(NEXT) | instid1(VALU_DEP_1)
	v_pk_add_f32 v[36:37], v[36:37], v[66:67]
	v_pk_add_f32 v[6:7], v[36:37], v[38:39]
	s_delay_alu instid0(VALU_DEP_3)
	v_pk_fma_f32 v[36:37], v[62:63], v[56:57], v[50:51] op_sel_hi:[0,1,1]
	s_wait_xcnt 0x0
	s_and_not1_saveexec_b32 s9, s6
	s_cbranch_execz .LBB210_23
.LBB210_49:                             ;   in Loop: Header=BB210_21 Depth=2
	s_wait_dscnt 0x0
	v_dual_mov_b32 v7, 0 :: v_dual_mov_b32 v6, 0
	v_dual_mov_b32 v37, 0 :: v_dual_mov_b32 v36, 0
	s_and_saveexec_b32 s11, s5
	s_cbranch_execz .LBB210_66
; %bb.50:                               ;   in Loop: Header=BB210_21 Depth=2
	s_and_not1_b32 vcc_lo, exec_lo, s73
	s_cbranch_vccnz .LBB210_53
; %bb.51:                               ;   in Loop: Header=BB210_21 Depth=2
	v_mov_b32_e32 v1, v10
	s_mov_b64 s[66:67], 0
.LBB210_52:                             ;   Parent Loop BB210_3 Depth=1
                                        ;     Parent Loop BB210_21 Depth=2
                                        ; =>    This Inner Loop Header: Depth=3
	v_readfirstlane_b32 s6, v22
	v_readfirstlane_b32 s7, v23
	s_cmp_eq_u32 s66, 3
	s_cselect_b32 vcc_lo, -1, 0
	s_cmp_eq_u32 s66, 2
	flat_load_b32 v6, v1, s[6:7] scale_offset
	s_wait_xcnt 0x0
	s_cselect_b32 s6, -1, 0
	s_cmp_eq_u32 s66, 1
	v_add_nc_u32_e32 v1, s68, v1
	s_cselect_b32 s7, -1, 0
	s_cmp_eq_u32 s66, 0
	s_add_nc_u64 s[66:67], s[66:67], 1
	s_cselect_b32 s8, -1, 0
	s_cmp_eq_u32 s71, s66
	s_wait_loadcnt_dscnt 0x0
	v_dual_cndmask_b32 v5, v5, v6, vcc_lo :: v_dual_cndmask_b32 v4, v4, v6, s6
	v_dual_cndmask_b32 v3, v3, v6, s7 :: v_dual_cndmask_b32 v2, v2, v6, s8
	s_cbranch_scc0 .LBB210_52
.LBB210_53:                             ;   in Loop: Header=BB210_21 Depth=2
	s_and_not1_b32 vcc_lo, exec_lo, s73
	s_cbranch_vccnz .LBB210_65
; %bb.54:                               ;   in Loop: Header=BB210_21 Depth=2
	v_mov_b32_e32 v36, 0
	s_ashr_i32 s59, s58, 31
	s_mov_b64 s[6:7], 0
	v_lshl_add_u64 v[38:39], s[58:59], 2, v[34:35]
	s_delay_alu instid0(VALU_DEP_2)
	v_dual_mov_b32 v37, v36 :: v_dual_mov_b32 v6, v36
	v_mov_b32_e32 v7, v36
.LBB210_55:                             ;   Parent Loop BB210_3 Depth=1
                                        ;     Parent Loop BB210_21 Depth=2
                                        ; =>    This Inner Loop Header: Depth=3
	s_cmp_eq_u32 s6, 1
	s_cselect_b32 vcc_lo, -1, 0
	s_cmp_eq_u32 s6, 2
	v_cndmask_b32_e32 v1, v2, v3, vcc_lo
	s_cselect_b32 vcc_lo, -1, 0
	s_cmp_eq_u32 s6, 3
	s_delay_alu instid0(VALU_DEP_1)
	v_cndmask_b32_e32 v1, v1, v4, vcc_lo
	s_cselect_b32 vcc_lo, -1, 0
	s_add_co_i32 s76, s62, s6
	s_add_co_i32 s78, s60, s6
	;; [unrolled: 1-line block ×3, first 2 shown]
	s_ashr_i32 s77, s76, 31
	s_ashr_i32 s79, s78, 31
	;; [unrolled: 1-line block ×3, first 2 shown]
	v_lshl_add_u64 v[50:51], s[76:77], 2, v[24:25]
	v_lshl_add_u64 v[52:53], s[78:79], 2, v[24:25]
	s_wait_xcnt 0x0
	v_lshl_add_u64 v[54:55], s[66:67], 2, v[24:25]
	flat_load_b32 v56, v[38:39]
	s_clause 0x2
	flat_load_b32 v50, v[50:51]
	flat_load_b32 v51, v[52:53]
	;; [unrolled: 1-line block ×3, first 2 shown]
	s_wait_xcnt 0x1
	v_cndmask_b32_e32 v52, v1, v5, vcc_lo
	v_add_nc_u64_e32 v[38:39], 4, v[38:39]
	s_add_nc_u64 s[6:7], s[6:7], 1
	s_delay_alu instid0(SALU_CYCLE_1)
	s_cmp_lg_u32 s71, s6
	s_wait_loadcnt_dscnt 0x101
	v_pk_fma_f32 v[6:7], v[52:53], v[50:51], v[6:7] op_sel_hi:[0,1,1]
	s_wait_loadcnt_dscnt 0x0
	v_pk_fma_f32 v[36:37], v[52:53], v[56:57], v[36:37] op_sel_hi:[0,1,1]
	s_cbranch_scc1 .LBB210_55
	s_branch .LBB210_66
.LBB210_56:                             ;   in Loop: Header=BB210_21 Depth=2
	ds_load_b32 v1, v40
	s_or_b32 exec_lo, exec_lo, s6
	s_and_saveexec_b32 s6, s1
	s_cbranch_execz .LBB210_29
.LBB210_57:                             ;   in Loop: Header=BB210_21 Depth=2
	s_wait_dscnt 0x0
	ds_bpermute_b32 v36, v46, v1
	s_wait_dscnt 0x0
	v_add_f32_e32 v1, v1, v36
	ds_bpermute_b32 v36, v47, v1
	s_wait_dscnt 0x0
	v_add_f32_e32 v1, v1, v36
	;; [unrolled: 3-line block ×3, first 2 shown]
	s_or_b32 exec_lo, exec_lo, s6
	s_and_saveexec_b32 s6, s1
	s_cbranch_execnz .LBB210_30
	s_branch .LBB210_31
.LBB210_58:                             ;   in Loop: Header=BB210_21 Depth=2
	ds_load_b32 v36, v40
	s_or_b32 exec_lo, exec_lo, s6
	s_and_saveexec_b32 s6, s1
	s_cbranch_execz .LBB210_35
.LBB210_59:                             ;   in Loop: Header=BB210_21 Depth=2
	s_wait_dscnt 0x0
	ds_bpermute_b32 v37, v46, v36
	s_wait_dscnt 0x0
	v_add_f32_e32 v36, v36, v37
	ds_bpermute_b32 v37, v47, v36
	s_wait_dscnt 0x0
	v_add_f32_e32 v36, v36, v37
	;; [unrolled: 3-line block ×3, first 2 shown]
	s_or_b32 exec_lo, exec_lo, s6
	s_and_saveexec_b32 s6, s1
	s_cbranch_execnz .LBB210_36
	s_branch .LBB210_37
.LBB210_60:                             ;   in Loop: Header=BB210_21 Depth=2
	ds_load_b32 v6, v40
	s_or_b32 exec_lo, exec_lo, s6
	s_and_saveexec_b32 s6, s1
	s_cbranch_execz .LBB210_41
.LBB210_61:                             ;   in Loop: Header=BB210_21 Depth=2
	s_wait_dscnt 0x0
	ds_bpermute_b32 v37, v46, v6
	s_wait_dscnt 0x0
	v_add_f32_e32 v6, v6, v37
	ds_bpermute_b32 v37, v47, v6
	s_wait_dscnt 0x0
	v_add_f32_e32 v6, v6, v37
	;; [unrolled: 3-line block ×3, first 2 shown]
	s_or_b32 exec_lo, exec_lo, s6
	s_and_saveexec_b32 s6, s1
	s_cbranch_execnz .LBB210_42
	s_branch .LBB210_43
.LBB210_62:                             ;   in Loop: Header=BB210_21 Depth=2
	ds_load_b32 v7, v40
	s_or_b32 exec_lo, exec_lo, s6
	s_and_saveexec_b32 s6, s1
	s_cbranch_execz .LBB210_47
.LBB210_63:                             ;   in Loop: Header=BB210_21 Depth=2
	s_wait_dscnt 0x0
	ds_bpermute_b32 v37, v46, v7
	s_wait_dscnt 0x0
	v_add_f32_e32 v7, v7, v37
	ds_bpermute_b32 v37, v47, v7
	s_wait_dscnt 0x0
	v_add_f32_e32 v7, v7, v37
	;; [unrolled: 3-line block ×3, first 2 shown]
	s_or_b32 exec_lo, exec_lo, s6
	s_and_saveexec_b32 s6, s0
	s_cbranch_execz .LBB210_20
.LBB210_64:                             ;   in Loop: Header=BB210_21 Depth=2
	s_mul_i32 s7, s24, s34
	v_dual_mul_f32 v1, v44, v1 :: v_dual_mul_f32 v36, v44, v36
	s_add_co_i32 s7, s7, s36
	s_delay_alu instid0(SALU_CYCLE_1) | instskip(NEXT) | instid1(SALU_CYCLE_1)
	s_add_co_i32 s8, s7, s34
	v_dual_mov_b32 v37, s7 :: v_dual_mov_b32 v38, s8
	s_add_co_i32 s7, s8, s34
	s_delay_alu instid0(SALU_CYCLE_1)
	v_dual_mul_f32 v6, v44, v6 :: v_dual_mov_b32 v39, s7
	s_add_co_i32 s7, s7, s34
	s_wait_dscnt 0x0
	v_dual_mul_f32 v7, v44, v7 :: v_dual_mov_b32 v49, s7
	s_clause 0x3
	global_store_b32 v37, v1, s[56:57] scale_offset
	global_store_b32 v38, v36, s[56:57] scale_offset
	;; [unrolled: 1-line block ×4, first 2 shown]
	s_branch .LBB210_20
.LBB210_65:                             ;   in Loop: Header=BB210_21 Depth=2
	v_mov_b32_e32 v7, 0
	s_delay_alu instid0(VALU_DEP_1)
	v_dual_mov_b32 v6, v7 :: v_dual_mov_b32 v37, v7
	v_mov_b32_e32 v36, v7
.LBB210_66:                             ;   in Loop: Header=BB210_21 Depth=2
	s_wait_xcnt 0x0
	s_or_b32 exec_lo, exec_lo, s11
	s_delay_alu instid0(SALU_CYCLE_1)
	s_or_b32 exec_lo, exec_lo, s9
	s_and_saveexec_b32 s6, s1
	s_cbranch_execnz .LBB210_24
	s_branch .LBB210_25
.LBB210_67:                             ;   in Loop: Header=BB210_3 Depth=1
	v_dual_mov_b32 v1, v0 :: v_dual_mov_b32 v2, v0
	v_mov_b32_e32 v3, v0
	s_mov_b32 s24, 0
	s_delay_alu instid0(VALU_DEP_1) | instskip(NEXT) | instid1(VALU_DEP_3)
	v_mov_b64_e32 v[4:5], v[2:3]
	v_mov_b64_e32 v[2:3], v[0:1]
.LBB210_68:                             ;   in Loop: Header=BB210_3 Depth=1
	s_cmp_ge_i32 s24, s27
	s_cbranch_scc1 .LBB210_2
; %bb.69:                               ;   in Loop: Header=BB210_3 Depth=1
	v_cmp_gt_u32_e32 vcc_lo, 24, v42
	s_add_nc_u64 s[56:57], s[56:57], s[40:41]
	s_mul_i32 s58, s28, s24
	v_cndmask_b32_e64 v1, 0, 8, vcc_lo
	v_cmp_gt_u32_e32 vcc_lo, 28, v42
	s_delay_alu instid0(VALU_DEP_2) | instskip(SKIP_4) | instid1(VALU_DEP_2)
	v_add_lshl_u32 v1, v1, v42, 2
	s_wait_dscnt 0x0
	v_cndmask_b32_e64 v6, 0, 4, vcc_lo
	v_cmp_gt_u32_e32 vcc_lo, 30, v42
	s_wait_dscnt 0x0
	v_add_lshl_u32 v7, v6, v42, 2
	v_cndmask_b32_e64 v36, 0, 2, vcc_lo
	v_cmp_ne_u32_e32 vcc_lo, 31, v42
	s_delay_alu instid0(VALU_DEP_2) | instskip(SKIP_1) | instid1(VALU_DEP_1)
	v_add_lshl_u32 v38, v36, v42, 2
	v_add_co_ci_u32_e64 v37, null, 0, v42, vcc_lo
	v_lshlrev_b32_e32 v39, 2, v37
	s_branch .LBB210_71
.LBB210_70:                             ;   in Loop: Header=BB210_71 Depth=2
	s_wait_xcnt 0x0
	s_or_b32 exec_lo, exec_lo, s6
	s_add_co_i32 s24, s24, 1
	s_add_co_i32 s58, s58, s28
	s_cmp_ge_i32 s24, s27
	s_cbranch_scc1 .LBB210_2
.LBB210_71:                             ;   Parent Loop BB210_3 Depth=1
                                        ; =>  This Loop Header: Depth=2
                                        ;       Child Loop BB210_84 Depth 3
                                        ;       Child Loop BB210_87 Depth 3
	s_wait_dscnt 0x0
	v_mov_b32_e32 v6, s25
	s_and_saveexec_b32 s6, s4
	s_delay_alu instid0(SALU_CYCLE_1)
	s_xor_b32 s6, exec_lo, s6
	s_cbranch_execnz .LBB210_80
; %bb.72:                               ;   in Loop: Header=BB210_71 Depth=2
	s_and_not1_saveexec_b32 s9, s6
	s_cbranch_execnz .LBB210_81
.LBB210_73:                             ;   in Loop: Header=BB210_71 Depth=2
	s_or_b32 exec_lo, exec_lo, s9
	s_and_saveexec_b32 s6, s1
.LBB210_74:                             ;   in Loop: Header=BB210_71 Depth=2
	ds_store_b32 v40, v0
.LBB210_75:                             ;   in Loop: Header=BB210_71 Depth=2
	s_or_b32 exec_lo, exec_lo, s6
	ds_bpermute_b32 v36, v43, v6
	s_wait_storecnt_dscnt 0x0
	s_barrier_signal -1
	s_barrier_wait -1
	v_add_f32_e32 v6, v6, v36
	ds_bpermute_b32 v36, v1, v6
	s_wait_dscnt 0x0
	v_add_f32_e32 v6, v6, v36
	ds_bpermute_b32 v36, v7, v6
	s_wait_dscnt 0x0
	;; [unrolled: 3-line block ×3, first 2 shown]
	v_add_f32_e32 v6, v6, v36
	ds_bpermute_b32 v36, v39, v6
	s_and_saveexec_b32 s6, s3
	s_cbranch_execz .LBB210_77
; %bb.76:                               ;   in Loop: Header=BB210_71 Depth=2
	s_wait_dscnt 0x0
	v_add_f32_e32 v6, v6, v36
	ds_store_b32 v41, v6
.LBB210_77:                             ;   in Loop: Header=BB210_71 Depth=2
	s_or_b32 exec_lo, exec_lo, s6
	v_mov_b32_e32 v6, 0
	s_wait_dscnt 0x0
	s_barrier_signal -1
	s_barrier_wait -1
	s_and_saveexec_b32 s6, s2
	s_cbranch_execnz .LBB210_89
; %bb.78:                               ;   in Loop: Header=BB210_71 Depth=2
	s_or_b32 exec_lo, exec_lo, s6
	s_and_saveexec_b32 s6, s1
	s_cbranch_execnz .LBB210_90
.LBB210_79:                             ;   in Loop: Header=BB210_71 Depth=2
	s_or_b32 exec_lo, exec_lo, s6
	s_and_saveexec_b32 s6, s0
	s_cbranch_execz .LBB210_70
	s_branch .LBB210_91
.LBB210_80:                             ;   in Loop: Header=BB210_71 Depth=2
	s_mul_i32 s8, s24, s28
	s_delay_alu instid0(SALU_CYCLE_1) | instskip(NEXT) | instid1(SALU_CYCLE_1)
	s_ashr_i32 s9, s8, 31
	v_lshl_add_u64 v[2:3], s[8:9], 2, v[24:25]
	flat_load_b128 v[46:49], v[2:3]
	s_clause 0x3
	flat_load_b32 v2, v[26:27]
	flat_load_b32 v3, v[28:29]
	;; [unrolled: 1-line block ×4, first 2 shown]
	s_wait_loadcnt_dscnt 0x202
	v_pk_mul_f32 v[36:37], v[2:3], v[46:47]
	s_delay_alu instid0(VALU_DEP_1) | instskip(NEXT) | instid1(VALU_DEP_1)
	v_add_f32_e32 v6, 0, v36
	v_add_f32_e32 v6, v6, v37
	s_wait_loadcnt_dscnt 0x0
	v_pk_mul_f32 v[36:37], v[4:5], v[48:49]
	s_delay_alu instid0(VALU_DEP_1) | instskip(NEXT) | instid1(VALU_DEP_1)
	v_add_f32_e32 v6, v6, v36
	v_add_f32_e32 v6, v6, v37
	s_wait_xcnt 0x0
	s_and_not1_saveexec_b32 s9, s6
	s_cbranch_execz .LBB210_73
.LBB210_81:                             ;   in Loop: Header=BB210_71 Depth=2
	s_and_saveexec_b32 s11, s5
	s_cbranch_execz .LBB210_88
; %bb.82:                               ;   in Loop: Header=BB210_71 Depth=2
	s_and_not1_b32 vcc_lo, exec_lo, s73
	s_cbranch_vccnz .LBB210_85
; %bb.83:                               ;   in Loop: Header=BB210_71 Depth=2
	v_mov_b32_e32 v36, v10
	s_mov_b64 s[60:61], 0
.LBB210_84:                             ;   Parent Loop BB210_3 Depth=1
                                        ;     Parent Loop BB210_71 Depth=2
                                        ; =>    This Inner Loop Header: Depth=3
	v_readfirstlane_b32 s6, v22
	v_readfirstlane_b32 s7, v23
	s_cmp_eq_u32 s60, 3
	s_cselect_b32 vcc_lo, -1, 0
	s_cmp_eq_u32 s60, 2
	flat_load_b32 v37, v36, s[6:7] scale_offset
	s_wait_xcnt 0x0
	s_cselect_b32 s6, -1, 0
	s_cmp_eq_u32 s60, 1
	v_add_nc_u32_e32 v36, s68, v36
	s_cselect_b32 s7, -1, 0
	s_cmp_eq_u32 s60, 0
	s_add_nc_u64 s[60:61], s[60:61], 1
	s_cselect_b32 s8, -1, 0
	s_cmp_eq_u32 s71, s60
	s_wait_loadcnt_dscnt 0x0
	v_dual_cndmask_b32 v5, v5, v37, vcc_lo :: v_dual_cndmask_b32 v4, v4, v37, s6
	v_dual_cndmask_b32 v3, v3, v37, s7 :: v_dual_cndmask_b32 v2, v2, v37, s8
	s_cbranch_scc0 .LBB210_84
.LBB210_85:                             ;   in Loop: Header=BB210_71 Depth=2
	s_and_not1_b32 vcc_lo, exec_lo, s73
	s_cbranch_vccnz .LBB210_88
; %bb.86:                               ;   in Loop: Header=BB210_71 Depth=2
	s_ashr_i32 s59, s58, 31
	s_mov_b64 s[6:7], 0
	v_lshl_add_u64 v[36:37], s[58:59], 2, v[34:35]
.LBB210_87:                             ;   Parent Loop BB210_3 Depth=1
                                        ;     Parent Loop BB210_71 Depth=2
                                        ; =>    This Inner Loop Header: Depth=3
	flat_load_b32 v45, v[36:37]
	s_cmp_eq_u32 s6, 1
	s_wait_xcnt 0x0
	v_add_nc_u64_e32 v[36:37], 4, v[36:37]
	s_cselect_b32 vcc_lo, -1, 0
	s_cmp_eq_u32 s6, 2
	v_cndmask_b32_e32 v46, v2, v3, vcc_lo
	s_cselect_b32 vcc_lo, -1, 0
	s_cmp_eq_u32 s6, 3
	s_add_nc_u64 s[6:7], s[6:7], 1
	s_delay_alu instid0(VALU_DEP_1) | instskip(SKIP_2) | instid1(VALU_DEP_1)
	v_cndmask_b32_e32 v46, v46, v4, vcc_lo
	s_cselect_b32 vcc_lo, -1, 0
	s_cmp_lg_u32 s71, s6
	v_cndmask_b32_e32 v46, v46, v5, vcc_lo
	s_wait_loadcnt_dscnt 0x0
	s_delay_alu instid0(VALU_DEP_1)
	v_fmac_f32_e32 v6, v46, v45
	s_cbranch_scc1 .LBB210_87
.LBB210_88:                             ;   in Loop: Header=BB210_71 Depth=2
	s_or_b32 exec_lo, exec_lo, s11
	s_delay_alu instid0(SALU_CYCLE_1)
	s_or_b32 exec_lo, exec_lo, s9
	s_and_saveexec_b32 s6, s1
	s_cbranch_execnz .LBB210_74
	s_branch .LBB210_75
.LBB210_89:                             ;   in Loop: Header=BB210_71 Depth=2
	ds_load_b32 v6, v40
	s_or_b32 exec_lo, exec_lo, s6
	s_and_saveexec_b32 s6, s1
	s_cbranch_execz .LBB210_79
.LBB210_90:                             ;   in Loop: Header=BB210_71 Depth=2
	s_wait_dscnt 0x0
	ds_bpermute_b32 v36, v7, v6
	s_wait_dscnt 0x0
	v_add_f32_e32 v6, v6, v36
	ds_bpermute_b32 v36, v38, v6
	s_wait_dscnt 0x0
	v_add_f32_e32 v6, v6, v36
	ds_bpermute_b32 v36, v39, v6
	s_wait_dscnt 0x0
	v_add_f32_e32 v6, v6, v36
	s_or_b32 exec_lo, exec_lo, s6
	s_and_saveexec_b32 s6, s0
	s_cbranch_execz .LBB210_70
.LBB210_91:                             ;   in Loop: Header=BB210_71 Depth=2
	s_mul_u64 s[8:9], s[24:25], s[34:35]
	s_wait_dscnt 0x0
	v_mul_f32_e32 v6, v44, v6
	s_lshl_b64 s[8:9], s[8:9], 2
	s_delay_alu instid0(SALU_CYCLE_1)
	s_add_nc_u64 s[8:9], s[56:57], s[8:9]
	global_store_b32 v0, v6, s[8:9]
	s_branch .LBB210_70
.LBB210_92:
	s_sendmsg sendmsg(MSG_DEALLOC_VGPRS)
	s_endpgm
	.section	.rodata,"a",@progbits
	.p2align	6, 0x0
	.amdhsa_kernel _ZL23rocblas_gemvt_sn_kernelILb0ELi256ELi4EiPKfS1_fEviiT4_lPKT3_lilS5_lilPT5_i
		.amdhsa_group_segment_fixed_size 128
		.amdhsa_private_segment_fixed_size 0
		.amdhsa_kernarg_size 360
		.amdhsa_user_sgpr_count 2
		.amdhsa_user_sgpr_dispatch_ptr 0
		.amdhsa_user_sgpr_queue_ptr 0
		.amdhsa_user_sgpr_kernarg_segment_ptr 1
		.amdhsa_user_sgpr_dispatch_id 0
		.amdhsa_user_sgpr_kernarg_preload_length 0
		.amdhsa_user_sgpr_kernarg_preload_offset 0
		.amdhsa_user_sgpr_private_segment_size 0
		.amdhsa_wavefront_size32 1
		.amdhsa_uses_dynamic_stack 0
		.amdhsa_enable_private_segment 0
		.amdhsa_system_sgpr_workgroup_id_x 1
		.amdhsa_system_sgpr_workgroup_id_y 0
		.amdhsa_system_sgpr_workgroup_id_z 1
		.amdhsa_system_sgpr_workgroup_info 0
		.amdhsa_system_vgpr_workitem_id 0
		.amdhsa_next_free_vgpr 68
		.amdhsa_next_free_sgpr 80
		.amdhsa_named_barrier_count 0
		.amdhsa_reserve_vcc 1
		.amdhsa_float_round_mode_32 0
		.amdhsa_float_round_mode_16_64 0
		.amdhsa_float_denorm_mode_32 3
		.amdhsa_float_denorm_mode_16_64 3
		.amdhsa_fp16_overflow 0
		.amdhsa_memory_ordered 1
		.amdhsa_forward_progress 1
		.amdhsa_inst_pref_size 32
		.amdhsa_round_robin_scheduling 0
		.amdhsa_exception_fp_ieee_invalid_op 0
		.amdhsa_exception_fp_denorm_src 0
		.amdhsa_exception_fp_ieee_div_zero 0
		.amdhsa_exception_fp_ieee_overflow 0
		.amdhsa_exception_fp_ieee_underflow 0
		.amdhsa_exception_fp_ieee_inexact 0
		.amdhsa_exception_int_div_zero 0
	.end_amdhsa_kernel
	.section	.text._ZL23rocblas_gemvt_sn_kernelILb0ELi256ELi4EiPKfS1_fEviiT4_lPKT3_lilS5_lilPT5_i,"axG",@progbits,_ZL23rocblas_gemvt_sn_kernelILb0ELi256ELi4EiPKfS1_fEviiT4_lPKT3_lilS5_lilPT5_i,comdat
.Lfunc_end210:
	.size	_ZL23rocblas_gemvt_sn_kernelILb0ELi256ELi4EiPKfS1_fEviiT4_lPKT3_lilS5_lilPT5_i, .Lfunc_end210-_ZL23rocblas_gemvt_sn_kernelILb0ELi256ELi4EiPKfS1_fEviiT4_lPKT3_lilS5_lilPT5_i
                                        ; -- End function
	.set _ZL23rocblas_gemvt_sn_kernelILb0ELi256ELi4EiPKfS1_fEviiT4_lPKT3_lilS5_lilPT5_i.num_vgpr, 68
	.set _ZL23rocblas_gemvt_sn_kernelILb0ELi256ELi4EiPKfS1_fEviiT4_lPKT3_lilS5_lilPT5_i.num_agpr, 0
	.set _ZL23rocblas_gemvt_sn_kernelILb0ELi256ELi4EiPKfS1_fEviiT4_lPKT3_lilS5_lilPT5_i.numbered_sgpr, 80
	.set _ZL23rocblas_gemvt_sn_kernelILb0ELi256ELi4EiPKfS1_fEviiT4_lPKT3_lilS5_lilPT5_i.num_named_barrier, 0
	.set _ZL23rocblas_gemvt_sn_kernelILb0ELi256ELi4EiPKfS1_fEviiT4_lPKT3_lilS5_lilPT5_i.private_seg_size, 0
	.set _ZL23rocblas_gemvt_sn_kernelILb0ELi256ELi4EiPKfS1_fEviiT4_lPKT3_lilS5_lilPT5_i.uses_vcc, 1
	.set _ZL23rocblas_gemvt_sn_kernelILb0ELi256ELi4EiPKfS1_fEviiT4_lPKT3_lilS5_lilPT5_i.uses_flat_scratch, 1
	.set _ZL23rocblas_gemvt_sn_kernelILb0ELi256ELi4EiPKfS1_fEviiT4_lPKT3_lilS5_lilPT5_i.has_dyn_sized_stack, 0
	.set _ZL23rocblas_gemvt_sn_kernelILb0ELi256ELi4EiPKfS1_fEviiT4_lPKT3_lilS5_lilPT5_i.has_recursion, 0
	.set _ZL23rocblas_gemvt_sn_kernelILb0ELi256ELi4EiPKfS1_fEviiT4_lPKT3_lilS5_lilPT5_i.has_indirect_call, 0
	.section	.AMDGPU.csdata,"",@progbits
; Kernel info:
; codeLenInByte = 4024
; TotalNumSgprs: 82
; NumVgprs: 68
; ScratchSize: 0
; MemoryBound: 0
; FloatMode: 240
; IeeeMode: 1
; LDSByteSize: 128 bytes/workgroup (compile time only)
; SGPRBlocks: 0
; VGPRBlocks: 4
; NumSGPRsForWavesPerEU: 82
; NumVGPRsForWavesPerEU: 68
; NamedBarCnt: 0
; Occupancy: 12
; WaveLimiterHint : 0
; COMPUTE_PGM_RSRC2:SCRATCH_EN: 0
; COMPUTE_PGM_RSRC2:USER_SGPR: 2
; COMPUTE_PGM_RSRC2:TRAP_HANDLER: 0
; COMPUTE_PGM_RSRC2:TGID_X_EN: 1
; COMPUTE_PGM_RSRC2:TGID_Y_EN: 0
; COMPUTE_PGM_RSRC2:TGID_Z_EN: 1
; COMPUTE_PGM_RSRC2:TIDIG_COMP_CNT: 0
	.section	.text._ZL23rocblas_gemvt_sn_kernelILb0ELi256ELi4ElPKfS1_fEviiT4_lPKT3_lilS5_lilPT5_i,"axG",@progbits,_ZL23rocblas_gemvt_sn_kernelILb0ELi256ELi4ElPKfS1_fEviiT4_lPKT3_lilS5_lilPT5_i,comdat
	.globl	_ZL23rocblas_gemvt_sn_kernelILb0ELi256ELi4ElPKfS1_fEviiT4_lPKT3_lilS5_lilPT5_i ; -- Begin function _ZL23rocblas_gemvt_sn_kernelILb0ELi256ELi4ElPKfS1_fEviiT4_lPKT3_lilS5_lilPT5_i
	.p2align	8
	.type	_ZL23rocblas_gemvt_sn_kernelILb0ELi256ELi4ElPKfS1_fEviiT4_lPKT3_lilS5_lilPT5_i,@function
_ZL23rocblas_gemvt_sn_kernelILb0ELi256ELi4ElPKfS1_fEviiT4_lPKT3_lilS5_lilPT5_i: ; @_ZL23rocblas_gemvt_sn_kernelILb0ELi256ELi4ElPKfS1_fEviiT4_lPKT3_lilS5_lilPT5_i
; %bb.0:
	s_load_b32 s33, s[0:1], 0x60
	s_bfe_u32 s2, ttmp6, 0x40014
	s_lshr_b32 s3, ttmp7, 16
	s_add_co_i32 s2, s2, 1
	s_bfe_u32 s5, ttmp6, 0x40008
	s_mul_i32 s2, s3, s2
	s_getreg_b32 s4, hwreg(HW_REG_IB_STS2, 6, 4)
	s_add_co_i32 s5, s5, s2
	s_cmp_eq_u32 s4, 0
	s_mov_b32 s25, 0
	s_cselect_b32 s10, s3, s5
	s_wait_kmcnt 0x0
	s_cmp_ge_u32 s10, s33
	s_cbranch_scc1 .LBB211_92
; %bb.1:
	s_clause 0x6
	s_load_b32 s26, s[0:1], 0x28
	s_load_b32 s6, s[0:1], 0x48
	s_load_b64 s[28:29], s[0:1], 0x0
	s_load_b32 s30, s[0:1], 0x68
	s_load_b256 s[12:19], s[0:1], 0x8
	s_load_b128 s[20:23], s[0:1], 0x38
	s_load_b64 s[34:35], s[0:1], 0x58
	s_wait_xcnt 0x0
	v_cmp_eq_u32_e64 s0, 0, v0
	v_dual_lshrrev_b32 v2, 3, v0 :: v_dual_bitop2_b32 v1, 31, v0 bitop3:0x40
	v_cmp_gt_u32_e64 s1, 32, v0
	v_cmp_gt_u32_e64 s2, 8, v0
	v_mbcnt_lo_u32_b32 v48, -1, 0
	s_delay_alu instid0(VALU_DEP_4)
	v_dual_lshlrev_b32 v46, 2, v1 :: v_dual_bitop2_b32 v47, 28, v2 bitop3:0x40
	v_cmp_eq_u32_e64 s3, 0, v1
	v_mov_b64_e32 v[22:23], 0
	s_mov_b32 s31, s25
	v_lshl_or_b32 v49, v48, 2, 64
	s_wait_kmcnt 0x0
	s_ashr_i32 s27, s26, 31
	s_ashr_i32 s7, s6, 31
	;; [unrolled: 1-line block ×3, first 2 shown]
	s_cmp_gt_i32 s29, 0
	s_mov_b32 s8, s29
	s_cselect_b32 s5, -1, 0
	s_bfe_u32 s11, ttmp6, 0x4000c
	s_and_b32 s24, ttmp6, 15
	s_add_co_i32 s11, s11, 1
	s_and_b32 s62, s0, s5
	s_mul_i32 s11, ttmp9, s11
	s_mul_u64 s[36:37], s[8:9], s[30:31]
	s_add_co_i32 s24, s24, s11
	s_cmp_eq_u32 s4, 0
	s_mul_u64 s[38:39], s[26:27], 12
	s_cselect_b32 s24, ttmp9, s24
	s_ashr_i32 s5, s28, 31
	s_lshl_b32 s11, s24, 10
	s_lshr_b32 s4, s9, 30
	v_lshl_or_b32 v8, v0, 2, s11
	s_lshr_b32 s5, s5, 30
	s_add_co_i32 s4, s29, s4
	s_add_co_i32 s5, s28, s5
	s_and_b32 s63, s4, -4
	s_and_b32 s4, s5, -4
	v_dual_ashrrev_i32 v9, 31, v8 :: v_dual_bitop2_b32 v0, 1, v8 bitop3:0x54
	s_sub_co_i32 s64, s28, s4
	v_dual_add_nc_u32 v6, 4, v8 :: v_dual_bitop2_b32 v2, 2, v8 bitop3:0x54
	v_dual_add_nc_u32 v7, s64, v8 :: v_dual_bitop2_b32 v4, 3, v8 bitop3:0x54
	s_delay_alu instid0(VALU_DEP_3) | instskip(NEXT) | instid1(VALU_DEP_3)
	v_mul_u64_e32 v[10:11], s[6:7], v[8:9]
	v_dual_ashrrev_i32 v1, 31, v0 :: v_dual_ashrrev_i32 v3, 31, v2
	s_delay_alu instid0(VALU_DEP_3) | instskip(SKIP_2) | instid1(VALU_DEP_3)
	v_ashrrev_i32_e32 v5, 31, v4
	s_cmp_gt_i32 s63, 0
	v_lshlrev_b64_e32 v[18:19], 2, v[8:9]
	v_mul_u64_e32 v[12:13], s[6:7], v[0:1]
	v_mul_u64_e32 v[14:15], s[6:7], v[2:3]
	v_mov_b32_e32 v0, 0
	v_mul_u64_e32 v[16:17], s[6:7], v[4:5]
	s_cselect_b32 s65, -1, 0
	s_cmp_gt_i32 s64, 0
	v_cmp_ge_i32_e64 s4, s28, v6
	s_cselect_b32 s66, -1, 0
	s_cmp_gt_u32 s29, 1
	s_cselect_b32 s5, -1, 0
	s_cmp_eq_u32 s30, 1
	s_cselect_b32 s11, -1, 0
	s_and_b32 s67, s29, 0x7ffffffe
	s_and_b32 s68, s5, s11
	s_cmp_lg_u32 s29, s67
	v_cmp_ge_i32_e64 s5, s28, v7
	s_cselect_b32 s28, -1, 0
	s_lshl_b64 s[40:41], s[24:25], 2
	s_lshl_b64 s[42:43], s[36:37], 2
	s_lshl_b64 s[44:45], s[8:9], 2
	s_lshl_b64 s[46:47], s[30:31], 2
	s_lshl_b64 s[48:49], s[6:7], 2
	s_lshl_b64 s[50:51], s[26:27], 4
	s_lshl_b64 s[52:53], s[26:27], 3
	v_lshlrev_b64_e32 v[20:21], 2, v[10:11]
	s_add_nc_u64 s[54:55], s[34:35], s[40:41]
	s_lshl_b64 s[56:57], s[26:27], 2
	s_lshl_b64 s[18:19], s[18:19], 2
	;; [unrolled: 1-line block ×3, first 2 shown]
	s_branch .LBB211_3
.LBB211_2:                              ;   in Loop: Header=BB211_3 Depth=1
	s_add_co_i32 s10, s10, 0x10000
	s_delay_alu instid0(SALU_CYCLE_1)
	s_cmp_lt_u32 s10, s33
	s_cbranch_scc0 .LBB211_92
.LBB211_3:                              ; =>This Loop Header: Depth=1
                                        ;     Child Loop BB211_11 Depth 2
                                        ;     Child Loop BB211_15 Depth 2
	;; [unrolled: 1-line block ×3, first 2 shown]
                                        ;       Child Loop BB211_52 Depth 3
                                        ;       Child Loop BB211_55 Depth 3
                                        ;     Child Loop BB211_71 Depth 2
                                        ;       Child Loop BB211_84 Depth 3
                                        ;       Child Loop BB211_87 Depth 3
	s_mov_b32 s11, s25
	s_wait_dscnt 0x0
	v_mov_b64_e32 v[6:7], 0
	s_mul_u64 s[6:7], s[14:15], s[10:11]
	s_delay_alu instid0(SALU_CYCLE_1) | instskip(NEXT) | instid1(SALU_CYCLE_1)
	s_lshl_b64 s[6:7], s[6:7], 2
	s_add_nc_u64 s[6:7], s[12:13], s[6:7]
	global_load_b32 v50, v0, s[6:7]
	s_wait_loadcnt 0x0
	s_wait_xcnt 0x0
	v_cmp_eq_f32_e64 s6, 0, v50
	v_cmp_neq_f32_e64 s7, 0, v50
	s_and_b32 vcc_lo, exec_lo, s6
	s_cbranch_vccnz .LBB211_5
; %bb.4:                                ;   in Loop: Header=BB211_3 Depth=1
	s_lshl_b64 s[8:9], s[10:11], 3
	s_delay_alu instid0(SALU_CYCLE_1)
	s_add_nc_u64 s[8:9], s[16:17], s[8:9]
	global_load_b64 v[2:3], v0, s[8:9]
	s_wait_loadcnt 0x0
	v_add_nc_u64_e32 v[6:7], s[18:19], v[2:3]
.LBB211_5:                              ;   in Loop: Header=BB211_3 Depth=1
	v_mov_b64_e32 v[4:5], 0
	s_and_not1_b32 vcc_lo, exec_lo, s7
	s_cbranch_vccnz .LBB211_7
; %bb.6:                                ;   in Loop: Header=BB211_3 Depth=1
	s_wait_xcnt 0x0
	s_lshl_b64 s[8:9], s[10:11], 3
	s_delay_alu instid0(SALU_CYCLE_1)
	s_add_nc_u64 s[8:9], s[20:21], s[8:9]
	global_load_b64 v[2:3], v0, s[8:9]
	s_wait_loadcnt 0x0
	v_add_nc_u64_e32 v[4:5], s[22:23], v[2:3]
.LBB211_7:                              ;   in Loop: Header=BB211_3 Depth=1
	s_and_not1_b32 vcc_lo, exec_lo, s6
	s_mov_b32 s6, -1
	s_cbranch_vccnz .LBB211_17
; %bb.8:                                ;   in Loop: Header=BB211_3 Depth=1
	s_wait_xcnt 0x0
	s_and_saveexec_b32 s8, s62
	s_cbranch_execz .LBB211_16
; %bb.9:                                ;   in Loop: Header=BB211_3 Depth=1
	s_and_not1_b32 vcc_lo, exec_lo, s68
	s_cbranch_vccnz .LBB211_13
; %bb.10:                               ;   in Loop: Header=BB211_3 Depth=1
	s_mul_u64 s[6:7], s[42:43], s[10:11]
	s_mov_b32 s9, s67
	s_add_nc_u64 s[6:7], s[54:55], s[6:7]
.LBB211_11:                             ;   Parent Loop BB211_3 Depth=1
                                        ; =>  This Inner Loop Header: Depth=2
	s_add_co_i32 s9, s9, -2
	global_store_b64 v0, v[22:23], s[6:7]
	s_wait_xcnt 0x0
	s_add_nc_u64 s[6:7], s[6:7], 8
	s_mov_b32 s24, s67
	s_cmp_lg_u32 s9, 0
	s_mov_b32 s58, s28
	s_cbranch_scc1 .LBB211_11
; %bb.12:                               ;   in Loop: Header=BB211_3 Depth=1
	s_and_b32 vcc_lo, exec_lo, s58
	s_cbranch_vccnz .LBB211_14
	s_branch .LBB211_16
.LBB211_13:                             ;   in Loop: Header=BB211_3 Depth=1
	s_mov_b32 s24, 0
	s_cbranch_execz .LBB211_16
.LBB211_14:                             ;   in Loop: Header=BB211_3 Depth=1
	s_mul_u64 s[6:7], s[44:45], s[10:11]
	s_lshl_b64 s[58:59], s[24:25], 2
	s_sub_co_i32 s9, s29, s24
	s_add_nc_u64 s[6:7], s[6:7], s[58:59]
	s_delay_alu instid0(SALU_CYCLE_1) | instskip(NEXT) | instid1(SALU_CYCLE_1)
	s_mul_u64 s[6:7], s[30:31], s[6:7]
	s_add_nc_u64 s[6:7], s[54:55], s[6:7]
.LBB211_15:                             ;   Parent Loop BB211_3 Depth=1
                                        ; =>  This Inner Loop Header: Depth=2
	s_add_co_i32 s9, s9, -1
	global_store_b32 v0, v0, s[6:7]
	s_cmp_eq_u32 s9, 0
	s_wait_xcnt 0x0
	s_add_nc_u64 s[6:7], s[6:7], s[46:47]
	s_cbranch_scc0 .LBB211_15
.LBB211_16:                             ;   in Loop: Header=BB211_3 Depth=1
	s_or_b32 exec_lo, exec_lo, s8
	s_mov_b32 s6, 0
.LBB211_17:                             ;   in Loop: Header=BB211_3 Depth=1
	s_delay_alu instid0(SALU_CYCLE_1)
	s_and_not1_b32 vcc_lo, exec_lo, s6
	s_cbranch_vccnz .LBB211_2
; %bb.18:                               ;   in Loop: Header=BB211_3 Depth=1
	s_mul_u64 s[6:7], s[36:37], s[10:11]
	v_add_nc_u64_e32 v[34:35], v[4:5], v[20:21]
	s_lshl_b64 s[58:59], s[6:7], 2
	v_lshl_add_u64 v[24:25], v[8:9], 2, v[6:7]
	v_lshl_add_u64 v[26:27], v[10:11], 2, v[4:5]
	;; [unrolled: 1-line block ×5, first 2 shown]
	s_wait_xcnt 0x0
	v_cmp_gt_u32_e64 s8, 24, v48
	v_cmp_gt_u32_e64 s6, 28, v48
	;; [unrolled: 1-line block ×3, first 2 shown]
	v_cmp_ne_u32_e64 s7, 31, v48
	s_add_nc_u64 s[58:59], s[34:35], s[58:59]
	s_and_not1_b32 vcc_lo, exec_lo, s65
	s_add_nc_u64 s[58:59], s[58:59], s[40:41]
	s_cbranch_vccnz .LBB211_67
; %bb.19:                               ;   in Loop: Header=BB211_3 Depth=1
	v_cndmask_b32_e64 v1, 0, 8, s8
	v_cndmask_b32_e64 v2, 0, 4, s6
	;; [unrolled: 1-line block ×3, first 2 shown]
	v_add_co_ci_u32_e64 v37, null, 0, v48, s7
	s_delay_alu instid0(VALU_DEP_4) | instskip(NEXT) | instid1(VALU_DEP_4)
	v_add_lshl_u32 v51, v1, v48, 2
	v_add_lshl_u32 v52, v2, v48, 2
	v_dual_mov_b32 v1, v0 :: v_dual_mov_b32 v2, v0
	s_delay_alu instid0(VALU_DEP_4) | instskip(SKIP_3) | instid1(VALU_DEP_4)
	v_dual_mov_b32 v3, v0 :: v_dual_lshlrev_b32 v54, 2, v37
	v_add_lshl_u32 v53, v36, v48, 2
	v_add_nc_u64_e32 v[36:37], v[4:5], v[20:21]
	v_mov_b64_e32 v[38:39], v[24:25]
	v_mov_b64_e32 v[4:5], v[2:3]
	;; [unrolled: 1-line block ×3, first 2 shown]
	s_mov_b32 s24, 0
	s_branch .LBB211_21
.LBB211_20:                             ;   in Loop: Header=BB211_21 Depth=2
	s_wait_xcnt 0x0
	s_or_b32 exec_lo, exec_lo, s6
	v_add_nc_u64_e32 v[38:39], s[50:51], v[38:39]
	s_add_co_i32 s24, s24, 4
	s_delay_alu instid0(SALU_CYCLE_1)
	s_cmp_ge_i32 s24, s63
	s_cbranch_scc1 .LBB211_68
.LBB211_21:                             ;   Parent Loop BB211_3 Depth=1
                                        ; =>  This Loop Header: Depth=2
                                        ;       Child Loop BB211_52 Depth 3
                                        ;       Child Loop BB211_55 Depth 3
                                        ; implicit-def: $vgpr41
                                        ; implicit-def: $vgpr43
	s_and_saveexec_b32 s6, s4
	s_delay_alu instid0(SALU_CYCLE_1)
	s_xor_b32 s6, exec_lo, s6
	s_cbranch_execnz .LBB211_48
; %bb.22:                               ;   in Loop: Header=BB211_21 Depth=2
	s_and_not1_saveexec_b32 s9, s6
	s_cbranch_execnz .LBB211_49
.LBB211_23:                             ;   in Loop: Header=BB211_21 Depth=2
	s_or_b32 exec_lo, exec_lo, s9
	s_and_saveexec_b32 s6, s1
.LBB211_24:                             ;   in Loop: Header=BB211_21 Depth=2
	ds_store_b32 v46, v0
.LBB211_25:                             ;   in Loop: Header=BB211_21 Depth=2
	s_or_b32 exec_lo, exec_lo, s6
	ds_bpermute_b32 v1, v49, v42
	s_wait_storecnt_dscnt 0x0
	s_barrier_signal -1
	s_barrier_wait -1
	v_add_f32_e32 v1, v42, v1
	ds_bpermute_b32 v42, v51, v1
	s_wait_dscnt 0x0
	v_add_f32_e32 v1, v1, v42
	ds_bpermute_b32 v42, v52, v1
	s_wait_dscnt 0x0
	;; [unrolled: 3-line block ×3, first 2 shown]
	v_add_f32_e32 v1, v1, v42
	ds_bpermute_b32 v42, v54, v1
	s_and_saveexec_b32 s6, s3
	s_cbranch_execz .LBB211_27
; %bb.26:                               ;   in Loop: Header=BB211_21 Depth=2
	s_wait_dscnt 0x0
	v_add_f32_e32 v1, v1, v42
	ds_store_b32 v47, v1
.LBB211_27:                             ;   in Loop: Header=BB211_21 Depth=2
	s_or_b32 exec_lo, exec_lo, s6
	v_mov_b32_e32 v1, 0
	s_wait_dscnt 0x0
	s_barrier_signal -1
	s_barrier_wait -1
	s_and_saveexec_b32 s6, s2
	s_cbranch_execnz .LBB211_56
; %bb.28:                               ;   in Loop: Header=BB211_21 Depth=2
	s_or_b32 exec_lo, exec_lo, s6
	s_and_saveexec_b32 s6, s1
	s_cbranch_execnz .LBB211_57
.LBB211_29:                             ;   in Loop: Header=BB211_21 Depth=2
	s_or_b32 exec_lo, exec_lo, s6
	s_and_saveexec_b32 s6, s1
.LBB211_30:                             ;   in Loop: Header=BB211_21 Depth=2
	ds_store_b32 v46, v0
.LBB211_31:                             ;   in Loop: Header=BB211_21 Depth=2
	s_or_b32 exec_lo, exec_lo, s6
	ds_bpermute_b32 v42, v49, v43
	s_wait_dscnt 0x0
	s_barrier_signal -1
	s_barrier_wait -1
	v_add_f32_e32 v42, v43, v42
	ds_bpermute_b32 v43, v51, v42
	s_wait_dscnt 0x0
	v_add_f32_e32 v42, v42, v43
	ds_bpermute_b32 v43, v52, v42
	s_wait_dscnt 0x0
	;; [unrolled: 3-line block ×3, first 2 shown]
	v_add_f32_e32 v42, v42, v43
	ds_bpermute_b32 v43, v54, v42
	s_and_saveexec_b32 s6, s3
	s_cbranch_execz .LBB211_33
; %bb.32:                               ;   in Loop: Header=BB211_21 Depth=2
	s_wait_dscnt 0x0
	v_add_f32_e32 v42, v42, v43
	ds_store_b32 v47, v42
.LBB211_33:                             ;   in Loop: Header=BB211_21 Depth=2
	s_or_b32 exec_lo, exec_lo, s6
	v_mov_b32_e32 v42, 0
	s_wait_dscnt 0x0
	s_barrier_signal -1
	s_barrier_wait -1
	s_and_saveexec_b32 s6, s2
	s_cbranch_execnz .LBB211_58
; %bb.34:                               ;   in Loop: Header=BB211_21 Depth=2
	s_or_b32 exec_lo, exec_lo, s6
	s_and_saveexec_b32 s6, s1
	s_cbranch_execnz .LBB211_59
.LBB211_35:                             ;   in Loop: Header=BB211_21 Depth=2
	s_or_b32 exec_lo, exec_lo, s6
	s_and_saveexec_b32 s6, s1
.LBB211_36:                             ;   in Loop: Header=BB211_21 Depth=2
	ds_store_b32 v46, v0
.LBB211_37:                             ;   in Loop: Header=BB211_21 Depth=2
	s_or_b32 exec_lo, exec_lo, s6
	ds_bpermute_b32 v43, v49, v40
	s_wait_dscnt 0x0
	s_barrier_signal -1
	s_barrier_wait -1
	v_add_f32_e32 v40, v40, v43
	ds_bpermute_b32 v43, v51, v40
	s_wait_dscnt 0x0
	v_add_f32_e32 v40, v40, v43
	ds_bpermute_b32 v43, v52, v40
	s_wait_dscnt 0x0
	;; [unrolled: 3-line block ×3, first 2 shown]
	v_add_f32_e32 v40, v40, v43
	ds_bpermute_b32 v43, v54, v40
	s_and_saveexec_b32 s6, s3
	s_cbranch_execz .LBB211_39
; %bb.38:                               ;   in Loop: Header=BB211_21 Depth=2
	s_wait_dscnt 0x0
	v_add_f32_e32 v40, v40, v43
	ds_store_b32 v47, v40
.LBB211_39:                             ;   in Loop: Header=BB211_21 Depth=2
	s_or_b32 exec_lo, exec_lo, s6
	v_mov_b32_e32 v40, 0
	s_wait_dscnt 0x0
	s_barrier_signal -1
	s_barrier_wait -1
	s_and_saveexec_b32 s6, s2
	s_cbranch_execnz .LBB211_60
; %bb.40:                               ;   in Loop: Header=BB211_21 Depth=2
	s_or_b32 exec_lo, exec_lo, s6
	s_and_saveexec_b32 s6, s1
	s_cbranch_execnz .LBB211_61
.LBB211_41:                             ;   in Loop: Header=BB211_21 Depth=2
	s_or_b32 exec_lo, exec_lo, s6
	s_and_saveexec_b32 s6, s1
.LBB211_42:                             ;   in Loop: Header=BB211_21 Depth=2
	ds_store_b32 v46, v0
.LBB211_43:                             ;   in Loop: Header=BB211_21 Depth=2
	s_or_b32 exec_lo, exec_lo, s6
	ds_bpermute_b32 v43, v49, v41
	s_wait_dscnt 0x0
	s_barrier_signal -1
	s_barrier_wait -1
	v_add_f32_e32 v41, v41, v43
	ds_bpermute_b32 v43, v51, v41
	s_wait_dscnt 0x0
	v_add_f32_e32 v41, v41, v43
	ds_bpermute_b32 v43, v52, v41
	s_wait_dscnt 0x0
	;; [unrolled: 3-line block ×3, first 2 shown]
	v_add_f32_e32 v41, v41, v43
	ds_bpermute_b32 v43, v54, v41
	s_and_saveexec_b32 s6, s3
	s_cbranch_execz .LBB211_45
; %bb.44:                               ;   in Loop: Header=BB211_21 Depth=2
	s_wait_dscnt 0x0
	v_add_f32_e32 v41, v41, v43
	ds_store_b32 v47, v41
.LBB211_45:                             ;   in Loop: Header=BB211_21 Depth=2
	s_or_b32 exec_lo, exec_lo, s6
	v_mov_b32_e32 v41, 0
	s_wait_dscnt 0x0
	s_barrier_signal -1
	s_barrier_wait -1
	s_and_saveexec_b32 s6, s2
	s_cbranch_execnz .LBB211_62
; %bb.46:                               ;   in Loop: Header=BB211_21 Depth=2
	s_or_b32 exec_lo, exec_lo, s6
	s_and_saveexec_b32 s6, s1
	s_cbranch_execnz .LBB211_63
.LBB211_47:                             ;   in Loop: Header=BB211_21 Depth=2
	s_or_b32 exec_lo, exec_lo, s6
	s_and_saveexec_b32 s6, s0
	s_cbranch_execz .LBB211_20
	s_branch .LBB211_64
.LBB211_48:                             ;   in Loop: Header=BB211_21 Depth=2
	s_or_b32 s60, s24, 3
	s_mov_b32 s61, s25
	s_mul_u64 s[8:9], s[24:25], s[26:27]
	s_or_b32 s70, s24, 2
	s_mul_u64 s[60:61], s[60:61], s[26:27]
	s_mov_b32 s71, s25
	v_lshl_add_u64 v[44:45], s[8:9], 2, v[24:25]
	s_or_b32 s8, s24, 1
	s_mov_b32 s9, s25
	s_wait_dscnt 0x0
	v_lshl_add_u64 v[40:41], s[60:61], 2, v[24:25]
	s_mul_u64 s[60:61], s[70:71], s[26:27]
	s_mul_u64 s[8:9], s[8:9], s[26:27]
	s_clause 0x2
	flat_load_b32 v2, v[26:27]
	flat_load_b32 v3, v[28:29]
	;; [unrolled: 1-line block ×3, first 2 shown]
	v_lshl_add_u64 v[60:61], s[60:61], 2, v[24:25]
	v_lshl_add_u64 v[64:65], s[8:9], 2, v[24:25]
	s_clause 0x3
	flat_load_b128 v[40:43], v[40:41]
	flat_load_b128 v[56:59], v[44:45]
	;; [unrolled: 1-line block ×4, first 2 shown]
	flat_load_b32 v4, v[30:31]
	s_wait_loadcnt_dscnt 0x505
	s_wait_xcnt 0x3
	v_dual_mov_b32 v44, v3 :: v_dual_mov_b32 v68, v5
	s_wait_loadcnt_dscnt 0x404
	v_pk_mul_f32 v[40:41], v[2:3], v[40:41]
	s_wait_loadcnt_dscnt 0x303
	v_dual_mov_b32 v70, v56 :: v_dual_mov_b32 v56, v58
	s_wait_loadcnt_dscnt 0x202
	s_wait_xcnt 0x2
	v_dual_mul_f32 v60, v2, v60 :: v_dual_mul_f32 v72, v3, v61
	s_wait_loadcnt_dscnt 0x101
	v_dual_mov_b32 v61, v40 :: v_dual_mov_b32 v71, v64
	s_wait_xcnt 0x1
	v_dual_mov_b32 v64, v57 :: v_dual_mov_b32 v73, v41
	s_wait_loadcnt_dscnt 0x0
	v_pk_mul_f32 v[42:43], v[4:5], v[42:43]
	v_pk_add_f32 v[40:41], v[60:61], 0 op_sel_hi:[1,0]
	v_pk_fma_f32 v[60:61], v[2:3], v[70:71], 0 op_sel_hi:[0,1,0]
	v_dual_mul_f32 v70, v4, v62 :: v_dual_mov_b32 v57, v66
	s_delay_alu instid0(VALU_DEP_4) | instskip(NEXT) | instid1(VALU_DEP_4)
	v_dual_mov_b32 v71, v42 :: v_dual_mov_b32 v66, v59
	v_pk_add_f32 v[40:41], v[40:41], v[72:73]
	s_delay_alu instid0(VALU_DEP_4) | instskip(SKIP_1) | instid1(VALU_DEP_3)
	v_pk_fma_f32 v[44:45], v[44:45], v[64:65], v[60:61] op_sel_hi:[0,1,1]
	v_mul_f32_e32 v42, v5, v63
	v_pk_add_f32 v[40:41], v[40:41], v[70:71]
	s_delay_alu instid0(VALU_DEP_3) | instskip(NEXT) | instid1(VALU_DEP_2)
	v_pk_fma_f32 v[44:45], v[4:5], v[56:57], v[44:45] op_sel_hi:[0,1,1]
	v_pk_add_f32 v[40:41], v[40:41], v[42:43]
	s_delay_alu instid0(VALU_DEP_2)
	v_pk_fma_f32 v[42:43], v[68:69], v[66:67], v[44:45] op_sel_hi:[0,1,1]
	s_wait_xcnt 0x0
	s_and_not1_saveexec_b32 s9, s6
	s_cbranch_execz .LBB211_23
.LBB211_49:                             ;   in Loop: Header=BB211_21 Depth=2
	s_wait_dscnt 0x0
	v_dual_mov_b32 v41, 0 :: v_dual_mov_b32 v40, 0
	v_dual_mov_b32 v43, 0 :: v_dual_mov_b32 v42, 0
	s_and_saveexec_b32 s11, s5
	s_cbranch_execz .LBB211_66
; %bb.50:                               ;   in Loop: Header=BB211_21 Depth=2
	s_and_not1_b32 vcc_lo, exec_lo, s66
	s_cbranch_vccnz .LBB211_53
; %bb.51:                               ;   in Loop: Header=BB211_21 Depth=2
	v_mov_b64_e32 v[40:41], v[36:37]
	s_mov_b64 s[60:61], 0
.LBB211_52:                             ;   Parent Loop BB211_3 Depth=1
                                        ;     Parent Loop BB211_21 Depth=2
                                        ; =>    This Inner Loop Header: Depth=3
	flat_load_b32 v1, v[40:41]
	s_cmp_eq_u32 s60, 3
	s_wait_xcnt 0x0
	v_add_nc_u64_e32 v[40:41], s[48:49], v[40:41]
	s_cselect_b32 vcc_lo, -1, 0
	s_cmp_eq_u32 s60, 2
	s_cselect_b32 s6, -1, 0
	s_cmp_eq_u32 s60, 1
	s_cselect_b32 s7, -1, 0
	s_cmp_eq_u32 s60, 0
	s_add_nc_u64 s[60:61], s[60:61], 1
	s_cselect_b32 s8, -1, 0
	s_cmp_eq_u32 s64, s60
	s_wait_loadcnt_dscnt 0x0
	v_dual_cndmask_b32 v5, v5, v1, vcc_lo :: v_dual_cndmask_b32 v4, v4, v1, s6
	v_dual_cndmask_b32 v3, v3, v1, s7 :: v_dual_cndmask_b32 v2, v2, v1, s8
	s_cbranch_scc0 .LBB211_52
.LBB211_53:                             ;   in Loop: Header=BB211_21 Depth=2
	s_and_not1_b32 vcc_lo, exec_lo, s66
	s_cbranch_vccnz .LBB211_65
; %bb.54:                               ;   in Loop: Header=BB211_21 Depth=2
	v_mov_b32_e32 v42, 0
	v_mov_b64_e32 v[44:45], v[38:39]
	s_mov_b64 s[6:7], 0
	s_delay_alu instid0(VALU_DEP_2)
	v_dual_mov_b32 v43, v42 :: v_dual_mov_b32 v40, v42
	v_mov_b32_e32 v41, v42
.LBB211_55:                             ;   Parent Loop BB211_3 Depth=1
                                        ;     Parent Loop BB211_21 Depth=2
                                        ; =>    This Inner Loop Header: Depth=3
	s_delay_alu instid0(VALU_DEP_3)
	v_add_nc_u64_e32 v[56:57], s[52:53], v[44:45]
	v_add_nc_u64_e32 v[58:59], s[38:39], v[44:45]
	s_wait_xcnt 0x0
	v_add_nc_u64_e32 v[60:61], s[56:57], v[44:45]
	s_cmp_eq_u32 s6, 1
	s_clause 0x3
	flat_load_b32 v62, v[44:45]
	flat_load_b32 v56, v[56:57]
	;; [unrolled: 1-line block ×4, first 2 shown]
	s_cselect_b32 vcc_lo, -1, 0
	s_cmp_eq_u32 s6, 2
	v_cndmask_b32_e32 v1, v2, v3, vcc_lo
	s_cselect_b32 vcc_lo, -1, 0
	s_cmp_eq_u32 s6, 3
	v_add_nc_u64_e32 v[44:45], 4, v[44:45]
	s_add_nc_u64 s[6:7], s[6:7], 1
	v_cndmask_b32_e32 v1, v1, v4, vcc_lo
	s_cselect_b32 vcc_lo, -1, 0
	s_cmp_lg_u32 s64, s6
	s_wait_xcnt 0x1
	s_delay_alu instid0(VALU_DEP_1) | instskip(SKIP_1) | instid1(VALU_DEP_1)
	v_cndmask_b32_e32 v58, v1, v5, vcc_lo
	s_wait_loadcnt_dscnt 0x101
	v_pk_fma_f32 v[40:41], v[58:59], v[56:57], v[40:41] op_sel_hi:[0,1,1]
	s_wait_loadcnt_dscnt 0x0
	v_pk_fma_f32 v[42:43], v[58:59], v[62:63], v[42:43] op_sel_hi:[0,1,1]
	s_cbranch_scc1 .LBB211_55
	s_branch .LBB211_66
.LBB211_56:                             ;   in Loop: Header=BB211_21 Depth=2
	ds_load_b32 v1, v46
	s_or_b32 exec_lo, exec_lo, s6
	s_and_saveexec_b32 s6, s1
	s_cbranch_execz .LBB211_29
.LBB211_57:                             ;   in Loop: Header=BB211_21 Depth=2
	s_wait_dscnt 0x0
	ds_bpermute_b32 v42, v52, v1
	s_wait_dscnt 0x0
	v_add_f32_e32 v1, v1, v42
	ds_bpermute_b32 v42, v53, v1
	s_wait_dscnt 0x0
	v_add_f32_e32 v1, v1, v42
	;; [unrolled: 3-line block ×3, first 2 shown]
	s_or_b32 exec_lo, exec_lo, s6
	s_and_saveexec_b32 s6, s1
	s_cbranch_execnz .LBB211_30
	s_branch .LBB211_31
.LBB211_58:                             ;   in Loop: Header=BB211_21 Depth=2
	ds_load_b32 v42, v46
	s_or_b32 exec_lo, exec_lo, s6
	s_and_saveexec_b32 s6, s1
	s_cbranch_execz .LBB211_35
.LBB211_59:                             ;   in Loop: Header=BB211_21 Depth=2
	s_wait_dscnt 0x0
	ds_bpermute_b32 v43, v52, v42
	s_wait_dscnt 0x0
	v_add_f32_e32 v42, v42, v43
	ds_bpermute_b32 v43, v53, v42
	s_wait_dscnt 0x0
	v_add_f32_e32 v42, v42, v43
	;; [unrolled: 3-line block ×3, first 2 shown]
	s_or_b32 exec_lo, exec_lo, s6
	s_and_saveexec_b32 s6, s1
	s_cbranch_execnz .LBB211_36
	s_branch .LBB211_37
.LBB211_60:                             ;   in Loop: Header=BB211_21 Depth=2
	ds_load_b32 v40, v46
	s_or_b32 exec_lo, exec_lo, s6
	s_and_saveexec_b32 s6, s1
	s_cbranch_execz .LBB211_41
.LBB211_61:                             ;   in Loop: Header=BB211_21 Depth=2
	s_wait_dscnt 0x0
	ds_bpermute_b32 v43, v52, v40
	s_wait_dscnt 0x0
	v_add_f32_e32 v40, v40, v43
	ds_bpermute_b32 v43, v53, v40
	s_wait_dscnt 0x0
	v_add_f32_e32 v40, v40, v43
	;; [unrolled: 3-line block ×3, first 2 shown]
	s_or_b32 exec_lo, exec_lo, s6
	s_and_saveexec_b32 s6, s1
	s_cbranch_execnz .LBB211_42
	s_branch .LBB211_43
.LBB211_62:                             ;   in Loop: Header=BB211_21 Depth=2
	ds_load_b32 v41, v46
	s_or_b32 exec_lo, exec_lo, s6
	s_and_saveexec_b32 s6, s1
	s_cbranch_execz .LBB211_47
.LBB211_63:                             ;   in Loop: Header=BB211_21 Depth=2
	s_wait_dscnt 0x0
	ds_bpermute_b32 v43, v52, v41
	s_wait_dscnt 0x0
	v_add_f32_e32 v41, v41, v43
	ds_bpermute_b32 v43, v53, v41
	s_wait_dscnt 0x0
	v_add_f32_e32 v41, v41, v43
	;; [unrolled: 3-line block ×3, first 2 shown]
	s_or_b32 exec_lo, exec_lo, s6
	s_and_saveexec_b32 s6, s0
	s_cbranch_execz .LBB211_20
.LBB211_64:                             ;   in Loop: Header=BB211_21 Depth=2
	s_or_b32 s60, s24, 1
	s_mov_b32 s61, s25
	s_mul_u64 s[8:9], s[24:25], s[30:31]
	v_dual_mul_f32 v1, v50, v1 :: v_dual_mul_f32 v42, v50, v42
	s_mul_u64 s[60:61], s[60:61], s[30:31]
	s_lshl_b64 s[8:9], s[8:9], 2
	s_lshl_b64 s[60:61], s[60:61], 2
	s_add_nc_u64 s[8:9], s[58:59], s[8:9]
	s_add_nc_u64 s[60:61], s[58:59], s[60:61]
	s_clause 0x1
	global_store_b32 v0, v1, s[8:9]
	global_store_b32 v0, v42, s[60:61]
	s_wait_xcnt 0x1
	s_or_b32 s8, s24, 2
	s_mov_b32 s9, s25
	s_wait_xcnt 0x0
	s_or_b32 s60, s24, 3
	s_mov_b32 s61, s25
	s_mul_u64 s[8:9], s[8:9], s[30:31]
	s_wait_dscnt 0x0
	v_dual_mul_f32 v1, v50, v40 :: v_dual_mul_f32 v40, v50, v41
	s_mul_u64 s[60:61], s[60:61], s[30:31]
	s_lshl_b64 s[8:9], s[8:9], 2
	s_lshl_b64 s[60:61], s[60:61], 2
	s_add_nc_u64 s[8:9], s[58:59], s[8:9]
	s_add_nc_u64 s[60:61], s[58:59], s[60:61]
	s_clause 0x1
	global_store_b32 v0, v1, s[8:9]
	global_store_b32 v0, v40, s[60:61]
	s_branch .LBB211_20
.LBB211_65:                             ;   in Loop: Header=BB211_21 Depth=2
	v_mov_b32_e32 v41, 0
	s_delay_alu instid0(VALU_DEP_1)
	v_dual_mov_b32 v40, v41 :: v_dual_mov_b32 v43, v41
	v_mov_b32_e32 v42, v41
.LBB211_66:                             ;   in Loop: Header=BB211_21 Depth=2
	s_wait_xcnt 0x0
	s_or_b32 exec_lo, exec_lo, s11
	s_delay_alu instid0(SALU_CYCLE_1)
	s_or_b32 exec_lo, exec_lo, s9
	s_and_saveexec_b32 s6, s1
	s_cbranch_execnz .LBB211_24
	s_branch .LBB211_25
.LBB211_67:                             ;   in Loop: Header=BB211_3 Depth=1
	v_dual_mov_b32 v1, v0 :: v_dual_mov_b32 v2, v0
	v_mov_b32_e32 v3, v0
	s_mov_b32 s24, 0
	s_delay_alu instid0(VALU_DEP_1) | instskip(NEXT) | instid1(VALU_DEP_3)
	v_mov_b64_e32 v[4:5], v[2:3]
	v_mov_b64_e32 v[2:3], v[0:1]
.LBB211_68:                             ;   in Loop: Header=BB211_3 Depth=1
	s_cmp_ge_i32 s24, s29
	s_cbranch_scc1 .LBB211_2
; %bb.69:                               ;   in Loop: Header=BB211_3 Depth=1
	v_cmp_gt_u32_e32 vcc_lo, 24, v48
	v_add_nc_u64_e32 v[6:7], v[6:7], v[18:19]
	v_cndmask_b32_e64 v1, 0, 8, vcc_lo
	v_cmp_gt_u32_e32 vcc_lo, 28, v48
	s_delay_alu instid0(VALU_DEP_3) | instskip(NEXT) | instid1(VALU_DEP_3)
	v_mad_nc_u64_u32 v[36:37], s56, s24, v[6:7]
	v_add_lshl_u32 v1, v1, v48, 2
	v_cndmask_b32_e64 v6, 0, 4, vcc_lo
	v_cmp_gt_u32_e32 vcc_lo, 30, v48
	s_delay_alu instid0(VALU_DEP_2) | instskip(SKIP_3) | instid1(VALU_DEP_3)
	v_add_lshl_u32 v7, v6, v48, 2
	v_cndmask_b32_e64 v38, 0, 2, vcc_lo
	v_cmp_ne_u32_e32 vcc_lo, 31, v48
	v_mad_u32 v37, s57, s24, v37
	v_add_lshl_u32 v40, v38, v48, 2
	v_add_co_ci_u32_e64 v39, null, 0, v48, vcc_lo
	s_wait_dscnt 0x0
	s_delay_alu instid0(VALU_DEP_1)
	v_lshlrev_b32_e32 v41, 2, v39
	s_branch .LBB211_71
.LBB211_70:                             ;   in Loop: Header=BB211_71 Depth=2
	s_wait_xcnt 0x0
	s_or_b32 exec_lo, exec_lo, s6
	v_add_nc_u64_e32 v[36:37], s[56:57], v[36:37]
	s_add_co_i32 s24, s24, 1
	s_delay_alu instid0(SALU_CYCLE_1)
	s_cmp_ge_i32 s24, s29
	s_cbranch_scc1 .LBB211_2
.LBB211_71:                             ;   Parent Loop BB211_3 Depth=1
                                        ; =>  This Loop Header: Depth=2
                                        ;       Child Loop BB211_84 Depth 3
                                        ;       Child Loop BB211_87 Depth 3
	s_wait_dscnt 0x0
	v_mov_b32_e32 v6, s25
	s_and_saveexec_b32 s6, s4
	s_delay_alu instid0(SALU_CYCLE_1)
	s_xor_b32 s6, exec_lo, s6
	s_cbranch_execnz .LBB211_80
; %bb.72:                               ;   in Loop: Header=BB211_71 Depth=2
	s_and_not1_saveexec_b32 s9, s6
	s_cbranch_execnz .LBB211_81
.LBB211_73:                             ;   in Loop: Header=BB211_71 Depth=2
	s_or_b32 exec_lo, exec_lo, s9
	s_and_saveexec_b32 s6, s1
.LBB211_74:                             ;   in Loop: Header=BB211_71 Depth=2
	ds_store_b32 v46, v0
.LBB211_75:                             ;   in Loop: Header=BB211_71 Depth=2
	s_or_b32 exec_lo, exec_lo, s6
	ds_bpermute_b32 v38, v49, v6
	s_wait_storecnt_dscnt 0x0
	s_barrier_signal -1
	s_barrier_wait -1
	v_add_f32_e32 v6, v6, v38
	ds_bpermute_b32 v38, v1, v6
	s_wait_dscnt 0x0
	v_add_f32_e32 v6, v6, v38
	ds_bpermute_b32 v38, v7, v6
	s_wait_dscnt 0x0
	;; [unrolled: 3-line block ×3, first 2 shown]
	v_add_f32_e32 v6, v6, v38
	ds_bpermute_b32 v38, v41, v6
	s_and_saveexec_b32 s6, s3
	s_cbranch_execz .LBB211_77
; %bb.76:                               ;   in Loop: Header=BB211_71 Depth=2
	s_wait_dscnt 0x0
	v_add_f32_e32 v6, v6, v38
	ds_store_b32 v47, v6
.LBB211_77:                             ;   in Loop: Header=BB211_71 Depth=2
	s_or_b32 exec_lo, exec_lo, s6
	v_mov_b32_e32 v6, 0
	s_wait_dscnt 0x0
	s_barrier_signal -1
	s_barrier_wait -1
	s_and_saveexec_b32 s6, s2
	s_cbranch_execnz .LBB211_89
; %bb.78:                               ;   in Loop: Header=BB211_71 Depth=2
	s_or_b32 exec_lo, exec_lo, s6
	s_and_saveexec_b32 s6, s1
	s_cbranch_execnz .LBB211_90
.LBB211_79:                             ;   in Loop: Header=BB211_71 Depth=2
	s_or_b32 exec_lo, exec_lo, s6
	s_and_saveexec_b32 s6, s0
	s_cbranch_execz .LBB211_70
	s_branch .LBB211_91
.LBB211_80:                             ;   in Loop: Header=BB211_71 Depth=2
	s_mul_u64 s[8:9], s[24:25], s[26:27]
	s_delay_alu instid0(SALU_CYCLE_1)
	v_lshl_add_u64 v[2:3], s[8:9], 2, v[24:25]
	flat_load_b128 v[42:45], v[2:3]
	s_clause 0x3
	flat_load_b32 v2, v[26:27]
	flat_load_b32 v3, v[28:29]
	;; [unrolled: 1-line block ×4, first 2 shown]
	s_wait_loadcnt_dscnt 0x202
	v_pk_mul_f32 v[38:39], v[2:3], v[42:43]
	s_delay_alu instid0(VALU_DEP_1) | instskip(NEXT) | instid1(VALU_DEP_1)
	v_add_f32_e32 v6, 0, v38
	v_add_f32_e32 v6, v6, v39
	s_wait_loadcnt_dscnt 0x0
	v_pk_mul_f32 v[38:39], v[4:5], v[44:45]
	s_delay_alu instid0(VALU_DEP_1) | instskip(NEXT) | instid1(VALU_DEP_1)
	v_add_f32_e32 v6, v6, v38
	v_add_f32_e32 v6, v6, v39
	s_wait_xcnt 0x0
	s_and_not1_saveexec_b32 s9, s6
	s_cbranch_execz .LBB211_73
.LBB211_81:                             ;   in Loop: Header=BB211_71 Depth=2
	s_and_saveexec_b32 s11, s5
	s_cbranch_execz .LBB211_88
; %bb.82:                               ;   in Loop: Header=BB211_71 Depth=2
	s_and_not1_b32 vcc_lo, exec_lo, s66
	s_cbranch_vccnz .LBB211_85
; %bb.83:                               ;   in Loop: Header=BB211_71 Depth=2
	v_mov_b64_e32 v[38:39], v[34:35]
	s_mov_b64 s[60:61], 0
.LBB211_84:                             ;   Parent Loop BB211_3 Depth=1
                                        ;     Parent Loop BB211_71 Depth=2
                                        ; =>    This Inner Loop Header: Depth=3
	flat_load_b32 v42, v[38:39]
	s_cmp_eq_u32 s60, 3
	s_wait_xcnt 0x0
	v_add_nc_u64_e32 v[38:39], s[48:49], v[38:39]
	s_cselect_b32 vcc_lo, -1, 0
	s_cmp_eq_u32 s60, 2
	s_cselect_b32 s6, -1, 0
	s_cmp_eq_u32 s60, 1
	s_cselect_b32 s7, -1, 0
	s_cmp_eq_u32 s60, 0
	s_add_nc_u64 s[60:61], s[60:61], 1
	s_cselect_b32 s8, -1, 0
	s_cmp_eq_u32 s64, s60
	s_wait_loadcnt_dscnt 0x0
	v_dual_cndmask_b32 v5, v5, v42, vcc_lo :: v_dual_cndmask_b32 v4, v4, v42, s6
	v_dual_cndmask_b32 v3, v3, v42, s7 :: v_dual_cndmask_b32 v2, v2, v42, s8
	s_cbranch_scc0 .LBB211_84
.LBB211_85:                             ;   in Loop: Header=BB211_71 Depth=2
	s_and_not1_b32 vcc_lo, exec_lo, s66
	s_cbranch_vccnz .LBB211_88
; %bb.86:                               ;   in Loop: Header=BB211_71 Depth=2
	v_mov_b64_e32 v[38:39], v[36:37]
	s_mov_b64 s[6:7], 0
.LBB211_87:                             ;   Parent Loop BB211_3 Depth=1
                                        ;     Parent Loop BB211_71 Depth=2
                                        ; =>    This Inner Loop Header: Depth=3
	flat_load_b32 v42, v[38:39]
	s_cmp_eq_u32 s6, 1
	s_wait_xcnt 0x0
	v_add_nc_u64_e32 v[38:39], 4, v[38:39]
	s_cselect_b32 vcc_lo, -1, 0
	s_cmp_eq_u32 s6, 2
	v_cndmask_b32_e32 v43, v2, v3, vcc_lo
	s_cselect_b32 vcc_lo, -1, 0
	s_cmp_eq_u32 s6, 3
	s_add_nc_u64 s[6:7], s[6:7], 1
	s_delay_alu instid0(VALU_DEP_1) | instskip(SKIP_2) | instid1(VALU_DEP_1)
	v_cndmask_b32_e32 v43, v43, v4, vcc_lo
	s_cselect_b32 vcc_lo, -1, 0
	s_cmp_lg_u32 s64, s6
	v_cndmask_b32_e32 v43, v43, v5, vcc_lo
	s_wait_loadcnt_dscnt 0x0
	s_delay_alu instid0(VALU_DEP_1)
	v_fmac_f32_e32 v6, v43, v42
	s_cbranch_scc1 .LBB211_87
.LBB211_88:                             ;   in Loop: Header=BB211_71 Depth=2
	s_or_b32 exec_lo, exec_lo, s11
	s_delay_alu instid0(SALU_CYCLE_1)
	s_or_b32 exec_lo, exec_lo, s9
	s_and_saveexec_b32 s6, s1
	s_cbranch_execnz .LBB211_74
	s_branch .LBB211_75
.LBB211_89:                             ;   in Loop: Header=BB211_71 Depth=2
	ds_load_b32 v6, v46
	s_or_b32 exec_lo, exec_lo, s6
	s_and_saveexec_b32 s6, s1
	s_cbranch_execz .LBB211_79
.LBB211_90:                             ;   in Loop: Header=BB211_71 Depth=2
	s_wait_dscnt 0x0
	ds_bpermute_b32 v38, v7, v6
	s_wait_dscnt 0x0
	v_add_f32_e32 v6, v6, v38
	ds_bpermute_b32 v38, v40, v6
	s_wait_dscnt 0x0
	v_add_f32_e32 v6, v6, v38
	ds_bpermute_b32 v38, v41, v6
	s_wait_dscnt 0x0
	v_add_f32_e32 v6, v6, v38
	s_or_b32 exec_lo, exec_lo, s6
	s_and_saveexec_b32 s6, s0
	s_cbranch_execz .LBB211_70
.LBB211_91:                             ;   in Loop: Header=BB211_71 Depth=2
	s_mul_u64 s[8:9], s[24:25], s[30:31]
	s_wait_dscnt 0x0
	v_mul_f32_e32 v6, v50, v6
	s_lshl_b64 s[8:9], s[8:9], 2
	s_delay_alu instid0(SALU_CYCLE_1)
	s_add_nc_u64 s[8:9], s[58:59], s[8:9]
	global_store_b32 v0, v6, s[8:9]
	s_branch .LBB211_70
.LBB211_92:
	s_sendmsg sendmsg(MSG_DEALLOC_VGPRS)
	s_endpgm
	.section	.rodata,"a",@progbits
	.p2align	6, 0x0
	.amdhsa_kernel _ZL23rocblas_gemvt_sn_kernelILb0ELi256ELi4ElPKfS1_fEviiT4_lPKT3_lilS5_lilPT5_i
		.amdhsa_group_segment_fixed_size 128
		.amdhsa_private_segment_fixed_size 0
		.amdhsa_kernarg_size 360
		.amdhsa_user_sgpr_count 2
		.amdhsa_user_sgpr_dispatch_ptr 0
		.amdhsa_user_sgpr_queue_ptr 0
		.amdhsa_user_sgpr_kernarg_segment_ptr 1
		.amdhsa_user_sgpr_dispatch_id 0
		.amdhsa_user_sgpr_kernarg_preload_length 0
		.amdhsa_user_sgpr_kernarg_preload_offset 0
		.amdhsa_user_sgpr_private_segment_size 0
		.amdhsa_wavefront_size32 1
		.amdhsa_uses_dynamic_stack 0
		.amdhsa_enable_private_segment 0
		.amdhsa_system_sgpr_workgroup_id_x 1
		.amdhsa_system_sgpr_workgroup_id_y 0
		.amdhsa_system_sgpr_workgroup_id_z 1
		.amdhsa_system_sgpr_workgroup_info 0
		.amdhsa_system_vgpr_workitem_id 0
		.amdhsa_next_free_vgpr 74
		.amdhsa_next_free_sgpr 72
		.amdhsa_named_barrier_count 0
		.amdhsa_reserve_vcc 1
		.amdhsa_float_round_mode_32 0
		.amdhsa_float_round_mode_16_64 0
		.amdhsa_float_denorm_mode_32 3
		.amdhsa_float_denorm_mode_16_64 3
		.amdhsa_fp16_overflow 0
		.amdhsa_memory_ordered 1
		.amdhsa_forward_progress 1
		.amdhsa_inst_pref_size 32
		.amdhsa_round_robin_scheduling 0
		.amdhsa_exception_fp_ieee_invalid_op 0
		.amdhsa_exception_fp_denorm_src 0
		.amdhsa_exception_fp_ieee_div_zero 0
		.amdhsa_exception_fp_ieee_overflow 0
		.amdhsa_exception_fp_ieee_underflow 0
		.amdhsa_exception_fp_ieee_inexact 0
		.amdhsa_exception_int_div_zero 0
	.end_amdhsa_kernel
	.section	.text._ZL23rocblas_gemvt_sn_kernelILb0ELi256ELi4ElPKfS1_fEviiT4_lPKT3_lilS5_lilPT5_i,"axG",@progbits,_ZL23rocblas_gemvt_sn_kernelILb0ELi256ELi4ElPKfS1_fEviiT4_lPKT3_lilS5_lilPT5_i,comdat
.Lfunc_end211:
	.size	_ZL23rocblas_gemvt_sn_kernelILb0ELi256ELi4ElPKfS1_fEviiT4_lPKT3_lilS5_lilPT5_i, .Lfunc_end211-_ZL23rocblas_gemvt_sn_kernelILb0ELi256ELi4ElPKfS1_fEviiT4_lPKT3_lilS5_lilPT5_i
                                        ; -- End function
	.set _ZL23rocblas_gemvt_sn_kernelILb0ELi256ELi4ElPKfS1_fEviiT4_lPKT3_lilS5_lilPT5_i.num_vgpr, 74
	.set _ZL23rocblas_gemvt_sn_kernelILb0ELi256ELi4ElPKfS1_fEviiT4_lPKT3_lilS5_lilPT5_i.num_agpr, 0
	.set _ZL23rocblas_gemvt_sn_kernelILb0ELi256ELi4ElPKfS1_fEviiT4_lPKT3_lilS5_lilPT5_i.numbered_sgpr, 72
	.set _ZL23rocblas_gemvt_sn_kernelILb0ELi256ELi4ElPKfS1_fEviiT4_lPKT3_lilS5_lilPT5_i.num_named_barrier, 0
	.set _ZL23rocblas_gemvt_sn_kernelILb0ELi256ELi4ElPKfS1_fEviiT4_lPKT3_lilS5_lilPT5_i.private_seg_size, 0
	.set _ZL23rocblas_gemvt_sn_kernelILb0ELi256ELi4ElPKfS1_fEviiT4_lPKT3_lilS5_lilPT5_i.uses_vcc, 1
	.set _ZL23rocblas_gemvt_sn_kernelILb0ELi256ELi4ElPKfS1_fEviiT4_lPKT3_lilS5_lilPT5_i.uses_flat_scratch, 1
	.set _ZL23rocblas_gemvt_sn_kernelILb0ELi256ELi4ElPKfS1_fEviiT4_lPKT3_lilS5_lilPT5_i.has_dyn_sized_stack, 0
	.set _ZL23rocblas_gemvt_sn_kernelILb0ELi256ELi4ElPKfS1_fEviiT4_lPKT3_lilS5_lilPT5_i.has_recursion, 0
	.set _ZL23rocblas_gemvt_sn_kernelILb0ELi256ELi4ElPKfS1_fEviiT4_lPKT3_lilS5_lilPT5_i.has_indirect_call, 0
	.section	.AMDGPU.csdata,"",@progbits
; Kernel info:
; codeLenInByte = 4016
; TotalNumSgprs: 74
; NumVgprs: 74
; ScratchSize: 0
; MemoryBound: 0
; FloatMode: 240
; IeeeMode: 1
; LDSByteSize: 128 bytes/workgroup (compile time only)
; SGPRBlocks: 0
; VGPRBlocks: 4
; NumSGPRsForWavesPerEU: 74
; NumVGPRsForWavesPerEU: 74
; NamedBarCnt: 0
; Occupancy: 12
; WaveLimiterHint : 0
; COMPUTE_PGM_RSRC2:SCRATCH_EN: 0
; COMPUTE_PGM_RSRC2:USER_SGPR: 2
; COMPUTE_PGM_RSRC2:TRAP_HANDLER: 0
; COMPUTE_PGM_RSRC2:TGID_X_EN: 1
; COMPUTE_PGM_RSRC2:TGID_Y_EN: 0
; COMPUTE_PGM_RSRC2:TGID_Z_EN: 1
; COMPUTE_PGM_RSRC2:TIDIG_COMP_CNT: 0
	.section	.text._ZL23rocblas_gemvt_sn_kernelILb0ELi256ELi4EiPKfffEviiT4_lPKT3_lilS5_lilPT5_i,"axG",@progbits,_ZL23rocblas_gemvt_sn_kernelILb0ELi256ELi4EiPKfffEviiT4_lPKT3_lilS5_lilPT5_i,comdat
	.globl	_ZL23rocblas_gemvt_sn_kernelILb0ELi256ELi4EiPKfffEviiT4_lPKT3_lilS5_lilPT5_i ; -- Begin function _ZL23rocblas_gemvt_sn_kernelILb0ELi256ELi4EiPKfffEviiT4_lPKT3_lilS5_lilPT5_i
	.p2align	8
	.type	_ZL23rocblas_gemvt_sn_kernelILb0ELi256ELi4EiPKfffEviiT4_lPKT3_lilS5_lilPT5_i,@function
_ZL23rocblas_gemvt_sn_kernelILb0ELi256ELi4EiPKfffEviiT4_lPKT3_lilS5_lilPT5_i: ; @_ZL23rocblas_gemvt_sn_kernelILb0ELi256ELi4EiPKfffEviiT4_lPKT3_lilS5_lilPT5_i
; %bb.0:
	s_load_b32 s23, s[0:1], 0x60
	s_bfe_u32 s2, ttmp6, 0x40014
	s_lshr_b32 s3, ttmp7, 16
	s_add_co_i32 s2, s2, 1
	s_bfe_u32 s5, ttmp6, 0x40008
	s_mul_i32 s2, s3, s2
	s_getreg_b32 s4, hwreg(HW_REG_IB_STS2, 6, 4)
	s_add_co_i32 s5, s5, s2
	s_cmp_eq_u32 s4, 0
	s_mov_b32 s25, 0
	s_cselect_b32 s10, s3, s5
	s_wait_kmcnt 0x0
	s_cmp_ge_u32 s10, s23
	s_cbranch_scc1 .LBB212_94
; %bb.1:
	s_clause 0x6
	s_load_b96 s[20:22], s[0:1], 0x0
	s_load_b128 s[12:15], s[0:1], 0x18
	s_load_b32 s26, s[0:1], 0x28
	s_load_b128 s[16:19], s[0:1], 0x38
	s_load_b32 s33, s[0:1], 0x48
	s_load_b64 s[28:29], s[0:1], 0x58
	s_load_b32 s30, s[0:1], 0x68
	s_wait_xcnt 0x0
	v_cmp_eq_u32_e64 s0, 0, v0
	v_dual_lshrrev_b32 v2, 3, v0 :: v_dual_bitop2_b32 v1, 31, v0 bitop3:0x40
	v_cmp_gt_u32_e64 s1, 32, v0
	v_cmp_gt_u32_e64 s2, 8, v0
	v_mbcnt_lo_u32_b32 v40, -1, 0
	s_delay_alu instid0(VALU_DEP_4)
	v_cmp_eq_u32_e64 s3, 0, v1
	v_dual_lshlrev_b32 v38, 2, v1 :: v_dual_bitop2_b32 v39, 28, v2 bitop3:0x40
	v_mov_b64_e32 v[18:19], 0
	s_mov_b32 s35, s25
	v_lshl_or_b32 v41, v40, 2, 64
	s_mov_b32 s31, s25
	s_wait_kmcnt 0x0
	s_cmp_neq_f32 s22, 0
	s_mov_b32 s6, s21
	s_mov_b32 s27, s25
	;; [unrolled: 1-line block ×3, first 2 shown]
	s_cselect_b32 s64, -1, 0
	s_cmp_eq_f32 s22, 0
	s_cselect_b32 s65, -1, 0
	s_ashr_i32 s7, s21, 31
	s_cmp_gt_i32 s21, 0
	s_mul_u64 s[36:37], s[6:7], s[30:31]
	s_cselect_b32 s5, -1, 0
	s_bfe_u32 s8, ttmp6, 0x4000c
	s_and_b32 s9, ttmp6, 15
	s_add_co_i32 s8, s8, 1
	s_and_b32 s66, s0, s5
	s_mul_i32 s8, ttmp9, s8
	s_delay_alu instid0(SALU_CYCLE_1)
	s_add_co_i32 s9, s9, s8
	s_cmp_eq_u32 s4, 0
	s_cselect_b32 s34, ttmp9, s9
	s_ashr_i32 s5, s20, 31
	s_lshl_b32 s8, s34, 10
	s_lshr_b32 s5, s5, 30
	v_lshl_or_b32 v8, v0, 2, s8
	s_add_co_i32 s5, s20, s5
	s_lshr_b32 s4, s7, 30
	s_and_b32 s5, s5, -4
	s_add_co_i32 s4, s21, s4
	v_mul_lo_u32 v10, s33, v8
	s_sub_co_i32 s68, s20, s5
	s_and_b32 s67, s4, -4
	v_add_nc_u32_e32 v1, s68, v8
	s_cmp_gt_i32 s67, 0
	v_dual_ashrrev_i32 v9, 31, v8 :: v_dual_add_nc_u32 v0, 4, v8
	s_cselect_b32 s69, -1, 0
	s_cmp_gt_i32 s68, 0
	s_cselect_b32 s70, -1, 0
	s_delay_alu instid0(VALU_DEP_3)
	v_add_nc_u32_e32 v12, s33, v10
	s_cmp_gt_u32 s21, 1
	v_ashrrev_i32_e32 v11, 31, v10
	s_cselect_b32 s8, -1, 0
	s_cmp_eq_u32 s30, 1
	v_add_nc_u32_e32 v14, s33, v12
	s_cselect_b32 s9, -1, 0
	v_cmp_ge_i32_e64 s4, s20, v0
	v_cmp_ge_i32_e64 s5, s20, v1
	s_and_b32 s20, s21, 0x7ffffffe
	v_dual_add_nc_u32 v16, s33, v14 :: v_dual_ashrrev_i32 v13, 31, v12
	s_and_b32 s71, s8, s9
	s_cmp_lg_u32 s21, s20
	s_delay_alu instid0(VALU_DEP_1)
	v_dual_ashrrev_i32 v15, 31, v14 :: v_dual_ashrrev_i32 v17, 31, v16
	s_cselect_b32 s72, -1, 0
	s_lshl_b32 s24, s26, 1
	v_mov_b32_e32 v0, 0
	s_lshl_b64 s[38:39], s[34:35], 2
	s_mov_b64 s[48:49], s[24:25]
	s_mul_i32 s24, s26, 3
	s_lshl_b64 s[40:41], s[6:7], 2
	s_lshl_b64 s[42:43], s[30:31], 2
	s_lshl_b32 s44, s26, 2
	s_add_nc_u64 s[46:47], s[28:29], s[38:39]
	s_mov_b64 s[50:51], s[24:25]
	s_lshl_b64 s[14:15], s[14:15], 2
	s_lshl_b64 s[18:19], s[18:19], 2
	s_branch .LBB212_3
.LBB212_2:                              ;   in Loop: Header=BB212_3 Depth=1
	s_add_co_i32 s10, s10, 0x10000
	s_delay_alu instid0(SALU_CYCLE_1)
	s_cmp_lt_u32 s10, s23
	s_cbranch_scc0 .LBB212_94
.LBB212_3:                              ; =>This Loop Header: Depth=1
                                        ;     Child Loop BB212_11 Depth 2
                                        ;     Child Loop BB212_17 Depth 2
	;; [unrolled: 1-line block ×3, first 2 shown]
                                        ;       Child Loop BB212_54 Depth 3
                                        ;       Child Loop BB212_57 Depth 3
                                        ;     Child Loop BB212_73 Depth 2
                                        ;       Child Loop BB212_86 Depth 3
                                        ;       Child Loop BB212_89 Depth 3
	s_mov_b32 s11, s25
	s_and_not1_b32 vcc_lo, exec_lo, s65
	s_mov_b32 s6, -1
	s_cbranch_vccz .LBB212_13
; %bb.4:                                ;   in Loop: Header=BB212_3 Depth=1
	v_mov_b64_e32 v[20:21], 0
	v_mov_b64_e32 v[2:3], 0
	s_and_not1_b32 vcc_lo, exec_lo, s6
	s_cbranch_vccz .LBB212_14
.LBB212_5:                              ;   in Loop: Header=BB212_3 Depth=1
	s_and_not1_b32 vcc_lo, exec_lo, s64
	s_cbranch_vccnz .LBB212_7
.LBB212_6:                              ;   in Loop: Header=BB212_3 Depth=1
	s_wait_xcnt 0x0
	s_lshl_b64 s[6:7], s[10:11], 3
	s_delay_alu instid0(SALU_CYCLE_1)
	s_add_nc_u64 s[6:7], s[16:17], s[6:7]
	global_load_b64 v[4:5], v0, s[6:7]
	s_wait_loadcnt 0x0
	v_add_nc_u64_e32 v[20:21], s[18:19], v[4:5]
.LBB212_7:                              ;   in Loop: Header=BB212_3 Depth=1
	s_wait_xcnt 0x0
	s_mul_u64 s[6:7], s[36:37], s[10:11]
	s_and_not1_b32 vcc_lo, exec_lo, s65
	s_lshl_b64 s[6:7], s[6:7], 2
	s_delay_alu instid0(SALU_CYCLE_1)
	s_add_nc_u64 s[52:53], s[28:29], s[6:7]
	s_mov_b32 s6, -1
	s_cbranch_vccnz .LBB212_19
; %bb.8:                                ;   in Loop: Header=BB212_3 Depth=1
	s_and_saveexec_b32 s8, s66
	s_cbranch_execz .LBB212_18
; %bb.9:                                ;   in Loop: Header=BB212_3 Depth=1
	s_and_not1_b32 vcc_lo, exec_lo, s71
	s_cbranch_vccnz .LBB212_15
; %bb.10:                               ;   in Loop: Header=BB212_3 Depth=1
	s_add_nc_u64 s[6:7], s[52:53], s[38:39]
	s_mov_b32 s9, s20
.LBB212_11:                             ;   Parent Loop BB212_3 Depth=1
                                        ; =>  This Inner Loop Header: Depth=2
	s_delay_alu instid0(SALU_CYCLE_1)
	s_add_co_i32 s9, s9, -2
	global_store_b64 v0, v[18:19], s[6:7]
	s_wait_xcnt 0x0
	s_add_nc_u64 s[6:7], s[6:7], 8
	s_mov_b32 s24, s20
	s_cmp_lg_u32 s9, 0
	s_mov_b32 s35, s72
	s_cbranch_scc1 .LBB212_11
; %bb.12:                               ;   in Loop: Header=BB212_3 Depth=1
	s_and_b32 vcc_lo, exec_lo, s35
	s_cbranch_vccnz .LBB212_16
	s_branch .LBB212_18
.LBB212_13:                             ;   in Loop: Header=BB212_3 Depth=1
	v_mov_b64_e32 v[20:21], 0
	v_mov_b64_e32 v[2:3], 0
	s_cbranch_execnz .LBB212_5
.LBB212_14:                             ;   in Loop: Header=BB212_3 Depth=1
	s_lshl_b64 s[6:7], s[10:11], 3
	s_delay_alu instid0(SALU_CYCLE_1)
	s_add_nc_u64 s[6:7], s[12:13], s[6:7]
	global_load_b64 v[2:3], v0, s[6:7]
	s_wait_loadcnt 0x0
	v_add_nc_u64_e32 v[2:3], s[14:15], v[2:3]
	s_and_not1_b32 vcc_lo, exec_lo, s64
	s_cbranch_vccz .LBB212_6
	s_branch .LBB212_7
.LBB212_15:                             ;   in Loop: Header=BB212_3 Depth=1
	s_mov_b32 s24, 0
	s_cbranch_execz .LBB212_18
.LBB212_16:                             ;   in Loop: Header=BB212_3 Depth=1
	s_mul_u64 s[6:7], s[40:41], s[10:11]
	s_lshl_b64 s[54:55], s[24:25], 2
	s_sub_co_i32 s9, s21, s24
	s_add_nc_u64 s[6:7], s[6:7], s[54:55]
	s_delay_alu instid0(SALU_CYCLE_1) | instskip(NEXT) | instid1(SALU_CYCLE_1)
	s_mul_u64 s[6:7], s[30:31], s[6:7]
	s_add_nc_u64 s[6:7], s[46:47], s[6:7]
.LBB212_17:                             ;   Parent Loop BB212_3 Depth=1
                                        ; =>  This Inner Loop Header: Depth=2
	s_add_co_i32 s9, s9, -1
	global_store_b32 v0, v0, s[6:7]
	s_cmp_eq_u32 s9, 0
	s_wait_xcnt 0x0
	s_add_nc_u64 s[6:7], s[6:7], s[42:43]
	s_cbranch_scc0 .LBB212_17
.LBB212_18:                             ;   in Loop: Header=BB212_3 Depth=1
	s_or_b32 exec_lo, exec_lo, s8
	s_mov_b32 s6, 0
.LBB212_19:                             ;   in Loop: Header=BB212_3 Depth=1
	s_delay_alu instid0(SALU_CYCLE_1)
	s_and_not1_b32 vcc_lo, exec_lo, s6
	s_cbranch_vccnz .LBB212_2
; %bb.20:                               ;   in Loop: Header=BB212_3 Depth=1
	v_lshlrev_b64_e32 v[4:5], 2, v[8:9]
	v_lshl_add_u64 v[22:23], v[8:9], 2, v[2:3]
	v_lshl_add_u64 v[24:25], v[10:11], 2, v[20:21]
	;; [unrolled: 1-line block ×5, first 2 shown]
	v_cmp_gt_u32_e64 s9, 24, v40
	v_add_nc_u64_e32 v[32:33], v[2:3], v[4:5]
	v_cmp_gt_u32_e64 s8, 28, v40
	v_cmp_gt_u32_e64 s7, 30, v40
	v_cmp_ne_u32_e64 s6, 31, v40
	s_and_not1_b32 vcc_lo, exec_lo, s69
	s_cbranch_vccnz .LBB212_69
; %bb.21:                               ;   in Loop: Header=BB212_3 Depth=1
	v_cndmask_b32_e64 v1, 0, 8, s9
	v_cndmask_b32_e64 v4, 0, 4, s8
	;; [unrolled: 1-line block ×3, first 2 shown]
	s_wait_dscnt 0x0
	v_add_co_ci_u32_e64 v6, null, 0, v40, s6
	v_add_lshl_u32 v42, v1, v40, 2
	v_dual_mov_b32 v1, v0 :: v_dual_mov_b32 v2, v0
	s_delay_alu instid0(VALU_DEP_3) | instskip(SKIP_3) | instid1(VALU_DEP_3)
	v_dual_mov_b32 v3, v0 :: v_dual_lshlrev_b32 v45, 2, v6
	v_add_lshl_u32 v43, v4, v40, 2
	v_add_lshl_u32 v44, v5, v40, 2
	s_mov_b32 s54, 0
	v_mov_b64_e32 v[4:5], v[2:3]
	v_mov_b64_e32 v[2:3], v[0:1]
	s_mov_b64 s[56:57], s[50:51]
	s_mov_b64 s[58:59], s[48:49]
	;; [unrolled: 1-line block ×3, first 2 shown]
	s_mov_b32 s24, s54
	s_branch .LBB212_23
.LBB212_22:                             ;   in Loop: Header=BB212_23 Depth=2
	s_wait_xcnt 0x0
	s_or_b32 exec_lo, exec_lo, s6
	s_add_co_i32 s24, s24, 4
	s_add_co_i32 s54, s54, s44
	s_add_nc_u64 s[60:61], s[60:61], s[44:45]
	s_add_nc_u64 s[58:59], s[58:59], s[44:45]
	s_cmp_ge_i32 s24, s67
	s_add_nc_u64 s[56:57], s[56:57], s[44:45]
	s_cbranch_scc1 .LBB212_70
.LBB212_23:                             ;   Parent Loop BB212_3 Depth=1
                                        ; =>  This Loop Header: Depth=2
                                        ;       Child Loop BB212_54 Depth 3
                                        ;       Child Loop BB212_57 Depth 3
                                        ; implicit-def: $vgpr7
                                        ; implicit-def: $vgpr35
	s_and_saveexec_b32 s6, s4
	s_delay_alu instid0(SALU_CYCLE_1)
	s_xor_b32 s6, exec_lo, s6
	s_cbranch_execnz .LBB212_50
; %bb.24:                               ;   in Loop: Header=BB212_23 Depth=2
	s_and_not1_saveexec_b32 s9, s6
	s_cbranch_execnz .LBB212_51
.LBB212_25:                             ;   in Loop: Header=BB212_23 Depth=2
	s_or_b32 exec_lo, exec_lo, s9
	s_and_saveexec_b32 s6, s1
.LBB212_26:                             ;   in Loop: Header=BB212_23 Depth=2
	ds_store_b32 v38, v0
.LBB212_27:                             ;   in Loop: Header=BB212_23 Depth=2
	s_or_b32 exec_lo, exec_lo, s6
	ds_bpermute_b32 v1, v41, v34
	s_wait_storecnt_dscnt 0x0
	s_barrier_signal -1
	s_barrier_wait -1
	v_add_f32_e32 v1, v34, v1
	ds_bpermute_b32 v34, v42, v1
	s_wait_dscnt 0x0
	v_add_f32_e32 v1, v1, v34
	ds_bpermute_b32 v34, v43, v1
	s_wait_dscnt 0x0
	;; [unrolled: 3-line block ×3, first 2 shown]
	v_add_f32_e32 v1, v1, v34
	ds_bpermute_b32 v34, v45, v1
	s_and_saveexec_b32 s6, s3
	s_cbranch_execz .LBB212_29
; %bb.28:                               ;   in Loop: Header=BB212_23 Depth=2
	s_wait_dscnt 0x0
	v_add_f32_e32 v1, v1, v34
	ds_store_b32 v39, v1
.LBB212_29:                             ;   in Loop: Header=BB212_23 Depth=2
	s_or_b32 exec_lo, exec_lo, s6
	v_mov_b32_e32 v1, 0
	s_wait_dscnt 0x0
	s_barrier_signal -1
	s_barrier_wait -1
	s_and_saveexec_b32 s6, s2
	s_cbranch_execnz .LBB212_58
; %bb.30:                               ;   in Loop: Header=BB212_23 Depth=2
	s_or_b32 exec_lo, exec_lo, s6
	s_and_saveexec_b32 s6, s1
	s_cbranch_execnz .LBB212_59
.LBB212_31:                             ;   in Loop: Header=BB212_23 Depth=2
	s_or_b32 exec_lo, exec_lo, s6
	s_and_saveexec_b32 s6, s1
.LBB212_32:                             ;   in Loop: Header=BB212_23 Depth=2
	ds_store_b32 v38, v0
.LBB212_33:                             ;   in Loop: Header=BB212_23 Depth=2
	s_or_b32 exec_lo, exec_lo, s6
	ds_bpermute_b32 v34, v41, v35
	s_wait_dscnt 0x0
	s_barrier_signal -1
	s_barrier_wait -1
	v_add_f32_e32 v34, v35, v34
	ds_bpermute_b32 v35, v42, v34
	s_wait_dscnt 0x0
	v_add_f32_e32 v34, v34, v35
	ds_bpermute_b32 v35, v43, v34
	s_wait_dscnt 0x0
	;; [unrolled: 3-line block ×3, first 2 shown]
	v_add_f32_e32 v34, v34, v35
	ds_bpermute_b32 v35, v45, v34
	s_and_saveexec_b32 s6, s3
	s_cbranch_execz .LBB212_35
; %bb.34:                               ;   in Loop: Header=BB212_23 Depth=2
	s_wait_dscnt 0x0
	v_add_f32_e32 v34, v34, v35
	ds_store_b32 v39, v34
.LBB212_35:                             ;   in Loop: Header=BB212_23 Depth=2
	s_or_b32 exec_lo, exec_lo, s6
	v_mov_b32_e32 v34, 0
	s_wait_dscnt 0x0
	s_barrier_signal -1
	s_barrier_wait -1
	s_and_saveexec_b32 s6, s2
	s_cbranch_execnz .LBB212_60
; %bb.36:                               ;   in Loop: Header=BB212_23 Depth=2
	s_or_b32 exec_lo, exec_lo, s6
	s_and_saveexec_b32 s6, s1
	s_cbranch_execnz .LBB212_61
.LBB212_37:                             ;   in Loop: Header=BB212_23 Depth=2
	s_or_b32 exec_lo, exec_lo, s6
	s_and_saveexec_b32 s6, s1
.LBB212_38:                             ;   in Loop: Header=BB212_23 Depth=2
	ds_store_b32 v38, v0
.LBB212_39:                             ;   in Loop: Header=BB212_23 Depth=2
	s_or_b32 exec_lo, exec_lo, s6
	ds_bpermute_b32 v35, v41, v6
	s_wait_dscnt 0x0
	s_barrier_signal -1
	s_barrier_wait -1
	v_add_f32_e32 v6, v6, v35
	ds_bpermute_b32 v35, v42, v6
	s_wait_dscnt 0x0
	v_add_f32_e32 v6, v6, v35
	ds_bpermute_b32 v35, v43, v6
	s_wait_dscnt 0x0
	;; [unrolled: 3-line block ×3, first 2 shown]
	v_add_f32_e32 v6, v6, v35
	ds_bpermute_b32 v35, v45, v6
	s_and_saveexec_b32 s6, s3
	s_cbranch_execz .LBB212_41
; %bb.40:                               ;   in Loop: Header=BB212_23 Depth=2
	s_wait_dscnt 0x0
	v_add_f32_e32 v6, v6, v35
	ds_store_b32 v39, v6
.LBB212_41:                             ;   in Loop: Header=BB212_23 Depth=2
	s_or_b32 exec_lo, exec_lo, s6
	v_mov_b32_e32 v6, 0
	s_wait_dscnt 0x0
	s_barrier_signal -1
	s_barrier_wait -1
	s_and_saveexec_b32 s6, s2
	s_cbranch_execnz .LBB212_62
; %bb.42:                               ;   in Loop: Header=BB212_23 Depth=2
	s_or_b32 exec_lo, exec_lo, s6
	s_and_saveexec_b32 s6, s1
	s_cbranch_execnz .LBB212_63
.LBB212_43:                             ;   in Loop: Header=BB212_23 Depth=2
	s_or_b32 exec_lo, exec_lo, s6
	s_and_saveexec_b32 s6, s1
.LBB212_44:                             ;   in Loop: Header=BB212_23 Depth=2
	ds_store_b32 v38, v0
.LBB212_45:                             ;   in Loop: Header=BB212_23 Depth=2
	s_or_b32 exec_lo, exec_lo, s6
	ds_bpermute_b32 v35, v41, v7
	s_wait_dscnt 0x0
	s_barrier_signal -1
	s_barrier_wait -1
	v_add_f32_e32 v7, v7, v35
	ds_bpermute_b32 v35, v42, v7
	s_wait_dscnt 0x0
	v_add_f32_e32 v7, v7, v35
	ds_bpermute_b32 v35, v43, v7
	s_wait_dscnt 0x0
	;; [unrolled: 3-line block ×3, first 2 shown]
	v_add_f32_e32 v7, v7, v35
	ds_bpermute_b32 v35, v45, v7
	s_and_saveexec_b32 s6, s3
	s_cbranch_execz .LBB212_47
; %bb.46:                               ;   in Loop: Header=BB212_23 Depth=2
	s_wait_dscnt 0x0
	v_add_f32_e32 v7, v7, v35
	ds_store_b32 v39, v7
.LBB212_47:                             ;   in Loop: Header=BB212_23 Depth=2
	s_or_b32 exec_lo, exec_lo, s6
	v_mov_b32_e32 v7, 0
	s_wait_dscnt 0x0
	s_barrier_signal -1
	s_barrier_wait -1
	s_and_saveexec_b32 s6, s2
	s_cbranch_execnz .LBB212_64
; %bb.48:                               ;   in Loop: Header=BB212_23 Depth=2
	s_or_b32 exec_lo, exec_lo, s6
	s_and_saveexec_b32 s6, s1
	s_cbranch_execnz .LBB212_65
.LBB212_49:                             ;   in Loop: Header=BB212_23 Depth=2
	s_or_b32 exec_lo, exec_lo, s6
	s_and_saveexec_b32 s6, s0
	s_cbranch_execz .LBB212_22
	s_branch .LBB212_66
.LBB212_50:                             ;   in Loop: Header=BB212_23 Depth=2
	s_mul_i32 s8, s24, s26
	s_clause 0x2
	flat_load_b32 v2, v[24:25]
	flat_load_b32 v3, v[26:27]
	;; [unrolled: 1-line block ×3, first 2 shown]
	s_add_co_i32 s62, s8, s26
	s_ashr_i32 s9, s8, 31
	s_add_co_i32 s74, s62, s26
	s_ashr_i32 s63, s62, 31
	s_add_co_i32 s76, s74, s26
	s_wait_dscnt 0x3
	v_lshl_add_u64 v[6:7], s[8:9], 2, v[22:23]
	s_ashr_i32 s77, s76, 31
	s_ashr_i32 s75, s74, 31
	v_lshl_add_u64 v[34:35], s[76:77], 2, v[22:23]
	v_lshl_add_u64 v[50:51], s[62:63], 2, v[22:23]
	;; [unrolled: 1-line block ×3, first 2 shown]
	s_clause 0x3
	flat_load_b128 v[34:37], v[34:35]
	flat_load_b128 v[46:49], v[6:7]
	;; [unrolled: 1-line block ×4, first 2 shown]
	flat_load_b32 v4, v[28:29]
	s_wait_loadcnt_dscnt 0x505
	s_wait_xcnt 0x3
	v_dual_mov_b32 v6, v3 :: v_dual_mov_b32 v58, v5
	s_wait_loadcnt_dscnt 0x404
	v_pk_mul_f32 v[34:35], v[2:3], v[34:35]
	s_wait_loadcnt_dscnt 0x303
	v_dual_mov_b32 v60, v46 :: v_dual_mov_b32 v46, v48
	s_wait_loadcnt_dscnt 0x202
	v_mov_b32_e32 v61, v50
	s_wait_loadcnt_dscnt 0x101
	s_wait_xcnt 0x2
	v_dual_mul_f32 v62, v2, v54 :: v_dual_mov_b32 v50, v47
	v_dual_mov_b32 v63, v34 :: v_dual_mul_f32 v34, v3, v55
	v_mov_b32_e32 v47, v52
	s_wait_loadcnt_dscnt 0x0
	v_pk_mul_f32 v[36:37], v[4:5], v[36:37]
	v_pk_fma_f32 v[60:61], v[2:3], v[60:61], 0 op_sel_hi:[0,1,0]
	s_wait_xcnt 0x1
	v_pk_add_f32 v[54:55], v[62:63], 0 op_sel_hi:[1,0]
	v_dual_mul_f32 v62, v4, v56 :: v_dual_mov_b32 v52, v49
	v_dual_mov_b32 v63, v36 :: v_dual_mul_f32 v36, v5, v57
	s_delay_alu instid0(VALU_DEP_3) | instskip(SKIP_1) | instid1(VALU_DEP_2)
	v_pk_add_f32 v[34:35], v[54:55], v[34:35]
	v_pk_fma_f32 v[6:7], v[6:7], v[50:51], v[60:61] op_sel_hi:[0,1,1]
	v_pk_add_f32 v[34:35], v[34:35], v[62:63]
	s_delay_alu instid0(VALU_DEP_2) | instskip(NEXT) | instid1(VALU_DEP_2)
	v_pk_fma_f32 v[46:47], v[4:5], v[46:47], v[6:7] op_sel_hi:[0,1,1]
	v_pk_add_f32 v[6:7], v[34:35], v[36:37]
	s_delay_alu instid0(VALU_DEP_2)
	v_pk_fma_f32 v[34:35], v[58:59], v[52:53], v[46:47] op_sel_hi:[0,1,1]
	s_wait_xcnt 0x0
	s_and_not1_saveexec_b32 s9, s6
	s_cbranch_execz .LBB212_25
.LBB212_51:                             ;   in Loop: Header=BB212_23 Depth=2
	s_wait_dscnt 0x0
	v_dual_mov_b32 v7, 0 :: v_dual_mov_b32 v6, 0
	v_dual_mov_b32 v35, 0 :: v_dual_mov_b32 v34, 0
	s_and_saveexec_b32 s11, s5
	s_cbranch_execz .LBB212_68
; %bb.52:                               ;   in Loop: Header=BB212_23 Depth=2
	s_and_not1_b32 vcc_lo, exec_lo, s70
	s_cbranch_vccnz .LBB212_55
; %bb.53:                               ;   in Loop: Header=BB212_23 Depth=2
	v_mov_b32_e32 v1, v10
	s_mov_b64 s[62:63], 0
.LBB212_54:                             ;   Parent Loop BB212_3 Depth=1
                                        ;     Parent Loop BB212_23 Depth=2
                                        ; =>    This Inner Loop Header: Depth=3
	v_readfirstlane_b32 s6, v20
	v_readfirstlane_b32 s7, v21
	s_cmp_eq_u32 s62, 3
	s_cselect_b32 vcc_lo, -1, 0
	s_cmp_eq_u32 s62, 2
	flat_load_b32 v6, v1, s[6:7] scale_offset
	s_wait_xcnt 0x0
	s_cselect_b32 s6, -1, 0
	s_cmp_eq_u32 s62, 1
	v_add_nc_u32_e32 v1, s33, v1
	s_cselect_b32 s7, -1, 0
	s_cmp_eq_u32 s62, 0
	s_add_nc_u64 s[62:63], s[62:63], 1
	s_cselect_b32 s8, -1, 0
	s_cmp_eq_u32 s68, s62
	s_wait_loadcnt_dscnt 0x0
	v_dual_cndmask_b32 v5, v5, v6, vcc_lo :: v_dual_cndmask_b32 v4, v4, v6, s6
	v_dual_cndmask_b32 v3, v3, v6, s7 :: v_dual_cndmask_b32 v2, v2, v6, s8
	s_cbranch_scc0 .LBB212_54
.LBB212_55:                             ;   in Loop: Header=BB212_23 Depth=2
	s_and_not1_b32 vcc_lo, exec_lo, s70
	s_cbranch_vccnz .LBB212_67
; %bb.56:                               ;   in Loop: Header=BB212_23 Depth=2
	v_mov_b32_e32 v34, 0
	s_ashr_i32 s55, s54, 31
	s_mov_b64 s[6:7], 0
	v_lshl_add_u64 v[36:37], s[54:55], 2, v[32:33]
	s_delay_alu instid0(VALU_DEP_2)
	v_dual_mov_b32 v35, v34 :: v_dual_mov_b32 v6, v34
	v_mov_b32_e32 v7, v34
.LBB212_57:                             ;   Parent Loop BB212_3 Depth=1
                                        ;     Parent Loop BB212_23 Depth=2
                                        ; =>    This Inner Loop Header: Depth=3
	s_cmp_eq_u32 s6, 1
	s_cselect_b32 vcc_lo, -1, 0
	s_cmp_eq_u32 s6, 2
	v_cndmask_b32_e32 v1, v2, v3, vcc_lo
	s_cselect_b32 vcc_lo, -1, 0
	s_cmp_eq_u32 s6, 3
	s_delay_alu instid0(VALU_DEP_1)
	v_cndmask_b32_e32 v1, v1, v4, vcc_lo
	s_cselect_b32 vcc_lo, -1, 0
	s_add_co_i32 s74, s58, s6
	s_add_co_i32 s76, s56, s6
	;; [unrolled: 1-line block ×3, first 2 shown]
	s_ashr_i32 s75, s74, 31
	s_ashr_i32 s77, s76, 31
	;; [unrolled: 1-line block ×3, first 2 shown]
	v_lshl_add_u64 v[46:47], s[74:75], 2, v[22:23]
	v_lshl_add_u64 v[48:49], s[76:77], 2, v[22:23]
	s_wait_xcnt 0x0
	v_lshl_add_u64 v[50:51], s[62:63], 2, v[22:23]
	flat_load_b32 v52, v[36:37]
	s_clause 0x2
	flat_load_b32 v46, v[46:47]
	flat_load_b32 v47, v[48:49]
	flat_load_b32 v53, v[50:51]
	s_wait_xcnt 0x1
	v_cndmask_b32_e32 v48, v1, v5, vcc_lo
	v_add_nc_u64_e32 v[36:37], 4, v[36:37]
	s_add_nc_u64 s[6:7], s[6:7], 1
	s_delay_alu instid0(SALU_CYCLE_1)
	s_cmp_lg_u32 s68, s6
	s_wait_loadcnt_dscnt 0x101
	v_pk_fma_f32 v[6:7], v[48:49], v[46:47], v[6:7] op_sel_hi:[0,1,1]
	s_wait_loadcnt_dscnt 0x0
	v_pk_fma_f32 v[34:35], v[48:49], v[52:53], v[34:35] op_sel_hi:[0,1,1]
	s_cbranch_scc1 .LBB212_57
	s_branch .LBB212_68
.LBB212_58:                             ;   in Loop: Header=BB212_23 Depth=2
	ds_load_b32 v1, v38
	s_or_b32 exec_lo, exec_lo, s6
	s_and_saveexec_b32 s6, s1
	s_cbranch_execz .LBB212_31
.LBB212_59:                             ;   in Loop: Header=BB212_23 Depth=2
	s_wait_dscnt 0x0
	ds_bpermute_b32 v34, v43, v1
	s_wait_dscnt 0x0
	v_add_f32_e32 v1, v1, v34
	ds_bpermute_b32 v34, v44, v1
	s_wait_dscnt 0x0
	v_add_f32_e32 v1, v1, v34
	;; [unrolled: 3-line block ×3, first 2 shown]
	s_or_b32 exec_lo, exec_lo, s6
	s_and_saveexec_b32 s6, s1
	s_cbranch_execnz .LBB212_32
	s_branch .LBB212_33
.LBB212_60:                             ;   in Loop: Header=BB212_23 Depth=2
	ds_load_b32 v34, v38
	s_or_b32 exec_lo, exec_lo, s6
	s_and_saveexec_b32 s6, s1
	s_cbranch_execz .LBB212_37
.LBB212_61:                             ;   in Loop: Header=BB212_23 Depth=2
	s_wait_dscnt 0x0
	ds_bpermute_b32 v35, v43, v34
	s_wait_dscnt 0x0
	v_add_f32_e32 v34, v34, v35
	ds_bpermute_b32 v35, v44, v34
	s_wait_dscnt 0x0
	v_add_f32_e32 v34, v34, v35
	ds_bpermute_b32 v35, v45, v34
	s_wait_dscnt 0x0
	v_add_f32_e32 v34, v34, v35
	s_or_b32 exec_lo, exec_lo, s6
	s_and_saveexec_b32 s6, s1
	s_cbranch_execnz .LBB212_38
	s_branch .LBB212_39
.LBB212_62:                             ;   in Loop: Header=BB212_23 Depth=2
	ds_load_b32 v6, v38
	s_or_b32 exec_lo, exec_lo, s6
	s_and_saveexec_b32 s6, s1
	s_cbranch_execz .LBB212_43
.LBB212_63:                             ;   in Loop: Header=BB212_23 Depth=2
	s_wait_dscnt 0x0
	ds_bpermute_b32 v35, v43, v6
	s_wait_dscnt 0x0
	v_add_f32_e32 v6, v6, v35
	ds_bpermute_b32 v35, v44, v6
	s_wait_dscnt 0x0
	v_add_f32_e32 v6, v6, v35
	;; [unrolled: 3-line block ×3, first 2 shown]
	s_or_b32 exec_lo, exec_lo, s6
	s_and_saveexec_b32 s6, s1
	s_cbranch_execnz .LBB212_44
	s_branch .LBB212_45
.LBB212_64:                             ;   in Loop: Header=BB212_23 Depth=2
	ds_load_b32 v7, v38
	s_or_b32 exec_lo, exec_lo, s6
	s_and_saveexec_b32 s6, s1
	s_cbranch_execz .LBB212_49
.LBB212_65:                             ;   in Loop: Header=BB212_23 Depth=2
	s_wait_dscnt 0x0
	ds_bpermute_b32 v35, v43, v7
	s_wait_dscnt 0x0
	v_add_f32_e32 v7, v7, v35
	ds_bpermute_b32 v35, v44, v7
	s_wait_dscnt 0x0
	v_add_f32_e32 v7, v7, v35
	ds_bpermute_b32 v35, v45, v7
	s_wait_dscnt 0x0
	v_add_f32_e32 v7, v7, v35
	s_or_b32 exec_lo, exec_lo, s6
	s_and_saveexec_b32 s6, s0
	s_cbranch_execz .LBB212_22
.LBB212_66:                             ;   in Loop: Header=BB212_23 Depth=2
	s_mul_i32 s7, s24, s30
	v_dual_mul_f32 v1, s22, v1 :: v_dual_mul_f32 v34, s22, v34
	s_add_co_i32 s7, s7, s34
	s_delay_alu instid0(SALU_CYCLE_1) | instskip(NEXT) | instid1(SALU_CYCLE_1)
	s_add_co_i32 s8, s7, s30
	v_dual_mov_b32 v35, s7 :: v_dual_mov_b32 v36, s8
	s_add_co_i32 s7, s8, s30
	s_delay_alu instid0(SALU_CYCLE_1)
	v_dual_mul_f32 v6, s22, v6 :: v_dual_mov_b32 v37, s7
	s_add_co_i32 s7, s7, s30
	s_wait_dscnt 0x0
	v_dual_mul_f32 v7, s22, v7 :: v_dual_mov_b32 v46, s7
	s_clause 0x3
	global_store_b32 v35, v1, s[52:53] scale_offset
	global_store_b32 v36, v34, s[52:53] scale_offset
	global_store_b32 v37, v6, s[52:53] scale_offset
	global_store_b32 v46, v7, s[52:53] scale_offset
	s_branch .LBB212_22
.LBB212_67:                             ;   in Loop: Header=BB212_23 Depth=2
	v_mov_b32_e32 v7, 0
	s_delay_alu instid0(VALU_DEP_1)
	v_dual_mov_b32 v6, v7 :: v_dual_mov_b32 v35, v7
	v_mov_b32_e32 v34, v7
.LBB212_68:                             ;   in Loop: Header=BB212_23 Depth=2
	s_wait_xcnt 0x0
	s_or_b32 exec_lo, exec_lo, s11
	s_delay_alu instid0(SALU_CYCLE_1)
	s_or_b32 exec_lo, exec_lo, s9
	s_and_saveexec_b32 s6, s1
	s_cbranch_execnz .LBB212_26
	s_branch .LBB212_27
.LBB212_69:                             ;   in Loop: Header=BB212_3 Depth=1
	v_dual_mov_b32 v1, v0 :: v_dual_mov_b32 v2, v0
	v_mov_b32_e32 v3, v0
	s_mov_b32 s24, 0
	s_delay_alu instid0(VALU_DEP_1) | instskip(NEXT) | instid1(VALU_DEP_3)
	v_mov_b64_e32 v[4:5], v[2:3]
	v_mov_b64_e32 v[2:3], v[0:1]
.LBB212_70:                             ;   in Loop: Header=BB212_3 Depth=1
	s_cmp_ge_i32 s24, s21
	s_cbranch_scc1 .LBB212_2
; %bb.71:                               ;   in Loop: Header=BB212_3 Depth=1
	v_cmp_gt_u32_e32 vcc_lo, 24, v40
	s_add_nc_u64 s[52:53], s[52:53], s[38:39]
	s_mul_i32 s54, s26, s24
	v_cndmask_b32_e64 v1, 0, 8, vcc_lo
	v_cmp_gt_u32_e32 vcc_lo, 28, v40
	s_delay_alu instid0(VALU_DEP_2) | instskip(SKIP_4) | instid1(VALU_DEP_2)
	v_add_lshl_u32 v1, v1, v40, 2
	s_wait_dscnt 0x0
	v_cndmask_b32_e64 v6, 0, 4, vcc_lo
	v_cmp_gt_u32_e32 vcc_lo, 30, v40
	s_wait_dscnt 0x0
	v_add_lshl_u32 v7, v6, v40, 2
	v_cndmask_b32_e64 v34, 0, 2, vcc_lo
	v_cmp_ne_u32_e32 vcc_lo, 31, v40
	s_delay_alu instid0(VALU_DEP_2) | instskip(SKIP_1) | instid1(VALU_DEP_1)
	v_add_lshl_u32 v36, v34, v40, 2
	v_add_co_ci_u32_e64 v35, null, 0, v40, vcc_lo
	v_lshlrev_b32_e32 v37, 2, v35
	s_branch .LBB212_73
.LBB212_72:                             ;   in Loop: Header=BB212_73 Depth=2
	s_wait_xcnt 0x0
	s_or_b32 exec_lo, exec_lo, s6
	s_add_co_i32 s24, s24, 1
	s_add_co_i32 s54, s54, s26
	s_cmp_ge_i32 s24, s21
	s_cbranch_scc1 .LBB212_2
.LBB212_73:                             ;   Parent Loop BB212_3 Depth=1
                                        ; =>  This Loop Header: Depth=2
                                        ;       Child Loop BB212_86 Depth 3
                                        ;       Child Loop BB212_89 Depth 3
	s_wait_dscnt 0x0
	v_mov_b32_e32 v6, s25
	s_and_saveexec_b32 s6, s4
	s_delay_alu instid0(SALU_CYCLE_1)
	s_xor_b32 s6, exec_lo, s6
	s_cbranch_execnz .LBB212_82
; %bb.74:                               ;   in Loop: Header=BB212_73 Depth=2
	s_and_not1_saveexec_b32 s9, s6
	s_cbranch_execnz .LBB212_83
.LBB212_75:                             ;   in Loop: Header=BB212_73 Depth=2
	s_or_b32 exec_lo, exec_lo, s9
	s_and_saveexec_b32 s6, s1
.LBB212_76:                             ;   in Loop: Header=BB212_73 Depth=2
	ds_store_b32 v38, v0
.LBB212_77:                             ;   in Loop: Header=BB212_73 Depth=2
	s_or_b32 exec_lo, exec_lo, s6
	ds_bpermute_b32 v34, v41, v6
	s_wait_storecnt_dscnt 0x0
	s_barrier_signal -1
	s_barrier_wait -1
	v_add_f32_e32 v6, v6, v34
	ds_bpermute_b32 v34, v1, v6
	s_wait_dscnt 0x0
	v_add_f32_e32 v6, v6, v34
	ds_bpermute_b32 v34, v7, v6
	s_wait_dscnt 0x0
	;; [unrolled: 3-line block ×3, first 2 shown]
	v_add_f32_e32 v6, v6, v34
	ds_bpermute_b32 v34, v37, v6
	s_and_saveexec_b32 s6, s3
	s_cbranch_execz .LBB212_79
; %bb.78:                               ;   in Loop: Header=BB212_73 Depth=2
	s_wait_dscnt 0x0
	v_add_f32_e32 v6, v6, v34
	ds_store_b32 v39, v6
.LBB212_79:                             ;   in Loop: Header=BB212_73 Depth=2
	s_or_b32 exec_lo, exec_lo, s6
	v_mov_b32_e32 v6, 0
	s_wait_dscnt 0x0
	s_barrier_signal -1
	s_barrier_wait -1
	s_and_saveexec_b32 s6, s2
	s_cbranch_execnz .LBB212_91
; %bb.80:                               ;   in Loop: Header=BB212_73 Depth=2
	s_or_b32 exec_lo, exec_lo, s6
	s_and_saveexec_b32 s6, s1
	s_cbranch_execnz .LBB212_92
.LBB212_81:                             ;   in Loop: Header=BB212_73 Depth=2
	s_or_b32 exec_lo, exec_lo, s6
	s_and_saveexec_b32 s6, s0
	s_cbranch_execz .LBB212_72
	s_branch .LBB212_93
.LBB212_82:                             ;   in Loop: Header=BB212_73 Depth=2
	s_mul_i32 s8, s24, s26
	s_delay_alu instid0(SALU_CYCLE_1) | instskip(NEXT) | instid1(SALU_CYCLE_1)
	s_ashr_i32 s9, s8, 31
	v_lshl_add_u64 v[2:3], s[8:9], 2, v[22:23]
	flat_load_b128 v[42:45], v[2:3]
	s_clause 0x3
	flat_load_b32 v2, v[24:25]
	flat_load_b32 v3, v[26:27]
	;; [unrolled: 1-line block ×4, first 2 shown]
	s_wait_loadcnt_dscnt 0x202
	v_pk_mul_f32 v[34:35], v[2:3], v[42:43]
	s_delay_alu instid0(VALU_DEP_1) | instskip(NEXT) | instid1(VALU_DEP_1)
	v_add_f32_e32 v6, 0, v34
	v_add_f32_e32 v6, v6, v35
	s_wait_loadcnt_dscnt 0x0
	v_pk_mul_f32 v[34:35], v[4:5], v[44:45]
	s_delay_alu instid0(VALU_DEP_1) | instskip(NEXT) | instid1(VALU_DEP_1)
	v_add_f32_e32 v6, v6, v34
	v_add_f32_e32 v6, v6, v35
	s_wait_xcnt 0x0
	s_and_not1_saveexec_b32 s9, s6
	s_cbranch_execz .LBB212_75
.LBB212_83:                             ;   in Loop: Header=BB212_73 Depth=2
	s_and_saveexec_b32 s11, s5
	s_cbranch_execz .LBB212_90
; %bb.84:                               ;   in Loop: Header=BB212_73 Depth=2
	s_and_not1_b32 vcc_lo, exec_lo, s70
	s_cbranch_vccnz .LBB212_87
; %bb.85:                               ;   in Loop: Header=BB212_73 Depth=2
	v_mov_b32_e32 v34, v10
	s_mov_b64 s[56:57], 0
.LBB212_86:                             ;   Parent Loop BB212_3 Depth=1
                                        ;     Parent Loop BB212_73 Depth=2
                                        ; =>    This Inner Loop Header: Depth=3
	v_readfirstlane_b32 s6, v20
	v_readfirstlane_b32 s7, v21
	s_cmp_eq_u32 s56, 3
	s_cselect_b32 vcc_lo, -1, 0
	s_cmp_eq_u32 s56, 2
	flat_load_b32 v35, v34, s[6:7] scale_offset
	s_wait_xcnt 0x0
	s_cselect_b32 s6, -1, 0
	s_cmp_eq_u32 s56, 1
	v_add_nc_u32_e32 v34, s33, v34
	s_cselect_b32 s7, -1, 0
	s_cmp_eq_u32 s56, 0
	s_add_nc_u64 s[56:57], s[56:57], 1
	s_cselect_b32 s8, -1, 0
	s_cmp_eq_u32 s68, s56
	s_wait_loadcnt_dscnt 0x0
	v_dual_cndmask_b32 v5, v5, v35, vcc_lo :: v_dual_cndmask_b32 v4, v4, v35, s6
	v_dual_cndmask_b32 v3, v3, v35, s7 :: v_dual_cndmask_b32 v2, v2, v35, s8
	s_cbranch_scc0 .LBB212_86
.LBB212_87:                             ;   in Loop: Header=BB212_73 Depth=2
	s_and_not1_b32 vcc_lo, exec_lo, s70
	s_cbranch_vccnz .LBB212_90
; %bb.88:                               ;   in Loop: Header=BB212_73 Depth=2
	s_ashr_i32 s55, s54, 31
	s_mov_b64 s[6:7], 0
	v_lshl_add_u64 v[34:35], s[54:55], 2, v[32:33]
.LBB212_89:                             ;   Parent Loop BB212_3 Depth=1
                                        ;     Parent Loop BB212_73 Depth=2
                                        ; =>    This Inner Loop Header: Depth=3
	flat_load_b32 v42, v[34:35]
	s_cmp_eq_u32 s6, 1
	s_wait_xcnt 0x0
	v_add_nc_u64_e32 v[34:35], 4, v[34:35]
	s_cselect_b32 vcc_lo, -1, 0
	s_cmp_eq_u32 s6, 2
	v_cndmask_b32_e32 v43, v2, v3, vcc_lo
	s_cselect_b32 vcc_lo, -1, 0
	s_cmp_eq_u32 s6, 3
	s_add_nc_u64 s[6:7], s[6:7], 1
	s_delay_alu instid0(VALU_DEP_1) | instskip(SKIP_2) | instid1(VALU_DEP_1)
	v_cndmask_b32_e32 v43, v43, v4, vcc_lo
	s_cselect_b32 vcc_lo, -1, 0
	s_cmp_lg_u32 s68, s6
	v_cndmask_b32_e32 v43, v43, v5, vcc_lo
	s_wait_loadcnt_dscnt 0x0
	s_delay_alu instid0(VALU_DEP_1)
	v_fmac_f32_e32 v6, v43, v42
	s_cbranch_scc1 .LBB212_89
.LBB212_90:                             ;   in Loop: Header=BB212_73 Depth=2
	s_or_b32 exec_lo, exec_lo, s11
	s_delay_alu instid0(SALU_CYCLE_1)
	s_or_b32 exec_lo, exec_lo, s9
	s_and_saveexec_b32 s6, s1
	s_cbranch_execnz .LBB212_76
	s_branch .LBB212_77
.LBB212_91:                             ;   in Loop: Header=BB212_73 Depth=2
	ds_load_b32 v6, v38
	s_or_b32 exec_lo, exec_lo, s6
	s_and_saveexec_b32 s6, s1
	s_cbranch_execz .LBB212_81
.LBB212_92:                             ;   in Loop: Header=BB212_73 Depth=2
	s_wait_dscnt 0x0
	ds_bpermute_b32 v34, v7, v6
	s_wait_dscnt 0x0
	v_add_f32_e32 v6, v6, v34
	ds_bpermute_b32 v34, v36, v6
	s_wait_dscnt 0x0
	v_add_f32_e32 v6, v6, v34
	ds_bpermute_b32 v34, v37, v6
	s_wait_dscnt 0x0
	v_add_f32_e32 v6, v6, v34
	s_or_b32 exec_lo, exec_lo, s6
	s_and_saveexec_b32 s6, s0
	s_cbranch_execz .LBB212_72
.LBB212_93:                             ;   in Loop: Header=BB212_73 Depth=2
	s_mul_u64 s[8:9], s[24:25], s[30:31]
	s_wait_dscnt 0x0
	v_mul_f32_e32 v6, s22, v6
	s_lshl_b64 s[8:9], s[8:9], 2
	s_delay_alu instid0(SALU_CYCLE_1)
	s_add_nc_u64 s[8:9], s[52:53], s[8:9]
	global_store_b32 v0, v6, s[8:9]
	s_branch .LBB212_72
.LBB212_94:
	s_endpgm
	.section	.rodata,"a",@progbits
	.p2align	6, 0x0
	.amdhsa_kernel _ZL23rocblas_gemvt_sn_kernelILb0ELi256ELi4EiPKfffEviiT4_lPKT3_lilS5_lilPT5_i
		.amdhsa_group_segment_fixed_size 128
		.amdhsa_private_segment_fixed_size 0
		.amdhsa_kernarg_size 360
		.amdhsa_user_sgpr_count 2
		.amdhsa_user_sgpr_dispatch_ptr 0
		.amdhsa_user_sgpr_queue_ptr 0
		.amdhsa_user_sgpr_kernarg_segment_ptr 1
		.amdhsa_user_sgpr_dispatch_id 0
		.amdhsa_user_sgpr_kernarg_preload_length 0
		.amdhsa_user_sgpr_kernarg_preload_offset 0
		.amdhsa_user_sgpr_private_segment_size 0
		.amdhsa_wavefront_size32 1
		.amdhsa_uses_dynamic_stack 0
		.amdhsa_enable_private_segment 0
		.amdhsa_system_sgpr_workgroup_id_x 1
		.amdhsa_system_sgpr_workgroup_id_y 0
		.amdhsa_system_sgpr_workgroup_id_z 1
		.amdhsa_system_sgpr_workgroup_info 0
		.amdhsa_system_vgpr_workitem_id 0
		.amdhsa_next_free_vgpr 64
		.amdhsa_next_free_sgpr 78
		.amdhsa_named_barrier_count 0
		.amdhsa_reserve_vcc 1
		.amdhsa_float_round_mode_32 0
		.amdhsa_float_round_mode_16_64 0
		.amdhsa_float_denorm_mode_32 3
		.amdhsa_float_denorm_mode_16_64 3
		.amdhsa_fp16_overflow 0
		.amdhsa_memory_ordered 1
		.amdhsa_forward_progress 1
		.amdhsa_inst_pref_size 32
		.amdhsa_round_robin_scheduling 0
		.amdhsa_exception_fp_ieee_invalid_op 0
		.amdhsa_exception_fp_denorm_src 0
		.amdhsa_exception_fp_ieee_div_zero 0
		.amdhsa_exception_fp_ieee_overflow 0
		.amdhsa_exception_fp_ieee_underflow 0
		.amdhsa_exception_fp_ieee_inexact 0
		.amdhsa_exception_int_div_zero 0
	.end_amdhsa_kernel
	.section	.text._ZL23rocblas_gemvt_sn_kernelILb0ELi256ELi4EiPKfffEviiT4_lPKT3_lilS5_lilPT5_i,"axG",@progbits,_ZL23rocblas_gemvt_sn_kernelILb0ELi256ELi4EiPKfffEviiT4_lPKT3_lilS5_lilPT5_i,comdat
.Lfunc_end212:
	.size	_ZL23rocblas_gemvt_sn_kernelILb0ELi256ELi4EiPKfffEviiT4_lPKT3_lilS5_lilPT5_i, .Lfunc_end212-_ZL23rocblas_gemvt_sn_kernelILb0ELi256ELi4EiPKfffEviiT4_lPKT3_lilS5_lilPT5_i
                                        ; -- End function
	.set _ZL23rocblas_gemvt_sn_kernelILb0ELi256ELi4EiPKfffEviiT4_lPKT3_lilS5_lilPT5_i.num_vgpr, 64
	.set _ZL23rocblas_gemvt_sn_kernelILb0ELi256ELi4EiPKfffEviiT4_lPKT3_lilS5_lilPT5_i.num_agpr, 0
	.set _ZL23rocblas_gemvt_sn_kernelILb0ELi256ELi4EiPKfffEviiT4_lPKT3_lilS5_lilPT5_i.numbered_sgpr, 78
	.set _ZL23rocblas_gemvt_sn_kernelILb0ELi256ELi4EiPKfffEviiT4_lPKT3_lilS5_lilPT5_i.num_named_barrier, 0
	.set _ZL23rocblas_gemvt_sn_kernelILb0ELi256ELi4EiPKfffEviiT4_lPKT3_lilS5_lilPT5_i.private_seg_size, 0
	.set _ZL23rocblas_gemvt_sn_kernelILb0ELi256ELi4EiPKfffEviiT4_lPKT3_lilS5_lilPT5_i.uses_vcc, 1
	.set _ZL23rocblas_gemvt_sn_kernelILb0ELi256ELi4EiPKfffEviiT4_lPKT3_lilS5_lilPT5_i.uses_flat_scratch, 1
	.set _ZL23rocblas_gemvt_sn_kernelILb0ELi256ELi4EiPKfffEviiT4_lPKT3_lilS5_lilPT5_i.has_dyn_sized_stack, 0
	.set _ZL23rocblas_gemvt_sn_kernelILb0ELi256ELi4EiPKfffEviiT4_lPKT3_lilS5_lilPT5_i.has_recursion, 0
	.set _ZL23rocblas_gemvt_sn_kernelILb0ELi256ELi4EiPKfffEviiT4_lPKT3_lilS5_lilPT5_i.has_indirect_call, 0
	.section	.AMDGPU.csdata,"",@progbits
; Kernel info:
; codeLenInByte = 4016
; TotalNumSgprs: 80
; NumVgprs: 64
; ScratchSize: 0
; MemoryBound: 0
; FloatMode: 240
; IeeeMode: 1
; LDSByteSize: 128 bytes/workgroup (compile time only)
; SGPRBlocks: 0
; VGPRBlocks: 3
; NumSGPRsForWavesPerEU: 80
; NumVGPRsForWavesPerEU: 64
; NamedBarCnt: 0
; Occupancy: 16
; WaveLimiterHint : 0
; COMPUTE_PGM_RSRC2:SCRATCH_EN: 0
; COMPUTE_PGM_RSRC2:USER_SGPR: 2
; COMPUTE_PGM_RSRC2:TRAP_HANDLER: 0
; COMPUTE_PGM_RSRC2:TGID_X_EN: 1
; COMPUTE_PGM_RSRC2:TGID_Y_EN: 0
; COMPUTE_PGM_RSRC2:TGID_Z_EN: 1
; COMPUTE_PGM_RSRC2:TIDIG_COMP_CNT: 0
	.section	.text._ZL23rocblas_gemvt_sn_kernelILb0ELi256ELi4ElPKfffEviiT4_lPKT3_lilS5_lilPT5_i,"axG",@progbits,_ZL23rocblas_gemvt_sn_kernelILb0ELi256ELi4ElPKfffEviiT4_lPKT3_lilS5_lilPT5_i,comdat
	.globl	_ZL23rocblas_gemvt_sn_kernelILb0ELi256ELi4ElPKfffEviiT4_lPKT3_lilS5_lilPT5_i ; -- Begin function _ZL23rocblas_gemvt_sn_kernelILb0ELi256ELi4ElPKfffEviiT4_lPKT3_lilS5_lilPT5_i
	.p2align	8
	.type	_ZL23rocblas_gemvt_sn_kernelILb0ELi256ELi4ElPKfffEviiT4_lPKT3_lilS5_lilPT5_i,@function
_ZL23rocblas_gemvt_sn_kernelILb0ELi256ELi4ElPKfffEviiT4_lPKT3_lilS5_lilPT5_i: ; @_ZL23rocblas_gemvt_sn_kernelILb0ELi256ELi4ElPKfffEviiT4_lPKT3_lilS5_lilPT5_i
; %bb.0:
	s_load_b32 s23, s[0:1], 0x60
	s_bfe_u32 s2, ttmp6, 0x40014
	s_lshr_b32 s3, ttmp7, 16
	s_add_co_i32 s2, s2, 1
	s_bfe_u32 s5, ttmp6, 0x40008
	s_mul_i32 s2, s3, s2
	s_getreg_b32 s4, hwreg(HW_REG_IB_STS2, 6, 4)
	s_add_co_i32 s5, s5, s2
	s_cmp_eq_u32 s4, 0
	s_mov_b32 s25, 0
	s_cselect_b32 s10, s3, s5
	s_wait_kmcnt 0x0
	s_cmp_ge_u32 s10, s23
	s_cbranch_scc1 .LBB213_94
; %bb.1:
	s_clause 0x6
	s_load_b32 s26, s[0:1], 0x28
	s_load_b32 s6, s[0:1], 0x48
	s_load_b96 s[20:22], s[0:1], 0x0
	s_load_b128 s[12:15], s[0:1], 0x18
	s_load_b128 s[16:19], s[0:1], 0x38
	s_load_b64 s[28:29], s[0:1], 0x58
	s_load_b32 s30, s[0:1], 0x68
	s_wait_xcnt 0x0
	v_cmp_eq_u32_e64 s0, 0, v0
	v_dual_lshrrev_b32 v3, 3, v0 :: v_dual_bitop2_b32 v1, 31, v0 bitop3:0x40
	v_cmp_gt_u32_e64 s1, 32, v0
	v_cmp_gt_u32_e64 s2, 8, v0
	s_delay_alu instid0(VALU_DEP_3) | instskip(SKIP_4) | instid1(VALU_DEP_2)
	v_dual_mov_b32 v2, 0 :: v_dual_lshlrev_b32 v47, 2, v1
	v_cmp_eq_u32_e64 s3, 0, v1
	v_mbcnt_lo_u32_b32 v46, -1, 0
	v_mov_b64_e32 v[22:23], 0
	s_mov_b32 s31, s25
	v_lshl_or_b32 v49, v46, 2, 64
	s_wait_kmcnt 0x0
	s_ashr_i32 s27, s26, 31
	s_ashr_i32 s7, s6, 31
	s_cmp_neq_f32 s22, 0
	s_mov_b32 s8, s21
	s_mul_u64 s[34:35], s[26:27], 12
	s_cselect_b32 s33, -1, 0
	s_cmp_eq_f32 s22, 0
	s_cselect_b32 s58, -1, 0
	s_ashr_i32 s9, s21, 31
	s_cmp_gt_i32 s21, 0
	s_mul_u64 s[36:37], s[8:9], s[30:31]
	s_cselect_b32 s5, -1, 0
	s_bfe_u32 s11, ttmp6, 0x4000c
	s_and_b32 s24, ttmp6, 15
	s_add_co_i32 s11, s11, 1
	s_and_b32 s59, s0, s5
	s_mul_i32 s11, ttmp9, s11
	s_delay_alu instid0(SALU_CYCLE_1)
	s_add_co_i32 s24, s24, s11
	s_cmp_eq_u32 s4, 0
	s_cselect_b32 s24, ttmp9, s24
	s_ashr_i32 s5, s20, 31
	s_lshl_b32 s11, s24, 10
	s_lshr_b32 s4, s9, 30
	v_lshl_or_b32 v8, v0, 2, s11
	s_lshr_b32 s5, s5, 30
	s_add_co_i32 s4, s21, s4
	s_add_co_i32 s5, s20, s5
	s_delay_alu instid0(VALU_DEP_1)
	v_dual_ashrrev_i32 v9, 31, v8 :: v_dual_bitop2_b32 v48, 28, v3 bitop3:0x40
	s_and_b32 s60, s4, -4
	s_and_b32 s4, s5, -4
	v_dual_add_nc_u32 v3, 4, v8 :: v_dual_bitop2_b32 v4, 2, v8 bitop3:0x54
	s_sub_co_i32 s61, s20, s4
	v_or_b32_e32 v6, 3, v8
	v_or_b32_e32 v0, 1, v8
	v_mul_u64_e32 v[10:11], s[6:7], v[8:9]
	v_ashrrev_i32_e32 v5, 31, v4
	s_cmp_gt_i32 s60, 0
	s_delay_alu instid0(VALU_DEP_3) | instskip(SKIP_1) | instid1(VALU_DEP_2)
	v_dual_ashrrev_i32 v7, 31, v6 :: v_dual_ashrrev_i32 v1, 31, v0
	s_cselect_b32 s62, -1, 0
	v_mul_u64_e32 v[14:15], s[6:7], v[4:5]
	s_cmp_gt_i32 s61, 0
	v_cmp_ge_i32_e64 s4, s20, v3
	v_mul_u64_e32 v[12:13], s[6:7], v[0:1]
	v_add_nc_u32_e32 v0, s61, v8
	v_mul_u64_e32 v[16:17], s[6:7], v[6:7]
	s_cselect_b32 s63, -1, 0
	s_cmp_gt_u32 s21, 1
	v_lshlrev_b64_e32 v[18:19], 2, v[8:9]
	s_cselect_b32 s11, -1, 0
	s_cmp_eq_u32 s30, 1
	v_cmp_ge_i32_e64 s5, s20, v0
	s_cselect_b32 s38, -1, 0
	s_and_b32 s20, s21, 0x7ffffffe
	s_and_b32 s64, s11, s38
	s_cmp_lg_u32 s21, s20
	s_cselect_b32 s65, -1, 0
	s_lshl_b64 s[38:39], s[24:25], 2
	s_lshl_b64 s[40:41], s[8:9], 2
	;; [unrolled: 1-line block ×6, first 2 shown]
	s_add_nc_u64 s[50:51], s[28:29], s[38:39]
	s_lshl_b64 s[52:53], s[26:27], 2
	v_lshlrev_b64_e32 v[20:21], 2, v[10:11]
	s_lshl_b64 s[14:15], s[14:15], 2
	s_lshl_b64 s[18:19], s[18:19], 2
	s_branch .LBB213_3
.LBB213_2:                              ;   in Loop: Header=BB213_3 Depth=1
	s_add_co_i32 s10, s10, 0x10000
	s_delay_alu instid0(SALU_CYCLE_1)
	s_cmp_lt_u32 s10, s23
	s_cbranch_scc0 .LBB213_94
.LBB213_3:                              ; =>This Loop Header: Depth=1
                                        ;     Child Loop BB213_11 Depth 2
                                        ;     Child Loop BB213_17 Depth 2
	;; [unrolled: 1-line block ×3, first 2 shown]
                                        ;       Child Loop BB213_54 Depth 3
                                        ;       Child Loop BB213_57 Depth 3
                                        ;     Child Loop BB213_73 Depth 2
                                        ;       Child Loop BB213_86 Depth 3
                                        ;       Child Loop BB213_89 Depth 3
	s_mov_b32 s11, s25
	s_and_not1_b32 vcc_lo, exec_lo, s58
	s_mov_b32 s6, -1
	s_cbranch_vccz .LBB213_13
; %bb.4:                                ;   in Loop: Header=BB213_3 Depth=1
	v_mov_b64_e32 v[6:7], 0
	s_wait_dscnt 0x0
	v_mov_b64_e32 v[0:1], 0
	s_and_not1_b32 vcc_lo, exec_lo, s6
	s_cbranch_vccz .LBB213_14
.LBB213_5:                              ;   in Loop: Header=BB213_3 Depth=1
	s_and_not1_b32 vcc_lo, exec_lo, s33
	s_cbranch_vccnz .LBB213_7
.LBB213_6:                              ;   in Loop: Header=BB213_3 Depth=1
	s_wait_xcnt 0x0
	s_lshl_b64 s[6:7], s[10:11], 3
	s_delay_alu instid0(SALU_CYCLE_1)
	s_add_nc_u64 s[6:7], s[16:17], s[6:7]
	global_load_b64 v[4:5], v2, s[6:7]
	s_wait_loadcnt 0x0
	v_add_nc_u64_e32 v[6:7], s[18:19], v[4:5]
.LBB213_7:                              ;   in Loop: Header=BB213_3 Depth=1
	s_wait_xcnt 0x0
	s_mul_u64 s[6:7], s[36:37], s[10:11]
	s_and_not1_b32 vcc_lo, exec_lo, s58
	s_lshl_b64 s[6:7], s[6:7], 2
	s_delay_alu instid0(SALU_CYCLE_1)
	s_add_nc_u64 s[54:55], s[28:29], s[6:7]
	s_mov_b32 s6, -1
	s_cbranch_vccnz .LBB213_19
; %bb.8:                                ;   in Loop: Header=BB213_3 Depth=1
	s_and_saveexec_b32 s8, s59
	s_cbranch_execz .LBB213_18
; %bb.9:                                ;   in Loop: Header=BB213_3 Depth=1
	s_and_not1_b32 vcc_lo, exec_lo, s64
	s_cbranch_vccnz .LBB213_15
; %bb.10:                               ;   in Loop: Header=BB213_3 Depth=1
	s_add_nc_u64 s[6:7], s[54:55], s[38:39]
	s_mov_b32 s9, s20
.LBB213_11:                             ;   Parent Loop BB213_3 Depth=1
                                        ; =>  This Inner Loop Header: Depth=2
	s_delay_alu instid0(SALU_CYCLE_1)
	s_add_co_i32 s9, s9, -2
	global_store_b64 v2, v[22:23], s[6:7]
	s_wait_xcnt 0x0
	s_add_nc_u64 s[6:7], s[6:7], 8
	s_mov_b32 s24, s20
	s_cmp_lg_u32 s9, 0
	s_mov_b32 s56, s65
	s_cbranch_scc1 .LBB213_11
; %bb.12:                               ;   in Loop: Header=BB213_3 Depth=1
	s_and_b32 vcc_lo, exec_lo, s56
	s_cbranch_vccnz .LBB213_16
	s_branch .LBB213_18
.LBB213_13:                             ;   in Loop: Header=BB213_3 Depth=1
	v_mov_b64_e32 v[6:7], 0
	s_wait_dscnt 0x0
	v_mov_b64_e32 v[0:1], 0
	s_cbranch_execnz .LBB213_5
.LBB213_14:                             ;   in Loop: Header=BB213_3 Depth=1
	s_lshl_b64 s[6:7], s[10:11], 3
	s_delay_alu instid0(SALU_CYCLE_1)
	s_add_nc_u64 s[6:7], s[12:13], s[6:7]
	global_load_b64 v[0:1], v2, s[6:7]
	s_wait_loadcnt 0x0
	v_add_nc_u64_e32 v[0:1], s[14:15], v[0:1]
	s_and_not1_b32 vcc_lo, exec_lo, s33
	s_cbranch_vccz .LBB213_6
	s_branch .LBB213_7
.LBB213_15:                             ;   in Loop: Header=BB213_3 Depth=1
	s_mov_b32 s24, 0
	s_cbranch_execz .LBB213_18
.LBB213_16:                             ;   in Loop: Header=BB213_3 Depth=1
	s_mul_u64 s[6:7], s[40:41], s[10:11]
	s_lshl_b64 s[56:57], s[24:25], 2
	s_sub_co_i32 s9, s21, s24
	s_add_nc_u64 s[6:7], s[6:7], s[56:57]
	s_delay_alu instid0(SALU_CYCLE_1) | instskip(NEXT) | instid1(SALU_CYCLE_1)
	s_mul_u64 s[6:7], s[30:31], s[6:7]
	s_add_nc_u64 s[6:7], s[50:51], s[6:7]
.LBB213_17:                             ;   Parent Loop BB213_3 Depth=1
                                        ; =>  This Inner Loop Header: Depth=2
	s_add_co_i32 s9, s9, -1
	global_store_b32 v2, v2, s[6:7]
	s_cmp_eq_u32 s9, 0
	s_wait_xcnt 0x0
	s_add_nc_u64 s[6:7], s[6:7], s[42:43]
	s_cbranch_scc0 .LBB213_17
.LBB213_18:                             ;   in Loop: Header=BB213_3 Depth=1
	s_or_b32 exec_lo, exec_lo, s8
	s_mov_b32 s6, 0
.LBB213_19:                             ;   in Loop: Header=BB213_3 Depth=1
	s_delay_alu instid0(SALU_CYCLE_1)
	s_and_not1_b32 vcc_lo, exec_lo, s6
	s_cbranch_vccnz .LBB213_2
; %bb.20:                               ;   in Loop: Header=BB213_3 Depth=1
	v_add_nc_u64_e32 v[34:35], v[6:7], v[20:21]
	v_lshl_add_u64 v[24:25], v[8:9], 2, v[0:1]
	v_lshl_add_u64 v[26:27], v[10:11], 2, v[6:7]
	;; [unrolled: 1-line block ×5, first 2 shown]
	v_cmp_gt_u32_e64 s8, 24, v46
	v_cmp_gt_u32_e64 s6, 28, v46
	;; [unrolled: 1-line block ×3, first 2 shown]
	v_cmp_ne_u32_e64 s7, 31, v46
	s_and_not1_b32 vcc_lo, exec_lo, s62
	s_add_nc_u64 s[54:55], s[54:55], s[38:39]
	s_cbranch_vccnz .LBB213_69
; %bb.21:                               ;   in Loop: Header=BB213_3 Depth=1
	v_cndmask_b32_e64 v3, 0, 8, s8
	v_cndmask_b32_e64 v4, 0, 4, s6
	;; [unrolled: 1-line block ×3, first 2 shown]
	v_add_co_ci_u32_e64 v37, null, 0, v46, s7
	s_delay_alu instid0(VALU_DEP_4) | instskip(NEXT) | instid1(VALU_DEP_4)
	v_add_lshl_u32 v50, v3, v46, 2
	v_add_lshl_u32 v51, v4, v46, 2
	v_dual_mov_b32 v3, v2 :: v_dual_mov_b32 v4, v2
	s_delay_alu instid0(VALU_DEP_4) | instskip(SKIP_3) | instid1(VALU_DEP_4)
	v_dual_mov_b32 v5, v2 :: v_dual_lshlrev_b32 v53, 2, v37
	v_add_lshl_u32 v52, v36, v46, 2
	v_add_nc_u64_e32 v[36:37], v[6:7], v[20:21]
	v_mov_b64_e32 v[38:39], v[24:25]
	v_mov_b64_e32 v[6:7], v[4:5]
	;; [unrolled: 1-line block ×3, first 2 shown]
	s_mov_b32 s24, 0
	s_branch .LBB213_23
.LBB213_22:                             ;   in Loop: Header=BB213_23 Depth=2
	s_wait_xcnt 0x0
	s_or_b32 exec_lo, exec_lo, s6
	v_add_nc_u64_e32 v[38:39], s[46:47], v[38:39]
	s_add_co_i32 s24, s24, 4
	s_delay_alu instid0(SALU_CYCLE_1)
	s_cmp_ge_i32 s24, s60
	s_cbranch_scc1 .LBB213_70
.LBB213_23:                             ;   Parent Loop BB213_3 Depth=1
                                        ; =>  This Loop Header: Depth=2
                                        ;       Child Loop BB213_54 Depth 3
                                        ;       Child Loop BB213_57 Depth 3
                                        ; implicit-def: $vgpr41
                                        ; implicit-def: $vgpr43
	s_and_saveexec_b32 s6, s4
	s_delay_alu instid0(SALU_CYCLE_1)
	s_xor_b32 s6, exec_lo, s6
	s_cbranch_execnz .LBB213_50
; %bb.24:                               ;   in Loop: Header=BB213_23 Depth=2
	s_and_not1_saveexec_b32 s9, s6
	s_cbranch_execnz .LBB213_51
.LBB213_25:                             ;   in Loop: Header=BB213_23 Depth=2
	s_or_b32 exec_lo, exec_lo, s9
	s_and_saveexec_b32 s6, s1
.LBB213_26:                             ;   in Loop: Header=BB213_23 Depth=2
	ds_store_b32 v47, v2
.LBB213_27:                             ;   in Loop: Header=BB213_23 Depth=2
	s_or_b32 exec_lo, exec_lo, s6
	ds_bpermute_b32 v3, v49, v42
	s_wait_storecnt_dscnt 0x0
	s_barrier_signal -1
	s_barrier_wait -1
	v_add_f32_e32 v3, v42, v3
	ds_bpermute_b32 v42, v50, v3
	s_wait_dscnt 0x0
	v_add_f32_e32 v3, v3, v42
	ds_bpermute_b32 v42, v51, v3
	s_wait_dscnt 0x0
	;; [unrolled: 3-line block ×3, first 2 shown]
	v_add_f32_e32 v3, v3, v42
	ds_bpermute_b32 v42, v53, v3
	s_and_saveexec_b32 s6, s3
	s_cbranch_execz .LBB213_29
; %bb.28:                               ;   in Loop: Header=BB213_23 Depth=2
	s_wait_dscnt 0x0
	v_add_f32_e32 v3, v3, v42
	ds_store_b32 v48, v3
.LBB213_29:                             ;   in Loop: Header=BB213_23 Depth=2
	s_or_b32 exec_lo, exec_lo, s6
	v_mov_b32_e32 v3, 0
	s_wait_dscnt 0x0
	s_barrier_signal -1
	s_barrier_wait -1
	s_and_saveexec_b32 s6, s2
	s_cbranch_execnz .LBB213_58
; %bb.30:                               ;   in Loop: Header=BB213_23 Depth=2
	s_or_b32 exec_lo, exec_lo, s6
	s_and_saveexec_b32 s6, s1
	s_cbranch_execnz .LBB213_59
.LBB213_31:                             ;   in Loop: Header=BB213_23 Depth=2
	s_or_b32 exec_lo, exec_lo, s6
	s_and_saveexec_b32 s6, s1
.LBB213_32:                             ;   in Loop: Header=BB213_23 Depth=2
	ds_store_b32 v47, v2
.LBB213_33:                             ;   in Loop: Header=BB213_23 Depth=2
	s_or_b32 exec_lo, exec_lo, s6
	ds_bpermute_b32 v42, v49, v43
	s_wait_dscnt 0x0
	s_barrier_signal -1
	s_barrier_wait -1
	v_add_f32_e32 v42, v43, v42
	ds_bpermute_b32 v43, v50, v42
	s_wait_dscnt 0x0
	v_add_f32_e32 v42, v42, v43
	ds_bpermute_b32 v43, v51, v42
	s_wait_dscnt 0x0
	;; [unrolled: 3-line block ×3, first 2 shown]
	v_add_f32_e32 v42, v42, v43
	ds_bpermute_b32 v43, v53, v42
	s_and_saveexec_b32 s6, s3
	s_cbranch_execz .LBB213_35
; %bb.34:                               ;   in Loop: Header=BB213_23 Depth=2
	s_wait_dscnt 0x0
	v_add_f32_e32 v42, v42, v43
	ds_store_b32 v48, v42
.LBB213_35:                             ;   in Loop: Header=BB213_23 Depth=2
	s_or_b32 exec_lo, exec_lo, s6
	v_mov_b32_e32 v42, 0
	s_wait_dscnt 0x0
	s_barrier_signal -1
	s_barrier_wait -1
	s_and_saveexec_b32 s6, s2
	s_cbranch_execnz .LBB213_60
; %bb.36:                               ;   in Loop: Header=BB213_23 Depth=2
	s_or_b32 exec_lo, exec_lo, s6
	s_and_saveexec_b32 s6, s1
	s_cbranch_execnz .LBB213_61
.LBB213_37:                             ;   in Loop: Header=BB213_23 Depth=2
	s_or_b32 exec_lo, exec_lo, s6
	s_and_saveexec_b32 s6, s1
.LBB213_38:                             ;   in Loop: Header=BB213_23 Depth=2
	ds_store_b32 v47, v2
.LBB213_39:                             ;   in Loop: Header=BB213_23 Depth=2
	s_or_b32 exec_lo, exec_lo, s6
	ds_bpermute_b32 v43, v49, v40
	s_wait_dscnt 0x0
	s_barrier_signal -1
	s_barrier_wait -1
	v_add_f32_e32 v40, v40, v43
	ds_bpermute_b32 v43, v50, v40
	s_wait_dscnt 0x0
	v_add_f32_e32 v40, v40, v43
	ds_bpermute_b32 v43, v51, v40
	s_wait_dscnt 0x0
	;; [unrolled: 3-line block ×3, first 2 shown]
	v_add_f32_e32 v40, v40, v43
	ds_bpermute_b32 v43, v53, v40
	s_and_saveexec_b32 s6, s3
	s_cbranch_execz .LBB213_41
; %bb.40:                               ;   in Loop: Header=BB213_23 Depth=2
	s_wait_dscnt 0x0
	v_add_f32_e32 v40, v40, v43
	ds_store_b32 v48, v40
.LBB213_41:                             ;   in Loop: Header=BB213_23 Depth=2
	s_or_b32 exec_lo, exec_lo, s6
	v_mov_b32_e32 v40, 0
	s_wait_dscnt 0x0
	s_barrier_signal -1
	s_barrier_wait -1
	s_and_saveexec_b32 s6, s2
	s_cbranch_execnz .LBB213_62
; %bb.42:                               ;   in Loop: Header=BB213_23 Depth=2
	s_or_b32 exec_lo, exec_lo, s6
	s_and_saveexec_b32 s6, s1
	s_cbranch_execnz .LBB213_63
.LBB213_43:                             ;   in Loop: Header=BB213_23 Depth=2
	s_or_b32 exec_lo, exec_lo, s6
	s_and_saveexec_b32 s6, s1
.LBB213_44:                             ;   in Loop: Header=BB213_23 Depth=2
	ds_store_b32 v47, v2
.LBB213_45:                             ;   in Loop: Header=BB213_23 Depth=2
	s_or_b32 exec_lo, exec_lo, s6
	ds_bpermute_b32 v43, v49, v41
	s_wait_dscnt 0x0
	s_barrier_signal -1
	s_barrier_wait -1
	v_add_f32_e32 v41, v41, v43
	ds_bpermute_b32 v43, v50, v41
	s_wait_dscnt 0x0
	v_add_f32_e32 v41, v41, v43
	ds_bpermute_b32 v43, v51, v41
	s_wait_dscnt 0x0
	;; [unrolled: 3-line block ×3, first 2 shown]
	v_add_f32_e32 v41, v41, v43
	ds_bpermute_b32 v43, v53, v41
	s_and_saveexec_b32 s6, s3
	s_cbranch_execz .LBB213_47
; %bb.46:                               ;   in Loop: Header=BB213_23 Depth=2
	s_wait_dscnt 0x0
	v_add_f32_e32 v41, v41, v43
	ds_store_b32 v48, v41
.LBB213_47:                             ;   in Loop: Header=BB213_23 Depth=2
	s_or_b32 exec_lo, exec_lo, s6
	v_mov_b32_e32 v41, 0
	s_wait_dscnt 0x0
	s_barrier_signal -1
	s_barrier_wait -1
	s_and_saveexec_b32 s6, s2
	s_cbranch_execnz .LBB213_64
; %bb.48:                               ;   in Loop: Header=BB213_23 Depth=2
	s_or_b32 exec_lo, exec_lo, s6
	s_and_saveexec_b32 s6, s1
	s_cbranch_execnz .LBB213_65
.LBB213_49:                             ;   in Loop: Header=BB213_23 Depth=2
	s_or_b32 exec_lo, exec_lo, s6
	s_and_saveexec_b32 s6, s0
	s_cbranch_execz .LBB213_22
	s_branch .LBB213_66
.LBB213_50:                             ;   in Loop: Header=BB213_23 Depth=2
	s_or_b32 s56, s24, 3
	s_mov_b32 s57, s25
	s_mul_u64 s[8:9], s[24:25], s[26:27]
	s_or_b32 s66, s24, 2
	s_mul_u64 s[56:57], s[56:57], s[26:27]
	s_mov_b32 s67, s25
	v_lshl_add_u64 v[44:45], s[8:9], 2, v[24:25]
	s_or_b32 s8, s24, 1
	s_mov_b32 s9, s25
	s_wait_dscnt 0x0
	v_lshl_add_u64 v[40:41], s[56:57], 2, v[24:25]
	s_mul_u64 s[56:57], s[66:67], s[26:27]
	s_mul_u64 s[8:9], s[8:9], s[26:27]
	s_clause 0x2
	flat_load_b32 v4, v[26:27]
	flat_load_b32 v5, v[28:29]
	;; [unrolled: 1-line block ×3, first 2 shown]
	v_lshl_add_u64 v[58:59], s[56:57], 2, v[24:25]
	v_lshl_add_u64 v[62:63], s[8:9], 2, v[24:25]
	s_clause 0x3
	flat_load_b128 v[40:43], v[40:41]
	flat_load_b128 v[54:57], v[44:45]
	;; [unrolled: 1-line block ×4, first 2 shown]
	flat_load_b32 v6, v[30:31]
	s_wait_loadcnt_dscnt 0x505
	s_wait_xcnt 0x3
	v_dual_mov_b32 v44, v5 :: v_dual_mov_b32 v66, v7
	s_wait_loadcnt_dscnt 0x404
	v_pk_mul_f32 v[40:41], v[4:5], v[40:41]
	s_wait_loadcnt_dscnt 0x303
	v_dual_mov_b32 v68, v54 :: v_dual_mov_b32 v54, v56
	s_wait_loadcnt_dscnt 0x202
	s_wait_xcnt 0x2
	v_dual_mul_f32 v58, v4, v58 :: v_dual_mul_f32 v70, v5, v59
	s_wait_loadcnt_dscnt 0x101
	v_dual_mov_b32 v59, v40 :: v_dual_mov_b32 v69, v62
	s_wait_xcnt 0x1
	v_dual_mov_b32 v62, v55 :: v_dual_mov_b32 v71, v41
	s_wait_loadcnt_dscnt 0x0
	v_pk_mul_f32 v[42:43], v[6:7], v[42:43]
	v_pk_add_f32 v[40:41], v[58:59], 0 op_sel_hi:[1,0]
	v_pk_fma_f32 v[58:59], v[4:5], v[68:69], 0 op_sel_hi:[0,1,0]
	v_dual_mul_f32 v68, v6, v60 :: v_dual_mov_b32 v55, v64
	s_delay_alu instid0(VALU_DEP_4) | instskip(NEXT) | instid1(VALU_DEP_4)
	v_dual_mov_b32 v69, v42 :: v_dual_mov_b32 v64, v57
	v_pk_add_f32 v[40:41], v[40:41], v[70:71]
	s_delay_alu instid0(VALU_DEP_4) | instskip(SKIP_1) | instid1(VALU_DEP_3)
	v_pk_fma_f32 v[44:45], v[44:45], v[62:63], v[58:59] op_sel_hi:[0,1,1]
	v_mul_f32_e32 v42, v7, v61
	v_pk_add_f32 v[40:41], v[40:41], v[68:69]
	s_delay_alu instid0(VALU_DEP_3) | instskip(NEXT) | instid1(VALU_DEP_2)
	v_pk_fma_f32 v[44:45], v[6:7], v[54:55], v[44:45] op_sel_hi:[0,1,1]
	v_pk_add_f32 v[40:41], v[40:41], v[42:43]
	s_delay_alu instid0(VALU_DEP_2)
	v_pk_fma_f32 v[42:43], v[66:67], v[64:65], v[44:45] op_sel_hi:[0,1,1]
	s_wait_xcnt 0x0
	s_and_not1_saveexec_b32 s9, s6
	s_cbranch_execz .LBB213_25
.LBB213_51:                             ;   in Loop: Header=BB213_23 Depth=2
	s_wait_dscnt 0x0
	v_dual_mov_b32 v41, 0 :: v_dual_mov_b32 v40, 0
	v_dual_mov_b32 v43, 0 :: v_dual_mov_b32 v42, 0
	s_and_saveexec_b32 s11, s5
	s_cbranch_execz .LBB213_68
; %bb.52:                               ;   in Loop: Header=BB213_23 Depth=2
	s_and_not1_b32 vcc_lo, exec_lo, s63
	s_cbranch_vccnz .LBB213_55
; %bb.53:                               ;   in Loop: Header=BB213_23 Depth=2
	v_mov_b64_e32 v[40:41], v[36:37]
	s_mov_b64 s[56:57], 0
.LBB213_54:                             ;   Parent Loop BB213_3 Depth=1
                                        ;     Parent Loop BB213_23 Depth=2
                                        ; =>    This Inner Loop Header: Depth=3
	flat_load_b32 v3, v[40:41]
	s_cmp_eq_u32 s56, 3
	s_wait_xcnt 0x0
	v_add_nc_u64_e32 v[40:41], s[44:45], v[40:41]
	s_cselect_b32 vcc_lo, -1, 0
	s_cmp_eq_u32 s56, 2
	s_cselect_b32 s6, -1, 0
	s_cmp_eq_u32 s56, 1
	s_cselect_b32 s7, -1, 0
	s_cmp_eq_u32 s56, 0
	s_add_nc_u64 s[56:57], s[56:57], 1
	s_cselect_b32 s8, -1, 0
	s_cmp_eq_u32 s61, s56
	s_wait_loadcnt_dscnt 0x0
	v_dual_cndmask_b32 v7, v7, v3, vcc_lo :: v_dual_cndmask_b32 v6, v6, v3, s6
	v_dual_cndmask_b32 v5, v5, v3, s7 :: v_dual_cndmask_b32 v4, v4, v3, s8
	s_cbranch_scc0 .LBB213_54
.LBB213_55:                             ;   in Loop: Header=BB213_23 Depth=2
	s_and_not1_b32 vcc_lo, exec_lo, s63
	s_cbranch_vccnz .LBB213_67
; %bb.56:                               ;   in Loop: Header=BB213_23 Depth=2
	v_mov_b32_e32 v42, 0
	v_mov_b64_e32 v[44:45], v[38:39]
	s_mov_b64 s[6:7], 0
	s_delay_alu instid0(VALU_DEP_2)
	v_dual_mov_b32 v43, v42 :: v_dual_mov_b32 v40, v42
	v_mov_b32_e32 v41, v42
.LBB213_57:                             ;   Parent Loop BB213_3 Depth=1
                                        ;     Parent Loop BB213_23 Depth=2
                                        ; =>    This Inner Loop Header: Depth=3
	s_delay_alu instid0(VALU_DEP_3)
	v_add_nc_u64_e32 v[54:55], s[48:49], v[44:45]
	v_add_nc_u64_e32 v[56:57], s[34:35], v[44:45]
	s_wait_xcnt 0x0
	v_add_nc_u64_e32 v[58:59], s[52:53], v[44:45]
	s_cmp_eq_u32 s6, 1
	s_clause 0x3
	flat_load_b32 v60, v[44:45]
	flat_load_b32 v54, v[54:55]
	;; [unrolled: 1-line block ×4, first 2 shown]
	s_cselect_b32 vcc_lo, -1, 0
	s_cmp_eq_u32 s6, 2
	v_cndmask_b32_e32 v3, v4, v5, vcc_lo
	s_cselect_b32 vcc_lo, -1, 0
	s_cmp_eq_u32 s6, 3
	v_add_nc_u64_e32 v[44:45], 4, v[44:45]
	s_add_nc_u64 s[6:7], s[6:7], 1
	v_cndmask_b32_e32 v3, v3, v6, vcc_lo
	s_cselect_b32 vcc_lo, -1, 0
	s_cmp_lg_u32 s61, s6
	s_wait_xcnt 0x1
	s_delay_alu instid0(VALU_DEP_1) | instskip(SKIP_1) | instid1(VALU_DEP_1)
	v_cndmask_b32_e32 v56, v3, v7, vcc_lo
	s_wait_loadcnt_dscnt 0x101
	v_pk_fma_f32 v[40:41], v[56:57], v[54:55], v[40:41] op_sel_hi:[0,1,1]
	s_wait_loadcnt_dscnt 0x0
	v_pk_fma_f32 v[42:43], v[56:57], v[60:61], v[42:43] op_sel_hi:[0,1,1]
	s_cbranch_scc1 .LBB213_57
	s_branch .LBB213_68
.LBB213_58:                             ;   in Loop: Header=BB213_23 Depth=2
	ds_load_b32 v3, v47
	s_or_b32 exec_lo, exec_lo, s6
	s_and_saveexec_b32 s6, s1
	s_cbranch_execz .LBB213_31
.LBB213_59:                             ;   in Loop: Header=BB213_23 Depth=2
	s_wait_dscnt 0x0
	ds_bpermute_b32 v42, v51, v3
	s_wait_dscnt 0x0
	v_add_f32_e32 v3, v3, v42
	ds_bpermute_b32 v42, v52, v3
	s_wait_dscnt 0x0
	v_add_f32_e32 v3, v3, v42
	;; [unrolled: 3-line block ×3, first 2 shown]
	s_or_b32 exec_lo, exec_lo, s6
	s_and_saveexec_b32 s6, s1
	s_cbranch_execnz .LBB213_32
	s_branch .LBB213_33
.LBB213_60:                             ;   in Loop: Header=BB213_23 Depth=2
	ds_load_b32 v42, v47
	s_or_b32 exec_lo, exec_lo, s6
	s_and_saveexec_b32 s6, s1
	s_cbranch_execz .LBB213_37
.LBB213_61:                             ;   in Loop: Header=BB213_23 Depth=2
	s_wait_dscnt 0x0
	ds_bpermute_b32 v43, v51, v42
	s_wait_dscnt 0x0
	v_add_f32_e32 v42, v42, v43
	ds_bpermute_b32 v43, v52, v42
	s_wait_dscnt 0x0
	v_add_f32_e32 v42, v42, v43
	;; [unrolled: 3-line block ×3, first 2 shown]
	s_or_b32 exec_lo, exec_lo, s6
	s_and_saveexec_b32 s6, s1
	s_cbranch_execnz .LBB213_38
	s_branch .LBB213_39
.LBB213_62:                             ;   in Loop: Header=BB213_23 Depth=2
	ds_load_b32 v40, v47
	s_or_b32 exec_lo, exec_lo, s6
	s_and_saveexec_b32 s6, s1
	s_cbranch_execz .LBB213_43
.LBB213_63:                             ;   in Loop: Header=BB213_23 Depth=2
	s_wait_dscnt 0x0
	ds_bpermute_b32 v43, v51, v40
	s_wait_dscnt 0x0
	v_add_f32_e32 v40, v40, v43
	ds_bpermute_b32 v43, v52, v40
	s_wait_dscnt 0x0
	v_add_f32_e32 v40, v40, v43
	;; [unrolled: 3-line block ×3, first 2 shown]
	s_or_b32 exec_lo, exec_lo, s6
	s_and_saveexec_b32 s6, s1
	s_cbranch_execnz .LBB213_44
	s_branch .LBB213_45
.LBB213_64:                             ;   in Loop: Header=BB213_23 Depth=2
	ds_load_b32 v41, v47
	s_or_b32 exec_lo, exec_lo, s6
	s_and_saveexec_b32 s6, s1
	s_cbranch_execz .LBB213_49
.LBB213_65:                             ;   in Loop: Header=BB213_23 Depth=2
	s_wait_dscnt 0x0
	ds_bpermute_b32 v43, v51, v41
	s_wait_dscnt 0x0
	v_add_f32_e32 v41, v41, v43
	ds_bpermute_b32 v43, v52, v41
	s_wait_dscnt 0x0
	v_add_f32_e32 v41, v41, v43
	;; [unrolled: 3-line block ×3, first 2 shown]
	s_or_b32 exec_lo, exec_lo, s6
	s_and_saveexec_b32 s6, s0
	s_cbranch_execz .LBB213_22
.LBB213_66:                             ;   in Loop: Header=BB213_23 Depth=2
	s_or_b32 s56, s24, 1
	s_mov_b32 s57, s25
	s_mul_u64 s[8:9], s[24:25], s[30:31]
	v_dual_mul_f32 v3, s22, v3 :: v_dual_mul_f32 v42, s22, v42
	s_mul_u64 s[56:57], s[56:57], s[30:31]
	s_lshl_b64 s[8:9], s[8:9], 2
	s_lshl_b64 s[56:57], s[56:57], 2
	s_add_nc_u64 s[8:9], s[54:55], s[8:9]
	s_add_nc_u64 s[56:57], s[54:55], s[56:57]
	s_clause 0x1
	global_store_b32 v2, v3, s[8:9]
	global_store_b32 v2, v42, s[56:57]
	s_wait_xcnt 0x1
	s_or_b32 s8, s24, 2
	s_mov_b32 s9, s25
	s_wait_xcnt 0x0
	s_or_b32 s56, s24, 3
	s_mov_b32 s57, s25
	s_mul_u64 s[8:9], s[8:9], s[30:31]
	s_wait_dscnt 0x0
	v_dual_mul_f32 v3, s22, v40 :: v_dual_mul_f32 v40, s22, v41
	s_mul_u64 s[56:57], s[56:57], s[30:31]
	s_lshl_b64 s[8:9], s[8:9], 2
	s_lshl_b64 s[56:57], s[56:57], 2
	s_add_nc_u64 s[8:9], s[54:55], s[8:9]
	s_add_nc_u64 s[56:57], s[54:55], s[56:57]
	s_clause 0x1
	global_store_b32 v2, v3, s[8:9]
	global_store_b32 v2, v40, s[56:57]
	s_branch .LBB213_22
.LBB213_67:                             ;   in Loop: Header=BB213_23 Depth=2
	v_mov_b32_e32 v41, 0
	s_delay_alu instid0(VALU_DEP_1)
	v_dual_mov_b32 v40, v41 :: v_dual_mov_b32 v43, v41
	v_mov_b32_e32 v42, v41
.LBB213_68:                             ;   in Loop: Header=BB213_23 Depth=2
	s_wait_xcnt 0x0
	s_or_b32 exec_lo, exec_lo, s11
	s_delay_alu instid0(SALU_CYCLE_1)
	s_or_b32 exec_lo, exec_lo, s9
	s_and_saveexec_b32 s6, s1
	s_cbranch_execnz .LBB213_26
	s_branch .LBB213_27
.LBB213_69:                             ;   in Loop: Header=BB213_3 Depth=1
	v_dual_mov_b32 v3, v2 :: v_dual_mov_b32 v4, v2
	v_mov_b32_e32 v5, v2
	s_mov_b32 s24, 0
	s_delay_alu instid0(VALU_DEP_1) | instskip(NEXT) | instid1(VALU_DEP_3)
	v_mov_b64_e32 v[6:7], v[4:5]
	v_mov_b64_e32 v[4:5], v[2:3]
.LBB213_70:                             ;   in Loop: Header=BB213_3 Depth=1
	s_cmp_ge_i32 s24, s21
	s_cbranch_scc1 .LBB213_2
; %bb.71:                               ;   in Loop: Header=BB213_3 Depth=1
	v_add_nc_u64_e32 v[0:1], v[0:1], v[18:19]
	v_cmp_gt_u32_e32 vcc_lo, 24, v46
	s_delay_alu instid0(VALU_DEP_2) | instskip(SKIP_2) | instid1(VALU_DEP_2)
	v_mad_nc_u64_u32 v[36:37], s52, s24, v[0:1]
	v_cndmask_b32_e64 v0, 0, 8, vcc_lo
	v_cmp_gt_u32_e32 vcc_lo, 28, v46
	v_add_lshl_u32 v1, v0, v46, 2
	v_cndmask_b32_e64 v3, 0, 4, vcc_lo
	v_cmp_gt_u32_e32 vcc_lo, 30, v46
	v_mad_u32 v37, s53, s24, v37
	s_delay_alu instid0(VALU_DEP_3) | instskip(SKIP_2) | instid1(VALU_DEP_2)
	v_add_lshl_u32 v3, v3, v46, 2
	v_cndmask_b32_e64 v38, 0, 2, vcc_lo
	v_cmp_ne_u32_e32 vcc_lo, 31, v46
	v_add_lshl_u32 v40, v38, v46, 2
	v_add_co_ci_u32_e64 v39, null, 0, v46, vcc_lo
	s_wait_dscnt 0x0
	s_delay_alu instid0(VALU_DEP_1)
	v_lshlrev_b32_e32 v41, 2, v39
	s_branch .LBB213_73
.LBB213_72:                             ;   in Loop: Header=BB213_73 Depth=2
	s_wait_xcnt 0x0
	s_or_b32 exec_lo, exec_lo, s6
	v_add_nc_u64_e32 v[36:37], s[52:53], v[36:37]
	s_add_co_i32 s24, s24, 1
	s_delay_alu instid0(SALU_CYCLE_1)
	s_cmp_ge_i32 s24, s21
	s_cbranch_scc1 .LBB213_2
.LBB213_73:                             ;   Parent Loop BB213_3 Depth=1
                                        ; =>  This Loop Header: Depth=2
                                        ;       Child Loop BB213_86 Depth 3
                                        ;       Child Loop BB213_89 Depth 3
	s_wait_dscnt 0x0
	v_mov_b32_e32 v0, s25
	s_and_saveexec_b32 s6, s4
	s_delay_alu instid0(SALU_CYCLE_1)
	s_xor_b32 s6, exec_lo, s6
	s_cbranch_execnz .LBB213_82
; %bb.74:                               ;   in Loop: Header=BB213_73 Depth=2
	s_and_not1_saveexec_b32 s9, s6
	s_cbranch_execnz .LBB213_83
.LBB213_75:                             ;   in Loop: Header=BB213_73 Depth=2
	s_or_b32 exec_lo, exec_lo, s9
	s_and_saveexec_b32 s6, s1
.LBB213_76:                             ;   in Loop: Header=BB213_73 Depth=2
	ds_store_b32 v47, v2
.LBB213_77:                             ;   in Loop: Header=BB213_73 Depth=2
	s_or_b32 exec_lo, exec_lo, s6
	ds_bpermute_b32 v38, v49, v0
	s_wait_storecnt_dscnt 0x0
	s_barrier_signal -1
	s_barrier_wait -1
	v_add_f32_e32 v0, v0, v38
	ds_bpermute_b32 v38, v1, v0
	s_wait_dscnt 0x0
	v_add_f32_e32 v0, v0, v38
	ds_bpermute_b32 v38, v3, v0
	s_wait_dscnt 0x0
	;; [unrolled: 3-line block ×3, first 2 shown]
	v_add_f32_e32 v0, v0, v38
	ds_bpermute_b32 v38, v41, v0
	s_and_saveexec_b32 s6, s3
	s_cbranch_execz .LBB213_79
; %bb.78:                               ;   in Loop: Header=BB213_73 Depth=2
	s_wait_dscnt 0x0
	v_add_f32_e32 v0, v0, v38
	ds_store_b32 v48, v0
.LBB213_79:                             ;   in Loop: Header=BB213_73 Depth=2
	s_or_b32 exec_lo, exec_lo, s6
	v_mov_b32_e32 v0, 0
	s_wait_dscnt 0x0
	s_barrier_signal -1
	s_barrier_wait -1
	s_and_saveexec_b32 s6, s2
	s_cbranch_execnz .LBB213_91
; %bb.80:                               ;   in Loop: Header=BB213_73 Depth=2
	s_or_b32 exec_lo, exec_lo, s6
	s_and_saveexec_b32 s6, s1
	s_cbranch_execnz .LBB213_92
.LBB213_81:                             ;   in Loop: Header=BB213_73 Depth=2
	s_or_b32 exec_lo, exec_lo, s6
	s_and_saveexec_b32 s6, s0
	s_cbranch_execz .LBB213_72
	s_branch .LBB213_93
.LBB213_82:                             ;   in Loop: Header=BB213_73 Depth=2
	s_mul_u64 s[8:9], s[24:25], s[26:27]
	s_delay_alu instid0(SALU_CYCLE_1)
	v_lshl_add_u64 v[4:5], s[8:9], 2, v[24:25]
	flat_load_b128 v[42:45], v[4:5]
	s_clause 0x3
	flat_load_b32 v4, v[26:27]
	flat_load_b32 v5, v[28:29]
	;; [unrolled: 1-line block ×4, first 2 shown]
	s_wait_loadcnt_dscnt 0x202
	v_pk_mul_f32 v[38:39], v[4:5], v[42:43]
	s_delay_alu instid0(VALU_DEP_1) | instskip(NEXT) | instid1(VALU_DEP_1)
	v_add_f32_e32 v0, 0, v38
	v_add_f32_e32 v0, v0, v39
	s_wait_loadcnt_dscnt 0x0
	v_pk_mul_f32 v[38:39], v[6:7], v[44:45]
	s_delay_alu instid0(VALU_DEP_1) | instskip(NEXT) | instid1(VALU_DEP_1)
	v_add_f32_e32 v0, v0, v38
	v_add_f32_e32 v0, v0, v39
	s_wait_xcnt 0x0
	s_and_not1_saveexec_b32 s9, s6
	s_cbranch_execz .LBB213_75
.LBB213_83:                             ;   in Loop: Header=BB213_73 Depth=2
	s_and_saveexec_b32 s11, s5
	s_cbranch_execz .LBB213_90
; %bb.84:                               ;   in Loop: Header=BB213_73 Depth=2
	s_and_not1_b32 vcc_lo, exec_lo, s63
	s_cbranch_vccnz .LBB213_87
; %bb.85:                               ;   in Loop: Header=BB213_73 Depth=2
	v_mov_b64_e32 v[38:39], v[34:35]
	s_mov_b64 s[56:57], 0
.LBB213_86:                             ;   Parent Loop BB213_3 Depth=1
                                        ;     Parent Loop BB213_73 Depth=2
                                        ; =>    This Inner Loop Header: Depth=3
	flat_load_b32 v42, v[38:39]
	s_cmp_eq_u32 s56, 3
	s_wait_xcnt 0x0
	v_add_nc_u64_e32 v[38:39], s[44:45], v[38:39]
	s_cselect_b32 vcc_lo, -1, 0
	s_cmp_eq_u32 s56, 2
	s_cselect_b32 s6, -1, 0
	s_cmp_eq_u32 s56, 1
	s_cselect_b32 s7, -1, 0
	s_cmp_eq_u32 s56, 0
	s_add_nc_u64 s[56:57], s[56:57], 1
	s_cselect_b32 s8, -1, 0
	s_cmp_eq_u32 s61, s56
	s_wait_loadcnt_dscnt 0x0
	v_dual_cndmask_b32 v7, v7, v42, vcc_lo :: v_dual_cndmask_b32 v6, v6, v42, s6
	v_dual_cndmask_b32 v5, v5, v42, s7 :: v_dual_cndmask_b32 v4, v4, v42, s8
	s_cbranch_scc0 .LBB213_86
.LBB213_87:                             ;   in Loop: Header=BB213_73 Depth=2
	s_and_not1_b32 vcc_lo, exec_lo, s63
	s_cbranch_vccnz .LBB213_90
; %bb.88:                               ;   in Loop: Header=BB213_73 Depth=2
	v_mov_b64_e32 v[38:39], v[36:37]
	s_mov_b64 s[6:7], 0
.LBB213_89:                             ;   Parent Loop BB213_3 Depth=1
                                        ;     Parent Loop BB213_73 Depth=2
                                        ; =>    This Inner Loop Header: Depth=3
	flat_load_b32 v42, v[38:39]
	s_cmp_eq_u32 s6, 1
	s_wait_xcnt 0x0
	v_add_nc_u64_e32 v[38:39], 4, v[38:39]
	s_cselect_b32 vcc_lo, -1, 0
	s_cmp_eq_u32 s6, 2
	v_cndmask_b32_e32 v43, v4, v5, vcc_lo
	s_cselect_b32 vcc_lo, -1, 0
	s_cmp_eq_u32 s6, 3
	s_add_nc_u64 s[6:7], s[6:7], 1
	s_delay_alu instid0(VALU_DEP_1) | instskip(SKIP_2) | instid1(VALU_DEP_1)
	v_cndmask_b32_e32 v43, v43, v6, vcc_lo
	s_cselect_b32 vcc_lo, -1, 0
	s_cmp_lg_u32 s61, s6
	v_cndmask_b32_e32 v43, v43, v7, vcc_lo
	s_wait_loadcnt_dscnt 0x0
	s_delay_alu instid0(VALU_DEP_1)
	v_fmac_f32_e32 v0, v43, v42
	s_cbranch_scc1 .LBB213_89
.LBB213_90:                             ;   in Loop: Header=BB213_73 Depth=2
	s_or_b32 exec_lo, exec_lo, s11
	s_delay_alu instid0(SALU_CYCLE_1)
	s_or_b32 exec_lo, exec_lo, s9
	s_and_saveexec_b32 s6, s1
	s_cbranch_execnz .LBB213_76
	s_branch .LBB213_77
.LBB213_91:                             ;   in Loop: Header=BB213_73 Depth=2
	ds_load_b32 v0, v47
	s_or_b32 exec_lo, exec_lo, s6
	s_and_saveexec_b32 s6, s1
	s_cbranch_execz .LBB213_81
.LBB213_92:                             ;   in Loop: Header=BB213_73 Depth=2
	s_wait_dscnt 0x0
	ds_bpermute_b32 v38, v3, v0
	s_wait_dscnt 0x0
	v_add_f32_e32 v0, v0, v38
	ds_bpermute_b32 v38, v40, v0
	s_wait_dscnt 0x0
	v_add_f32_e32 v0, v0, v38
	;; [unrolled: 3-line block ×3, first 2 shown]
	s_or_b32 exec_lo, exec_lo, s6
	s_and_saveexec_b32 s6, s0
	s_cbranch_execz .LBB213_72
.LBB213_93:                             ;   in Loop: Header=BB213_73 Depth=2
	s_mul_u64 s[8:9], s[24:25], s[30:31]
	s_wait_dscnt 0x0
	v_mul_f32_e32 v0, s22, v0
	s_lshl_b64 s[8:9], s[8:9], 2
	s_delay_alu instid0(SALU_CYCLE_1)
	s_add_nc_u64 s[8:9], s[54:55], s[8:9]
	global_store_b32 v2, v0, s[8:9]
	s_branch .LBB213_72
.LBB213_94:
	s_sendmsg sendmsg(MSG_DEALLOC_VGPRS)
	s_endpgm
	.section	.rodata,"a",@progbits
	.p2align	6, 0x0
	.amdhsa_kernel _ZL23rocblas_gemvt_sn_kernelILb0ELi256ELi4ElPKfffEviiT4_lPKT3_lilS5_lilPT5_i
		.amdhsa_group_segment_fixed_size 128
		.amdhsa_private_segment_fixed_size 0
		.amdhsa_kernarg_size 360
		.amdhsa_user_sgpr_count 2
		.amdhsa_user_sgpr_dispatch_ptr 0
		.amdhsa_user_sgpr_queue_ptr 0
		.amdhsa_user_sgpr_kernarg_segment_ptr 1
		.amdhsa_user_sgpr_dispatch_id 0
		.amdhsa_user_sgpr_kernarg_preload_length 0
		.amdhsa_user_sgpr_kernarg_preload_offset 0
		.amdhsa_user_sgpr_private_segment_size 0
		.amdhsa_wavefront_size32 1
		.amdhsa_uses_dynamic_stack 0
		.amdhsa_enable_private_segment 0
		.amdhsa_system_sgpr_workgroup_id_x 1
		.amdhsa_system_sgpr_workgroup_id_y 0
		.amdhsa_system_sgpr_workgroup_id_z 1
		.amdhsa_system_sgpr_workgroup_info 0
		.amdhsa_system_vgpr_workitem_id 0
		.amdhsa_next_free_vgpr 72
		.amdhsa_next_free_sgpr 68
		.amdhsa_named_barrier_count 0
		.amdhsa_reserve_vcc 1
		.amdhsa_float_round_mode_32 0
		.amdhsa_float_round_mode_16_64 0
		.amdhsa_float_denorm_mode_32 3
		.amdhsa_float_denorm_mode_16_64 3
		.amdhsa_fp16_overflow 0
		.amdhsa_memory_ordered 1
		.amdhsa_forward_progress 1
		.amdhsa_inst_pref_size 32
		.amdhsa_round_robin_scheduling 0
		.amdhsa_exception_fp_ieee_invalid_op 0
		.amdhsa_exception_fp_denorm_src 0
		.amdhsa_exception_fp_ieee_div_zero 0
		.amdhsa_exception_fp_ieee_overflow 0
		.amdhsa_exception_fp_ieee_underflow 0
		.amdhsa_exception_fp_ieee_inexact 0
		.amdhsa_exception_int_div_zero 0
	.end_amdhsa_kernel
	.section	.text._ZL23rocblas_gemvt_sn_kernelILb0ELi256ELi4ElPKfffEviiT4_lPKT3_lilS5_lilPT5_i,"axG",@progbits,_ZL23rocblas_gemvt_sn_kernelILb0ELi256ELi4ElPKfffEviiT4_lPKT3_lilS5_lilPT5_i,comdat
.Lfunc_end213:
	.size	_ZL23rocblas_gemvt_sn_kernelILb0ELi256ELi4ElPKfffEviiT4_lPKT3_lilS5_lilPT5_i, .Lfunc_end213-_ZL23rocblas_gemvt_sn_kernelILb0ELi256ELi4ElPKfffEviiT4_lPKT3_lilS5_lilPT5_i
                                        ; -- End function
	.set _ZL23rocblas_gemvt_sn_kernelILb0ELi256ELi4ElPKfffEviiT4_lPKT3_lilS5_lilPT5_i.num_vgpr, 72
	.set _ZL23rocblas_gemvt_sn_kernelILb0ELi256ELi4ElPKfffEviiT4_lPKT3_lilS5_lilPT5_i.num_agpr, 0
	.set _ZL23rocblas_gemvt_sn_kernelILb0ELi256ELi4ElPKfffEviiT4_lPKT3_lilS5_lilPT5_i.numbered_sgpr, 68
	.set _ZL23rocblas_gemvt_sn_kernelILb0ELi256ELi4ElPKfffEviiT4_lPKT3_lilS5_lilPT5_i.num_named_barrier, 0
	.set _ZL23rocblas_gemvt_sn_kernelILb0ELi256ELi4ElPKfffEviiT4_lPKT3_lilS5_lilPT5_i.private_seg_size, 0
	.set _ZL23rocblas_gemvt_sn_kernelILb0ELi256ELi4ElPKfffEviiT4_lPKT3_lilS5_lilPT5_i.uses_vcc, 1
	.set _ZL23rocblas_gemvt_sn_kernelILb0ELi256ELi4ElPKfffEviiT4_lPKT3_lilS5_lilPT5_i.uses_flat_scratch, 1
	.set _ZL23rocblas_gemvt_sn_kernelILb0ELi256ELi4ElPKfffEviiT4_lPKT3_lilS5_lilPT5_i.has_dyn_sized_stack, 0
	.set _ZL23rocblas_gemvt_sn_kernelILb0ELi256ELi4ElPKfffEviiT4_lPKT3_lilS5_lilPT5_i.has_recursion, 0
	.set _ZL23rocblas_gemvt_sn_kernelILb0ELi256ELi4ElPKfffEviiT4_lPKT3_lilS5_lilPT5_i.has_indirect_call, 0
	.section	.AMDGPU.csdata,"",@progbits
; Kernel info:
; codeLenInByte = 4016
; TotalNumSgprs: 70
; NumVgprs: 72
; ScratchSize: 0
; MemoryBound: 0
; FloatMode: 240
; IeeeMode: 1
; LDSByteSize: 128 bytes/workgroup (compile time only)
; SGPRBlocks: 0
; VGPRBlocks: 4
; NumSGPRsForWavesPerEU: 70
; NumVGPRsForWavesPerEU: 72
; NamedBarCnt: 0
; Occupancy: 12
; WaveLimiterHint : 0
; COMPUTE_PGM_RSRC2:SCRATCH_EN: 0
; COMPUTE_PGM_RSRC2:USER_SGPR: 2
; COMPUTE_PGM_RSRC2:TRAP_HANDLER: 0
; COMPUTE_PGM_RSRC2:TGID_X_EN: 1
; COMPUTE_PGM_RSRC2:TGID_Y_EN: 0
; COMPUTE_PGM_RSRC2:TGID_Z_EN: 1
; COMPUTE_PGM_RSRC2:TIDIG_COMP_CNT: 0
	.section	.text._ZL36rocblas_gemvt_double_buffered_kernelILb0ELi128ELi8ELi8EPKfS1_KPfEviiT4_lPKT3_lilS7_lilPT5_lili,"axG",@progbits,_ZL36rocblas_gemvt_double_buffered_kernelILb0ELi128ELi8ELi8EPKfS1_KPfEviiT4_lPKT3_lilS7_lilPT5_lili,comdat
	.globl	_ZL36rocblas_gemvt_double_buffered_kernelILb0ELi128ELi8ELi8EPKfS1_KPfEviiT4_lPKT3_lilS7_lilPT5_lili ; -- Begin function _ZL36rocblas_gemvt_double_buffered_kernelILb0ELi128ELi8ELi8EPKfS1_KPfEviiT4_lPKT3_lilS7_lilPT5_lili
	.p2align	8
	.type	_ZL36rocblas_gemvt_double_buffered_kernelILb0ELi128ELi8ELi8EPKfS1_KPfEviiT4_lPKT3_lilS7_lilPT5_lili,@function
_ZL36rocblas_gemvt_double_buffered_kernelILb0ELi128ELi8ELi8EPKfS1_KPfEviiT4_lPKT3_lilS7_lilPT5_lili: ; @_ZL36rocblas_gemvt_double_buffered_kernelILb0ELi128ELi8ELi8EPKfS1_KPfEviiT4_lPKT3_lilS7_lilPT5_lili
; %bb.0:
	s_load_b32 s33, s[0:1], 0x78
	s_bfe_u32 s2, ttmp6, 0x40014
	s_lshr_b32 s3, ttmp7, 16
	s_add_co_i32 s2, s2, 1
	s_bfe_u32 s5, ttmp6, 0x40008
	s_mul_i32 s2, s3, s2
	s_getreg_b32 s4, hwreg(HW_REG_IB_STS2, 6, 4)
	s_add_co_i32 s5, s5, s2
	s_cmp_eq_u32 s4, 0
	s_cselect_b32 s2, s3, s5
	s_mov_b32 s3, 0
	s_wait_kmcnt 0x0
	s_cmp_ge_u32 s2, s33
	s_cbranch_scc1 .LBB214_15
; %bb.1:
	s_clause 0x5
	s_load_b32 s5, s[0:1], 0x0
	s_load_b32 s20, s[0:1], 0x28
	s_load_b128 s[12:15], s[0:1], 0x38
	s_load_b32 s22, s[0:1], 0x48
	s_load_b128 s[16:19], s[0:1], 0x58
	s_load_b32 s30, s[0:1], 0x68
	s_bfe_u32 s7, ttmp6, 0x4000c
	v_and_b32_e32 v8, 0x3ff, v0
	s_add_co_i32 s7, s7, 1
	s_and_b32 s6, ttmp6, 15
	s_mul_i32 s7, ttmp9, s7
	s_bfe_u32 s8, ttmp6, 0x40010
	s_add_co_i32 s26, s6, s7
	v_dual_mov_b32 v3, 0 :: v_dual_add_nc_u32 v10, 1, v8
	s_and_b32 s25, ttmp7, 0xffff
	s_add_co_i32 s8, s8, 1
	s_bfe_u32 s9, ttmp6, 0x40004
	s_mul_i32 s8, s25, s8
	v_bfe_u32 v6, v0, 10, 10
	s_wait_kmcnt 0x0
	s_ashr_i32 s6, s5, 31
	s_add_co_i32 s27, s9, s8
	s_lshr_b32 s6, s6, 25
	s_ashr_i32 s21, s20, 31
	s_add_co_i32 s5, s5, s6
	s_ashr_i32 s23, s22, 31
	s_ashr_i32 s31, s30, 31
	;; [unrolled: 1-line block ×3, first 2 shown]
	v_dual_lshlrev_b32 v26, 8, v8 :: v_dual_bitop2_b32 v10, 63, v10 bitop3:0x40
	s_cmp_eq_u32 s4, 0
	v_lshl_add_u32 v1, v6, 7, v8
	s_cselect_b32 s26, ttmp9, s26
	s_load_b256 s[4:11], s[0:1], 0x8
	s_cselect_b32 s40, s25, s27
	s_lshl_b32 s38, s26, 7
	s_add_nc_u64 s[26:27], s[0:1], 0x80
	s_wait_xcnt 0x0
	v_cmp_eq_u32_e64 s0, 0, v6
	v_lshl_or_b32 v6, v10, 2, v26
	v_dual_lshrrev_b32 v7, 3, v1 :: v_dual_bitop2_b32 v2, 63, v0 bitop3:0x40
	v_add_nc_u32_e32 v10, 5, v8
	s_ashr_i32 s39, s38, 31
	scratch_store_b32 off, v6, off          ; 4-byte Folded Spill
	s_wait_xcnt 0x0
	v_add_nc_u32_e32 v6, 2, v8
	v_and_b32_e32 v9, 0x7ff8, v7
	v_lshl_or_b32 v25, v7, 8, 0x700
	v_dual_add_nc_u32 v7, 3, v8 :: v_dual_add_nc_u32 v11, 6, v8
	s_delay_alu instid0(VALU_DEP_4) | instskip(NEXT) | instid1(VALU_DEP_4)
	v_and_b32_e32 v6, 63, v6
	v_mad_nc_i64_i32 v[4:5], s20, v9, v[2:3]
	v_dual_lshlrev_b32 v2, 2, v2 :: v_dual_lshlrev_b32 v24, 8, v9
	s_delay_alu instid0(VALU_DEP_4) | instskip(NEXT) | instid1(VALU_DEP_4)
	v_dual_add_nc_u32 v9, 4, v8 :: v_dual_bitop2_b32 v7, 63, v7 bitop3:0x40
	v_lshl_or_b32 v6, v6, 2, v26
	v_and_b32_e32 v10, 63, v10
	v_and_b32_e32 v11, 63, v11
	s_delay_alu instid0(VALU_DEP_4)
	v_and_b32_e32 v9, 63, v9
	s_wait_kmcnt 0x0
	s_lshl_b64 s[10:11], s[10:11], 2
	scratch_store_b32 off, v6, off offset:4 ; 4-byte Folded Spill
	s_wait_xcnt 0x0
	v_lshl_or_b32 v6, v7, 2, v26
	v_add_nc_u32_e32 v7, 8, v8
	v_bitop3_b32 v0, v0, 32, 63 bitop3:0x6c
	v_or_b32_e32 v81, v26, v2
	s_mul_u64 s[34:35], s[20:21], s[38:39]
	scratch_store_b32 off, v6, off offset:8 ; 4-byte Folded Spill
	s_wait_xcnt 0x0
	v_lshl_or_b32 v6, v9, 2, v26
	v_dual_add_nc_u32 v9, 9, v8 :: v_dual_bitop2_b32 v7, 63, v7 bitop3:0x40
	v_lshl_or_b32 v104, v0, 2, v26
	v_add_nc_u32_e32 v0, 36, v8
	scratch_store_b32 off, v6, off offset:12 ; 4-byte Folded Spill
	s_wait_xcnt 0x0
	v_lshl_or_b32 v6, v10, 2, v26
	v_dual_add_nc_u32 v10, 10, v8 :: v_dual_bitop2_b32 v9, 63, v9 bitop3:0x40
	s_mul_u64 s[36:37], s[30:31], s[38:39]
	s_lshl_b64 s[28:29], s[22:23], 9
	scratch_store_b32 off, v6, off offset:16 ; 4-byte Folded Spill
	s_wait_xcnt 0x0
	v_lshl_or_b32 v6, v11, 2, v26
	v_and_b32_e32 v10, 63, v10
	s_mov_b32 s25, s3
	s_lshl_b64 s[14:15], s[14:15], 2
	s_lshl_b64 s[34:35], s[34:35], 2
	scratch_store_b32 off, v6, off offset:20 ; 4-byte Folded Spill
	s_wait_xcnt 0x0
	v_dual_add_nc_u32 v6, 7, v8 :: v_dual_add_nc_u32 v11, 11, v8
	s_lshl_b64 s[18:19], s[18:19], 2
	s_lshl_b64 s[36:37], s[36:37], 2
	s_delay_alu instid0(VALU_DEP_1) | instskip(NEXT) | instid1(VALU_DEP_2)
	v_dual_lshrrev_b32 v1, 1, v1 :: v_dual_bitop2_b32 v6, 63, v6 bitop3:0x40
	v_dual_add_nc_u32 v12, 25, v8 :: v_dual_bitop2_b32 v11, 63, v11 bitop3:0x40
	v_dual_add_nc_u32 v16, 27, v8 :: v_dual_add_nc_u32 v14, 26, v8
	s_delay_alu instid0(VALU_DEP_3) | instskip(SKIP_1) | instid1(VALU_DEP_3)
	v_lshl_or_b32 v6, v6, 2, v26
	v_dual_add_nc_u32 v30, 28, v8 :: v_dual_add_nc_u32 v83, v2, v25
	v_dual_add_nc_u32 v82, v2, v24 :: v_dual_bitop2_b32 v27, 63, v14 bitop3:0x40
	scratch_store_b32 off, v6, off offset:24 ; 4-byte Folded Spill
	s_wait_xcnt 0x0
	v_lshl_or_b32 v6, v7, 2, v26
	v_add_nc_u32_e32 v7, 13, v8
	v_lshl_or_b32 v98, v27, 2, v26
	v_and_b32_e32 v27, 63, v30
	scratch_store_b32 off, v6, off offset:28 ; 4-byte Folded Spill
	s_wait_xcnt 0x0
	v_lshl_or_b32 v6, v9, 2, v26
	v_dual_add_nc_u32 v9, 14, v8 :: v_dual_bitop2_b32 v7, 63, v7 bitop3:0x40
	v_lshl_or_b32 v100, v27, 2, v26
	v_add_nc_u32_e32 v27, 31, v8
	scratch_store_b32 off, v6, off offset:32 ; 4-byte Folded Spill
	s_wait_xcnt 0x0
	v_lshl_or_b32 v6, v10, 2, v26
	v_dual_add_nc_u32 v10, 15, v8 :: v_dual_bitop2_b32 v9, 63, v9 bitop3:0x40
	v_add_nc_u32_e32 v30, 62, v8
	scratch_store_b32 off, v6, off offset:36 ; 4-byte Folded Spill
	s_wait_xcnt 0x0
	v_lshl_or_b32 v6, v11, 2, v26
	v_and_b32_e32 v10, 63, v10
	scratch_store_b32 off, v6, off offset:40 ; 4-byte Folded Spill
	s_wait_xcnt 0x0
	v_dual_add_nc_u32 v6, 12, v8 :: v_dual_add_nc_u32 v11, 16, v8
	s_delay_alu instid0(VALU_DEP_1) | instskip(NEXT) | instid1(VALU_DEP_2)
	v_and_b32_e32 v6, 63, v6
	v_and_b32_e32 v11, 63, v11
	s_delay_alu instid0(VALU_DEP_2)
	v_lshl_or_b32 v6, v6, 2, v26
	scratch_store_b32 off, v6, off offset:44 ; 4-byte Folded Spill
	s_wait_xcnt 0x0
	v_lshl_or_b32 v6, v7, 2, v26
	v_add_nc_u32_e32 v7, 18, v8
	scratch_store_b32 off, v6, off offset:48 ; 4-byte Folded Spill
	s_wait_xcnt 0x0
	v_lshl_or_b32 v6, v9, 2, v26
	v_dual_add_nc_u32 v9, 19, v8 :: v_dual_bitop2_b32 v7, 63, v7 bitop3:0x40
	scratch_store_b32 off, v6, off offset:52 ; 4-byte Folded Spill
	s_wait_xcnt 0x0
	v_lshl_or_b32 v6, v10, 2, v26
	v_dual_add_nc_u32 v10, 20, v8 :: v_dual_bitop2_b32 v9, 63, v9 bitop3:0x40
	scratch_store_b32 off, v6, off offset:56 ; 4-byte Folded Spill
	s_wait_xcnt 0x0
	v_lshl_or_b32 v6, v11, 2, v26
	v_and_b32_e32 v10, 63, v10
	scratch_store_b32 off, v6, off offset:60 ; 4-byte Folded Spill
	s_wait_xcnt 0x0
	v_dual_add_nc_u32 v6, 17, v8 :: v_dual_add_nc_u32 v11, 21, v8
	s_delay_alu instid0(VALU_DEP_1) | instskip(NEXT) | instid1(VALU_DEP_2)
	v_and_b32_e32 v6, 63, v6
	v_and_b32_e32 v11, 63, v11
	s_delay_alu instid0(VALU_DEP_2) | instskip(NEXT) | instid1(VALU_DEP_2)
	v_lshl_or_b32 v6, v6, 2, v26
	v_lshl_or_b32 v93, v11, 2, v26
	v_add_nc_u32_e32 v11, 24, v8
	scratch_store_b32 off, v6, off offset:64 ; 4-byte Folded Spill
	s_wait_xcnt 0x0
	v_lshl_or_b32 v6, v7, 2, v26
	v_mov_b32_e32 v7, v3
	scratch_store_b32 off, v6, off offset:68 ; 4-byte Folded Spill
	s_wait_xcnt 0x0
	v_lshl_or_b32 v6, v9, 2, v26
	v_add_nc_u32_e32 v9, 22, v8
	scratch_store_b32 off, v6, off offset:72 ; 4-byte Folded Spill
	s_wait_xcnt 0x0
	v_lshl_or_b32 v6, v10, 2, v26
	v_add_nc_u32_e32 v10, 23, v8
	scratch_store_b32 off, v6, off offset:76 ; 4-byte Folded Spill
	s_wait_xcnt 0x0
	v_and_b32_e32 v6, 0x1ffe0, v1
	v_and_b32_e32 v1, 63, v9
	;; [unrolled: 1-line block ×3, first 2 shown]
	s_delay_alu instid0(VALU_DEP_3) | instskip(NEXT) | instid1(VALU_DEP_3)
	v_lshl_add_u64 v[20:21], s[38:39], 2, v[6:7]
	v_lshl_or_b32 v94, v1, 2, v26
	s_delay_alu instid0(VALU_DEP_3) | instskip(NEXT) | instid1(VALU_DEP_3)
	v_lshl_or_b32 v95, v9, 2, v26
	v_mul_lo_u32 v9, v21, s20
	s_delay_alu instid0(VALU_DEP_4)
	v_or_b32_e32 v29, 20, v20
	v_and_b32_e32 v28, 63, v16
	v_and_b32_e32 v10, 63, v11
	v_mad_nc_u64_u32 v[6:7], v20, s20, s[10:11]
	v_and_b32_e32 v11, 63, v12
	v_mad_nc_u64_u32 v[18:19], v29, s20, s[10:11]
	v_or_b32_e32 v23, 16, v20
	v_lshl_or_b32 v96, v10, 2, v26
	v_or_b32_e32 v31, 24, v20
	v_dual_add_nc_u32 v7, v9, v7 :: v_dual_bitop2_b32 v32, 28, v20 bitop3:0x54
	v_lshl_or_b32 v97, v11, 2, v26
	v_add_nc_u32_e32 v19, v9, v19
	v_mad_nc_u64_u32 v[16:17], v23, s20, s[10:11]
	v_or_b32_e32 v22, 12, v20
	v_mad_u32 v7, v20, s21, v7
	s_delay_alu instid0(VALU_DEP_3) | instskip(NEXT) | instid1(VALU_DEP_3)
	v_add_nc_u32_e32 v17, v9, v17
	v_mad_nc_u64_u32 v[14:15], v22, s20, s[10:11]
	v_or_b32_e32 v21, 8, v20
	s_delay_alu instid0(VALU_DEP_3) | instskip(NEXT) | instid1(VALU_DEP_2)
	v_mad_u32 v17, v23, s21, v17
	v_mad_nc_u64_u32 v[12:13], v21, s20, s[10:11]
	s_delay_alu instid0(VALU_DEP_1) | instskip(NEXT) | instid1(VALU_DEP_1)
	v_dual_add_nc_u32 v13, v9, v13 :: v_dual_bitop2_b32 v1, 4, v20 bitop3:0x54
	v_mad_nc_u64_u32 v[10:11], v1, s20, s[10:11]
	s_delay_alu instid0(VALU_DEP_1) | instskip(NEXT) | instid1(VALU_DEP_1)
	v_add_nc_u32_e32 v11, v9, v11
	v_mad_u32 v11, v1, s21, v11
	v_add_nc_u32_e32 v1, v9, v15
	v_mad_u32 v13, v21, s21, v13
	v_mad_nc_u64_u32 v[20:21], v31, s20, s[10:11]
	s_delay_alu instid0(VALU_DEP_3) | instskip(SKIP_2) | instid1(VALU_DEP_1)
	v_mad_u32 v15, v22, s21, v1
	v_mad_nc_u64_u32 v[22:23], v32, s20, s[10:11]
	v_add_nc_u32_e32 v1, 29, v8
	v_and_b32_e32 v1, 63, v1
	v_add_nc_u32_e32 v21, v9, v21
	v_lshl_or_b32 v99, v28, 2, v26
	v_add_nc_u32_e32 v28, 30, v8
	s_delay_alu instid0(VALU_DEP_4) | instskip(SKIP_2) | instid1(VALU_DEP_4)
	v_lshl_or_b32 v101, v1, 2, v26
	v_add_nc_u32_e32 v1, v9, v23
	v_mad_u32 v19, v29, s21, v19
	v_and_b32_e32 v9, 63, v28
	v_add_nc_u32_e32 v28, 33, v8
	s_delay_alu instid0(VALU_DEP_4) | instskip(SKIP_1) | instid1(VALU_DEP_4)
	v_mad_u32 v23, v32, s21, v1
	v_add_nc_u32_e32 v1, 34, v8
	v_lshl_or_b32 v102, v9, 2, v26
	v_and_b32_e32 v9, 63, v27
	v_and_b32_e32 v27, 63, v28
	s_delay_alu instid0(VALU_DEP_4) | instskip(NEXT) | instid1(VALU_DEP_3)
	v_dual_add_nc_u32 v28, 35, v8 :: v_dual_bitop2_b32 v1, 63, v1 bitop3:0x40
	v_lshl_or_b32 v103, v9, 2, v26
	v_add_nc_u32_e32 v9, 38, v8
	s_delay_alu instid0(VALU_DEP_4) | instskip(NEXT) | instid1(VALU_DEP_4)
	v_lshl_or_b32 v105, v27, 2, v26
	v_lshl_or_b32 v106, v1, 2, v26
	v_dual_add_nc_u32 v1, 37, v8 :: v_dual_add_nc_u32 v27, 39, v8
	v_and_b32_e32 v0, 63, v0
	v_and_b32_e32 v9, 63, v9
	;; [unrolled: 1-line block ×3, first 2 shown]
	s_delay_alu instid0(VALU_DEP_4)
	v_and_b32_e32 v1, 63, v1
	v_and_b32_e32 v27, 63, v27
	v_lshl_or_b32 v108, v0, 2, v26
	v_add_nc_u32_e32 v0, 40, v8
	v_lshl_or_b32 v107, v28, 2, v26
	v_lshl_or_b32 v109, v1, 2, v26
	v_add_nc_u32_e32 v1, 41, v8
	v_lshl_or_b32 v110, v9, 2, v26
	v_add_nc_u32_e32 v9, 42, v8
	v_lshl_or_b32 v111, v27, 2, v26
	v_dual_add_nc_u32 v27, 43, v8 :: v_dual_add_nc_u32 v28, 44, v8
	v_and_b32_e32 v0, 63, v0
	v_and_b32_e32 v1, 63, v1
	;; [unrolled: 1-line block ×3, first 2 shown]
	s_delay_alu instid0(VALU_DEP_4)
	v_and_b32_e32 v27, 63, v27
	v_and_b32_e32 v28, 63, v28
	v_lshl_or_b32 v112, v0, 2, v26
	v_add_nc_u32_e32 v0, 45, v8
	v_lshl_or_b32 v113, v1, 2, v26
	v_add_nc_u32_e32 v1, 46, v8
	;; [unrolled: 2-line block ×4, first 2 shown]
	v_and_b32_e32 v0, 63, v0
	v_and_b32_e32 v1, 63, v1
	;; [unrolled: 1-line block ×3, first 2 shown]
	v_lshl_or_b32 v116, v28, 2, v26
	v_dual_add_nc_u32 v28, 49, v8 :: v_dual_bitop2_b32 v27, 63, v27 bitop3:0x40
	v_lshl_or_b32 v117, v0, 2, v26
	v_add_nc_u32_e32 v0, 50, v8
	v_lshl_or_b32 v118, v1, 2, v26
	v_add_nc_u32_e32 v1, 51, v8
	;; [unrolled: 2-line block ×3, first 2 shown]
	v_and_b32_e32 v28, 63, v28
	v_lshl_or_b32 v120, v27, 2, v26
	v_add_nc_u32_e32 v27, 53, v8
	v_and_b32_e32 v0, 63, v0
	v_and_b32_e32 v1, 63, v1
	;; [unrolled: 1-line block ×3, first 2 shown]
	v_lshl_or_b32 v121, v28, 2, v26
	v_dual_add_nc_u32 v28, 54, v8 :: v_dual_bitop2_b32 v27, 63, v27 bitop3:0x40
	v_lshl_or_b32 v122, v0, 2, v26
	v_add_nc_u32_e32 v0, 55, v8
	v_lshl_or_b32 v123, v1, 2, v26
	v_add_nc_u32_e32 v1, 56, v8
	;; [unrolled: 2-line block ×3, first 2 shown]
	v_and_b32_e32 v0, 63, v0
	v_and_b32_e32 v28, 63, v28
	;; [unrolled: 1-line block ×3, first 2 shown]
	v_lshl_or_b32 v125, v27, 2, v26
	v_dual_mov_b32 v9, v3 :: v_dual_bitop2_b32 v29, 63, v9 bitop3:0x40
	v_lshl_or_b32 v127, v0, 2, v26
	s_delay_alu instid0(VALU_DEP_4) | instskip(SKIP_4) | instid1(VALU_DEP_4)
	v_lshl_or_b32 v71, v1, 2, v26
	v_add_nc_u32_e32 v27, 58, v8
	v_mad_u32 v21, v31, s21, v21
	v_mul_u64_e32 v[0:1], s[30:31], v[8:9]
	v_lshl_or_b32 v126, v28, 2, v26
	v_dual_add_nc_u32 v28, 59, v8 :: v_dual_bitop2_b32 v27, 63, v27 bitop3:0x40
	v_lshl_or_b32 v74, v29, 2, v26
	v_dual_add_nc_u32 v9, 60, v8 :: v_dual_add_nc_u32 v29, 61, v8
	v_add_nc_u32_e32 v8, -1, v8
	s_delay_alu instid0(VALU_DEP_4) | instskip(SKIP_1) | instid1(VALU_DEP_4)
	v_and_b32_e32 v28, 63, v28
	v_lshl_or_b32 v75, v27, 2, v26
	v_and_b32_e32 v9, 63, v9
	v_and_b32_e32 v27, 63, v29
	;; [unrolled: 1-line block ×4, first 2 shown]
	v_lshl_or_b32 v76, v28, 2, v26
	v_lshl_or_b32 v77, v9, 2, v26
	v_lshl_or_b32 v78, v27, 2, v26
	v_lshl_or_b32 v80, v8, 2, v26
	v_add_nc_u64_e32 v[8:9], 0x200, v[10:11]
	v_add_nc_u64_e32 v[10:11], 0x200, v[12:13]
	;; [unrolled: 1-line block ×7, first 2 shown]
	v_lshl_or_b32 v79, v29, 2, v26
	s_lshl_b64 s[30:31], s[20:21], 2
	s_branch .LBB214_4
.LBB214_2:                              ;   in Loop: Header=BB214_4 Depth=1
	s_wait_xcnt 0x0
	s_or_b32 exec_lo, exec_lo, s1
.LBB214_3:                              ;   in Loop: Header=BB214_4 Depth=1
	s_add_co_i32 s2, s2, 0x10000
	s_delay_alu instid0(SALU_CYCLE_1)
	s_cmp_lt_u32 s2, s33
	s_cbranch_scc0 .LBB214_15
.LBB214_4:                              ; =>This Loop Header: Depth=1
                                        ;     Child Loop BB214_8 Depth 2
	s_wait_xcnt 0x0
	s_mul_u64 s[38:39], s[6:7], s[2:3]
	s_delay_alu instid0(SALU_CYCLE_1) | instskip(NEXT) | instid1(SALU_CYCLE_1)
	s_lshl_b64 s[38:39], s[38:39], 2
	s_add_nc_u64 s[38:39], s[4:5], s[38:39]
	global_load_b32 v84, v3, s[38:39]
	s_wait_loadcnt 0x0
	v_cmp_eq_f32_e32 vcc_lo, 0, v84
	s_cbranch_vccnz .LBB214_3
; %bb.5:                                ;   in Loop: Header=BB214_4 Depth=1
	s_load_b32 s1, s[26:27], 0x4
	s_wait_kmcnt 0x0
	s_cvt_f32_u32 s38, s1
	s_sub_co_i32 s39, 0, s1
	s_delay_alu instid0(SALU_CYCLE_2) | instskip(SKIP_1) | instid1(TRANS32_DEP_1)
	v_rcp_iflag_f32_e32 v22, s38
	v_nop
	v_readfirstlane_b32 s38, v22
	s_mul_f32 s38, s38, 0x4f7ffffe
	s_delay_alu instid0(SALU_CYCLE_3) | instskip(NEXT) | instid1(SALU_CYCLE_3)
	s_cvt_u32_f32 s38, s38
	s_mul_i32 s39, s39, s38
	s_delay_alu instid0(SALU_CYCLE_1) | instskip(NEXT) | instid1(SALU_CYCLE_1)
	s_mul_hi_u32 s39, s38, s39
	s_add_co_i32 s38, s38, s39
	s_mov_b32 s39, s3
	s_delay_alu instid0(SALU_CYCLE_1) | instskip(NEXT) | instid1(SALU_CYCLE_1)
	s_mul_u64 s[38:39], s[24:25], s[38:39]
	s_mul_i32 s38, s39, s1
	s_add_co_i32 s41, s39, 1
	s_sub_co_i32 s38, s24, s38
	s_delay_alu instid0(SALU_CYCLE_1)
	s_sub_co_i32 s42, s38, s1
	s_cmp_ge_u32 s38, s1
	s_cselect_b32 s39, s41, s39
	s_cselect_b32 s38, s42, s38
	s_add_co_i32 s41, s39, 1
	s_cmp_ge_u32 s38, s1
	s_cselect_b32 s41, s41, s39
	s_delay_alu instid0(SALU_CYCLE_1) | instskip(NEXT) | instid1(SALU_CYCLE_1)
	s_mul_i32 s1, s41, s1
	s_sub_co_i32 s42, s24, s1
	s_delay_alu instid0(SALU_CYCLE_1) | instskip(SKIP_1) | instid1(SALU_CYCLE_1)
	s_cmp_lt_u32 s40, s42
	s_cselect_b32 s1, -1, 0
	s_cmp_lg_u32 s1, 0
	s_add_co_ci_u32 s1, s41, 0
	s_delay_alu instid0(SALU_CYCLE_1)
	s_cmp_eq_u32 s1, 0
	s_cbranch_scc1 .LBB214_3
; %bb.6:                                ;   in Loop: Header=BB214_4 Depth=1
	s_lshl_b64 s[38:39], s[2:3], 3
	s_cmp_lt_i32 s1, 1
	s_add_nc_u64 s[44:45], s[16:17], s[38:39]
	global_load_b64 v[22:23], v3, s[44:45]
	s_cbranch_scc1 .LBB214_12
; %bb.7:                                ;   in Loop: Header=BB214_4 Depth=1
	s_wait_xcnt 0x0
	s_add_nc_u64 s[44:45], s[8:9], s[38:39]
	v_cvt_f64_i32_e32 v[28:29], s40
	global_load_b64 v[26:27], v3, s[44:45]
	v_cvt_f64_u32_e32 v[24:25], s42
	s_mul_i32 s41, s41, s40
	s_add_nc_u64 s[38:39], s[12:13], s[38:39]
	v_cvt_f64_u32_e32 v[30:31], s41
	global_load_b64 v[44:45], v3, s[38:39]
	s_wait_xcnt 0x0
	s_add_co_i32 s38, s1, -1
	s_mov_b32 s39, 0
	v_mov_b32_e32 v58, 0
	s_delay_alu instid0(VALU_DEP_1) | instskip(SKIP_3) | instid1(VALU_DEP_1)
	v_dual_mov_b32 v60, v58 :: v_dual_mov_b32 v61, v58
	v_dual_mov_b32 v56, v58 :: v_dual_mov_b32 v57, v58
	;; [unrolled: 1-line block ×3, first 2 shown]
	v_dual_max_num_f64 v[28:29], v[28:29], v[28:29] :: v_dual_mov_b32 v59, v58
	v_min_num_f64_e32 v[24:25], v[28:29], v[24:25]
	s_delay_alu instid0(VALU_DEP_1) | instskip(NEXT) | instid1(VALU_DEP_1)
	v_add_f64_e32 v[24:25], v[24:25], v[30:31]
	v_cvt_i32_f64_e32 v24, v[24:25]
	s_delay_alu instid0(VALU_DEP_1) | instskip(NEXT) | instid1(VALU_DEP_1)
	v_lshlrev_b32_e32 v24, 7, v24
	v_ashrrev_i32_e32 v25, 31, v24
	s_delay_alu instid0(VALU_DEP_1) | instskip(SKIP_4) | instid1(VALU_DEP_2)
	v_lshlrev_b64_e32 v[42:43], 2, v[24:25]
	s_wait_loadcnt 0x1
	v_add_nc_u64_e32 v[28:29], s[10:11], v[26:27]
	s_wait_loadcnt 0x0
	v_add_nc_u64_e32 v[44:45], s[14:15], v[44:45]
	v_add_nc_u64_e32 v[24:25], s[34:35], v[28:29]
	s_delay_alu instid0(VALU_DEP_1) | instskip(NEXT) | instid1(VALU_DEP_1)
	v_add_nc_u64_e32 v[24:25], v[24:25], v[42:43]
	v_lshl_add_u64 v[24:25], v[4:5], 2, v[24:25]
	s_delay_alu instid0(VALU_DEP_1) | instskip(NEXT) | instid1(VALU_DEP_1)
	v_lshl_add_u64 v[28:29], s[20:21], 2, v[24:25]
	v_add_nc_u64_e32 v[30:31], s[30:31], v[28:29]
	s_delay_alu instid0(VALU_DEP_1) | instskip(NEXT) | instid1(VALU_DEP_1)
	v_add_nc_u64_e32 v[32:33], s[30:31], v[30:31]
	v_add_nc_u64_e32 v[34:35], s[30:31], v[32:33]
	s_delay_alu instid0(VALU_DEP_1) | instskip(NEXT) | instid1(VALU_DEP_1)
	v_add_nc_u64_e32 v[36:37], s[30:31], v[34:35]
	v_add_nc_u64_e32 v[38:39], s[30:31], v[36:37]
	s_delay_alu instid0(VALU_DEP_1)
	v_add_nc_u64_e32 v[40:41], s[30:31], v[38:39]
	s_clause 0x6
	flat_load_b32 v54, v[24:25]
	flat_load_b32 v55, v[28:29]
	;; [unrolled: 1-line block ×8, first 2 shown]
	s_wait_xcnt 0x6
	v_add_nc_u64_e32 v[28:29], v[26:27], v[8:9]
	s_wait_xcnt 0x5
	v_add_nc_u64_e32 v[30:31], v[26:27], v[10:11]
	;; [unrolled: 2-line block ×7, first 2 shown]
	v_add_nc_u64_e32 v[24:25], v[26:27], v[6:7]
	v_add_nc_u64_e32 v[26:27], v[28:29], v[42:43]
	;; [unrolled: 1-line block ×8, first 2 shown]
	v_or_b32_e32 v40, 0x100, v2
	v_add_nc_u64_e32 v[24:25], v[24:25], v[42:43]
	s_delay_alu instid0(VALU_DEP_2) | instskip(SKIP_1) | instid1(VALU_DEP_2)
	v_dual_mov_b32 v41, v43 :: v_dual_bitop2_b32 v40, v40, v42 bitop3:0x54
	v_or_b32_e32 v42, v2, v42
	v_mul_u64_e32 v[40:41], s[22:23], v[40:41]
	s_delay_alu instid0(VALU_DEP_2)
	v_mul_u64_e32 v[42:43], s[22:23], v[42:43]
.LBB214_8:                              ;   Parent Loop BB214_4 Depth=1
                                        ; =>  This Inner Loop Header: Depth=2
	s_wait_xcnt 0x0
	v_add_nc_u64_e32 v[72:73], v[24:25], v[2:3]
	s_wait_loadcnt_dscnt 0x303
	v_dual_mov_b32 v85, v54 :: v_dual_mov_b32 v89, v50
	s_wait_loadcnt_dscnt 0x101
	v_dual_mov_b32 v90, v51 :: v_dual_mov_b32 v91, v48
	s_wait_loadcnt_dscnt 0x0
	v_mov_b32_e32 v92, v49
	s_cmp_lg_u32 s38, s39
	v_add_nc_u64_e32 v[64:65], 0x100, v[72:73]
	flat_load_b32 v62, v[72:73] offset:256
	v_mov_b32_e32 v88, v53
	v_add_nc_u64_e32 v[64:65], s[30:31], v[64:65]
	s_delay_alu instid0(VALU_DEP_1)
	v_add_nc_u64_e32 v[66:67], s[30:31], v[64:65]
	s_clause 0x1
	flat_load_b32 v63, v[64:65]
	flat_load_b32 v64, v[66:67]
	s_wait_xcnt 0x0
	v_add_nc_u64_e32 v[66:67], s[30:31], v[66:67]
	s_delay_alu instid0(VALU_DEP_1)
	v_add_nc_u64_e32 v[68:69], s[30:31], v[66:67]
	s_clause 0x1
	flat_load_b32 v65, v[66:67]
	flat_load_b32 v66, v[68:69]
	s_wait_xcnt 0x0
	;; [unrolled: 7-line block ×3, first 2 shown]
	v_add_nc_u64_e32 v[86:87], s[30:31], v[86:87]
	flat_load_b32 v69, v[86:87]
	s_wait_xcnt 0x0
	v_add_nc_u64_e32 v[86:87], v[44:45], v[42:43]
	flat_load_b32 v70, v[86:87]
	s_wait_xcnt 0x0
	v_dual_mov_b32 v86, v55 :: v_dual_mov_b32 v87, v52
	s_cbranch_scc0 .LBB214_10
; %bb.9:                                ;   in Loop: Header=BB214_8 Depth=2
	flat_load_b32 v85, v[72:73] offset:512
	s_wait_xcnt 0x0
	v_add_nc_u64_e32 v[72:73], v[26:27], v[2:3]
	flat_load_b32 v86, v[72:73]
	s_wait_xcnt 0x0
	v_add_nc_u64_e32 v[72:73], v[28:29], v[2:3]
	flat_load_b32 v87, v[72:73]
	;; [unrolled: 3-line block ×7, first 2 shown]
.LBB214_10:                             ;   in Loop: Header=BB214_8 Depth=2
	s_wait_xcnt 0x0
	v_add_nc_u64_e32 v[72:73], v[44:45], v[40:41]
	s_wait_loadcnt_dscnt 0x0
	v_pk_fma_f32 v[54:55], v[54:55], v[70:71], v[58:59] op_sel_hi:[1,0,1]
	v_pk_fma_f32 v[52:53], v[52:53], v[70:71], v[60:61] op_sel_hi:[1,0,1]
	;; [unrolled: 1-line block ×4, first 2 shown]
	v_add_nc_u64_e32 v[24:25], 0x200, v[24:25]
	v_add_nc_u64_e32 v[26:27], 0x200, v[26:27]
	flat_load_b32 v72, v[72:73]
	v_add_nc_u64_e32 v[28:29], 0x200, v[28:29]
	v_add_nc_u64_e32 v[30:31], 0x200, v[30:31]
	;; [unrolled: 1-line block ×7, first 2 shown]
	s_add_co_i32 s39, s39, 1
	s_delay_alu instid0(SALU_CYCLE_1)
	s_cmp_ge_i32 s39, s1
	s_wait_loadcnt_dscnt 0x0
	v_pk_fma_f32 v[46:47], v[68:69], v[72:73], v[46:47] op_sel_hi:[1,0,1]
	v_pk_fma_f32 v[56:57], v[66:67], v[72:73], v[50:51] op_sel_hi:[1,0,1]
	;; [unrolled: 1-line block ×4, first 2 shown]
	s_cbranch_scc1 .LBB214_13
; %bb.11:                               ;   in Loop: Header=BB214_8 Depth=2
	v_dual_mov_b32 v54, v85 :: v_dual_mov_b32 v55, v86
	v_dual_mov_b32 v52, v87 :: v_dual_mov_b32 v53, v88
	v_dual_mov_b32 v50, v89 :: v_dual_mov_b32 v51, v90
	v_dual_mov_b32 v48, v91 :: v_dual_mov_b32 v49, v92
	s_branch .LBB214_8
.LBB214_12:                             ;   in Loop: Header=BB214_4 Depth=1
	v_mov_b32_e32 v47, 0
	s_delay_alu instid0(VALU_DEP_1)
	v_dual_mov_b32 v46, v47 :: v_dual_mov_b32 v57, v47
	v_dual_mov_b32 v56, v47 :: v_dual_mov_b32 v61, v47
	;; [unrolled: 1-line block ×3, first 2 shown]
	v_mov_b32_e32 v58, v47
.LBB214_13:                             ;   in Loop: Header=BB214_4 Depth=1
	ds_store_2addr_stride64_b32 v82, v58, v59 offset1:1
	ds_store_2addr_stride64_b32 v82, v60, v61 offset0:2 offset1:3
	ds_store_2addr_stride64_b32 v82, v56, v57 offset0:4 offset1:5
	ds_store_b32 v82, v46 offset:1536
	ds_store_b32 v83, v47
	s_wait_storecnt 0x0
	s_wait_loadcnt_dscnt 0x0
	s_barrier_signal -1
	s_barrier_wait -1
	s_wait_xcnt 0x0
	s_and_saveexec_b32 s1, s0
	s_cbranch_execz .LBB214_2
; %bb.14:                               ;   in Loop: Header=BB214_4 Depth=1
	s_clause 0x7
	scratch_load_b32 v25, off, off
	scratch_load_b32 v26, off, off offset:4
	scratch_load_b32 v27, off, off offset:8
	;; [unrolled: 1-line block ×7, first 2 shown]
	ds_load_b32 v24, v81
	v_add_nc_u64_e32 v[22:23], s[18:19], v[22:23]
	s_delay_alu instid0(VALU_DEP_1) | instskip(NEXT) | instid1(VALU_DEP_1)
	v_add_nc_u64_e32 v[22:23], s[36:37], v[22:23]
	v_lshl_add_u64 v[22:23], v[0:1], 2, v[22:23]
	s_wait_loadcnt 0x7
	ds_load_b32 v25, v25
	s_wait_loadcnt 0x6
	ds_load_b32 v26, v26
	;; [unrolled: 2-line block ×7, first 2 shown]
	s_wait_dscnt 0x7
	v_add_f32_e32 v24, 0, v24
	s_wait_loadcnt 0x0
	ds_load_b32 v32, v32
	s_wait_dscnt 0x7
	v_add_f32_e32 v24, v24, v25
	scratch_load_b32 v25, off, off offset:28 ; 4-byte Folded Reload
	s_wait_dscnt 0x6
	v_add_f32_e32 v24, v24, v26
	scratch_load_b32 v26, off, off offset:32 ; 4-byte Folded Reload
	;; [unrolled: 3-line block ×7, first 2 shown]
	s_wait_loadcnt 0x6
	ds_load_b32 v25, v25
	s_wait_loadcnt 0x5
	ds_load_b32 v26, v26
	;; [unrolled: 2-line block ×7, first 2 shown]
	s_wait_dscnt 0x6
	v_add_f32_e32 v24, v24, v25
	scratch_load_b32 v25, off, off offset:60 ; 4-byte Folded Reload
	s_wait_dscnt 0x5
	v_add_f32_e32 v24, v24, v26
	scratch_load_b32 v26, off, off offset:64 ; 4-byte Folded Reload
	;; [unrolled: 3-line block ×5, first 2 shown]
	s_wait_loadcnt 0x4
	ds_load_b32 v25, v25
	s_wait_loadcnt 0x3
	ds_load_b32 v26, v26
	;; [unrolled: 2-line block ×4, first 2 shown]
	s_wait_dscnt 0x5
	v_add_f32_e32 v24, v24, v30
	s_wait_dscnt 0x4
	s_delay_alu instid0(VALU_DEP_1) | instskip(NEXT) | instid1(VALU_DEP_1)
	v_add_f32_e32 v24, v24, v31
	v_add_f32_e32 v24, v24, v32
	s_wait_loadcnt 0x0
	ds_load_b32 v29, v29
	ds_load_b32 v30, v93
	ds_load_b32 v31, v94
	ds_load_b32 v32, v95
	s_wait_dscnt 0x7
	v_add_f32_e32 v24, v24, v25
	ds_load_b32 v25, v96
	s_wait_dscnt 0x7
	v_add_f32_e32 v24, v24, v26
	ds_load_b32 v26, v97
	s_wait_dscnt 0x7
	v_add_f32_e32 v24, v24, v27
	ds_load_b32 v27, v98
	s_wait_dscnt 0x7
	v_add_f32_e32 v24, v24, v28
	s_wait_dscnt 0x6
	s_delay_alu instid0(VALU_DEP_1) | instskip(SKIP_1) | instid1(VALU_DEP_1)
	v_add_f32_e32 v24, v24, v29
	s_wait_dscnt 0x5
	v_add_f32_e32 v24, v24, v30
	s_wait_dscnt 0x4
	s_delay_alu instid0(VALU_DEP_1) | instskip(SKIP_1) | instid1(VALU_DEP_1)
	v_add_f32_e32 v24, v24, v31
	s_wait_dscnt 0x3
	v_add_f32_e32 v24, v24, v32
	ds_load_b32 v28, v99
	ds_load_b32 v29, v100
	ds_load_b32 v30, v101
	ds_load_b32 v31, v102
	ds_load_b32 v32, v103
	s_wait_dscnt 0x7
	v_add_f32_e32 v24, v24, v25
	ds_load_b32 v25, v104
	s_wait_dscnt 0x7
	v_add_f32_e32 v24, v24, v26
	ds_load_b32 v26, v105
	s_wait_dscnt 0x7
	v_add_f32_e32 v24, v24, v27
	ds_load_b32 v27, v106
	s_wait_dscnt 0x7
	v_add_f32_e32 v24, v24, v28
	s_wait_dscnt 0x6
	s_delay_alu instid0(VALU_DEP_1) | instskip(SKIP_1) | instid1(VALU_DEP_1)
	v_add_f32_e32 v24, v24, v29
	s_wait_dscnt 0x5
	v_add_f32_e32 v24, v24, v30
	s_wait_dscnt 0x4
	s_delay_alu instid0(VALU_DEP_1) | instskip(SKIP_1) | instid1(VALU_DEP_1)
	v_add_f32_e32 v24, v24, v31
	s_wait_dscnt 0x3
	v_add_f32_e32 v24, v24, v32
	ds_load_b32 v28, v107
	ds_load_b32 v29, v108
	ds_load_b32 v30, v109
	ds_load_b32 v31, v110
	ds_load_b32 v32, v111
	s_wait_dscnt 0x7
	v_add_f32_e32 v24, v24, v25
	ds_load_b32 v25, v112
	s_wait_dscnt 0x7
	v_add_f32_e32 v24, v24, v26
	ds_load_b32 v26, v113
	s_wait_dscnt 0x7
	v_add_f32_e32 v24, v24, v27
	ds_load_b32 v27, v114
	s_wait_dscnt 0x7
	v_add_f32_e32 v24, v24, v28
	s_wait_dscnt 0x6
	s_delay_alu instid0(VALU_DEP_1) | instskip(SKIP_1) | instid1(VALU_DEP_1)
	v_add_f32_e32 v24, v24, v29
	s_wait_dscnt 0x5
	v_add_f32_e32 v24, v24, v30
	s_wait_dscnt 0x4
	s_delay_alu instid0(VALU_DEP_1) | instskip(SKIP_1) | instid1(VALU_DEP_1)
	v_add_f32_e32 v24, v24, v31
	s_wait_dscnt 0x3
	v_add_f32_e32 v24, v24, v32
	ds_load_b32 v28, v115
	ds_load_b32 v29, v116
	ds_load_b32 v30, v117
	ds_load_b32 v31, v118
	ds_load_b32 v32, v119
	s_wait_dscnt 0x7
	v_add_f32_e32 v24, v24, v25
	ds_load_b32 v25, v120
	s_wait_dscnt 0x7
	v_add_f32_e32 v24, v24, v26
	ds_load_b32 v26, v121
	s_wait_dscnt 0x7
	v_add_f32_e32 v24, v24, v27
	ds_load_b32 v27, v122
	s_wait_dscnt 0x7
	v_add_f32_e32 v24, v24, v28
	s_wait_dscnt 0x6
	s_delay_alu instid0(VALU_DEP_1) | instskip(SKIP_1) | instid1(VALU_DEP_1)
	v_add_f32_e32 v24, v24, v29
	s_wait_dscnt 0x5
	v_add_f32_e32 v24, v24, v30
	s_wait_dscnt 0x4
	s_delay_alu instid0(VALU_DEP_1) | instskip(SKIP_1) | instid1(VALU_DEP_1)
	v_add_f32_e32 v24, v24, v31
	s_wait_dscnt 0x3
	v_add_f32_e32 v24, v24, v32
	ds_load_b32 v28, v123
	ds_load_b32 v29, v124
	ds_load_b32 v30, v125
	ds_load_b32 v31, v126
	ds_load_b32 v32, v127
	s_wait_dscnt 0x7
	v_add_f32_e32 v24, v24, v25
	ds_load_b32 v25, v71
	s_wait_dscnt 0x7
	v_add_f32_e32 v24, v24, v26
	ds_load_b32 v26, v74
	s_wait_dscnt 0x7
	v_add_f32_e32 v24, v24, v27
	ds_load_b32 v27, v75
	s_wait_dscnt 0x7
	v_add_f32_e32 v24, v24, v28
	s_wait_dscnt 0x6
	s_delay_alu instid0(VALU_DEP_1) | instskip(SKIP_1) | instid1(VALU_DEP_1)
	v_add_f32_e32 v24, v24, v29
	s_wait_dscnt 0x5
	v_add_f32_e32 v24, v24, v30
	s_wait_dscnt 0x4
	s_delay_alu instid0(VALU_DEP_1) | instskip(SKIP_1) | instid1(VALU_DEP_1)
	v_add_f32_e32 v24, v24, v31
	s_wait_dscnt 0x3
	v_add_f32_e32 v24, v24, v32
	ds_load_b32 v28, v76
	ds_load_b32 v29, v77
	ds_load_b32 v30, v78
	;; [unrolled: 1-line block ×4, first 2 shown]
	s_wait_dscnt 0x7
	v_add_f32_e32 v24, v24, v25
	s_wait_dscnt 0x6
	s_delay_alu instid0(VALU_DEP_1) | instskip(SKIP_1) | instid1(VALU_DEP_1)
	v_add_f32_e32 v24, v24, v26
	s_wait_dscnt 0x5
	v_add_f32_e32 v24, v24, v27
	s_wait_dscnt 0x4
	s_delay_alu instid0(VALU_DEP_1) | instskip(SKIP_1) | instid1(VALU_DEP_1)
	v_add_f32_e32 v24, v24, v28
	;; [unrolled: 5-line block ×3, first 2 shown]
	s_wait_dscnt 0x1
	v_add_f32_e32 v24, v24, v31
	s_wait_dscnt 0x0
	s_delay_alu instid0(VALU_DEP_1) | instskip(NEXT) | instid1(VALU_DEP_1)
	v_add_f32_e32 v24, v24, v32
	v_mul_f32_e32 v24, v84, v24
	flat_atomic_add_f32 v[22:23], v24 scope:SCOPE_DEV
	s_branch .LBB214_2
.LBB214_15:
	s_sendmsg sendmsg(MSG_DEALLOC_VGPRS)
	s_endpgm
	.section	.rodata,"a",@progbits
	.p2align	6, 0x0
	.amdhsa_kernel _ZL36rocblas_gemvt_double_buffered_kernelILb0ELi128ELi8ELi8EPKfS1_KPfEviiT4_lPKT3_lilS7_lilPT5_lili
		.amdhsa_group_segment_fixed_size 32768
		.amdhsa_private_segment_fixed_size 84
		.amdhsa_kernarg_size 384
		.amdhsa_user_sgpr_count 2
		.amdhsa_user_sgpr_dispatch_ptr 0
		.amdhsa_user_sgpr_queue_ptr 0
		.amdhsa_user_sgpr_kernarg_segment_ptr 1
		.amdhsa_user_sgpr_dispatch_id 0
		.amdhsa_user_sgpr_kernarg_preload_length 0
		.amdhsa_user_sgpr_kernarg_preload_offset 0
		.amdhsa_user_sgpr_private_segment_size 0
		.amdhsa_wavefront_size32 1
		.amdhsa_uses_dynamic_stack 0
		.amdhsa_enable_private_segment 1
		.amdhsa_system_sgpr_workgroup_id_x 1
		.amdhsa_system_sgpr_workgroup_id_y 1
		.amdhsa_system_sgpr_workgroup_id_z 1
		.amdhsa_system_sgpr_workgroup_info 0
		.amdhsa_system_vgpr_workitem_id 1
		.amdhsa_next_free_vgpr 128
		.amdhsa_next_free_sgpr 46
		.amdhsa_named_barrier_count 0
		.amdhsa_reserve_vcc 1
		.amdhsa_float_round_mode_32 0
		.amdhsa_float_round_mode_16_64 0
		.amdhsa_float_denorm_mode_32 3
		.amdhsa_float_denorm_mode_16_64 3
		.amdhsa_fp16_overflow 0
		.amdhsa_memory_ordered 1
		.amdhsa_forward_progress 1
		.amdhsa_inst_pref_size 41
		.amdhsa_round_robin_scheduling 0
		.amdhsa_exception_fp_ieee_invalid_op 0
		.amdhsa_exception_fp_denorm_src 0
		.amdhsa_exception_fp_ieee_div_zero 0
		.amdhsa_exception_fp_ieee_overflow 0
		.amdhsa_exception_fp_ieee_underflow 0
		.amdhsa_exception_fp_ieee_inexact 0
		.amdhsa_exception_int_div_zero 0
	.end_amdhsa_kernel
	.section	.text._ZL36rocblas_gemvt_double_buffered_kernelILb0ELi128ELi8ELi8EPKfS1_KPfEviiT4_lPKT3_lilS7_lilPT5_lili,"axG",@progbits,_ZL36rocblas_gemvt_double_buffered_kernelILb0ELi128ELi8ELi8EPKfS1_KPfEviiT4_lPKT3_lilS7_lilPT5_lili,comdat
.Lfunc_end214:
	.size	_ZL36rocblas_gemvt_double_buffered_kernelILb0ELi128ELi8ELi8EPKfS1_KPfEviiT4_lPKT3_lilS7_lilPT5_lili, .Lfunc_end214-_ZL36rocblas_gemvt_double_buffered_kernelILb0ELi128ELi8ELi8EPKfS1_KPfEviiT4_lPKT3_lilS7_lilPT5_lili
                                        ; -- End function
	.set _ZL36rocblas_gemvt_double_buffered_kernelILb0ELi128ELi8ELi8EPKfS1_KPfEviiT4_lPKT3_lilS7_lilPT5_lili.num_vgpr, 128
	.set _ZL36rocblas_gemvt_double_buffered_kernelILb0ELi128ELi8ELi8EPKfS1_KPfEviiT4_lPKT3_lilS7_lilPT5_lili.num_agpr, 0
	.set _ZL36rocblas_gemvt_double_buffered_kernelILb0ELi128ELi8ELi8EPKfS1_KPfEviiT4_lPKT3_lilS7_lilPT5_lili.numbered_sgpr, 46
	.set _ZL36rocblas_gemvt_double_buffered_kernelILb0ELi128ELi8ELi8EPKfS1_KPfEviiT4_lPKT3_lilS7_lilPT5_lili.num_named_barrier, 0
	.set _ZL36rocblas_gemvt_double_buffered_kernelILb0ELi128ELi8ELi8EPKfS1_KPfEviiT4_lPKT3_lilS7_lilPT5_lili.private_seg_size, 84
	.set _ZL36rocblas_gemvt_double_buffered_kernelILb0ELi128ELi8ELi8EPKfS1_KPfEviiT4_lPKT3_lilS7_lilPT5_lili.uses_vcc, 1
	.set _ZL36rocblas_gemvt_double_buffered_kernelILb0ELi128ELi8ELi8EPKfS1_KPfEviiT4_lPKT3_lilS7_lilPT5_lili.uses_flat_scratch, 1
	.set _ZL36rocblas_gemvt_double_buffered_kernelILb0ELi128ELi8ELi8EPKfS1_KPfEviiT4_lPKT3_lilS7_lilPT5_lili.has_dyn_sized_stack, 0
	.set _ZL36rocblas_gemvt_double_buffered_kernelILb0ELi128ELi8ELi8EPKfS1_KPfEviiT4_lPKT3_lilS7_lilPT5_lili.has_recursion, 0
	.set _ZL36rocblas_gemvt_double_buffered_kernelILb0ELi128ELi8ELi8EPKfS1_KPfEviiT4_lPKT3_lilS7_lilPT5_lili.has_indirect_call, 0
	.section	.AMDGPU.csdata,"",@progbits
; Kernel info:
; codeLenInByte = 5128
; TotalNumSgprs: 48
; NumVgprs: 128
; ScratchSize: 84
; MemoryBound: 0
; FloatMode: 240
; IeeeMode: 1
; LDSByteSize: 32768 bytes/workgroup (compile time only)
; SGPRBlocks: 0
; VGPRBlocks: 7
; NumSGPRsForWavesPerEU: 48
; NumVGPRsForWavesPerEU: 128
; NamedBarCnt: 0
; Occupancy: 8
; WaveLimiterHint : 1
; COMPUTE_PGM_RSRC2:SCRATCH_EN: 1
; COMPUTE_PGM_RSRC2:USER_SGPR: 2
; COMPUTE_PGM_RSRC2:TRAP_HANDLER: 0
; COMPUTE_PGM_RSRC2:TGID_X_EN: 1
; COMPUTE_PGM_RSRC2:TGID_Y_EN: 1
; COMPUTE_PGM_RSRC2:TGID_Z_EN: 1
; COMPUTE_PGM_RSRC2:TIDIG_COMP_CNT: 1
	.section	.text._ZL36rocblas_gemvt_double_buffered_kernelILb0ELi128ELi8ELi8EPKffKPfEviiT4_lPKT3_lilS7_lilPT5_lili,"axG",@progbits,_ZL36rocblas_gemvt_double_buffered_kernelILb0ELi128ELi8ELi8EPKffKPfEviiT4_lPKT3_lilS7_lilPT5_lili,comdat
	.globl	_ZL36rocblas_gemvt_double_buffered_kernelILb0ELi128ELi8ELi8EPKffKPfEviiT4_lPKT3_lilS7_lilPT5_lili ; -- Begin function _ZL36rocblas_gemvt_double_buffered_kernelILb0ELi128ELi8ELi8EPKffKPfEviiT4_lPKT3_lilS7_lilPT5_lili
	.p2align	8
	.type	_ZL36rocblas_gemvt_double_buffered_kernelILb0ELi128ELi8ELi8EPKffKPfEviiT4_lPKT3_lilS7_lilPT5_lili,@function
_ZL36rocblas_gemvt_double_buffered_kernelILb0ELi128ELi8ELi8EPKffKPfEviiT4_lPKT3_lilS7_lilPT5_lili: ; @_ZL36rocblas_gemvt_double_buffered_kernelILb0ELi128ELi8ELi8EPKffKPfEviiT4_lPKT3_lilS7_lilPT5_lili
; %bb.0:
	s_load_b32 s33, s[0:1], 0x78
	s_bfe_u32 s2, ttmp6, 0x40014
	s_lshr_b32 s4, ttmp7, 16
	s_add_co_i32 s2, s2, 1
	s_bfe_u32 s5, ttmp6, 0x40008
	s_mul_i32 s2, s4, s2
	s_getreg_b32 s3, hwreg(HW_REG_IB_STS2, 6, 4)
	s_add_co_i32 s5, s5, s2
	s_cmp_eq_u32 s3, 0
	s_mov_b32 s17, 0
	s_cselect_b32 s2, s4, s5
	s_wait_kmcnt 0x0
	s_cmp_ge_u32 s2, s33
	s_cbranch_scc1 .LBB215_15
; %bb.1:
	s_clause 0x5
	s_load_b32 s18, s[0:1], 0x28
	s_load_b32 s20, s[0:1], 0x48
	;; [unrolled: 1-line block ×4, first 2 shown]
	s_load_b128 s[4:7], s[0:1], 0x18
	s_load_b32 s16, s[0:1], 0x0
	v_and_b32_e32 v8, 0x3ff, v0
	v_mov_b32_e32 v3, 0
	v_bfe_u32 v6, v0, 10, 10
	s_clause 0x1
	s_load_b128 s[8:11], s[0:1], 0x38
	s_load_b128 s[12:15], s[0:1], 0x58
	v_and_b32_e32 v2, 63, v0
	v_dual_add_nc_u32 v10, 1, v8 :: v_dual_lshlrev_b32 v26, 8, v8
	v_lshl_add_u32 v1, v6, 7, v8
	v_bitop3_b32 v0, v0, 32, 63 bitop3:0x6c
	s_delay_alu instid0(VALU_DEP_3) | instskip(NEXT) | instid1(VALU_DEP_3)
	v_dual_add_nc_u32 v12, 25, v8 :: v_dual_bitop2_b32 v10, 63, v10 bitop3:0x40
	v_dual_add_nc_u32 v16, 27, v8 :: v_dual_lshrrev_b32 v7, 3, v1
	v_lshrrev_b32_e32 v1, 1, v1
	s_wait_kmcnt 0x0
	s_ashr_i32 s19, s18, 31
	s_ashr_i32 s21, s20, 31
	;; [unrolled: 1-line block ×3, first 2 shown]
	s_cmp_neq_f32 s38, 0
	v_and_b32_e32 v9, 0x7ff8, v7
	v_lshl_or_b32 v25, v7, 8, 0x700
	v_add_nc_u32_e32 v7, 3, v8
	s_cselect_b32 s39, -1, 0
	s_ashr_i32 s22, s16, 31
	s_bfe_u32 s24, ttmp6, 0x4000c
	s_bfe_u32 s26, ttmp6, 0x40010
	s_and_b32 s25, ttmp7, 0xffff
	s_lshr_b32 s22, s22, 25
	s_add_co_i32 s24, s24, 1
	s_add_co_i32 s26, s26, 1
	s_and_b32 s23, ttmp6, 15
	s_bfe_u32 s27, ttmp6, 0x40004
	s_add_co_i32 s16, s16, s22
	s_mul_i32 s24, ttmp9, s24
	s_mul_i32 s26, s25, s26
	s_ashr_i32 s22, s16, 7
	s_add_co_i32 s23, s23, s24
	s_add_co_i32 s27, s27, s26
	s_cmp_eq_u32 s3, 0
	v_mad_nc_i64_i32 v[4:5], s18, v9, v[2:3]
	s_cselect_b32 s40, s25, s27
	s_add_nc_u64 s[24:25], s[0:1], 0x80
	v_cmp_eq_u32_e64 s0, 0, v6
	v_lshl_or_b32 v6, v10, 2, v26
	v_dual_lshlrev_b32 v2, 2, v2 :: v_dual_lshlrev_b32 v24, 8, v9
	v_dual_add_nc_u32 v9, 4, v8 :: v_dual_add_nc_u32 v10, 5, v8
	scratch_store_b32 off, v6, off          ; 4-byte Folded Spill
	s_wait_xcnt 0x0
	v_dual_add_nc_u32 v6, 2, v8 :: v_dual_add_nc_u32 v11, 6, v8
	v_and_b32_e32 v7, 63, v7
	v_and_b32_e32 v9, 63, v9
	;; [unrolled: 1-line block ×3, first 2 shown]
	s_delay_alu instid0(VALU_DEP_4)
	v_and_b32_e32 v6, 63, v6
	v_and_b32_e32 v11, 63, v11
	s_cselect_b32 s3, ttmp9, s23
	s_lshl_b64 s[6:7], s[6:7], 2
	s_lshl_b32 s36, s3, 7
	v_lshl_or_b32 v6, v6, 2, v26
	s_ashr_i32 s37, s36, 31
	v_add_nc_u32_e32 v14, 26, v8
	v_lshl_or_b32 v104, v0, 2, v26
	v_add_nc_u32_e32 v0, 36, v8
	scratch_store_b32 off, v6, off offset:4 ; 4-byte Folded Spill
	s_wait_xcnt 0x0
	v_lshl_or_b32 v6, v7, 2, v26
	v_dual_add_nc_u32 v7, 8, v8 :: v_dual_bitop2_b32 v81, v26, v2 bitop3:0x54
	s_mul_u64 s[30:31], s[18:19], s[36:37]
	s_mul_u64 s[34:35], s[28:29], s[36:37]
	scratch_store_b32 off, v6, off offset:8 ; 4-byte Folded Spill
	s_wait_xcnt 0x0
	v_lshl_or_b32 v6, v9, 2, v26
	v_dual_add_nc_u32 v9, 9, v8 :: v_dual_bitop2_b32 v7, 63, v7 bitop3:0x40
	s_lshl_b64 s[26:27], s[20:21], 9
	s_mov_b32 s23, s17
	scratch_store_b32 off, v6, off offset:12 ; 4-byte Folded Spill
	s_wait_xcnt 0x0
	v_lshl_or_b32 v6, v10, 2, v26
	v_dual_add_nc_u32 v10, 10, v8 :: v_dual_bitop2_b32 v9, 63, v9 bitop3:0x40
	s_lshl_b64 s[10:11], s[10:11], 2
	s_lshl_b64 s[30:31], s[30:31], 2
	scratch_store_b32 off, v6, off offset:16 ; 4-byte Folded Spill
	s_wait_xcnt 0x0
	v_lshl_or_b32 v6, v11, 2, v26
	v_and_b32_e32 v10, 63, v10
	s_lshl_b64 s[14:15], s[14:15], 2
	s_lshl_b64 s[34:35], s[34:35], 2
	v_dual_add_nc_u32 v30, 28, v8 :: v_dual_bitop2_b32 v27, 63, v14 bitop3:0x40
	scratch_store_b32 off, v6, off offset:20 ; 4-byte Folded Spill
	s_wait_xcnt 0x0
	v_dual_add_nc_u32 v6, 7, v8 :: v_dual_add_nc_u32 v11, 11, v8
	v_add_nc_u32_e32 v83, v2, v25
	v_lshl_or_b32 v98, v27, 2, v26
	v_and_b32_e32 v27, 63, v30
	s_delay_alu instid0(VALU_DEP_4) | instskip(SKIP_2) | instid1(VALU_DEP_4)
	v_and_b32_e32 v6, 63, v6
	v_dual_add_nc_u32 v30, 62, v8 :: v_dual_bitop2_b32 v11, 63, v11 bitop3:0x40
	v_add_nc_u32_e32 v82, v2, v24
	v_lshl_or_b32 v100, v27, 2, v26
	s_delay_alu instid0(VALU_DEP_4)
	v_lshl_or_b32 v6, v6, 2, v26
	v_add_nc_u32_e32 v27, 31, v8
	scratch_store_b32 off, v6, off offset:24 ; 4-byte Folded Spill
	s_wait_xcnt 0x0
	v_lshl_or_b32 v6, v7, 2, v26
	v_add_nc_u32_e32 v7, 13, v8
	scratch_store_b32 off, v6, off offset:28 ; 4-byte Folded Spill
	s_wait_xcnt 0x0
	v_lshl_or_b32 v6, v9, 2, v26
	v_dual_add_nc_u32 v9, 14, v8 :: v_dual_bitop2_b32 v7, 63, v7 bitop3:0x40
	scratch_store_b32 off, v6, off offset:32 ; 4-byte Folded Spill
	s_wait_xcnt 0x0
	v_lshl_or_b32 v6, v10, 2, v26
	v_dual_add_nc_u32 v10, 15, v8 :: v_dual_bitop2_b32 v9, 63, v9 bitop3:0x40
	scratch_store_b32 off, v6, off offset:36 ; 4-byte Folded Spill
	s_wait_xcnt 0x0
	v_lshl_or_b32 v6, v11, 2, v26
	v_and_b32_e32 v10, 63, v10
	scratch_store_b32 off, v6, off offset:40 ; 4-byte Folded Spill
	s_wait_xcnt 0x0
	v_dual_add_nc_u32 v6, 12, v8 :: v_dual_add_nc_u32 v11, 16, v8
	s_delay_alu instid0(VALU_DEP_1) | instskip(NEXT) | instid1(VALU_DEP_2)
	v_and_b32_e32 v6, 63, v6
	v_and_b32_e32 v11, 63, v11
	s_delay_alu instid0(VALU_DEP_2)
	v_lshl_or_b32 v6, v6, 2, v26
	scratch_store_b32 off, v6, off offset:44 ; 4-byte Folded Spill
	s_wait_xcnt 0x0
	v_lshl_or_b32 v6, v7, 2, v26
	v_add_nc_u32_e32 v7, 18, v8
	scratch_store_b32 off, v6, off offset:48 ; 4-byte Folded Spill
	s_wait_xcnt 0x0
	v_lshl_or_b32 v6, v9, 2, v26
	v_dual_add_nc_u32 v9, 19, v8 :: v_dual_bitop2_b32 v7, 63, v7 bitop3:0x40
	scratch_store_b32 off, v6, off offset:52 ; 4-byte Folded Spill
	s_wait_xcnt 0x0
	v_lshl_or_b32 v6, v10, 2, v26
	v_dual_add_nc_u32 v10, 20, v8 :: v_dual_bitop2_b32 v9, 63, v9 bitop3:0x40
	scratch_store_b32 off, v6, off offset:56 ; 4-byte Folded Spill
	s_wait_xcnt 0x0
	v_lshl_or_b32 v6, v11, 2, v26
	v_and_b32_e32 v10, 63, v10
	scratch_store_b32 off, v6, off offset:60 ; 4-byte Folded Spill
	s_wait_xcnt 0x0
	v_dual_add_nc_u32 v6, 17, v8 :: v_dual_add_nc_u32 v11, 21, v8
	v_lshl_or_b32 v92, v10, 2, v26
	s_delay_alu instid0(VALU_DEP_2) | instskip(NEXT) | instid1(VALU_DEP_3)
	v_dual_add_nc_u32 v10, 23, v8 :: v_dual_bitop2_b32 v6, 63, v6 bitop3:0x40
	v_and_b32_e32 v11, 63, v11
	s_delay_alu instid0(VALU_DEP_2) | instskip(NEXT) | instid1(VALU_DEP_2)
	v_lshl_or_b32 v6, v6, 2, v26
	v_lshl_or_b32 v93, v11, 2, v26
	v_add_nc_u32_e32 v11, 24, v8
	scratch_store_b32 off, v6, off offset:64 ; 4-byte Folded Spill
	s_wait_xcnt 0x0
	v_lshl_or_b32 v6, v7, 2, v26
	v_mov_b32_e32 v7, v3
	scratch_store_b32 off, v6, off offset:68 ; 4-byte Folded Spill
	s_wait_xcnt 0x0
	v_lshl_or_b32 v6, v9, 2, v26
	v_add_nc_u32_e32 v9, 22, v8
	scratch_store_b32 off, v6, off offset:72 ; 4-byte Folded Spill
	s_wait_xcnt 0x0
	v_and_b32_e32 v6, 0x1ffe0, v1
	v_and_b32_e32 v1, 63, v9
	;; [unrolled: 1-line block ×3, first 2 shown]
	s_delay_alu instid0(VALU_DEP_3) | instskip(NEXT) | instid1(VALU_DEP_3)
	v_lshl_add_u64 v[20:21], s[36:37], 2, v[6:7]
	v_lshl_or_b32 v94, v1, 2, v26
	s_delay_alu instid0(VALU_DEP_3) | instskip(NEXT) | instid1(VALU_DEP_3)
	v_lshl_or_b32 v95, v9, 2, v26
	v_mul_lo_u32 v9, v21, s18
	s_delay_alu instid0(VALU_DEP_4)
	v_or_b32_e32 v29, 20, v20
	v_and_b32_e32 v28, 63, v16
	v_and_b32_e32 v10, 63, v11
	v_mad_nc_u64_u32 v[6:7], v20, s18, s[6:7]
	v_and_b32_e32 v11, 63, v12
	v_mad_nc_u64_u32 v[18:19], v29, s18, s[6:7]
	v_or_b32_e32 v23, 16, v20
	v_lshl_or_b32 v96, v10, 2, v26
	v_or_b32_e32 v31, 24, v20
	v_dual_add_nc_u32 v7, v9, v7 :: v_dual_bitop2_b32 v32, 28, v20 bitop3:0x54
	v_lshl_or_b32 v97, v11, 2, v26
	v_add_nc_u32_e32 v19, v9, v19
	v_mad_nc_u64_u32 v[16:17], v23, s18, s[6:7]
	v_or_b32_e32 v22, 12, v20
	v_mad_u32 v7, v20, s19, v7
	s_delay_alu instid0(VALU_DEP_3) | instskip(NEXT) | instid1(VALU_DEP_3)
	v_add_nc_u32_e32 v17, v9, v17
	v_mad_nc_u64_u32 v[14:15], v22, s18, s[6:7]
	v_or_b32_e32 v21, 8, v20
	s_delay_alu instid0(VALU_DEP_3) | instskip(NEXT) | instid1(VALU_DEP_2)
	v_mad_u32 v17, v23, s19, v17
	v_mad_nc_u64_u32 v[12:13], v21, s18, s[6:7]
	s_delay_alu instid0(VALU_DEP_1) | instskip(NEXT) | instid1(VALU_DEP_1)
	v_dual_add_nc_u32 v13, v9, v13 :: v_dual_bitop2_b32 v1, 4, v20 bitop3:0x54
	v_mad_nc_u64_u32 v[10:11], v1, s18, s[6:7]
	s_delay_alu instid0(VALU_DEP_1) | instskip(NEXT) | instid1(VALU_DEP_1)
	v_add_nc_u32_e32 v11, v9, v11
	v_mad_u32 v11, v1, s19, v11
	v_add_nc_u32_e32 v1, v9, v15
	v_mad_u32 v13, v21, s19, v13
	v_mad_nc_u64_u32 v[20:21], v31, s18, s[6:7]
	s_delay_alu instid0(VALU_DEP_3) | instskip(SKIP_2) | instid1(VALU_DEP_1)
	v_mad_u32 v15, v22, s19, v1
	v_mad_nc_u64_u32 v[22:23], v32, s18, s[6:7]
	v_add_nc_u32_e32 v1, 29, v8
	v_and_b32_e32 v1, 63, v1
	v_add_nc_u32_e32 v21, v9, v21
	v_lshl_or_b32 v99, v28, 2, v26
	v_add_nc_u32_e32 v28, 30, v8
	s_delay_alu instid0(VALU_DEP_4) | instskip(SKIP_2) | instid1(VALU_DEP_4)
	v_lshl_or_b32 v101, v1, 2, v26
	v_add_nc_u32_e32 v1, v9, v23
	v_mad_u32 v19, v29, s19, v19
	v_and_b32_e32 v9, 63, v28
	v_add_nc_u32_e32 v28, 33, v8
	s_delay_alu instid0(VALU_DEP_4) | instskip(SKIP_1) | instid1(VALU_DEP_4)
	v_mad_u32 v23, v32, s19, v1
	v_add_nc_u32_e32 v1, 34, v8
	v_lshl_or_b32 v102, v9, 2, v26
	v_and_b32_e32 v9, 63, v27
	v_and_b32_e32 v27, 63, v28
	s_delay_alu instid0(VALU_DEP_4) | instskip(NEXT) | instid1(VALU_DEP_3)
	v_dual_add_nc_u32 v28, 35, v8 :: v_dual_bitop2_b32 v1, 63, v1 bitop3:0x40
	v_lshl_or_b32 v103, v9, 2, v26
	v_add_nc_u32_e32 v9, 38, v8
	s_delay_alu instid0(VALU_DEP_4) | instskip(NEXT) | instid1(VALU_DEP_4)
	v_lshl_or_b32 v105, v27, 2, v26
	v_lshl_or_b32 v106, v1, 2, v26
	v_dual_add_nc_u32 v1, 37, v8 :: v_dual_add_nc_u32 v27, 39, v8
	v_and_b32_e32 v0, 63, v0
	v_and_b32_e32 v9, 63, v9
	;; [unrolled: 1-line block ×3, first 2 shown]
	s_delay_alu instid0(VALU_DEP_4)
	v_and_b32_e32 v1, 63, v1
	v_and_b32_e32 v27, 63, v27
	v_lshl_or_b32 v108, v0, 2, v26
	v_add_nc_u32_e32 v0, 40, v8
	v_lshl_or_b32 v107, v28, 2, v26
	v_lshl_or_b32 v109, v1, 2, v26
	v_add_nc_u32_e32 v1, 41, v8
	v_lshl_or_b32 v110, v9, 2, v26
	v_add_nc_u32_e32 v9, 42, v8
	v_lshl_or_b32 v111, v27, 2, v26
	v_dual_add_nc_u32 v27, 43, v8 :: v_dual_add_nc_u32 v28, 44, v8
	v_and_b32_e32 v0, 63, v0
	v_and_b32_e32 v1, 63, v1
	v_and_b32_e32 v9, 63, v9
	s_delay_alu instid0(VALU_DEP_4)
	v_and_b32_e32 v27, 63, v27
	v_and_b32_e32 v28, 63, v28
	v_lshl_or_b32 v112, v0, 2, v26
	v_add_nc_u32_e32 v0, 45, v8
	v_lshl_or_b32 v113, v1, 2, v26
	v_add_nc_u32_e32 v1, 46, v8
	;; [unrolled: 2-line block ×4, first 2 shown]
	v_and_b32_e32 v0, 63, v0
	v_and_b32_e32 v1, 63, v1
	;; [unrolled: 1-line block ×3, first 2 shown]
	v_lshl_or_b32 v116, v28, 2, v26
	v_dual_add_nc_u32 v28, 49, v8 :: v_dual_bitop2_b32 v27, 63, v27 bitop3:0x40
	v_lshl_or_b32 v117, v0, 2, v26
	v_add_nc_u32_e32 v0, 50, v8
	v_lshl_or_b32 v118, v1, 2, v26
	v_add_nc_u32_e32 v1, 51, v8
	;; [unrolled: 2-line block ×3, first 2 shown]
	v_and_b32_e32 v28, 63, v28
	v_lshl_or_b32 v120, v27, 2, v26
	v_add_nc_u32_e32 v27, 53, v8
	v_and_b32_e32 v0, 63, v0
	v_and_b32_e32 v1, 63, v1
	;; [unrolled: 1-line block ×3, first 2 shown]
	v_lshl_or_b32 v121, v28, 2, v26
	v_dual_add_nc_u32 v28, 54, v8 :: v_dual_bitop2_b32 v27, 63, v27 bitop3:0x40
	v_lshl_or_b32 v122, v0, 2, v26
	v_add_nc_u32_e32 v0, 55, v8
	v_lshl_or_b32 v123, v1, 2, v26
	v_add_nc_u32_e32 v1, 56, v8
	;; [unrolled: 2-line block ×3, first 2 shown]
	v_and_b32_e32 v0, 63, v0
	v_and_b32_e32 v28, 63, v28
	;; [unrolled: 1-line block ×3, first 2 shown]
	v_lshl_or_b32 v125, v27, 2, v26
	v_dual_mov_b32 v9, v3 :: v_dual_bitop2_b32 v29, 63, v9 bitop3:0x40
	v_lshl_or_b32 v127, v0, 2, v26
	s_delay_alu instid0(VALU_DEP_4) | instskip(SKIP_4) | instid1(VALU_DEP_4)
	v_lshl_or_b32 v71, v1, 2, v26
	v_add_nc_u32_e32 v27, 58, v8
	v_mad_u32 v21, v31, s19, v21
	v_mul_u64_e32 v[0:1], s[28:29], v[8:9]
	v_lshl_or_b32 v126, v28, 2, v26
	v_dual_add_nc_u32 v28, 59, v8 :: v_dual_bitop2_b32 v27, 63, v27 bitop3:0x40
	v_lshl_or_b32 v74, v29, 2, v26
	v_dual_add_nc_u32 v9, 60, v8 :: v_dual_add_nc_u32 v29, 61, v8
	v_add_nc_u32_e32 v8, -1, v8
	s_delay_alu instid0(VALU_DEP_4) | instskip(SKIP_1) | instid1(VALU_DEP_4)
	v_and_b32_e32 v28, 63, v28
	v_lshl_or_b32 v75, v27, 2, v26
	v_and_b32_e32 v9, 63, v9
	v_and_b32_e32 v27, 63, v29
	;; [unrolled: 1-line block ×4, first 2 shown]
	v_lshl_or_b32 v76, v28, 2, v26
	v_lshl_or_b32 v77, v9, 2, v26
	;; [unrolled: 1-line block ×4, first 2 shown]
	v_add_nc_u64_e32 v[8:9], 0x200, v[10:11]
	v_add_nc_u64_e32 v[10:11], 0x200, v[12:13]
	;; [unrolled: 1-line block ×7, first 2 shown]
	v_lshl_or_b32 v79, v29, 2, v26
	s_lshl_b64 s[28:29], s[18:19], 2
	s_branch .LBB215_4
.LBB215_2:                              ;   in Loop: Header=BB215_4 Depth=1
	s_wait_xcnt 0x0
	s_or_b32 exec_lo, exec_lo, s1
.LBB215_3:                              ;   in Loop: Header=BB215_4 Depth=1
	s_add_co_i32 s2, s2, 0x10000
	s_delay_alu instid0(SALU_CYCLE_1)
	s_cmp_lt_u32 s2, s33
	s_cbranch_scc0 .LBB215_15
.LBB215_4:                              ; =>This Loop Header: Depth=1
                                        ;     Child Loop BB215_8 Depth 2
	s_and_not1_b32 vcc_lo, exec_lo, s39
	s_cbranch_vccnz .LBB215_3
; %bb.5:                                ;   in Loop: Header=BB215_4 Depth=1
	s_load_b32 s1, s[24:25], 0x4
	s_wait_kmcnt 0x0
	s_cvt_f32_u32 s3, s1
	s_sub_co_i32 s16, 0, s1
	s_delay_alu instid0(SALU_CYCLE_2) | instskip(SKIP_1) | instid1(TRANS32_DEP_1)
	v_rcp_iflag_f32_e32 v22, s3
	v_nop
	v_readfirstlane_b32 s3, v22
	s_mul_f32 s3, s3, 0x4f7ffffe
	s_delay_alu instid0(SALU_CYCLE_3) | instskip(NEXT) | instid1(SALU_CYCLE_3)
	s_cvt_u32_f32 s3, s3
	s_mul_i32 s16, s16, s3
	s_delay_alu instid0(SALU_CYCLE_1) | instskip(NEXT) | instid1(SALU_CYCLE_1)
	s_mul_hi_u32 s16, s3, s16
	s_add_co_i32 s16, s3, s16
	s_delay_alu instid0(SALU_CYCLE_1) | instskip(NEXT) | instid1(SALU_CYCLE_1)
	s_mul_u64 s[36:37], s[22:23], s[16:17]
	s_mul_i32 s3, s37, s1
	s_add_co_i32 s16, s37, 1
	s_sub_co_i32 s3, s22, s3
	s_delay_alu instid0(SALU_CYCLE_1)
	s_sub_co_i32 s36, s3, s1
	s_cmp_ge_u32 s3, s1
	s_cselect_b32 s16, s16, s37
	s_cselect_b32 s3, s36, s3
	s_add_co_i32 s36, s16, 1
	s_cmp_ge_u32 s3, s1
	s_cselect_b32 s16, s36, s16
	s_delay_alu instid0(SALU_CYCLE_1) | instskip(NEXT) | instid1(SALU_CYCLE_1)
	s_mul_i32 s1, s16, s1
	s_sub_co_i32 s36, s22, s1
	s_delay_alu instid0(SALU_CYCLE_1) | instskip(SKIP_1) | instid1(SALU_CYCLE_1)
	s_cmp_lt_u32 s40, s36
	s_cselect_b32 s1, -1, 0
	s_cmp_lg_u32 s1, 0
	s_add_co_ci_u32 s1, s16, 0
	s_delay_alu instid0(SALU_CYCLE_1)
	s_cmp_eq_u32 s1, 0
	s_cbranch_scc1 .LBB215_3
; %bb.6:                                ;   in Loop: Header=BB215_4 Depth=1
	v_mov_b32_e32 v22, s2
	s_cmp_lt_i32 s1, 1
	global_load_b64 v[22:23], v22, s[12:13] scale_offset
	s_cbranch_scc1 .LBB215_12
; %bb.7:                                ;   in Loop: Header=BB215_4 Depth=1
	s_mov_b32 s3, s17
	v_cvt_f64_i32_e32 v[28:29], s40
	s_lshl_b64 s[42:43], s[2:3], 3
	v_cvt_f64_u32_e32 v[24:25], s36
	s_add_nc_u64 s[44:45], s[4:5], s[42:43]
	s_mul_i32 s16, s16, s40
	global_load_b64 v[26:27], v3, s[44:45]
	v_cvt_f64_u32_e32 v[30:31], s16
	s_add_nc_u64 s[36:37], s[8:9], s[42:43]
	s_add_co_i32 s3, s1, -1
	global_load_b64 v[44:45], v3, s[36:37]
	s_mov_b32 s16, 0
	v_mov_b32_e32 v58, 0
	s_delay_alu instid0(VALU_DEP_1) | instskip(SKIP_3) | instid1(VALU_DEP_1)
	v_dual_mov_b32 v60, v58 :: v_dual_mov_b32 v61, v58
	v_dual_mov_b32 v56, v58 :: v_dual_mov_b32 v57, v58
	;; [unrolled: 1-line block ×3, first 2 shown]
	v_dual_max_num_f64 v[28:29], v[28:29], v[28:29] :: v_dual_mov_b32 v59, v58
	v_min_num_f64_e32 v[24:25], v[28:29], v[24:25]
	s_delay_alu instid0(VALU_DEP_1) | instskip(NEXT) | instid1(VALU_DEP_1)
	v_add_f64_e32 v[24:25], v[24:25], v[30:31]
	v_cvt_i32_f64_e32 v24, v[24:25]
	s_delay_alu instid0(VALU_DEP_1) | instskip(NEXT) | instid1(VALU_DEP_1)
	v_lshlrev_b32_e32 v24, 7, v24
	v_ashrrev_i32_e32 v25, 31, v24
	s_delay_alu instid0(VALU_DEP_1) | instskip(SKIP_4) | instid1(VALU_DEP_2)
	v_lshlrev_b64_e32 v[42:43], 2, v[24:25]
	s_wait_loadcnt 0x1
	v_add_nc_u64_e32 v[28:29], s[6:7], v[26:27]
	s_wait_loadcnt 0x0
	v_add_nc_u64_e32 v[44:45], s[10:11], v[44:45]
	v_add_nc_u64_e32 v[24:25], s[30:31], v[28:29]
	s_delay_alu instid0(VALU_DEP_1) | instskip(NEXT) | instid1(VALU_DEP_1)
	v_add_nc_u64_e32 v[24:25], v[24:25], v[42:43]
	v_lshl_add_u64 v[24:25], v[4:5], 2, v[24:25]
	s_delay_alu instid0(VALU_DEP_1) | instskip(NEXT) | instid1(VALU_DEP_1)
	v_lshl_add_u64 v[28:29], s[18:19], 2, v[24:25]
	v_add_nc_u64_e32 v[30:31], s[28:29], v[28:29]
	s_delay_alu instid0(VALU_DEP_1) | instskip(NEXT) | instid1(VALU_DEP_1)
	v_add_nc_u64_e32 v[32:33], s[28:29], v[30:31]
	v_add_nc_u64_e32 v[34:35], s[28:29], v[32:33]
	s_delay_alu instid0(VALU_DEP_1) | instskip(NEXT) | instid1(VALU_DEP_1)
	v_add_nc_u64_e32 v[36:37], s[28:29], v[34:35]
	v_add_nc_u64_e32 v[38:39], s[28:29], v[36:37]
	s_delay_alu instid0(VALU_DEP_1)
	v_add_nc_u64_e32 v[40:41], s[28:29], v[38:39]
	s_clause 0x6
	flat_load_b32 v54, v[24:25]
	flat_load_b32 v55, v[28:29]
	;; [unrolled: 1-line block ×8, first 2 shown]
	s_wait_xcnt 0x6
	v_add_nc_u64_e32 v[28:29], v[26:27], v[8:9]
	s_wait_xcnt 0x5
	v_add_nc_u64_e32 v[30:31], v[26:27], v[10:11]
	;; [unrolled: 2-line block ×7, first 2 shown]
	v_add_nc_u64_e32 v[24:25], v[26:27], v[6:7]
	v_add_nc_u64_e32 v[26:27], v[28:29], v[42:43]
	;; [unrolled: 1-line block ×8, first 2 shown]
	v_or_b32_e32 v40, 0x100, v2
	v_add_nc_u64_e32 v[24:25], v[24:25], v[42:43]
	s_delay_alu instid0(VALU_DEP_2) | instskip(SKIP_1) | instid1(VALU_DEP_2)
	v_dual_mov_b32 v41, v43 :: v_dual_bitop2_b32 v40, v40, v42 bitop3:0x54
	v_or_b32_e32 v42, v2, v42
	v_mul_u64_e32 v[40:41], s[20:21], v[40:41]
	s_delay_alu instid0(VALU_DEP_2)
	v_mul_u64_e32 v[42:43], s[20:21], v[42:43]
.LBB215_8:                              ;   Parent Loop BB215_4 Depth=1
                                        ; =>  This Inner Loop Header: Depth=2
	s_wait_xcnt 0x0
	v_add_nc_u64_e32 v[72:73], v[24:25], v[2:3]
	s_wait_loadcnt_dscnt 0x404
	v_dual_mov_b32 v86, v52 :: v_dual_mov_b32 v87, v53
	s_wait_loadcnt_dscnt 0x202
	v_dual_mov_b32 v88, v50 :: v_dual_mov_b32 v89, v51
	;; [unrolled: 2-line block ×3, first 2 shown]
	v_add_nc_u64_e32 v[64:65], 0x100, v[72:73]
	flat_load_b32 v62, v[72:73] offset:256
	s_cmp_lg_u32 s3, s16
	v_add_nc_u64_e32 v[64:65], s[28:29], v[64:65]
	s_delay_alu instid0(VALU_DEP_1)
	v_add_nc_u64_e32 v[66:67], s[28:29], v[64:65]
	s_clause 0x1
	flat_load_b32 v63, v[64:65]
	flat_load_b32 v64, v[66:67]
	s_wait_xcnt 0x0
	v_add_nc_u64_e32 v[66:67], s[28:29], v[66:67]
	s_delay_alu instid0(VALU_DEP_1)
	v_add_nc_u64_e32 v[68:69], s[28:29], v[66:67]
	s_clause 0x1
	flat_load_b32 v65, v[66:67]
	flat_load_b32 v66, v[68:69]
	s_wait_xcnt 0x0
	v_add_nc_u64_e32 v[68:69], s[28:29], v[68:69]
	s_delay_alu instid0(VALU_DEP_1)
	v_add_nc_u64_e32 v[84:85], s[28:29], v[68:69]
	s_clause 0x1
	flat_load_b32 v67, v[68:69]
	flat_load_b32 v68, v[84:85]
	s_wait_xcnt 0x0
	v_add_nc_u64_e32 v[84:85], s[28:29], v[84:85]
	flat_load_b32 v69, v[84:85]
	s_wait_xcnt 0x0
	v_add_nc_u64_e32 v[84:85], v[44:45], v[42:43]
	flat_load_b32 v70, v[84:85]
	s_wait_xcnt 0x0
	v_dual_mov_b32 v84, v54 :: v_dual_mov_b32 v85, v55
	s_cbranch_scc0 .LBB215_10
; %bb.9:                                ;   in Loop: Header=BB215_8 Depth=2
	flat_load_b32 v84, v[72:73] offset:512
	s_wait_xcnt 0x0
	v_add_nc_u64_e32 v[72:73], v[26:27], v[2:3]
	flat_load_b32 v85, v[72:73]
	s_wait_xcnt 0x0
	v_add_nc_u64_e32 v[72:73], v[28:29], v[2:3]
	flat_load_b32 v86, v[72:73]
	s_wait_xcnt 0x0
	v_add_nc_u64_e32 v[72:73], v[30:31], v[2:3]
	flat_load_b32 v87, v[72:73]
	s_wait_xcnt 0x0
	v_add_nc_u64_e32 v[72:73], v[32:33], v[2:3]
	flat_load_b32 v88, v[72:73]
	s_wait_xcnt 0x0
	v_add_nc_u64_e32 v[72:73], v[34:35], v[2:3]
	flat_load_b32 v89, v[72:73]
	s_wait_xcnt 0x0
	v_add_nc_u64_e32 v[72:73], v[36:37], v[2:3]
	flat_load_b32 v90, v[72:73]
	s_wait_xcnt 0x0
	v_add_nc_u64_e32 v[72:73], v[38:39], v[2:3]
	flat_load_b32 v91, v[72:73]
.LBB215_10:                             ;   in Loop: Header=BB215_8 Depth=2
	s_wait_xcnt 0x0
	v_add_nc_u64_e32 v[72:73], v[44:45], v[40:41]
	s_wait_loadcnt_dscnt 0x0
	v_pk_fma_f32 v[54:55], v[54:55], v[70:71], v[58:59] op_sel_hi:[1,0,1]
	v_pk_fma_f32 v[52:53], v[52:53], v[70:71], v[60:61] op_sel_hi:[1,0,1]
	;; [unrolled: 1-line block ×4, first 2 shown]
	v_add_nc_u64_e32 v[24:25], 0x200, v[24:25]
	v_add_nc_u64_e32 v[26:27], 0x200, v[26:27]
	flat_load_b32 v72, v[72:73]
	v_add_nc_u64_e32 v[28:29], 0x200, v[28:29]
	v_add_nc_u64_e32 v[30:31], 0x200, v[30:31]
	;; [unrolled: 1-line block ×7, first 2 shown]
	s_add_co_i32 s16, s16, 1
	s_delay_alu instid0(SALU_CYCLE_1)
	s_cmp_ge_i32 s16, s1
	s_wait_loadcnt_dscnt 0x0
	v_pk_fma_f32 v[46:47], v[68:69], v[72:73], v[46:47] op_sel_hi:[1,0,1]
	v_pk_fma_f32 v[56:57], v[66:67], v[72:73], v[50:51] op_sel_hi:[1,0,1]
	;; [unrolled: 1-line block ×4, first 2 shown]
	s_cbranch_scc1 .LBB215_13
; %bb.11:                               ;   in Loop: Header=BB215_8 Depth=2
	v_dual_mov_b32 v54, v84 :: v_dual_mov_b32 v55, v85
	v_dual_mov_b32 v52, v86 :: v_dual_mov_b32 v53, v87
	v_dual_mov_b32 v50, v88 :: v_dual_mov_b32 v51, v89
	v_dual_mov_b32 v48, v90 :: v_dual_mov_b32 v49, v91
	s_branch .LBB215_8
.LBB215_12:                             ;   in Loop: Header=BB215_4 Depth=1
	v_mov_b32_e32 v47, 0
	s_delay_alu instid0(VALU_DEP_1)
	v_dual_mov_b32 v46, v47 :: v_dual_mov_b32 v57, v47
	v_dual_mov_b32 v56, v47 :: v_dual_mov_b32 v61, v47
	;; [unrolled: 1-line block ×3, first 2 shown]
	v_mov_b32_e32 v58, v47
.LBB215_13:                             ;   in Loop: Header=BB215_4 Depth=1
	ds_store_2addr_stride64_b32 v82, v58, v59 offset1:1
	ds_store_2addr_stride64_b32 v82, v60, v61 offset0:2 offset1:3
	ds_store_2addr_stride64_b32 v82, v56, v57 offset0:4 offset1:5
	ds_store_b32 v82, v46 offset:1536
	ds_store_b32 v83, v47
	s_wait_storecnt 0x0
	s_wait_loadcnt_dscnt 0x0
	s_barrier_signal -1
	s_barrier_wait -1
	s_wait_xcnt 0x0
	s_and_saveexec_b32 s1, s0
	s_cbranch_execz .LBB215_2
; %bb.14:                               ;   in Loop: Header=BB215_4 Depth=1
	s_clause 0x7
	scratch_load_b32 v25, off, off
	scratch_load_b32 v26, off, off offset:4
	scratch_load_b32 v27, off, off offset:8
	;; [unrolled: 1-line block ×7, first 2 shown]
	ds_load_b32 v24, v81
	v_add_nc_u64_e32 v[22:23], s[14:15], v[22:23]
	s_delay_alu instid0(VALU_DEP_1) | instskip(NEXT) | instid1(VALU_DEP_1)
	v_add_nc_u64_e32 v[22:23], s[34:35], v[22:23]
	v_lshl_add_u64 v[22:23], v[0:1], 2, v[22:23]
	s_wait_loadcnt 0x7
	ds_load_b32 v25, v25
	s_wait_loadcnt 0x6
	ds_load_b32 v26, v26
	;; [unrolled: 2-line block ×7, first 2 shown]
	s_wait_dscnt 0x7
	v_add_f32_e32 v24, 0, v24
	s_wait_loadcnt 0x0
	ds_load_b32 v32, v32
	s_wait_dscnt 0x7
	v_add_f32_e32 v24, v24, v25
	scratch_load_b32 v25, off, off offset:28 ; 4-byte Folded Reload
	s_wait_dscnt 0x6
	v_add_f32_e32 v24, v24, v26
	scratch_load_b32 v26, off, off offset:32 ; 4-byte Folded Reload
	;; [unrolled: 3-line block ×7, first 2 shown]
	s_wait_loadcnt 0x6
	ds_load_b32 v25, v25
	s_wait_loadcnt 0x5
	ds_load_b32 v26, v26
	;; [unrolled: 2-line block ×6, first 2 shown]
	s_wait_dscnt 0x5
	v_add_f32_e32 v24, v24, v25
	scratch_load_b32 v25, off, off offset:60 ; 4-byte Folded Reload
	s_wait_loadcnt 0x1
	ds_load_b32 v31, v31
	s_wait_dscnt 0x5
	v_add_f32_e32 v24, v24, v26
	scratch_load_b32 v26, off, off offset:64 ; 4-byte Folded Reload
	s_wait_dscnt 0x4
	v_add_f32_e32 v24, v24, v27
	scratch_load_b32 v27, off, off offset:68 ; 4-byte Folded Reload
	;; [unrolled: 3-line block ×3, first 2 shown]
	s_wait_loadcnt 0x3
	ds_load_b32 v25, v25
	s_wait_loadcnt 0x2
	ds_load_b32 v26, v26
	s_wait_loadcnt 0x1
	ds_load_b32 v27, v27
	s_wait_dscnt 0x5
	v_add_f32_e32 v24, v24, v29
	s_wait_dscnt 0x4
	s_delay_alu instid0(VALU_DEP_1) | instskip(SKIP_1) | instid1(VALU_DEP_1)
	v_add_f32_e32 v24, v24, v30
	s_wait_dscnt 0x3
	v_add_f32_e32 v24, v24, v31
	s_delay_alu instid0(VALU_DEP_1)
	v_add_f32_e32 v24, v24, v32
	s_wait_loadcnt 0x0
	ds_load_b32 v28, v28
	ds_load_b32 v29, v92
	ds_load_b32 v30, v93
	ds_load_b32 v31, v94
	ds_load_b32 v32, v95
	s_wait_dscnt 0x7
	v_add_f32_e32 v24, v24, v25
	ds_load_b32 v25, v96
	s_wait_dscnt 0x7
	v_add_f32_e32 v24, v24, v26
	ds_load_b32 v26, v97
	s_wait_dscnt 0x7
	v_add_f32_e32 v24, v24, v27
	ds_load_b32 v27, v98
	s_wait_dscnt 0x7
	v_add_f32_e32 v24, v24, v28
	s_wait_dscnt 0x6
	s_delay_alu instid0(VALU_DEP_1) | instskip(SKIP_1) | instid1(VALU_DEP_1)
	v_add_f32_e32 v24, v24, v29
	s_wait_dscnt 0x5
	v_add_f32_e32 v24, v24, v30
	s_wait_dscnt 0x4
	s_delay_alu instid0(VALU_DEP_1) | instskip(SKIP_1) | instid1(VALU_DEP_1)
	v_add_f32_e32 v24, v24, v31
	s_wait_dscnt 0x3
	v_add_f32_e32 v24, v24, v32
	ds_load_b32 v28, v99
	ds_load_b32 v29, v100
	ds_load_b32 v30, v101
	ds_load_b32 v31, v102
	ds_load_b32 v32, v103
	s_wait_dscnt 0x7
	v_add_f32_e32 v24, v24, v25
	ds_load_b32 v25, v104
	s_wait_dscnt 0x7
	v_add_f32_e32 v24, v24, v26
	ds_load_b32 v26, v105
	s_wait_dscnt 0x7
	v_add_f32_e32 v24, v24, v27
	ds_load_b32 v27, v106
	s_wait_dscnt 0x7
	v_add_f32_e32 v24, v24, v28
	s_wait_dscnt 0x6
	s_delay_alu instid0(VALU_DEP_1) | instskip(SKIP_1) | instid1(VALU_DEP_1)
	v_add_f32_e32 v24, v24, v29
	s_wait_dscnt 0x5
	v_add_f32_e32 v24, v24, v30
	s_wait_dscnt 0x4
	s_delay_alu instid0(VALU_DEP_1) | instskip(SKIP_1) | instid1(VALU_DEP_1)
	v_add_f32_e32 v24, v24, v31
	s_wait_dscnt 0x3
	v_add_f32_e32 v24, v24, v32
	;; [unrolled: 26-line block ×5, first 2 shown]
	ds_load_b32 v28, v76
	ds_load_b32 v29, v77
	;; [unrolled: 1-line block ×5, first 2 shown]
	s_wait_dscnt 0x7
	v_add_f32_e32 v24, v24, v25
	s_wait_dscnt 0x6
	s_delay_alu instid0(VALU_DEP_1) | instskip(SKIP_1) | instid1(VALU_DEP_1)
	v_add_f32_e32 v24, v24, v26
	s_wait_dscnt 0x5
	v_add_f32_e32 v24, v24, v27
	s_wait_dscnt 0x4
	s_delay_alu instid0(VALU_DEP_1) | instskip(SKIP_1) | instid1(VALU_DEP_1)
	v_add_f32_e32 v24, v24, v28
	;; [unrolled: 5-line block ×3, first 2 shown]
	s_wait_dscnt 0x1
	v_add_f32_e32 v24, v24, v31
	s_wait_dscnt 0x0
	s_delay_alu instid0(VALU_DEP_1) | instskip(NEXT) | instid1(VALU_DEP_1)
	v_add_f32_e32 v24, v24, v32
	v_mul_f32_e32 v24, s38, v24
	flat_atomic_add_f32 v[22:23], v24 scope:SCOPE_DEV
	s_branch .LBB215_2
.LBB215_15:
	s_sendmsg sendmsg(MSG_DEALLOC_VGPRS)
	s_endpgm
	.section	.rodata,"a",@progbits
	.p2align	6, 0x0
	.amdhsa_kernel _ZL36rocblas_gemvt_double_buffered_kernelILb0ELi128ELi8ELi8EPKffKPfEviiT4_lPKT3_lilS7_lilPT5_lili
		.amdhsa_group_segment_fixed_size 32768
		.amdhsa_private_segment_fixed_size 80
		.amdhsa_kernarg_size 384
		.amdhsa_user_sgpr_count 2
		.amdhsa_user_sgpr_dispatch_ptr 0
		.amdhsa_user_sgpr_queue_ptr 0
		.amdhsa_user_sgpr_kernarg_segment_ptr 1
		.amdhsa_user_sgpr_dispatch_id 0
		.amdhsa_user_sgpr_kernarg_preload_length 0
		.amdhsa_user_sgpr_kernarg_preload_offset 0
		.amdhsa_user_sgpr_private_segment_size 0
		.amdhsa_wavefront_size32 1
		.amdhsa_uses_dynamic_stack 0
		.amdhsa_enable_private_segment 1
		.amdhsa_system_sgpr_workgroup_id_x 1
		.amdhsa_system_sgpr_workgroup_id_y 1
		.amdhsa_system_sgpr_workgroup_id_z 1
		.amdhsa_system_sgpr_workgroup_info 0
		.amdhsa_system_vgpr_workitem_id 1
		.amdhsa_next_free_vgpr 128
		.amdhsa_next_free_sgpr 46
		.amdhsa_named_barrier_count 0
		.amdhsa_reserve_vcc 1
		.amdhsa_float_round_mode_32 0
		.amdhsa_float_round_mode_16_64 0
		.amdhsa_float_denorm_mode_32 3
		.amdhsa_float_denorm_mode_16_64 3
		.amdhsa_fp16_overflow 0
		.amdhsa_memory_ordered 1
		.amdhsa_forward_progress 1
		.amdhsa_inst_pref_size 40
		.amdhsa_round_robin_scheduling 0
		.amdhsa_exception_fp_ieee_invalid_op 0
		.amdhsa_exception_fp_denorm_src 0
		.amdhsa_exception_fp_ieee_div_zero 0
		.amdhsa_exception_fp_ieee_overflow 0
		.amdhsa_exception_fp_ieee_underflow 0
		.amdhsa_exception_fp_ieee_inexact 0
		.amdhsa_exception_int_div_zero 0
	.end_amdhsa_kernel
	.section	.text._ZL36rocblas_gemvt_double_buffered_kernelILb0ELi128ELi8ELi8EPKffKPfEviiT4_lPKT3_lilS7_lilPT5_lili,"axG",@progbits,_ZL36rocblas_gemvt_double_buffered_kernelILb0ELi128ELi8ELi8EPKffKPfEviiT4_lPKT3_lilS7_lilPT5_lili,comdat
.Lfunc_end215:
	.size	_ZL36rocblas_gemvt_double_buffered_kernelILb0ELi128ELi8ELi8EPKffKPfEviiT4_lPKT3_lilS7_lilPT5_lili, .Lfunc_end215-_ZL36rocblas_gemvt_double_buffered_kernelILb0ELi128ELi8ELi8EPKffKPfEviiT4_lPKT3_lilS7_lilPT5_lili
                                        ; -- End function
	.set _ZL36rocblas_gemvt_double_buffered_kernelILb0ELi128ELi8ELi8EPKffKPfEviiT4_lPKT3_lilS7_lilPT5_lili.num_vgpr, 128
	.set _ZL36rocblas_gemvt_double_buffered_kernelILb0ELi128ELi8ELi8EPKffKPfEviiT4_lPKT3_lilS7_lilPT5_lili.num_agpr, 0
	.set _ZL36rocblas_gemvt_double_buffered_kernelILb0ELi128ELi8ELi8EPKffKPfEviiT4_lPKT3_lilS7_lilPT5_lili.numbered_sgpr, 46
	.set _ZL36rocblas_gemvt_double_buffered_kernelILb0ELi128ELi8ELi8EPKffKPfEviiT4_lPKT3_lilS7_lilPT5_lili.num_named_barrier, 0
	.set _ZL36rocblas_gemvt_double_buffered_kernelILb0ELi128ELi8ELi8EPKffKPfEviiT4_lPKT3_lilS7_lilPT5_lili.private_seg_size, 80
	.set _ZL36rocblas_gemvt_double_buffered_kernelILb0ELi128ELi8ELi8EPKffKPfEviiT4_lPKT3_lilS7_lilPT5_lili.uses_vcc, 1
	.set _ZL36rocblas_gemvt_double_buffered_kernelILb0ELi128ELi8ELi8EPKffKPfEviiT4_lPKT3_lilS7_lilPT5_lili.uses_flat_scratch, 1
	.set _ZL36rocblas_gemvt_double_buffered_kernelILb0ELi128ELi8ELi8EPKffKPfEviiT4_lPKT3_lilS7_lilPT5_lili.has_dyn_sized_stack, 0
	.set _ZL36rocblas_gemvt_double_buffered_kernelILb0ELi128ELi8ELi8EPKffKPfEviiT4_lPKT3_lilS7_lilPT5_lili.has_recursion, 0
	.set _ZL36rocblas_gemvt_double_buffered_kernelILb0ELi128ELi8ELi8EPKffKPfEviiT4_lPKT3_lilS7_lilPT5_lili.has_indirect_call, 0
	.section	.AMDGPU.csdata,"",@progbits
; Kernel info:
; codeLenInByte = 5060
; TotalNumSgprs: 48
; NumVgprs: 128
; ScratchSize: 80
; MemoryBound: 0
; FloatMode: 240
; IeeeMode: 1
; LDSByteSize: 32768 bytes/workgroup (compile time only)
; SGPRBlocks: 0
; VGPRBlocks: 7
; NumSGPRsForWavesPerEU: 48
; NumVGPRsForWavesPerEU: 128
; NamedBarCnt: 0
; Occupancy: 8
; WaveLimiterHint : 1
; COMPUTE_PGM_RSRC2:SCRATCH_EN: 1
; COMPUTE_PGM_RSRC2:USER_SGPR: 2
; COMPUTE_PGM_RSRC2:TRAP_HANDLER: 0
; COMPUTE_PGM_RSRC2:TGID_X_EN: 1
; COMPUTE_PGM_RSRC2:TGID_Y_EN: 1
; COMPUTE_PGM_RSRC2:TGID_Z_EN: 1
; COMPUTE_PGM_RSRC2:TIDIG_COMP_CNT: 1
	.section	.text._ZL32rocblas_gemvt_warp_reduce_kernelILb0ELi256EiPKfS1_KPfEviiT3_lPKT2_lT1_lS7_lS8_lS4_lPT4_lS8_li,"axG",@progbits,_ZL32rocblas_gemvt_warp_reduce_kernelILb0ELi256EiPKfS1_KPfEviiT3_lPKT2_lT1_lS7_lS8_lS4_lPT4_lS8_li,comdat
	.globl	_ZL32rocblas_gemvt_warp_reduce_kernelILb0ELi256EiPKfS1_KPfEviiT3_lPKT2_lT1_lS7_lS8_lS4_lPT4_lS8_li ; -- Begin function _ZL32rocblas_gemvt_warp_reduce_kernelILb0ELi256EiPKfS1_KPfEviiT3_lPKT2_lT1_lS7_lS8_lS4_lPT4_lS8_li
	.p2align	8
	.type	_ZL32rocblas_gemvt_warp_reduce_kernelILb0ELi256EiPKfS1_KPfEviiT3_lPKT2_lT1_lS7_lS8_lS4_lPT4_lS8_li,@function
_ZL32rocblas_gemvt_warp_reduce_kernelILb0ELi256EiPKfS1_KPfEviiT3_lPKT2_lT1_lS7_lS8_lS4_lPT4_lS8_li: ; @_ZL32rocblas_gemvt_warp_reduce_kernelILb0ELi256EiPKfS1_KPfEviiT3_lPKT2_lT1_lS7_lS8_lS4_lPT4_lS8_li
; %bb.0:
	s_load_b32 s33, s[0:1], 0x88
	s_bfe_u32 s2, ttmp6, 0x40014
	s_lshr_b32 s3, ttmp7, 16
	s_add_co_i32 s2, s2, 1
	s_bfe_u32 s5, ttmp6, 0x40008
	s_mul_i32 s4, s3, s2
	s_getreg_b32 s2, hwreg(HW_REG_IB_STS2, 6, 4)
	s_add_co_i32 s5, s5, s4
	s_cmp_eq_u32 s2, 0
	s_mov_b32 s29, 0
	s_cselect_b32 s28, s3, s5
	s_wait_kmcnt 0x0
	s_cmp_ge_u32 s28, s33
	s_cbranch_scc1 .LBB216_38
; %bb.1:
	s_clause 0x6
	s_load_b32 s5, s[0:1], 0x0
	s_load_b256 s[8:15], s[0:1], 0x8
	s_load_b32 s4, s[0:1], 0x28
	s_load_b128 s[24:27], s[0:1], 0x38
	s_load_b32 s7, s[0:1], 0x48
	s_load_b256 s[16:23], s[0:1], 0x58
	s_load_b32 s6, s[0:1], 0x78
	s_wait_xcnt 0x0
	s_bfe_u32 s1, ttmp6, 0x4000c
	s_and_b32 s3, ttmp6, 15
	s_add_co_i32 s1, s1, 1
	v_dual_mov_b32 v3, 0 :: v_dual_bitop2_b32 v2, 31, v0 bitop3:0x40
	s_mul_i32 s30, ttmp9, s1
	v_lshrrev_b32_e32 v4, 3, v0
	s_add_co_i32 s3, s3, s30
	s_cmp_eq_u32 s2, 0
	v_lshlrev_b32_e32 v14, 2, v2
	s_cselect_b32 s31, ttmp9, s3
	v_mbcnt_lo_u32_b32 v1, -1, 0
	v_cmp_eq_u32_e64 s0, 0, v0
	s_wait_kmcnt 0x0
	s_ashr_i32 s3, s5, 31
	v_cmp_gt_i32_e32 vcc_lo, s5, v0
	s_lshr_b32 s3, s3, 24
	v_cmp_gt_u32_e64 s1, 32, v0
	s_add_co_i32 s3, s5, s3
	v_mul_lo_u32 v16, v0, s7
	s_and_b32 s30, s3, 0xffffff00
	v_cmp_eq_u32_e64 s3, 0, v2
	v_dual_cndmask_b32 v2, 0, v0, vcc_lo :: v_dual_bitop2_b32 v5, s30, v0 bitop3:0x54
	v_and_b32_e32 v15, 28, v4
	s_mul_i32 s6, s6, s31
	v_cmp_gt_u32_e64 s2, 8, v0
	s_delay_alu instid0(VALU_DEP_3)
	v_mul_lo_u32 v4, s7, v5
	s_mul_i32 s34, s4, s31
	v_lshlrev_b32_e32 v2, 2, v2
	v_cmp_gt_i32_e64 s4, s30, v0
	v_cmp_gt_i32_e64 s5, s5, v5
	v_lshl_or_b32 v17, v1, 2, 64
	s_lshl_b32 s38, s7, 8
	s_ashr_i32 s7, s6, 31
	s_lshl_b64 s[14:15], s[14:15], 2
	s_ashr_i32 s35, s34, 31
	s_ashr_i32 s31, s30, 31
	v_ashrrev_i32_e32 v5, 31, v4
	s_lshl_b64 s[26:27], s[26:27], 2
	s_lshl_b64 s[22:23], s[22:23], 2
	;; [unrolled: 1-line block ×3, first 2 shown]
	s_branch .LBB216_4
.LBB216_2:                              ;   in Loop: Header=BB216_4 Depth=1
	s_wait_xcnt 0x0
	s_or_b32 exec_lo, exec_lo, s7
.LBB216_3:                              ;   in Loop: Header=BB216_4 Depth=1
	s_add_co_i32 s28, s28, 0x10000
	s_delay_alu instid0(SALU_CYCLE_1)
	s_cmp_lt_u32 s28, s33
	s_cbranch_scc0 .LBB216_38
.LBB216_4:                              ; =>This Loop Header: Depth=1
                                        ;     Child Loop BB216_27 Depth 2
	s_mul_u64 s[6:7], s[10:11], s[28:29]
	s_wait_xcnt 0x0
	s_mul_u64 s[40:41], s[18:19], s[28:29]
	s_lshl_b64 s[6:7], s[6:7], 2
	s_lshl_b64 s[40:41], s[40:41], 2
	s_add_nc_u64 s[6:7], s[8:9], s[6:7]
	s_add_nc_u64 s[40:41], s[16:17], s[40:41]
	s_clause 0x1
	global_load_b32 v18, v3, s[6:7]
	global_load_b32 v6, v3, s[40:41]
	s_wait_loadcnt 0x1
	s_wait_xcnt 0x1
	v_cmp_eq_f32_e64 s6, 0, v18
	s_wait_loadcnt 0x0
	v_cmp_eq_f32_e32 vcc_lo, 1.0, v6
	v_readfirstlane_b32 s39, v6
	s_and_b32 s7, s6, vcc_lo
	s_delay_alu instid0(SALU_CYCLE_1)
	s_and_b32 vcc_lo, exec_lo, s7
	s_cbranch_vccnz .LBB216_3
; %bb.5:                                ;   in Loop: Header=BB216_4 Depth=1
	v_mov_b64_e32 v[8:9], 0
	s_wait_dscnt 0x0
	v_mov_b64_e32 v[10:11], 0
	v_cmp_neq_f32_e64 s7, 0, v18
	s_and_b32 vcc_lo, exec_lo, s6
	s_cbranch_vccnz .LBB216_7
; %bb.6:                                ;   in Loop: Header=BB216_4 Depth=1
	s_wait_xcnt 0x0
	s_lshl_b64 s[40:41], s[28:29], 3
	s_delay_alu instid0(SALU_CYCLE_1)
	s_add_nc_u64 s[40:41], s[12:13], s[40:41]
	global_load_b64 v[6:7], v3, s[40:41]
	s_wait_loadcnt 0x0
	v_add_nc_u64_e32 v[10:11], s[14:15], v[6:7]
.LBB216_7:                              ;   in Loop: Header=BB216_4 Depth=1
	s_and_not1_b32 vcc_lo, exec_lo, s7
	s_cbranch_vccnz .LBB216_9
; %bb.8:                                ;   in Loop: Header=BB216_4 Depth=1
	s_wait_xcnt 0x0
	s_lshl_b64 s[40:41], s[28:29], 3
	s_delay_alu instid0(SALU_CYCLE_1)
	s_add_nc_u64 s[40:41], s[24:25], s[40:41]
	global_load_b64 v[6:7], v3, s[40:41]
	s_wait_loadcnt 0x0
	v_add_nc_u64_e32 v[8:9], s[26:27], v[6:7]
.LBB216_9:                              ;   in Loop: Header=BB216_4 Depth=1
	s_wait_xcnt 0x0
	s_lshl_b64 s[40:41], s[28:29], 3
	s_and_not1_b32 vcc_lo, exec_lo, s6
	s_add_nc_u64 s[40:41], s[20:21], s[40:41]
	global_load_b64 v[6:7], v3, s[40:41]
	s_wait_loadcnt 0x0
	v_add_nc_u64_e32 v[6:7], s[22:23], v[6:7]
	s_cbranch_vccnz .LBB216_13
; %bb.10:                               ;   in Loop: Header=BB216_4 Depth=1
	s_mov_b32 s7, 0
	s_mov_b32 s6, 0
                                        ; implicit-def: $vgpr12
	s_wait_xcnt 0x0
	s_and_saveexec_b32 s40, s0
	s_cbranch_execz .LBB216_14
; %bb.11:                               ;   in Loop: Header=BB216_4 Depth=1
	s_cmp_eq_f32 s39, 0
	s_cbranch_scc1 .LBB216_15
; %bb.12:                               ;   in Loop: Header=BB216_4 Depth=1
	v_add_nc_u64_e32 v[12:13], s[36:37], v[6:7]
	flat_load_b32 v12, v[12:13]
	s_wait_loadcnt_dscnt 0x0
	s_wait_xcnt 0x0
	v_mul_f32_e32 v12, s39, v12
	s_branch .LBB216_16
.LBB216_13:                             ;   in Loop: Header=BB216_4 Depth=1
	s_mov_b32 s6, 0
                                        ; implicit-def: $vgpr12
	s_cbranch_execnz .LBB216_17
	s_branch .LBB216_36
.LBB216_14:                             ;   in Loop: Header=BB216_4 Depth=1
	s_or_b32 exec_lo, exec_lo, s40
	s_delay_alu instid0(SALU_CYCLE_1)
	s_and_b32 vcc_lo, exec_lo, s7
	s_cbranch_vccnz .LBB216_17
	s_branch .LBB216_36
.LBB216_15:                             ;   in Loop: Header=BB216_4 Depth=1
	v_mov_b32_e32 v12, 0
.LBB216_16:                             ;   in Loop: Header=BB216_4 Depth=1
	s_mov_b32 s6, exec_lo
	s_or_b32 exec_lo, exec_lo, s40
	s_delay_alu instid0(SALU_CYCLE_1)
	s_and_b32 vcc_lo, exec_lo, s7
	s_cbranch_vccz .LBB216_36
.LBB216_17:                             ;   in Loop: Header=BB216_4 Depth=1
	v_add_nc_u64_e32 v[10:11], v[10:11], v[2:3]
	v_mov_b32_e32 v19, 0
	s_delay_alu instid0(VALU_DEP_2)
	v_lshl_add_u64 v[10:11], s[34:35], 2, v[10:11]
	s_wait_xcnt 0x0
	s_and_saveexec_b32 s7, s4
	s_cbranch_execnz .LBB216_26
; %bb.18:                               ;   in Loop: Header=BB216_4 Depth=1
	s_or_b32 exec_lo, exec_lo, s7
	s_and_saveexec_b32 s7, s5
	s_cbranch_execnz .LBB216_29
.LBB216_19:                             ;   in Loop: Header=BB216_4 Depth=1
	s_or_b32 exec_lo, exec_lo, s7
	s_and_saveexec_b32 s7, s1
.LBB216_20:                             ;   in Loop: Header=BB216_4 Depth=1
	ds_store_b32 v14, v3
.LBB216_21:                             ;   in Loop: Header=BB216_4 Depth=1
	s_or_b32 exec_lo, exec_lo, s7
	ds_bpermute_b32 v8, v17, v19
	v_cmp_gt_u32_e32 vcc_lo, 24, v1
	s_wait_dscnt 0x0
	s_barrier_signal -1
	s_barrier_wait -1
	v_cndmask_b32_e64 v9, 0, 8, vcc_lo
	v_cmp_gt_u32_e32 vcc_lo, 28, v1
	s_delay_alu instid0(VALU_DEP_2)
	v_add_lshl_u32 v9, v9, v1, 2
	v_add_f32_e32 v10, v19, v8
	v_cndmask_b32_e64 v8, 0, 4, vcc_lo
	v_cmp_gt_u32_e32 vcc_lo, 30, v1
	ds_bpermute_b32 v9, v9, v10
	v_add_lshl_u32 v8, v8, v1, 2
	s_wait_dscnt 0x0
	v_add_f32_e32 v10, v10, v9
	v_cndmask_b32_e64 v9, 0, 2, vcc_lo
	v_cmp_ne_u32_e32 vcc_lo, 31, v1
	ds_bpermute_b32 v11, v8, v10
	v_add_lshl_u32 v9, v9, v1, 2
	v_add_co_ci_u32_e64 v12, null, 0, v1, vcc_lo
	s_wait_dscnt 0x0
	v_add_f32_e32 v10, v10, v11
	ds_bpermute_b32 v11, v9, v10
	s_wait_dscnt 0x0
	v_dual_add_f32 v11, v10, v11 :: v_dual_lshlrev_b32 v10, 2, v12
	ds_bpermute_b32 v12, v10, v11
	s_and_saveexec_b32 s7, s3
	s_cbranch_execz .LBB216_23
; %bb.22:                               ;   in Loop: Header=BB216_4 Depth=1
	s_wait_dscnt 0x0
	v_add_f32_e32 v11, v11, v12
	ds_store_b32 v15, v11
.LBB216_23:                             ;   in Loop: Header=BB216_4 Depth=1
	s_or_b32 exec_lo, exec_lo, s7
	v_mov_b32_e32 v11, 0
	s_wait_dscnt 0x0
	s_barrier_signal -1
	s_barrier_wait -1
	s_and_saveexec_b32 s7, s2
	s_cbranch_execnz .LBB216_30
; %bb.24:                               ;   in Loop: Header=BB216_4 Depth=1
	s_or_b32 exec_lo, exec_lo, s7
	s_and_saveexec_b32 s7, s1
	s_cbranch_execnz .LBB216_31
.LBB216_25:                             ;   in Loop: Header=BB216_4 Depth=1
	s_or_b32 exec_lo, exec_lo, s7
                                        ; implicit-def: $vgpr12
	s_and_saveexec_b32 s7, s0
	s_cbranch_execnz .LBB216_32
	s_branch .LBB216_35
.LBB216_26:                             ;   in Loop: Header=BB216_4 Depth=1
	s_delay_alu instid0(VALU_DEP_1)
	v_mov_b64_e32 v[12:13], v[10:11]
	v_dual_mov_b32 v19, 0 :: v_dual_mov_b32 v20, v16
	v_mov_b32_e32 v21, v0
	s_mov_b32 s40, 0
.LBB216_27:                             ;   Parent Loop BB216_4 Depth=1
                                        ; =>  This Inner Loop Header: Depth=2
	v_readfirstlane_b32 s42, v8
	v_readfirstlane_b32 s43, v9
	s_delay_alu instid0(VALU_DEP_3)
	v_add_nc_u32_e32 v21, 0x100, v21
	flat_load_b32 v22, v[12:13]
	flat_load_b32 v23, v20, s[42:43] scale_offset
	s_wait_xcnt 0x1
	v_add_nc_u64_e32 v[12:13], 0x400, v[12:13]
	v_cmp_le_i32_e32 vcc_lo, s30, v21
	s_wait_xcnt 0x0
	v_add_nc_u32_e32 v20, s38, v20
	s_or_b32 s40, vcc_lo, s40
	s_wait_loadcnt_dscnt 0x0
	v_fmac_f32_e32 v19, v22, v23
	s_and_not1_b32 exec_lo, exec_lo, s40
	s_cbranch_execnz .LBB216_27
; %bb.28:                               ;   in Loop: Header=BB216_4 Depth=1
	s_or_b32 exec_lo, exec_lo, s40
	s_delay_alu instid0(SALU_CYCLE_1)
	s_or_b32 exec_lo, exec_lo, s7
	s_and_saveexec_b32 s7, s5
	s_cbranch_execz .LBB216_19
.LBB216_29:                             ;   in Loop: Header=BB216_4 Depth=1
	v_lshl_add_u64 v[10:11], s[30:31], 2, v[10:11]
	v_lshl_add_u64 v[8:9], v[4:5], 2, v[8:9]
	flat_load_b32 v12, v[10:11]
	flat_load_b32 v13, v[8:9]
	s_wait_loadcnt_dscnt 0x0
	v_fmac_f32_e32 v19, v12, v13
	s_wait_xcnt 0x0
	s_or_b32 exec_lo, exec_lo, s7
	s_and_saveexec_b32 s7, s1
	s_cbranch_execnz .LBB216_20
	s_branch .LBB216_21
.LBB216_30:                             ;   in Loop: Header=BB216_4 Depth=1
	ds_load_b32 v11, v14
	s_or_b32 exec_lo, exec_lo, s7
	s_and_saveexec_b32 s7, s1
	s_cbranch_execz .LBB216_25
.LBB216_31:                             ;   in Loop: Header=BB216_4 Depth=1
	s_wait_dscnt 0x0
	ds_bpermute_b32 v8, v8, v11
	s_wait_dscnt 0x0
	v_add_f32_e32 v8, v11, v8
	ds_bpermute_b32 v9, v9, v8
	s_wait_dscnt 0x0
	v_add_f32_e32 v8, v8, v9
	ds_bpermute_b32 v9, v10, v8
	s_wait_dscnt 0x0
	v_add_f32_e32 v11, v8, v9
	s_or_b32 exec_lo, exec_lo, s7
                                        ; implicit-def: $vgpr12
	s_and_saveexec_b32 s7, s0
	s_cbranch_execz .LBB216_35
.LBB216_32:                             ;   in Loop: Header=BB216_4 Depth=1
	s_wait_dscnt 0x0
	v_mul_f32_e32 v12, v18, v11
	s_cmp_eq_f32 s39, 0
	s_cbranch_scc1 .LBB216_34
; %bb.33:                               ;   in Loop: Header=BB216_4 Depth=1
	v_add_nc_u64_e32 v[8:9], s[36:37], v[6:7]
	flat_load_b32 v8, v[8:9]
	s_wait_loadcnt_dscnt 0x0
	v_fmac_f32_e32 v12, s39, v8
.LBB216_34:                             ;   in Loop: Header=BB216_4 Depth=1
	s_or_b32 s6, s6, exec_lo
.LBB216_35:                             ;   in Loop: Header=BB216_4 Depth=1
	s_wait_xcnt 0x0
	s_or_b32 exec_lo, exec_lo, s7
.LBB216_36:                             ;   in Loop: Header=BB216_4 Depth=1
	s_wait_xcnt 0x0
	s_and_saveexec_b32 s7, s6
	s_cbranch_execz .LBB216_2
; %bb.37:                               ;   in Loop: Header=BB216_4 Depth=1
	v_add_nc_u64_e32 v[6:7], s[36:37], v[6:7]
	flat_store_b32 v[6:7], v12
	s_branch .LBB216_2
.LBB216_38:
	s_endpgm
	.section	.rodata,"a",@progbits
	.p2align	6, 0x0
	.amdhsa_kernel _ZL32rocblas_gemvt_warp_reduce_kernelILb0ELi256EiPKfS1_KPfEviiT3_lPKT2_lT1_lS7_lS8_lS4_lPT4_lS8_li
		.amdhsa_group_segment_fixed_size 128
		.amdhsa_private_segment_fixed_size 0
		.amdhsa_kernarg_size 140
		.amdhsa_user_sgpr_count 2
		.amdhsa_user_sgpr_dispatch_ptr 0
		.amdhsa_user_sgpr_queue_ptr 0
		.amdhsa_user_sgpr_kernarg_segment_ptr 1
		.amdhsa_user_sgpr_dispatch_id 0
		.amdhsa_user_sgpr_kernarg_preload_length 0
		.amdhsa_user_sgpr_kernarg_preload_offset 0
		.amdhsa_user_sgpr_private_segment_size 0
		.amdhsa_wavefront_size32 1
		.amdhsa_uses_dynamic_stack 0
		.amdhsa_enable_private_segment 0
		.amdhsa_system_sgpr_workgroup_id_x 1
		.amdhsa_system_sgpr_workgroup_id_y 0
		.amdhsa_system_sgpr_workgroup_id_z 1
		.amdhsa_system_sgpr_workgroup_info 0
		.amdhsa_system_vgpr_workitem_id 0
		.amdhsa_next_free_vgpr 24
		.amdhsa_next_free_sgpr 44
		.amdhsa_named_barrier_count 0
		.amdhsa_reserve_vcc 1
		.amdhsa_float_round_mode_32 0
		.amdhsa_float_round_mode_16_64 0
		.amdhsa_float_denorm_mode_32 3
		.amdhsa_float_denorm_mode_16_64 3
		.amdhsa_fp16_overflow 0
		.amdhsa_memory_ordered 1
		.amdhsa_forward_progress 1
		.amdhsa_inst_pref_size 12
		.amdhsa_round_robin_scheduling 0
		.amdhsa_exception_fp_ieee_invalid_op 0
		.amdhsa_exception_fp_denorm_src 0
		.amdhsa_exception_fp_ieee_div_zero 0
		.amdhsa_exception_fp_ieee_overflow 0
		.amdhsa_exception_fp_ieee_underflow 0
		.amdhsa_exception_fp_ieee_inexact 0
		.amdhsa_exception_int_div_zero 0
	.end_amdhsa_kernel
	.section	.text._ZL32rocblas_gemvt_warp_reduce_kernelILb0ELi256EiPKfS1_KPfEviiT3_lPKT2_lT1_lS7_lS8_lS4_lPT4_lS8_li,"axG",@progbits,_ZL32rocblas_gemvt_warp_reduce_kernelILb0ELi256EiPKfS1_KPfEviiT3_lPKT2_lT1_lS7_lS8_lS4_lPT4_lS8_li,comdat
.Lfunc_end216:
	.size	_ZL32rocblas_gemvt_warp_reduce_kernelILb0ELi256EiPKfS1_KPfEviiT3_lPKT2_lT1_lS7_lS8_lS4_lPT4_lS8_li, .Lfunc_end216-_ZL32rocblas_gemvt_warp_reduce_kernelILb0ELi256EiPKfS1_KPfEviiT3_lPKT2_lT1_lS7_lS8_lS4_lPT4_lS8_li
                                        ; -- End function
	.set _ZL32rocblas_gemvt_warp_reduce_kernelILb0ELi256EiPKfS1_KPfEviiT3_lPKT2_lT1_lS7_lS8_lS4_lPT4_lS8_li.num_vgpr, 24
	.set _ZL32rocblas_gemvt_warp_reduce_kernelILb0ELi256EiPKfS1_KPfEviiT3_lPKT2_lT1_lS7_lS8_lS4_lPT4_lS8_li.num_agpr, 0
	.set _ZL32rocblas_gemvt_warp_reduce_kernelILb0ELi256EiPKfS1_KPfEviiT3_lPKT2_lT1_lS7_lS8_lS4_lPT4_lS8_li.numbered_sgpr, 44
	.set _ZL32rocblas_gemvt_warp_reduce_kernelILb0ELi256EiPKfS1_KPfEviiT3_lPKT2_lT1_lS7_lS8_lS4_lPT4_lS8_li.num_named_barrier, 0
	.set _ZL32rocblas_gemvt_warp_reduce_kernelILb0ELi256EiPKfS1_KPfEviiT3_lPKT2_lT1_lS7_lS8_lS4_lPT4_lS8_li.private_seg_size, 0
	.set _ZL32rocblas_gemvt_warp_reduce_kernelILb0ELi256EiPKfS1_KPfEviiT3_lPKT2_lT1_lS7_lS8_lS4_lPT4_lS8_li.uses_vcc, 1
	.set _ZL32rocblas_gemvt_warp_reduce_kernelILb0ELi256EiPKfS1_KPfEviiT3_lPKT2_lT1_lS7_lS8_lS4_lPT4_lS8_li.uses_flat_scratch, 0
	.set _ZL32rocblas_gemvt_warp_reduce_kernelILb0ELi256EiPKfS1_KPfEviiT3_lPKT2_lT1_lS7_lS8_lS4_lPT4_lS8_li.has_dyn_sized_stack, 0
	.set _ZL32rocblas_gemvt_warp_reduce_kernelILb0ELi256EiPKfS1_KPfEviiT3_lPKT2_lT1_lS7_lS8_lS4_lPT4_lS8_li.has_recursion, 0
	.set _ZL32rocblas_gemvt_warp_reduce_kernelILb0ELi256EiPKfS1_KPfEviiT3_lPKT2_lT1_lS7_lS8_lS4_lPT4_lS8_li.has_indirect_call, 0
	.section	.AMDGPU.csdata,"",@progbits
; Kernel info:
; codeLenInByte = 1432
; TotalNumSgprs: 46
; NumVgprs: 24
; ScratchSize: 0
; MemoryBound: 0
; FloatMode: 240
; IeeeMode: 1
; LDSByteSize: 128 bytes/workgroup (compile time only)
; SGPRBlocks: 0
; VGPRBlocks: 1
; NumSGPRsForWavesPerEU: 46
; NumVGPRsForWavesPerEU: 24
; NamedBarCnt: 0
; Occupancy: 16
; WaveLimiterHint : 1
; COMPUTE_PGM_RSRC2:SCRATCH_EN: 0
; COMPUTE_PGM_RSRC2:USER_SGPR: 2
; COMPUTE_PGM_RSRC2:TRAP_HANDLER: 0
; COMPUTE_PGM_RSRC2:TGID_X_EN: 1
; COMPUTE_PGM_RSRC2:TGID_Y_EN: 0
; COMPUTE_PGM_RSRC2:TGID_Z_EN: 1
; COMPUTE_PGM_RSRC2:TIDIG_COMP_CNT: 0
	.section	.text._ZL32rocblas_gemvt_warp_reduce_kernelILb0ELi256ElPKfS1_KPfEviiT3_lPKT2_lT1_lS7_lS8_lS4_lPT4_lS8_li,"axG",@progbits,_ZL32rocblas_gemvt_warp_reduce_kernelILb0ELi256ElPKfS1_KPfEviiT3_lPKT2_lT1_lS7_lS8_lS4_lPT4_lS8_li,comdat
	.globl	_ZL32rocblas_gemvt_warp_reduce_kernelILb0ELi256ElPKfS1_KPfEviiT3_lPKT2_lT1_lS7_lS8_lS4_lPT4_lS8_li ; -- Begin function _ZL32rocblas_gemvt_warp_reduce_kernelILb0ELi256ElPKfS1_KPfEviiT3_lPKT2_lT1_lS7_lS8_lS4_lPT4_lS8_li
	.p2align	8
	.type	_ZL32rocblas_gemvt_warp_reduce_kernelILb0ELi256ElPKfS1_KPfEviiT3_lPKT2_lT1_lS7_lS8_lS4_lPT4_lS8_li,@function
_ZL32rocblas_gemvt_warp_reduce_kernelILb0ELi256ElPKfS1_KPfEviiT3_lPKT2_lT1_lS7_lS8_lS4_lPT4_lS8_li: ; @_ZL32rocblas_gemvt_warp_reduce_kernelILb0ELi256ElPKfS1_KPfEviiT3_lPKT2_lT1_lS7_lS8_lS4_lPT4_lS8_li
; %bb.0:
	s_load_b32 s33, s[0:1], 0x88
	s_bfe_u32 s2, ttmp6, 0x40014
	s_lshr_b32 s3, ttmp7, 16
	s_add_co_i32 s2, s2, 1
	s_bfe_u32 s5, ttmp6, 0x40008
	s_mul_i32 s4, s3, s2
	s_getreg_b32 s2, hwreg(HW_REG_IB_STS2, 6, 4)
	s_add_co_i32 s5, s5, s4
	s_cmp_eq_u32 s2, 0
	s_mov_b32 s29, 0
	s_cselect_b32 s28, s3, s5
	s_wait_kmcnt 0x0
	s_cmp_ge_u32 s28, s33
	s_cbranch_scc1 .LBB217_38
; %bb.1:
	s_clause 0x1
	s_load_b32 s31, s[0:1], 0x0
	s_load_b64 s[6:7], s[0:1], 0x48
	s_bfe_u32 s3, ttmp6, 0x4000c
	s_and_b32 s4, ttmp6, 15
	s_add_co_i32 s3, s3, 1
	s_clause 0x2
	s_load_b256 s[8:15], s[0:1], 0x8
	s_load_b128 s[24:27], s[0:1], 0x38
	s_load_b256 s[16:23], s[0:1], 0x58
	s_mul_i32 s3, ttmp9, s3
	v_mbcnt_lo_u32_b32 v19, -1, 0
	s_add_co_i32 s4, s4, s3
	s_cmp_eq_u32 s2, 0
	s_load_b64 s[34:35], s[0:1], 0x28
	s_cselect_b32 s2, ttmp9, s4
	s_load_b64 s[4:5], s[0:1], 0x78
	s_wait_xcnt 0x0
	v_cmp_eq_u32_e64 s0, 0, v0
	v_lshl_or_b32 v20, v19, 2, 64
	s_wait_kmcnt 0x0
	s_ashr_i32 s3, s31, 31
	v_cmp_gt_i32_e32 vcc_lo, s31, v0
	s_lshr_b32 s3, s3, 24
	s_lshl_b64 s[36:37], s[6:7], 10
	s_add_co_i32 s3, s31, s3
	s_lshl_b64 s[14:15], s[14:15], 2
	s_and_b32 s30, s3, 0xffffff00
	s_delay_alu instid0(SALU_CYCLE_1) | instskip(SKIP_3) | instid1(VALU_DEP_2)
	v_dual_mov_b32 v3, 0 :: v_dual_bitop2_b32 v6, s30, v0 bitop3:0x54
	s_ashr_i32 s3, s2, 31
	v_cndmask_b32_e32 v2, 0, v0, vcc_lo
	s_mul_u64 s[34:35], s[34:35], s[2:3]
	v_dual_mov_b32 v1, v3 :: v_dual_ashrrev_i32 v7, 31, v6
	s_mul_u64 s[38:39], s[4:5], s[2:3]
	v_cmp_gt_i32_e64 s2, s31, v6
	v_cmp_gt_i32_e64 s1, s30, v0
	s_delay_alu instid0(VALU_DEP_3) | instskip(SKIP_4) | instid1(VALU_DEP_3)
	v_mul_u64_e32 v[8:9], s[6:7], v[0:1]
	v_mul_u64_e32 v[4:5], s[6:7], v[6:7]
	v_dual_lshrrev_b32 v6, 3, v0 :: v_dual_bitop2_b32 v7, 31, v0 bitop3:0x40
	v_cmp_gt_u32_e64 s3, 32, v0
	v_cmp_gt_u32_e64 s5, 8, v0
	v_dual_lshlrev_b32 v2, 2, v2 :: v_dual_lshlrev_b32 v1, 2, v7
	v_cmp_eq_u32_e64 s4, 0, v7
	v_and_b32_e32 v18, 28, v6
	s_ashr_i32 s31, s30, 31
	s_lshl_b64 s[26:27], s[26:27], 2
	s_lshl_b64 s[22:23], s[22:23], 2
	;; [unrolled: 1-line block ×3, first 2 shown]
	v_lshlrev_b64_e32 v[6:7], 2, v[8:9]
	s_branch .LBB217_4
.LBB217_2:                              ;   in Loop: Header=BB217_4 Depth=1
	s_wait_xcnt 0x0
	s_or_b32 exec_lo, exec_lo, s7
.LBB217_3:                              ;   in Loop: Header=BB217_4 Depth=1
	s_add_co_i32 s28, s28, 0x10000
	s_delay_alu instid0(SALU_CYCLE_1)
	s_cmp_lt_u32 s28, s33
	s_cbranch_scc0 .LBB217_38
.LBB217_4:                              ; =>This Loop Header: Depth=1
                                        ;     Child Loop BB217_27 Depth 2
	s_mul_u64 s[6:7], s[10:11], s[28:29]
	s_mul_u64 s[40:41], s[18:19], s[28:29]
	s_lshl_b64 s[6:7], s[6:7], 2
	s_lshl_b64 s[40:41], s[40:41], 2
	s_add_nc_u64 s[6:7], s[8:9], s[6:7]
	s_add_nc_u64 s[40:41], s[16:17], s[40:41]
	s_clause 0x1
	global_load_b32 v21, v3, s[6:7]
	global_load_b32 v8, v3, s[40:41]
	s_wait_loadcnt 0x1
	s_wait_xcnt 0x1
	v_cmp_eq_f32_e64 s6, 0, v21
	s_wait_loadcnt 0x0
	v_cmp_eq_f32_e32 vcc_lo, 1.0, v8
	s_wait_xcnt 0x0
	v_readfirstlane_b32 s40, v8
	s_and_b32 s7, s6, vcc_lo
	s_delay_alu instid0(SALU_CYCLE_1)
	s_and_b32 vcc_lo, exec_lo, s7
	s_cbranch_vccnz .LBB217_3
; %bb.5:                                ;   in Loop: Header=BB217_4 Depth=1
	v_mov_b64_e32 v[10:11], 0
	s_wait_dscnt 0x0
	v_mov_b64_e32 v[12:13], 0
	v_cmp_neq_f32_e64 s7, 0, v21
	s_and_b32 vcc_lo, exec_lo, s6
	s_cbranch_vccnz .LBB217_7
; %bb.6:                                ;   in Loop: Header=BB217_4 Depth=1
	s_lshl_b64 s[42:43], s[28:29], 3
	s_delay_alu instid0(SALU_CYCLE_1)
	s_add_nc_u64 s[42:43], s[12:13], s[42:43]
	global_load_b64 v[8:9], v3, s[42:43]
	s_wait_loadcnt 0x0
	v_add_nc_u64_e32 v[12:13], s[14:15], v[8:9]
.LBB217_7:                              ;   in Loop: Header=BB217_4 Depth=1
	s_and_not1_b32 vcc_lo, exec_lo, s7
	s_cbranch_vccnz .LBB217_9
; %bb.8:                                ;   in Loop: Header=BB217_4 Depth=1
	s_wait_xcnt 0x0
	s_lshl_b64 s[42:43], s[28:29], 3
	s_delay_alu instid0(SALU_CYCLE_1)
	s_add_nc_u64 s[42:43], s[24:25], s[42:43]
	global_load_b64 v[8:9], v3, s[42:43]
	s_wait_loadcnt 0x0
	v_add_nc_u64_e32 v[10:11], s[26:27], v[8:9]
.LBB217_9:                              ;   in Loop: Header=BB217_4 Depth=1
	s_wait_xcnt 0x0
	s_lshl_b64 s[42:43], s[28:29], 3
	s_and_not1_b32 vcc_lo, exec_lo, s6
	s_add_nc_u64 s[42:43], s[20:21], s[42:43]
	global_load_b64 v[8:9], v3, s[42:43]
	s_wait_loadcnt 0x0
	v_add_nc_u64_e32 v[8:9], s[22:23], v[8:9]
	s_cbranch_vccnz .LBB217_13
; %bb.10:                               ;   in Loop: Header=BB217_4 Depth=1
	s_mov_b32 s7, 0
	s_mov_b32 s6, 0
                                        ; implicit-def: $vgpr14
	s_wait_xcnt 0x0
	s_and_saveexec_b32 s41, s0
	s_cbranch_execz .LBB217_14
; %bb.11:                               ;   in Loop: Header=BB217_4 Depth=1
	s_cmp_eq_f32 s40, 0
	s_cbranch_scc1 .LBB217_15
; %bb.12:                               ;   in Loop: Header=BB217_4 Depth=1
	v_add_nc_u64_e32 v[14:15], s[38:39], v[8:9]
	flat_load_b32 v14, v[14:15]
	s_wait_loadcnt_dscnt 0x0
	s_wait_xcnt 0x0
	v_mul_f32_e32 v14, s40, v14
	s_branch .LBB217_16
.LBB217_13:                             ;   in Loop: Header=BB217_4 Depth=1
	s_mov_b32 s6, 0
                                        ; implicit-def: $vgpr14
	s_cbranch_execnz .LBB217_17
	s_branch .LBB217_36
.LBB217_14:                             ;   in Loop: Header=BB217_4 Depth=1
	s_or_b32 exec_lo, exec_lo, s41
	s_delay_alu instid0(SALU_CYCLE_1)
	s_and_b32 vcc_lo, exec_lo, s7
	s_cbranch_vccnz .LBB217_17
	s_branch .LBB217_36
.LBB217_15:                             ;   in Loop: Header=BB217_4 Depth=1
	v_mov_b32_e32 v14, 0
.LBB217_16:                             ;   in Loop: Header=BB217_4 Depth=1
	s_mov_b32 s6, exec_lo
	s_or_b32 exec_lo, exec_lo, s41
	s_delay_alu instid0(SALU_CYCLE_1)
	s_and_b32 vcc_lo, exec_lo, s7
	s_cbranch_vccz .LBB217_36
.LBB217_17:                             ;   in Loop: Header=BB217_4 Depth=1
	v_add_nc_u64_e32 v[12:13], v[12:13], v[2:3]
	v_mov_b32_e32 v22, 0
	s_delay_alu instid0(VALU_DEP_2)
	v_lshl_add_u64 v[12:13], s[34:35], 2, v[12:13]
	s_wait_xcnt 0x0
	s_and_saveexec_b32 s7, s1
	s_cbranch_execnz .LBB217_26
; %bb.18:                               ;   in Loop: Header=BB217_4 Depth=1
	s_or_b32 exec_lo, exec_lo, s7
	s_and_saveexec_b32 s7, s2
	s_cbranch_execnz .LBB217_29
.LBB217_19:                             ;   in Loop: Header=BB217_4 Depth=1
	s_or_b32 exec_lo, exec_lo, s7
	s_and_saveexec_b32 s7, s3
.LBB217_20:                             ;   in Loop: Header=BB217_4 Depth=1
	ds_store_b32 v1, v3
.LBB217_21:                             ;   in Loop: Header=BB217_4 Depth=1
	s_or_b32 exec_lo, exec_lo, s7
	ds_bpermute_b32 v10, v20, v22
	v_cmp_gt_u32_e32 vcc_lo, 24, v19
	s_wait_dscnt 0x0
	s_barrier_signal -1
	s_barrier_wait -1
	v_cndmask_b32_e64 v11, 0, 8, vcc_lo
	v_cmp_gt_u32_e32 vcc_lo, 28, v19
	s_delay_alu instid0(VALU_DEP_2)
	v_add_lshl_u32 v11, v11, v19, 2
	v_add_f32_e32 v12, v22, v10
	v_cndmask_b32_e64 v10, 0, 4, vcc_lo
	v_cmp_gt_u32_e32 vcc_lo, 30, v19
	ds_bpermute_b32 v11, v11, v12
	v_add_lshl_u32 v10, v10, v19, 2
	s_wait_dscnt 0x0
	v_add_f32_e32 v12, v12, v11
	v_cndmask_b32_e64 v11, 0, 2, vcc_lo
	v_cmp_ne_u32_e32 vcc_lo, 31, v19
	ds_bpermute_b32 v13, v10, v12
	v_add_lshl_u32 v11, v11, v19, 2
	v_add_co_ci_u32_e64 v14, null, 0, v19, vcc_lo
	s_wait_dscnt 0x0
	v_add_f32_e32 v12, v12, v13
	ds_bpermute_b32 v13, v11, v12
	s_wait_dscnt 0x0
	v_dual_add_f32 v13, v12, v13 :: v_dual_lshlrev_b32 v12, 2, v14
	ds_bpermute_b32 v14, v12, v13
	s_and_saveexec_b32 s7, s4
	s_cbranch_execz .LBB217_23
; %bb.22:                               ;   in Loop: Header=BB217_4 Depth=1
	s_wait_dscnt 0x0
	v_add_f32_e32 v13, v13, v14
	ds_store_b32 v18, v13
.LBB217_23:                             ;   in Loop: Header=BB217_4 Depth=1
	s_or_b32 exec_lo, exec_lo, s7
	v_mov_b32_e32 v13, 0
	s_wait_dscnt 0x0
	s_barrier_signal -1
	s_barrier_wait -1
	s_and_saveexec_b32 s7, s5
	s_cbranch_execnz .LBB217_30
; %bb.24:                               ;   in Loop: Header=BB217_4 Depth=1
	s_or_b32 exec_lo, exec_lo, s7
	s_and_saveexec_b32 s7, s3
	s_cbranch_execnz .LBB217_31
.LBB217_25:                             ;   in Loop: Header=BB217_4 Depth=1
	s_or_b32 exec_lo, exec_lo, s7
                                        ; implicit-def: $vgpr14
	s_and_saveexec_b32 s7, s0
	s_cbranch_execnz .LBB217_32
	s_branch .LBB217_35
.LBB217_26:                             ;   in Loop: Header=BB217_4 Depth=1
	v_add_nc_u64_e32 v[14:15], v[10:11], v[6:7]
	v_mov_b64_e32 v[16:17], v[12:13]
	v_dual_mov_b32 v22, 0 :: v_dual_mov_b32 v23, v0
	s_mov_b32 s41, 0
.LBB217_27:                             ;   Parent Loop BB217_4 Depth=1
                                        ; =>  This Inner Loop Header: Depth=2
	flat_load_b32 v24, v[16:17]
	flat_load_b32 v25, v[14:15]
	v_add_nc_u32_e32 v23, 0x100, v23
	s_wait_xcnt 0x1
	v_add_nc_u64_e32 v[16:17], 0x400, v[16:17]
	s_wait_xcnt 0x0
	v_add_nc_u64_e32 v[14:15], s[36:37], v[14:15]
	s_wait_loadcnt_dscnt 0x0
	v_fmac_f32_e32 v22, v24, v25
	v_cmp_le_i32_e32 vcc_lo, s30, v23
	s_or_b32 s41, vcc_lo, s41
	s_delay_alu instid0(SALU_CYCLE_1)
	s_and_not1_b32 exec_lo, exec_lo, s41
	s_cbranch_execnz .LBB217_27
; %bb.28:                               ;   in Loop: Header=BB217_4 Depth=1
	s_or_b32 exec_lo, exec_lo, s41
	s_delay_alu instid0(SALU_CYCLE_1)
	s_or_b32 exec_lo, exec_lo, s7
	s_and_saveexec_b32 s7, s2
	s_cbranch_execz .LBB217_19
.LBB217_29:                             ;   in Loop: Header=BB217_4 Depth=1
	v_lshl_add_u64 v[12:13], s[30:31], 2, v[12:13]
	v_lshl_add_u64 v[10:11], v[4:5], 2, v[10:11]
	flat_load_b32 v14, v[12:13]
	flat_load_b32 v15, v[10:11]
	s_wait_loadcnt_dscnt 0x0
	v_fmac_f32_e32 v22, v14, v15
	s_wait_xcnt 0x0
	s_or_b32 exec_lo, exec_lo, s7
	s_and_saveexec_b32 s7, s3
	s_cbranch_execnz .LBB217_20
	s_branch .LBB217_21
.LBB217_30:                             ;   in Loop: Header=BB217_4 Depth=1
	ds_load_b32 v13, v1
	s_or_b32 exec_lo, exec_lo, s7
	s_and_saveexec_b32 s7, s3
	s_cbranch_execz .LBB217_25
.LBB217_31:                             ;   in Loop: Header=BB217_4 Depth=1
	s_wait_dscnt 0x0
	ds_bpermute_b32 v10, v10, v13
	s_wait_dscnt 0x0
	v_add_f32_e32 v10, v13, v10
	ds_bpermute_b32 v11, v11, v10
	s_wait_dscnt 0x0
	v_add_f32_e32 v10, v10, v11
	;; [unrolled: 3-line block ×3, first 2 shown]
	s_or_b32 exec_lo, exec_lo, s7
                                        ; implicit-def: $vgpr14
	s_and_saveexec_b32 s7, s0
	s_cbranch_execz .LBB217_35
.LBB217_32:                             ;   in Loop: Header=BB217_4 Depth=1
	s_wait_dscnt 0x0
	v_mul_f32_e32 v14, v21, v13
	s_cmp_eq_f32 s40, 0
	s_cbranch_scc1 .LBB217_34
; %bb.33:                               ;   in Loop: Header=BB217_4 Depth=1
	v_add_nc_u64_e32 v[10:11], s[38:39], v[8:9]
	flat_load_b32 v10, v[10:11]
	s_wait_loadcnt_dscnt 0x0
	v_fmac_f32_e32 v14, s40, v10
.LBB217_34:                             ;   in Loop: Header=BB217_4 Depth=1
	s_or_b32 s6, s6, exec_lo
.LBB217_35:                             ;   in Loop: Header=BB217_4 Depth=1
	s_wait_xcnt 0x0
	s_or_b32 exec_lo, exec_lo, s7
.LBB217_36:                             ;   in Loop: Header=BB217_4 Depth=1
	s_wait_xcnt 0x0
	s_and_saveexec_b32 s7, s6
	s_cbranch_execz .LBB217_2
; %bb.37:                               ;   in Loop: Header=BB217_4 Depth=1
	v_add_nc_u64_e32 v[8:9], s[38:39], v[8:9]
	flat_store_b32 v[8:9], v14
	s_branch .LBB217_2
.LBB217_38:
	s_endpgm
	.section	.rodata,"a",@progbits
	.p2align	6, 0x0
	.amdhsa_kernel _ZL32rocblas_gemvt_warp_reduce_kernelILb0ELi256ElPKfS1_KPfEviiT3_lPKT2_lT1_lS7_lS8_lS4_lPT4_lS8_li
		.amdhsa_group_segment_fixed_size 128
		.amdhsa_private_segment_fixed_size 0
		.amdhsa_kernarg_size 140
		.amdhsa_user_sgpr_count 2
		.amdhsa_user_sgpr_dispatch_ptr 0
		.amdhsa_user_sgpr_queue_ptr 0
		.amdhsa_user_sgpr_kernarg_segment_ptr 1
		.amdhsa_user_sgpr_dispatch_id 0
		.amdhsa_user_sgpr_kernarg_preload_length 0
		.amdhsa_user_sgpr_kernarg_preload_offset 0
		.amdhsa_user_sgpr_private_segment_size 0
		.amdhsa_wavefront_size32 1
		.amdhsa_uses_dynamic_stack 0
		.amdhsa_enable_private_segment 0
		.amdhsa_system_sgpr_workgroup_id_x 1
		.amdhsa_system_sgpr_workgroup_id_y 0
		.amdhsa_system_sgpr_workgroup_id_z 1
		.amdhsa_system_sgpr_workgroup_info 0
		.amdhsa_system_vgpr_workitem_id 0
		.amdhsa_next_free_vgpr 26
		.amdhsa_next_free_sgpr 44
		.amdhsa_named_barrier_count 0
		.amdhsa_reserve_vcc 1
		.amdhsa_float_round_mode_32 0
		.amdhsa_float_round_mode_16_64 0
		.amdhsa_float_denorm_mode_32 3
		.amdhsa_float_denorm_mode_16_64 3
		.amdhsa_fp16_overflow 0
		.amdhsa_memory_ordered 1
		.amdhsa_forward_progress 1
		.amdhsa_inst_pref_size 12
		.amdhsa_round_robin_scheduling 0
		.amdhsa_exception_fp_ieee_invalid_op 0
		.amdhsa_exception_fp_denorm_src 0
		.amdhsa_exception_fp_ieee_div_zero 0
		.amdhsa_exception_fp_ieee_overflow 0
		.amdhsa_exception_fp_ieee_underflow 0
		.amdhsa_exception_fp_ieee_inexact 0
		.amdhsa_exception_int_div_zero 0
	.end_amdhsa_kernel
	.section	.text._ZL32rocblas_gemvt_warp_reduce_kernelILb0ELi256ElPKfS1_KPfEviiT3_lPKT2_lT1_lS7_lS8_lS4_lPT4_lS8_li,"axG",@progbits,_ZL32rocblas_gemvt_warp_reduce_kernelILb0ELi256ElPKfS1_KPfEviiT3_lPKT2_lT1_lS7_lS8_lS4_lPT4_lS8_li,comdat
.Lfunc_end217:
	.size	_ZL32rocblas_gemvt_warp_reduce_kernelILb0ELi256ElPKfS1_KPfEviiT3_lPKT2_lT1_lS7_lS8_lS4_lPT4_lS8_li, .Lfunc_end217-_ZL32rocblas_gemvt_warp_reduce_kernelILb0ELi256ElPKfS1_KPfEviiT3_lPKT2_lT1_lS7_lS8_lS4_lPT4_lS8_li
                                        ; -- End function
	.set _ZL32rocblas_gemvt_warp_reduce_kernelILb0ELi256ElPKfS1_KPfEviiT3_lPKT2_lT1_lS7_lS8_lS4_lPT4_lS8_li.num_vgpr, 26
	.set _ZL32rocblas_gemvt_warp_reduce_kernelILb0ELi256ElPKfS1_KPfEviiT3_lPKT2_lT1_lS7_lS8_lS4_lPT4_lS8_li.num_agpr, 0
	.set _ZL32rocblas_gemvt_warp_reduce_kernelILb0ELi256ElPKfS1_KPfEviiT3_lPKT2_lT1_lS7_lS8_lS4_lPT4_lS8_li.numbered_sgpr, 44
	.set _ZL32rocblas_gemvt_warp_reduce_kernelILb0ELi256ElPKfS1_KPfEviiT3_lPKT2_lT1_lS7_lS8_lS4_lPT4_lS8_li.num_named_barrier, 0
	.set _ZL32rocblas_gemvt_warp_reduce_kernelILb0ELi256ElPKfS1_KPfEviiT3_lPKT2_lT1_lS7_lS8_lS4_lPT4_lS8_li.private_seg_size, 0
	.set _ZL32rocblas_gemvt_warp_reduce_kernelILb0ELi256ElPKfS1_KPfEviiT3_lPKT2_lT1_lS7_lS8_lS4_lPT4_lS8_li.uses_vcc, 1
	.set _ZL32rocblas_gemvt_warp_reduce_kernelILb0ELi256ElPKfS1_KPfEviiT3_lPKT2_lT1_lS7_lS8_lS4_lPT4_lS8_li.uses_flat_scratch, 0
	.set _ZL32rocblas_gemvt_warp_reduce_kernelILb0ELi256ElPKfS1_KPfEviiT3_lPKT2_lT1_lS7_lS8_lS4_lPT4_lS8_li.has_dyn_sized_stack, 0
	.set _ZL32rocblas_gemvt_warp_reduce_kernelILb0ELi256ElPKfS1_KPfEviiT3_lPKT2_lT1_lS7_lS8_lS4_lPT4_lS8_li.has_recursion, 0
	.set _ZL32rocblas_gemvt_warp_reduce_kernelILb0ELi256ElPKfS1_KPfEviiT3_lPKT2_lT1_lS7_lS8_lS4_lPT4_lS8_li.has_indirect_call, 0
	.section	.AMDGPU.csdata,"",@progbits
; Kernel info:
; codeLenInByte = 1428
; TotalNumSgprs: 46
; NumVgprs: 26
; ScratchSize: 0
; MemoryBound: 0
; FloatMode: 240
; IeeeMode: 1
; LDSByteSize: 128 bytes/workgroup (compile time only)
; SGPRBlocks: 0
; VGPRBlocks: 1
; NumSGPRsForWavesPerEU: 46
; NumVGPRsForWavesPerEU: 26
; NamedBarCnt: 0
; Occupancy: 16
; WaveLimiterHint : 1
; COMPUTE_PGM_RSRC2:SCRATCH_EN: 0
; COMPUTE_PGM_RSRC2:USER_SGPR: 2
; COMPUTE_PGM_RSRC2:TRAP_HANDLER: 0
; COMPUTE_PGM_RSRC2:TGID_X_EN: 1
; COMPUTE_PGM_RSRC2:TGID_Y_EN: 0
; COMPUTE_PGM_RSRC2:TGID_Z_EN: 1
; COMPUTE_PGM_RSRC2:TIDIG_COMP_CNT: 0
	.section	.text._ZL32rocblas_gemvt_warp_reduce_kernelILb0ELi256EiPKffKPfEviiT3_lPKT2_lT1_lS7_lS8_lS4_lPT4_lS8_li,"axG",@progbits,_ZL32rocblas_gemvt_warp_reduce_kernelILb0ELi256EiPKffKPfEviiT3_lPKT2_lT1_lS7_lS8_lS4_lPT4_lS8_li,comdat
	.globl	_ZL32rocblas_gemvt_warp_reduce_kernelILb0ELi256EiPKffKPfEviiT3_lPKT2_lT1_lS7_lS8_lS4_lPT4_lS8_li ; -- Begin function _ZL32rocblas_gemvt_warp_reduce_kernelILb0ELi256EiPKffKPfEviiT3_lPKT2_lT1_lS7_lS8_lS4_lPT4_lS8_li
	.p2align	8
	.type	_ZL32rocblas_gemvt_warp_reduce_kernelILb0ELi256EiPKffKPfEviiT3_lPKT2_lT1_lS7_lS8_lS4_lPT4_lS8_li,@function
_ZL32rocblas_gemvt_warp_reduce_kernelILb0ELi256EiPKffKPfEviiT3_lPKT2_lT1_lS7_lS8_lS4_lPT4_lS8_li: ; @_ZL32rocblas_gemvt_warp_reduce_kernelILb0ELi256EiPKffKPfEviiT3_lPKT2_lT1_lS7_lS8_lS4_lPT4_lS8_li
; %bb.0:
	s_load_b32 s26, s[0:1], 0x88
	s_bfe_u32 s2, ttmp6, 0x40014
	s_lshr_b32 s4, ttmp7, 16
	s_add_co_i32 s2, s2, 1
	s_bfe_u32 s5, ttmp6, 0x40008
	s_mul_i32 s2, s4, s2
	s_getreg_b32 s3, hwreg(HW_REG_IB_STS2, 6, 4)
	s_add_co_i32 s5, s5, s2
	s_cmp_eq_u32 s3, 0
	s_mov_b32 s7, 0
	s_cselect_b32 s6, s4, s5
	s_wait_kmcnt 0x0
	s_cmp_ge_u32 s6, s26
	s_cbranch_scc1 .LBB218_40
; %bb.1:
	s_clause 0x8
	s_load_b32 s27, s[0:1], 0x8
	s_load_b32 s28, s[0:1], 0x58
	s_load_b128 s[8:11], s[0:1], 0x18
	s_load_b32 s4, s[0:1], 0x28
	s_load_b32 s5, s[0:1], 0x0
	s_load_b128 s[12:15], s[0:1], 0x38
	s_load_b32 s21, s[0:1], 0x48
	s_load_b128 s[16:19], s[0:1], 0x68
	s_load_b32 s22, s[0:1], 0x78
	v_dual_mov_b32 v3, 0 :: v_dual_bitop2_b32 v2, 31, v0 bitop3:0x40
	v_lshrrev_b32_e32 v4, 3, v0
	v_mbcnt_lo_u32_b32 v14, -1, 0
	s_wait_xcnt 0x0
	v_cmp_eq_u32_e64 s0, 0, v0
	v_lshlrev_b32_e32 v15, 2, v2
	s_delay_alu instid0(VALU_DEP_3)
	v_lshl_or_b32 v18, v14, 2, 64
	s_wait_kmcnt 0x0
	s_cmp_eq_f32 s27, 0
	v_cmp_gt_i32_e32 vcc_lo, s5, v0
	v_mul_lo_u32 v17, v0, s21
	s_cselect_b32 s29, -1, 0
	s_cmp_neq_f32 s28, 1.0
	s_cselect_b32 s2, -1, 0
	s_cmp_neq_f32 s27, 0
	s_cselect_b32 s1, -1, 0
	s_delay_alu instid0(SALU_CYCLE_1)
	s_or_b32 s30, s1, s2
	s_cmp_neq_f32 s28, 0
	v_cndmask_b32_e64 v1, 0, 1, s1
	v_cmp_gt_u32_e64 s1, 32, v0
	s_cselect_b32 s31, -1, 0
	s_bfe_u32 s2, ttmp6, 0x4000c
	s_and_b32 s20, ttmp6, 15
	s_add_co_i32 s2, s2, 1
	s_delay_alu instid0(SALU_CYCLE_1)
	s_mul_i32 s23, ttmp9, s2
	v_cmp_gt_u32_e64 s2, 8, v0
	s_add_co_i32 s20, s20, s23
	s_cmp_eq_u32 s3, 0
	s_cselect_b32 s23, ttmp9, s20
	s_ashr_i32 s3, s5, 31
	s_mul_i32 s24, s22, s23
	s_lshr_b32 s20, s3, 24
	v_cmp_eq_u32_e64 s3, 0, v2
	s_add_co_i32 s20, s5, s20
	s_mul_i32 s22, s4, s23
	s_and_b32 s20, s20, 0xffffff00
	s_delay_alu instid0(SALU_CYCLE_1)
	v_dual_cndmask_b32 v2, 0, v0, vcc_lo :: v_dual_bitop2_b32 v5, s20, v0 bitop3:0x54
	v_and_b32_e32 v16, 28, v4
	v_cmp_gt_i32_e64 s4, s20, v0
	s_ashr_i32 s25, s24, 31
	v_lshlrev_b32_e32 v2, 2, v2
	v_mul_lo_u32 v4, s21, v5
	v_cmp_gt_i32_e64 s5, s5, v5
	s_lshl_b32 s33, s21, 8
	s_lshl_b64 s[10:11], s[10:11], 2
	s_ashr_i32 s23, s22, 31
	s_ashr_i32 s21, s20, 31
	s_lshl_b64 s[14:15], s[14:15], 2
	s_lshl_b64 s[18:19], s[18:19], 2
	;; [unrolled: 1-line block ×3, first 2 shown]
	v_ashrrev_i32_e32 v5, 31, v4
	s_branch .LBB218_4
.LBB218_2:                              ;   in Loop: Header=BB218_4 Depth=1
	s_wait_xcnt 0x0
	s_or_b32 exec_lo, exec_lo, s35
.LBB218_3:                              ;   in Loop: Header=BB218_4 Depth=1
	s_add_co_i32 s6, s6, 0x10000
	s_delay_alu instid0(SALU_CYCLE_1)
	s_cmp_lt_u32 s6, s26
	s_cbranch_scc0 .LBB218_40
.LBB218_4:                              ; =>This Loop Header: Depth=1
                                        ;     Child Loop BB218_29 Depth 2
	s_and_not1_b32 vcc_lo, exec_lo, s30
	s_cbranch_vccnz .LBB218_3
; %bb.5:                                ;   in Loop: Header=BB218_4 Depth=1
	s_and_not1_b32 vcc_lo, exec_lo, s29
	s_cbranch_vccnz .LBB218_7
; %bb.6:                                ;   in Loop: Header=BB218_4 Depth=1
	v_mov_b64_e32 v[8:9], 0
	s_wait_dscnt 0x0
	v_mov_b64_e32 v[10:11], 0
	s_cbranch_execz .LBB218_8
	s_branch .LBB218_9
.LBB218_7:                              ;   in Loop: Header=BB218_4 Depth=1
	v_mov_b64_e32 v[8:9], 0
	s_wait_dscnt 0x0
	v_mov_b64_e32 v[10:11], 0
.LBB218_8:                              ;   in Loop: Header=BB218_4 Depth=1
	s_lshl_b64 s[34:35], s[6:7], 3
	s_delay_alu instid0(SALU_CYCLE_1)
	s_add_nc_u64 s[34:35], s[8:9], s[34:35]
	global_load_b64 v[6:7], v3, s[34:35]
	s_wait_loadcnt 0x0
	v_add_nc_u64_e32 v[10:11], s[10:11], v[6:7]
.LBB218_9:                              ;   in Loop: Header=BB218_4 Depth=1
	v_cmp_ne_u32_e32 vcc_lo, 1, v1
	s_cbranch_vccnz .LBB218_11
; %bb.10:                               ;   in Loop: Header=BB218_4 Depth=1
	s_wait_xcnt 0x0
	s_lshl_b64 s[34:35], s[6:7], 3
	s_delay_alu instid0(SALU_CYCLE_1)
	s_add_nc_u64 s[34:35], s[12:13], s[34:35]
	global_load_b64 v[6:7], v3, s[34:35]
	s_wait_loadcnt 0x0
	v_add_nc_u64_e32 v[8:9], s[14:15], v[6:7]
.LBB218_11:                             ;   in Loop: Header=BB218_4 Depth=1
	s_wait_xcnt 0x0
	s_lshl_b64 s[34:35], s[6:7], 3
	s_and_not1_b32 vcc_lo, exec_lo, s29
	s_add_nc_u64 s[34:35], s[16:17], s[34:35]
	global_load_b64 v[6:7], v3, s[34:35]
	s_wait_loadcnt 0x0
	v_add_nc_u64_e32 v[6:7], s[18:19], v[6:7]
	s_cbranch_vccnz .LBB218_15
; %bb.12:                               ;   in Loop: Header=BB218_4 Depth=1
	s_wait_xcnt 0x0
	s_mov_b32 s35, 0
	s_mov_b32 s34, 0
                                        ; implicit-def: $vgpr12
	s_and_saveexec_b32 s36, s0
	s_cbranch_execz .LBB218_16
; %bb.13:                               ;   in Loop: Header=BB218_4 Depth=1
	s_and_not1_b32 vcc_lo, exec_lo, s31
	s_cbranch_vccnz .LBB218_17
; %bb.14:                               ;   in Loop: Header=BB218_4 Depth=1
	v_add_nc_u64_e32 v[12:13], s[24:25], v[6:7]
	flat_load_b32 v12, v[12:13]
	s_wait_loadcnt_dscnt 0x0
	s_wait_xcnt 0x0
	v_mul_f32_e32 v12, s28, v12
	s_branch .LBB218_18
.LBB218_15:                             ;   in Loop: Header=BB218_4 Depth=1
	s_wait_xcnt 0x0
	s_mov_b32 s34, 0
                                        ; implicit-def: $vgpr12
	s_cbranch_execnz .LBB218_19
	s_branch .LBB218_38
.LBB218_16:                             ;   in Loop: Header=BB218_4 Depth=1
	s_or_b32 exec_lo, exec_lo, s36
	s_delay_alu instid0(SALU_CYCLE_1)
	s_and_b32 vcc_lo, exec_lo, s35
	s_cbranch_vccnz .LBB218_19
	s_branch .LBB218_38
.LBB218_17:                             ;   in Loop: Header=BB218_4 Depth=1
	v_mov_b32_e32 v12, 0
.LBB218_18:                             ;   in Loop: Header=BB218_4 Depth=1
	s_mov_b32 s34, exec_lo
	s_or_b32 exec_lo, exec_lo, s36
	s_delay_alu instid0(SALU_CYCLE_1)
	s_and_b32 vcc_lo, exec_lo, s35
	s_cbranch_vccz .LBB218_38
.LBB218_19:                             ;   in Loop: Header=BB218_4 Depth=1
	v_add_nc_u64_e32 v[10:11], v[10:11], v[2:3]
	v_mov_b32_e32 v19, 0
	s_delay_alu instid0(VALU_DEP_2)
	v_lshl_add_u64 v[10:11], s[22:23], 2, v[10:11]
	s_and_saveexec_b32 s35, s4
	s_cbranch_execnz .LBB218_28
; %bb.20:                               ;   in Loop: Header=BB218_4 Depth=1
	s_or_b32 exec_lo, exec_lo, s35
	s_and_saveexec_b32 s35, s5
	s_cbranch_execnz .LBB218_31
.LBB218_21:                             ;   in Loop: Header=BB218_4 Depth=1
	s_or_b32 exec_lo, exec_lo, s35
	s_and_saveexec_b32 s35, s1
.LBB218_22:                             ;   in Loop: Header=BB218_4 Depth=1
	ds_store_b32 v15, v3
.LBB218_23:                             ;   in Loop: Header=BB218_4 Depth=1
	s_or_b32 exec_lo, exec_lo, s35
	ds_bpermute_b32 v8, v18, v19
	v_cmp_gt_u32_e32 vcc_lo, 24, v14
	s_wait_dscnt 0x0
	s_barrier_signal -1
	s_barrier_wait -1
	v_cndmask_b32_e64 v9, 0, 8, vcc_lo
	v_cmp_gt_u32_e32 vcc_lo, 28, v14
	s_delay_alu instid0(VALU_DEP_2)
	v_add_lshl_u32 v9, v9, v14, 2
	v_add_f32_e32 v10, v19, v8
	v_cndmask_b32_e64 v8, 0, 4, vcc_lo
	v_cmp_gt_u32_e32 vcc_lo, 30, v14
	ds_bpermute_b32 v9, v9, v10
	v_add_lshl_u32 v8, v8, v14, 2
	s_wait_dscnt 0x0
	v_add_f32_e32 v10, v10, v9
	v_cndmask_b32_e64 v9, 0, 2, vcc_lo
	v_cmp_ne_u32_e32 vcc_lo, 31, v14
	ds_bpermute_b32 v11, v8, v10
	v_add_lshl_u32 v9, v9, v14, 2
	v_add_co_ci_u32_e64 v12, null, 0, v14, vcc_lo
	s_wait_dscnt 0x0
	v_add_f32_e32 v10, v10, v11
	ds_bpermute_b32 v11, v9, v10
	s_wait_dscnt 0x0
	v_dual_add_f32 v11, v10, v11 :: v_dual_lshlrev_b32 v10, 2, v12
	ds_bpermute_b32 v12, v10, v11
	s_and_saveexec_b32 s35, s3
	s_cbranch_execz .LBB218_25
; %bb.24:                               ;   in Loop: Header=BB218_4 Depth=1
	s_wait_dscnt 0x0
	v_add_f32_e32 v11, v11, v12
	ds_store_b32 v16, v11
.LBB218_25:                             ;   in Loop: Header=BB218_4 Depth=1
	s_or_b32 exec_lo, exec_lo, s35
	v_mov_b32_e32 v11, 0
	s_wait_dscnt 0x0
	s_barrier_signal -1
	s_barrier_wait -1
	s_and_saveexec_b32 s35, s2
	s_cbranch_execnz .LBB218_32
; %bb.26:                               ;   in Loop: Header=BB218_4 Depth=1
	s_or_b32 exec_lo, exec_lo, s35
	s_and_saveexec_b32 s35, s1
	s_cbranch_execnz .LBB218_33
.LBB218_27:                             ;   in Loop: Header=BB218_4 Depth=1
	s_or_b32 exec_lo, exec_lo, s35
                                        ; implicit-def: $vgpr12
	s_and_saveexec_b32 s35, s0
	s_cbranch_execnz .LBB218_34
	s_branch .LBB218_37
.LBB218_28:                             ;   in Loop: Header=BB218_4 Depth=1
	s_delay_alu instid0(VALU_DEP_1)
	v_mov_b64_e32 v[12:13], v[10:11]
	v_dual_mov_b32 v19, 0 :: v_dual_mov_b32 v20, v17
	v_mov_b32_e32 v21, v0
	s_mov_b32 s36, 0
.LBB218_29:                             ;   Parent Loop BB218_4 Depth=1
                                        ; =>  This Inner Loop Header: Depth=2
	v_readfirstlane_b32 s38, v8
	v_readfirstlane_b32 s39, v9
	s_delay_alu instid0(VALU_DEP_3)
	v_add_nc_u32_e32 v21, 0x100, v21
	flat_load_b32 v22, v[12:13]
	flat_load_b32 v23, v20, s[38:39] scale_offset
	s_wait_xcnt 0x1
	v_add_nc_u64_e32 v[12:13], 0x400, v[12:13]
	v_cmp_le_i32_e32 vcc_lo, s20, v21
	s_wait_xcnt 0x0
	v_add_nc_u32_e32 v20, s33, v20
	s_or_b32 s36, vcc_lo, s36
	s_wait_loadcnt_dscnt 0x0
	v_fmac_f32_e32 v19, v22, v23
	s_and_not1_b32 exec_lo, exec_lo, s36
	s_cbranch_execnz .LBB218_29
; %bb.30:                               ;   in Loop: Header=BB218_4 Depth=1
	s_or_b32 exec_lo, exec_lo, s36
	s_delay_alu instid0(SALU_CYCLE_1)
	s_or_b32 exec_lo, exec_lo, s35
	s_and_saveexec_b32 s35, s5
	s_cbranch_execz .LBB218_21
.LBB218_31:                             ;   in Loop: Header=BB218_4 Depth=1
	v_lshl_add_u64 v[10:11], s[20:21], 2, v[10:11]
	v_lshl_add_u64 v[8:9], v[4:5], 2, v[8:9]
	flat_load_b32 v12, v[10:11]
	flat_load_b32 v13, v[8:9]
	s_wait_loadcnt_dscnt 0x0
	v_fmac_f32_e32 v19, v12, v13
	s_wait_xcnt 0x0
	s_or_b32 exec_lo, exec_lo, s35
	s_and_saveexec_b32 s35, s1
	s_cbranch_execnz .LBB218_22
	s_branch .LBB218_23
.LBB218_32:                             ;   in Loop: Header=BB218_4 Depth=1
	ds_load_b32 v11, v15
	s_or_b32 exec_lo, exec_lo, s35
	s_and_saveexec_b32 s35, s1
	s_cbranch_execz .LBB218_27
.LBB218_33:                             ;   in Loop: Header=BB218_4 Depth=1
	s_wait_dscnt 0x0
	ds_bpermute_b32 v8, v8, v11
	s_wait_dscnt 0x0
	v_add_f32_e32 v8, v11, v8
	ds_bpermute_b32 v9, v9, v8
	s_wait_dscnt 0x0
	v_add_f32_e32 v8, v8, v9
	ds_bpermute_b32 v9, v10, v8
	s_wait_dscnt 0x0
	v_add_f32_e32 v11, v8, v9
	s_or_b32 exec_lo, exec_lo, s35
                                        ; implicit-def: $vgpr12
	s_and_saveexec_b32 s35, s0
	s_cbranch_execz .LBB218_37
.LBB218_34:                             ;   in Loop: Header=BB218_4 Depth=1
	s_wait_dscnt 0x0
	v_mul_f32_e32 v12, s27, v11
	s_and_not1_b32 vcc_lo, exec_lo, s31
	s_cbranch_vccnz .LBB218_36
; %bb.35:                               ;   in Loop: Header=BB218_4 Depth=1
	v_add_nc_u64_e32 v[8:9], s[24:25], v[6:7]
	flat_load_b32 v8, v[8:9]
	s_wait_loadcnt_dscnt 0x0
	v_fmac_f32_e32 v12, s28, v8
.LBB218_36:                             ;   in Loop: Header=BB218_4 Depth=1
	s_or_b32 s34, s34, exec_lo
.LBB218_37:                             ;   in Loop: Header=BB218_4 Depth=1
	s_wait_xcnt 0x0
	s_or_b32 exec_lo, exec_lo, s35
.LBB218_38:                             ;   in Loop: Header=BB218_4 Depth=1
	s_and_saveexec_b32 s35, s34
	s_cbranch_execz .LBB218_2
; %bb.39:                               ;   in Loop: Header=BB218_4 Depth=1
	v_add_nc_u64_e32 v[6:7], s[24:25], v[6:7]
	flat_store_b32 v[6:7], v12
	s_branch .LBB218_2
.LBB218_40:
	s_endpgm
	.section	.rodata,"a",@progbits
	.p2align	6, 0x0
	.amdhsa_kernel _ZL32rocblas_gemvt_warp_reduce_kernelILb0ELi256EiPKffKPfEviiT3_lPKT2_lT1_lS7_lS8_lS4_lPT4_lS8_li
		.amdhsa_group_segment_fixed_size 128
		.amdhsa_private_segment_fixed_size 0
		.amdhsa_kernarg_size 140
		.amdhsa_user_sgpr_count 2
		.amdhsa_user_sgpr_dispatch_ptr 0
		.amdhsa_user_sgpr_queue_ptr 0
		.amdhsa_user_sgpr_kernarg_segment_ptr 1
		.amdhsa_user_sgpr_dispatch_id 0
		.amdhsa_user_sgpr_kernarg_preload_length 0
		.amdhsa_user_sgpr_kernarg_preload_offset 0
		.amdhsa_user_sgpr_private_segment_size 0
		.amdhsa_wavefront_size32 1
		.amdhsa_uses_dynamic_stack 0
		.amdhsa_enable_private_segment 0
		.amdhsa_system_sgpr_workgroup_id_x 1
		.amdhsa_system_sgpr_workgroup_id_y 0
		.amdhsa_system_sgpr_workgroup_id_z 1
		.amdhsa_system_sgpr_workgroup_info 0
		.amdhsa_system_vgpr_workitem_id 0
		.amdhsa_next_free_vgpr 24
		.amdhsa_next_free_sgpr 40
		.amdhsa_named_barrier_count 0
		.amdhsa_reserve_vcc 1
		.amdhsa_float_round_mode_32 0
		.amdhsa_float_round_mode_16_64 0
		.amdhsa_float_denorm_mode_32 3
		.amdhsa_float_denorm_mode_16_64 3
		.amdhsa_fp16_overflow 0
		.amdhsa_memory_ordered 1
		.amdhsa_forward_progress 1
		.amdhsa_inst_pref_size 12
		.amdhsa_round_robin_scheduling 0
		.amdhsa_exception_fp_ieee_invalid_op 0
		.amdhsa_exception_fp_denorm_src 0
		.amdhsa_exception_fp_ieee_div_zero 0
		.amdhsa_exception_fp_ieee_overflow 0
		.amdhsa_exception_fp_ieee_underflow 0
		.amdhsa_exception_fp_ieee_inexact 0
		.amdhsa_exception_int_div_zero 0
	.end_amdhsa_kernel
	.section	.text._ZL32rocblas_gemvt_warp_reduce_kernelILb0ELi256EiPKffKPfEviiT3_lPKT2_lT1_lS7_lS8_lS4_lPT4_lS8_li,"axG",@progbits,_ZL32rocblas_gemvt_warp_reduce_kernelILb0ELi256EiPKffKPfEviiT3_lPKT2_lT1_lS7_lS8_lS4_lPT4_lS8_li,comdat
.Lfunc_end218:
	.size	_ZL32rocblas_gemvt_warp_reduce_kernelILb0ELi256EiPKffKPfEviiT3_lPKT2_lT1_lS7_lS8_lS4_lPT4_lS8_li, .Lfunc_end218-_ZL32rocblas_gemvt_warp_reduce_kernelILb0ELi256EiPKffKPfEviiT3_lPKT2_lT1_lS7_lS8_lS4_lPT4_lS8_li
                                        ; -- End function
	.set _ZL32rocblas_gemvt_warp_reduce_kernelILb0ELi256EiPKffKPfEviiT3_lPKT2_lT1_lS7_lS8_lS4_lPT4_lS8_li.num_vgpr, 24
	.set _ZL32rocblas_gemvt_warp_reduce_kernelILb0ELi256EiPKffKPfEviiT3_lPKT2_lT1_lS7_lS8_lS4_lPT4_lS8_li.num_agpr, 0
	.set _ZL32rocblas_gemvt_warp_reduce_kernelILb0ELi256EiPKffKPfEviiT3_lPKT2_lT1_lS7_lS8_lS4_lPT4_lS8_li.numbered_sgpr, 40
	.set _ZL32rocblas_gemvt_warp_reduce_kernelILb0ELi256EiPKffKPfEviiT3_lPKT2_lT1_lS7_lS8_lS4_lPT4_lS8_li.num_named_barrier, 0
	.set _ZL32rocblas_gemvt_warp_reduce_kernelILb0ELi256EiPKffKPfEviiT3_lPKT2_lT1_lS7_lS8_lS4_lPT4_lS8_li.private_seg_size, 0
	.set _ZL32rocblas_gemvt_warp_reduce_kernelILb0ELi256EiPKffKPfEviiT3_lPKT2_lT1_lS7_lS8_lS4_lPT4_lS8_li.uses_vcc, 1
	.set _ZL32rocblas_gemvt_warp_reduce_kernelILb0ELi256EiPKffKPfEviiT3_lPKT2_lT1_lS7_lS8_lS4_lPT4_lS8_li.uses_flat_scratch, 0
	.set _ZL32rocblas_gemvt_warp_reduce_kernelILb0ELi256EiPKffKPfEviiT3_lPKT2_lT1_lS7_lS8_lS4_lPT4_lS8_li.has_dyn_sized_stack, 0
	.set _ZL32rocblas_gemvt_warp_reduce_kernelILb0ELi256EiPKffKPfEviiT3_lPKT2_lT1_lS7_lS8_lS4_lPT4_lS8_li.has_recursion, 0
	.set _ZL32rocblas_gemvt_warp_reduce_kernelILb0ELi256EiPKffKPfEviiT3_lPKT2_lT1_lS7_lS8_lS4_lPT4_lS8_li.has_indirect_call, 0
	.section	.AMDGPU.csdata,"",@progbits
; Kernel info:
; codeLenInByte = 1416
; TotalNumSgprs: 42
; NumVgprs: 24
; ScratchSize: 0
; MemoryBound: 0
; FloatMode: 240
; IeeeMode: 1
; LDSByteSize: 128 bytes/workgroup (compile time only)
; SGPRBlocks: 0
; VGPRBlocks: 1
; NumSGPRsForWavesPerEU: 42
; NumVGPRsForWavesPerEU: 24
; NamedBarCnt: 0
; Occupancy: 16
; WaveLimiterHint : 1
; COMPUTE_PGM_RSRC2:SCRATCH_EN: 0
; COMPUTE_PGM_RSRC2:USER_SGPR: 2
; COMPUTE_PGM_RSRC2:TRAP_HANDLER: 0
; COMPUTE_PGM_RSRC2:TGID_X_EN: 1
; COMPUTE_PGM_RSRC2:TGID_Y_EN: 0
; COMPUTE_PGM_RSRC2:TGID_Z_EN: 1
; COMPUTE_PGM_RSRC2:TIDIG_COMP_CNT: 0
	.section	.text._ZL32rocblas_gemvt_warp_reduce_kernelILb0ELi256ElPKffKPfEviiT3_lPKT2_lT1_lS7_lS8_lS4_lPT4_lS8_li,"axG",@progbits,_ZL32rocblas_gemvt_warp_reduce_kernelILb0ELi256ElPKffKPfEviiT3_lPKT2_lT1_lS7_lS8_lS4_lPT4_lS8_li,comdat
	.globl	_ZL32rocblas_gemvt_warp_reduce_kernelILb0ELi256ElPKffKPfEviiT3_lPKT2_lT1_lS7_lS8_lS4_lPT4_lS8_li ; -- Begin function _ZL32rocblas_gemvt_warp_reduce_kernelILb0ELi256ElPKffKPfEviiT3_lPKT2_lT1_lS7_lS8_lS4_lPT4_lS8_li
	.p2align	8
	.type	_ZL32rocblas_gemvt_warp_reduce_kernelILb0ELi256ElPKffKPfEviiT3_lPKT2_lT1_lS7_lS8_lS4_lPT4_lS8_li,@function
_ZL32rocblas_gemvt_warp_reduce_kernelILb0ELi256ElPKffKPfEviiT3_lPKT2_lT1_lS7_lS8_lS4_lPT4_lS8_li: ; @_ZL32rocblas_gemvt_warp_reduce_kernelILb0ELi256ElPKffKPfEviiT3_lPKT2_lT1_lS7_lS8_lS4_lPT4_lS8_li
; %bb.0:
	s_load_b32 s28, s[0:1], 0x88
	s_bfe_u32 s2, ttmp6, 0x40014
	s_lshr_b32 s3, ttmp7, 16
	s_add_co_i32 s2, s2, 1
	s_bfe_u32 s5, ttmp6, 0x40008
	s_mul_i32 s4, s3, s2
	s_getreg_b32 s2, hwreg(HW_REG_IB_STS2, 6, 4)
	s_add_co_i32 s5, s5, s4
	s_cmp_eq_u32 s2, 0
	s_mov_b32 s7, 0
	s_cselect_b32 s6, s3, s5
	s_wait_kmcnt 0x0
	s_cmp_ge_u32 s6, s28
	s_cbranch_scc1 .LBB219_40
; %bb.1:
	s_clause 0x7
	s_load_b32 s29, s[0:1], 0x8
	s_load_b32 s30, s[0:1], 0x58
	s_load_b128 s[8:11], s[0:1], 0x18
	s_load_b64 s[4:5], s[0:1], 0x28
	s_load_b32 s21, s[0:1], 0x0
	s_load_b128 s[12:15], s[0:1], 0x68
	s_load_b64 s[24:25], s[0:1], 0x48
	s_load_b64 s[22:23], s[0:1], 0x78
	v_mbcnt_lo_u32_b32 v20, -1, 0
	s_delay_alu instid0(VALU_DEP_1)
	v_lshl_or_b32 v21, v20, 2, 64
	s_wait_kmcnt 0x0
	s_cmp_eq_f32 s29, 0
	s_cselect_b32 s31, -1, 0
	s_cmp_neq_f32 s30, 1.0
	s_cselect_b32 s3, -1, 0
	s_cmp_neq_f32 s29, 0
	s_cselect_b32 s16, -1, 0
	s_delay_alu instid0(SALU_CYCLE_1)
	s_or_b32 s33, s16, s3
	s_cmp_neq_f32 s30, 0
	v_cndmask_b32_e64 v18, 0, 1, s16
	s_cselect_b32 s34, -1, 0
	s_bfe_u32 s3, ttmp6, 0x4000c
	s_and_b32 s16, ttmp6, 15
	s_add_co_i32 s3, s3, 1
	s_delay_alu instid0(SALU_CYCLE_1) | instskip(NEXT) | instid1(SALU_CYCLE_1)
	s_mul_i32 s3, ttmp9, s3
	s_add_co_i32 s16, s16, s3
	s_cmp_eq_u32 s2, 0
	s_cselect_b32 s2, ttmp9, s16
	s_load_b128 s[16:19], s[0:1], 0x38
	s_ashr_i32 s3, s21, 31
	v_cmp_gt_i32_e32 vcc_lo, s21, v0
	s_lshr_b32 s3, s3, 24
	s_wait_xcnt 0x0
	v_cmp_eq_u32_e64 s0, 0, v0
	s_add_co_i32 s3, s21, s3
	s_lshl_b64 s[10:11], s[10:11], 2
	s_and_b32 s20, s3, 0xffffff00
	s_delay_alu instid0(SALU_CYCLE_1) | instskip(SKIP_3) | instid1(VALU_DEP_2)
	v_dual_mov_b32 v3, 0 :: v_dual_bitop2_b32 v8, s20, v0 bitop3:0x54
	s_ashr_i32 s3, s2, 31
	v_cndmask_b32_e32 v2, 0, v0, vcc_lo
	s_mul_u64 s[26:27], s[22:23], s[2:3]
	v_dual_mov_b32 v1, v3 :: v_dual_ashrrev_i32 v9, 31, v8
	s_mul_u64 s[22:23], s[4:5], s[2:3]
	v_cmp_gt_i32_e64 s2, s21, v8
	v_cmp_gt_i32_e64 s1, s20, v0
	s_delay_alu instid0(VALU_DEP_3) | instskip(SKIP_4) | instid1(VALU_DEP_3)
	v_mul_u64_e32 v[6:7], s[24:25], v[0:1]
	v_mul_u64_e32 v[4:5], s[24:25], v[8:9]
	v_dual_lshrrev_b32 v8, 3, v0 :: v_dual_bitop2_b32 v9, 31, v0 bitop3:0x40
	v_cmp_gt_u32_e64 s3, 32, v0
	v_cmp_gt_u32_e64 s5, 8, v0
	v_dual_lshlrev_b32 v2, 2, v2 :: v_dual_lshlrev_b32 v1, 2, v9
	v_cmp_eq_u32_e64 s4, 0, v9
	v_and_b32_e32 v19, 28, v8
	s_ashr_i32 s21, s20, 31
	s_lshl_b64 s[24:25], s[24:25], 10
	s_wait_kmcnt 0x0
	s_lshl_b64 s[18:19], s[18:19], 2
	s_lshl_b64 s[14:15], s[14:15], 2
	;; [unrolled: 1-line block ×3, first 2 shown]
	v_lshlrev_b64_e32 v[6:7], 2, v[6:7]
	s_branch .LBB219_4
.LBB219_2:                              ;   in Loop: Header=BB219_4 Depth=1
	s_wait_xcnt 0x0
	s_or_b32 exec_lo, exec_lo, s36
.LBB219_3:                              ;   in Loop: Header=BB219_4 Depth=1
	s_add_co_i32 s6, s6, 0x10000
	s_delay_alu instid0(SALU_CYCLE_1)
	s_cmp_lt_u32 s6, s28
	s_cbranch_scc0 .LBB219_40
.LBB219_4:                              ; =>This Loop Header: Depth=1
                                        ;     Child Loop BB219_29 Depth 2
	s_and_not1_b32 vcc_lo, exec_lo, s33
	s_cbranch_vccnz .LBB219_3
; %bb.5:                                ;   in Loop: Header=BB219_4 Depth=1
	s_and_not1_b32 vcc_lo, exec_lo, s31
	s_cbranch_vccnz .LBB219_7
; %bb.6:                                ;   in Loop: Header=BB219_4 Depth=1
	v_mov_b64_e32 v[10:11], 0
	s_wait_dscnt 0x0
	v_mov_b64_e32 v[12:13], 0
	s_cbranch_execz .LBB219_8
	s_branch .LBB219_9
.LBB219_7:                              ;   in Loop: Header=BB219_4 Depth=1
	v_mov_b64_e32 v[10:11], 0
	s_wait_dscnt 0x0
	v_mov_b64_e32 v[12:13], 0
.LBB219_8:                              ;   in Loop: Header=BB219_4 Depth=1
	s_lshl_b64 s[36:37], s[6:7], 3
	s_delay_alu instid0(SALU_CYCLE_1)
	s_add_nc_u64 s[36:37], s[8:9], s[36:37]
	global_load_b64 v[8:9], v3, s[36:37]
	s_wait_loadcnt 0x0
	v_add_nc_u64_e32 v[12:13], s[10:11], v[8:9]
.LBB219_9:                              ;   in Loop: Header=BB219_4 Depth=1
	v_cmp_ne_u32_e32 vcc_lo, 1, v18
	s_cbranch_vccnz .LBB219_11
; %bb.10:                               ;   in Loop: Header=BB219_4 Depth=1
	s_wait_xcnt 0x0
	s_lshl_b64 s[36:37], s[6:7], 3
	s_delay_alu instid0(SALU_CYCLE_1)
	s_add_nc_u64 s[36:37], s[16:17], s[36:37]
	global_load_b64 v[8:9], v3, s[36:37]
	s_wait_loadcnt 0x0
	v_add_nc_u64_e32 v[10:11], s[18:19], v[8:9]
.LBB219_11:                             ;   in Loop: Header=BB219_4 Depth=1
	s_wait_xcnt 0x0
	s_lshl_b64 s[36:37], s[6:7], 3
	s_and_not1_b32 vcc_lo, exec_lo, s31
	s_add_nc_u64 s[36:37], s[12:13], s[36:37]
	global_load_b64 v[8:9], v3, s[36:37]
	s_wait_loadcnt 0x0
	v_add_nc_u64_e32 v[8:9], s[14:15], v[8:9]
	s_cbranch_vccnz .LBB219_15
; %bb.12:                               ;   in Loop: Header=BB219_4 Depth=1
	s_wait_xcnt 0x0
	s_mov_b32 s36, 0
	s_mov_b32 s35, 0
                                        ; implicit-def: $vgpr14
	s_and_saveexec_b32 s37, s0
	s_cbranch_execz .LBB219_16
; %bb.13:                               ;   in Loop: Header=BB219_4 Depth=1
	s_and_not1_b32 vcc_lo, exec_lo, s34
	s_cbranch_vccnz .LBB219_17
; %bb.14:                               ;   in Loop: Header=BB219_4 Depth=1
	v_add_nc_u64_e32 v[14:15], s[26:27], v[8:9]
	flat_load_b32 v14, v[14:15]
	s_wait_loadcnt_dscnt 0x0
	s_wait_xcnt 0x0
	v_mul_f32_e32 v14, s30, v14
	s_branch .LBB219_18
.LBB219_15:                             ;   in Loop: Header=BB219_4 Depth=1
	s_wait_xcnt 0x0
	s_mov_b32 s35, 0
                                        ; implicit-def: $vgpr14
	s_cbranch_execnz .LBB219_19
	s_branch .LBB219_38
.LBB219_16:                             ;   in Loop: Header=BB219_4 Depth=1
	s_or_b32 exec_lo, exec_lo, s37
	s_delay_alu instid0(SALU_CYCLE_1)
	s_and_b32 vcc_lo, exec_lo, s36
	s_cbranch_vccnz .LBB219_19
	s_branch .LBB219_38
.LBB219_17:                             ;   in Loop: Header=BB219_4 Depth=1
	v_mov_b32_e32 v14, 0
.LBB219_18:                             ;   in Loop: Header=BB219_4 Depth=1
	s_mov_b32 s35, exec_lo
	s_or_b32 exec_lo, exec_lo, s37
	s_delay_alu instid0(SALU_CYCLE_1)
	s_and_b32 vcc_lo, exec_lo, s36
	s_cbranch_vccz .LBB219_38
.LBB219_19:                             ;   in Loop: Header=BB219_4 Depth=1
	v_add_nc_u64_e32 v[12:13], v[12:13], v[2:3]
	v_mov_b32_e32 v22, 0
	s_delay_alu instid0(VALU_DEP_2)
	v_lshl_add_u64 v[12:13], s[22:23], 2, v[12:13]
	s_and_saveexec_b32 s36, s1
	s_cbranch_execnz .LBB219_28
; %bb.20:                               ;   in Loop: Header=BB219_4 Depth=1
	s_or_b32 exec_lo, exec_lo, s36
	s_and_saveexec_b32 s36, s2
	s_cbranch_execnz .LBB219_31
.LBB219_21:                             ;   in Loop: Header=BB219_4 Depth=1
	s_or_b32 exec_lo, exec_lo, s36
	s_and_saveexec_b32 s36, s3
.LBB219_22:                             ;   in Loop: Header=BB219_4 Depth=1
	ds_store_b32 v1, v3
.LBB219_23:                             ;   in Loop: Header=BB219_4 Depth=1
	s_or_b32 exec_lo, exec_lo, s36
	ds_bpermute_b32 v10, v21, v22
	v_cmp_gt_u32_e32 vcc_lo, 24, v20
	s_wait_dscnt 0x0
	s_barrier_signal -1
	s_barrier_wait -1
	v_cndmask_b32_e64 v11, 0, 8, vcc_lo
	v_cmp_gt_u32_e32 vcc_lo, 28, v20
	s_delay_alu instid0(VALU_DEP_2)
	v_add_lshl_u32 v11, v11, v20, 2
	v_add_f32_e32 v12, v22, v10
	v_cndmask_b32_e64 v10, 0, 4, vcc_lo
	v_cmp_gt_u32_e32 vcc_lo, 30, v20
	ds_bpermute_b32 v11, v11, v12
	v_add_lshl_u32 v10, v10, v20, 2
	s_wait_dscnt 0x0
	v_add_f32_e32 v12, v12, v11
	v_cndmask_b32_e64 v11, 0, 2, vcc_lo
	v_cmp_ne_u32_e32 vcc_lo, 31, v20
	ds_bpermute_b32 v13, v10, v12
	v_add_lshl_u32 v11, v11, v20, 2
	v_add_co_ci_u32_e64 v14, null, 0, v20, vcc_lo
	s_wait_dscnt 0x0
	v_add_f32_e32 v12, v12, v13
	ds_bpermute_b32 v13, v11, v12
	s_wait_dscnt 0x0
	v_dual_add_f32 v13, v12, v13 :: v_dual_lshlrev_b32 v12, 2, v14
	ds_bpermute_b32 v14, v12, v13
	s_and_saveexec_b32 s36, s4
	s_cbranch_execz .LBB219_25
; %bb.24:                               ;   in Loop: Header=BB219_4 Depth=1
	s_wait_dscnt 0x0
	v_add_f32_e32 v13, v13, v14
	ds_store_b32 v19, v13
.LBB219_25:                             ;   in Loop: Header=BB219_4 Depth=1
	s_or_b32 exec_lo, exec_lo, s36
	v_mov_b32_e32 v13, 0
	s_wait_dscnt 0x0
	s_barrier_signal -1
	s_barrier_wait -1
	s_and_saveexec_b32 s36, s5
	s_cbranch_execnz .LBB219_32
; %bb.26:                               ;   in Loop: Header=BB219_4 Depth=1
	s_or_b32 exec_lo, exec_lo, s36
	s_and_saveexec_b32 s36, s3
	s_cbranch_execnz .LBB219_33
.LBB219_27:                             ;   in Loop: Header=BB219_4 Depth=1
	s_or_b32 exec_lo, exec_lo, s36
                                        ; implicit-def: $vgpr14
	s_and_saveexec_b32 s36, s0
	s_cbranch_execnz .LBB219_34
	s_branch .LBB219_37
.LBB219_28:                             ;   in Loop: Header=BB219_4 Depth=1
	v_add_nc_u64_e32 v[14:15], v[10:11], v[6:7]
	s_delay_alu instid0(VALU_DEP_2)
	v_mov_b64_e32 v[16:17], v[12:13]
	v_dual_mov_b32 v22, 0 :: v_dual_mov_b32 v23, v0
	s_mov_b32 s37, 0
.LBB219_29:                             ;   Parent Loop BB219_4 Depth=1
                                        ; =>  This Inner Loop Header: Depth=2
	flat_load_b32 v24, v[16:17]
	flat_load_b32 v25, v[14:15]
	v_add_nc_u32_e32 v23, 0x100, v23
	s_wait_xcnt 0x1
	v_add_nc_u64_e32 v[16:17], 0x400, v[16:17]
	s_wait_xcnt 0x0
	v_add_nc_u64_e32 v[14:15], s[24:25], v[14:15]
	s_wait_loadcnt_dscnt 0x0
	v_fmac_f32_e32 v22, v24, v25
	v_cmp_le_i32_e32 vcc_lo, s20, v23
	s_or_b32 s37, vcc_lo, s37
	s_delay_alu instid0(SALU_CYCLE_1)
	s_and_not1_b32 exec_lo, exec_lo, s37
	s_cbranch_execnz .LBB219_29
; %bb.30:                               ;   in Loop: Header=BB219_4 Depth=1
	s_or_b32 exec_lo, exec_lo, s37
	s_delay_alu instid0(SALU_CYCLE_1)
	s_or_b32 exec_lo, exec_lo, s36
	s_and_saveexec_b32 s36, s2
	s_cbranch_execz .LBB219_21
.LBB219_31:                             ;   in Loop: Header=BB219_4 Depth=1
	v_lshl_add_u64 v[12:13], s[20:21], 2, v[12:13]
	v_lshl_add_u64 v[10:11], v[4:5], 2, v[10:11]
	flat_load_b32 v14, v[12:13]
	flat_load_b32 v15, v[10:11]
	s_wait_loadcnt_dscnt 0x0
	v_fmac_f32_e32 v22, v14, v15
	s_wait_xcnt 0x0
	s_or_b32 exec_lo, exec_lo, s36
	s_and_saveexec_b32 s36, s3
	s_cbranch_execnz .LBB219_22
	s_branch .LBB219_23
.LBB219_32:                             ;   in Loop: Header=BB219_4 Depth=1
	ds_load_b32 v13, v1
	s_or_b32 exec_lo, exec_lo, s36
	s_and_saveexec_b32 s36, s3
	s_cbranch_execz .LBB219_27
.LBB219_33:                             ;   in Loop: Header=BB219_4 Depth=1
	s_wait_dscnt 0x0
	ds_bpermute_b32 v10, v10, v13
	s_wait_dscnt 0x0
	v_add_f32_e32 v10, v13, v10
	ds_bpermute_b32 v11, v11, v10
	s_wait_dscnt 0x0
	v_add_f32_e32 v10, v10, v11
	;; [unrolled: 3-line block ×3, first 2 shown]
	s_or_b32 exec_lo, exec_lo, s36
                                        ; implicit-def: $vgpr14
	s_and_saveexec_b32 s36, s0
	s_cbranch_execz .LBB219_37
.LBB219_34:                             ;   in Loop: Header=BB219_4 Depth=1
	s_wait_dscnt 0x0
	v_mul_f32_e32 v14, s29, v13
	s_and_not1_b32 vcc_lo, exec_lo, s34
	s_cbranch_vccnz .LBB219_36
; %bb.35:                               ;   in Loop: Header=BB219_4 Depth=1
	v_add_nc_u64_e32 v[10:11], s[26:27], v[8:9]
	flat_load_b32 v10, v[10:11]
	s_wait_loadcnt_dscnt 0x0
	v_fmac_f32_e32 v14, s30, v10
.LBB219_36:                             ;   in Loop: Header=BB219_4 Depth=1
	s_or_b32 s35, s35, exec_lo
.LBB219_37:                             ;   in Loop: Header=BB219_4 Depth=1
	s_wait_xcnt 0x0
	s_or_b32 exec_lo, exec_lo, s36
.LBB219_38:                             ;   in Loop: Header=BB219_4 Depth=1
	s_and_saveexec_b32 s36, s35
	s_cbranch_execz .LBB219_2
; %bb.39:                               ;   in Loop: Header=BB219_4 Depth=1
	v_add_nc_u64_e32 v[8:9], s[26:27], v[8:9]
	flat_store_b32 v[8:9], v14
	s_branch .LBB219_2
.LBB219_40:
	s_endpgm
	.section	.rodata,"a",@progbits
	.p2align	6, 0x0
	.amdhsa_kernel _ZL32rocblas_gemvt_warp_reduce_kernelILb0ELi256ElPKffKPfEviiT3_lPKT2_lT1_lS7_lS8_lS4_lPT4_lS8_li
		.amdhsa_group_segment_fixed_size 128
		.amdhsa_private_segment_fixed_size 0
		.amdhsa_kernarg_size 140
		.amdhsa_user_sgpr_count 2
		.amdhsa_user_sgpr_dispatch_ptr 0
		.amdhsa_user_sgpr_queue_ptr 0
		.amdhsa_user_sgpr_kernarg_segment_ptr 1
		.amdhsa_user_sgpr_dispatch_id 0
		.amdhsa_user_sgpr_kernarg_preload_length 0
		.amdhsa_user_sgpr_kernarg_preload_offset 0
		.amdhsa_user_sgpr_private_segment_size 0
		.amdhsa_wavefront_size32 1
		.amdhsa_uses_dynamic_stack 0
		.amdhsa_enable_private_segment 0
		.amdhsa_system_sgpr_workgroup_id_x 1
		.amdhsa_system_sgpr_workgroup_id_y 0
		.amdhsa_system_sgpr_workgroup_id_z 1
		.amdhsa_system_sgpr_workgroup_info 0
		.amdhsa_system_vgpr_workitem_id 0
		.amdhsa_next_free_vgpr 26
		.amdhsa_next_free_sgpr 38
		.amdhsa_named_barrier_count 0
		.amdhsa_reserve_vcc 1
		.amdhsa_float_round_mode_32 0
		.amdhsa_float_round_mode_16_64 0
		.amdhsa_float_denorm_mode_32 3
		.amdhsa_float_denorm_mode_16_64 3
		.amdhsa_fp16_overflow 0
		.amdhsa_memory_ordered 1
		.amdhsa_forward_progress 1
		.amdhsa_inst_pref_size 12
		.amdhsa_round_robin_scheduling 0
		.amdhsa_exception_fp_ieee_invalid_op 0
		.amdhsa_exception_fp_denorm_src 0
		.amdhsa_exception_fp_ieee_div_zero 0
		.amdhsa_exception_fp_ieee_overflow 0
		.amdhsa_exception_fp_ieee_underflow 0
		.amdhsa_exception_fp_ieee_inexact 0
		.amdhsa_exception_int_div_zero 0
	.end_amdhsa_kernel
	.section	.text._ZL32rocblas_gemvt_warp_reduce_kernelILb0ELi256ElPKffKPfEviiT3_lPKT2_lT1_lS7_lS8_lS4_lPT4_lS8_li,"axG",@progbits,_ZL32rocblas_gemvt_warp_reduce_kernelILb0ELi256ElPKffKPfEviiT3_lPKT2_lT1_lS7_lS8_lS4_lPT4_lS8_li,comdat
.Lfunc_end219:
	.size	_ZL32rocblas_gemvt_warp_reduce_kernelILb0ELi256ElPKffKPfEviiT3_lPKT2_lT1_lS7_lS8_lS4_lPT4_lS8_li, .Lfunc_end219-_ZL32rocblas_gemvt_warp_reduce_kernelILb0ELi256ElPKffKPfEviiT3_lPKT2_lT1_lS7_lS8_lS4_lPT4_lS8_li
                                        ; -- End function
	.set _ZL32rocblas_gemvt_warp_reduce_kernelILb0ELi256ElPKffKPfEviiT3_lPKT2_lT1_lS7_lS8_lS4_lPT4_lS8_li.num_vgpr, 26
	.set _ZL32rocblas_gemvt_warp_reduce_kernelILb0ELi256ElPKffKPfEviiT3_lPKT2_lT1_lS7_lS8_lS4_lPT4_lS8_li.num_agpr, 0
	.set _ZL32rocblas_gemvt_warp_reduce_kernelILb0ELi256ElPKffKPfEviiT3_lPKT2_lT1_lS7_lS8_lS4_lPT4_lS8_li.numbered_sgpr, 38
	.set _ZL32rocblas_gemvt_warp_reduce_kernelILb0ELi256ElPKffKPfEviiT3_lPKT2_lT1_lS7_lS8_lS4_lPT4_lS8_li.num_named_barrier, 0
	.set _ZL32rocblas_gemvt_warp_reduce_kernelILb0ELi256ElPKffKPfEviiT3_lPKT2_lT1_lS7_lS8_lS4_lPT4_lS8_li.private_seg_size, 0
	.set _ZL32rocblas_gemvt_warp_reduce_kernelILb0ELi256ElPKffKPfEviiT3_lPKT2_lT1_lS7_lS8_lS4_lPT4_lS8_li.uses_vcc, 1
	.set _ZL32rocblas_gemvt_warp_reduce_kernelILb0ELi256ElPKffKPfEviiT3_lPKT2_lT1_lS7_lS8_lS4_lPT4_lS8_li.uses_flat_scratch, 0
	.set _ZL32rocblas_gemvt_warp_reduce_kernelILb0ELi256ElPKffKPfEviiT3_lPKT2_lT1_lS7_lS8_lS4_lPT4_lS8_li.has_dyn_sized_stack, 0
	.set _ZL32rocblas_gemvt_warp_reduce_kernelILb0ELi256ElPKffKPfEviiT3_lPKT2_lT1_lS7_lS8_lS4_lPT4_lS8_li.has_recursion, 0
	.set _ZL32rocblas_gemvt_warp_reduce_kernelILb0ELi256ElPKffKPfEviiT3_lPKT2_lT1_lS7_lS8_lS4_lPT4_lS8_li.has_indirect_call, 0
	.section	.AMDGPU.csdata,"",@progbits
; Kernel info:
; codeLenInByte = 1420
; TotalNumSgprs: 40
; NumVgprs: 26
; ScratchSize: 0
; MemoryBound: 0
; FloatMode: 240
; IeeeMode: 1
; LDSByteSize: 128 bytes/workgroup (compile time only)
; SGPRBlocks: 0
; VGPRBlocks: 1
; NumSGPRsForWavesPerEU: 40
; NumVGPRsForWavesPerEU: 26
; NamedBarCnt: 0
; Occupancy: 16
; WaveLimiterHint : 1
; COMPUTE_PGM_RSRC2:SCRATCH_EN: 0
; COMPUTE_PGM_RSRC2:USER_SGPR: 2
; COMPUTE_PGM_RSRC2:TRAP_HANDLER: 0
; COMPUTE_PGM_RSRC2:TGID_X_EN: 1
; COMPUTE_PGM_RSRC2:TGID_Y_EN: 0
; COMPUTE_PGM_RSRC2:TGID_Z_EN: 1
; COMPUTE_PGM_RSRC2:TIDIG_COMP_CNT: 0
	.section	.text._ZL20rocblas_gemvt_kernelILb0ELi256EPKfS1_KPfEviiT2_lPKT1_lilS7_lilS4_lPT3_lili,"axG",@progbits,_ZL20rocblas_gemvt_kernelILb0ELi256EPKfS1_KPfEviiT2_lPKT1_lilS7_lilS4_lPT3_lili,comdat
	.globl	_ZL20rocblas_gemvt_kernelILb0ELi256EPKfS1_KPfEviiT2_lPKT1_lilS7_lilS4_lPT3_lili ; -- Begin function _ZL20rocblas_gemvt_kernelILb0ELi256EPKfS1_KPfEviiT2_lPKT1_lilS7_lilS4_lPT3_lili
	.p2align	8
	.type	_ZL20rocblas_gemvt_kernelILb0ELi256EPKfS1_KPfEviiT2_lPKT1_lilS7_lilS4_lPT3_lili,@function
_ZL20rocblas_gemvt_kernelILb0ELi256EPKfS1_KPfEviiT2_lPKT1_lilS7_lilS4_lPT3_lili: ; @_ZL20rocblas_gemvt_kernelILb0ELi256EPKfS1_KPfEviiT2_lPKT1_lilS7_lilS4_lPT3_lili
; %bb.0:
	s_load_b32 s11, s[0:1], 0x88
	s_bfe_u32 s2, ttmp6, 0x40014
	s_lshr_b32 s3, ttmp7, 16
	s_add_co_i32 s2, s2, 1
	s_bfe_u32 s5, ttmp6, 0x40008
	s_mul_i32 s4, s3, s2
	s_getreg_b32 s2, hwreg(HW_REG_IB_STS2, 6, 4)
	s_add_co_i32 s5, s5, s4
	s_cmp_eq_u32 s2, 0
	s_mov_b32 s35, 0
	s_cselect_b32 s34, s3, s5
	s_wait_kmcnt 0x0
	s_cmp_ge_u32 s34, s11
	s_cbranch_scc1 .LBB220_45
; %bb.1:
	s_clause 0x3
	s_load_b32 s4, s[0:1], 0x28
	s_load_b32 s40, s[0:1], 0x48
	;; [unrolled: 1-line block ×4, first 2 shown]
	s_bfe_u32 s3, ttmp6, 0x4000c
	s_and_b32 s5, ttmp6, 15
	s_add_co_i32 s3, s3, 1
	s_load_b128 s[28:31], s[0:1], 0x38
	s_mul_i32 s3, ttmp9, s3
	s_clause 0x1
	s_load_b256 s[12:19], s[0:1], 0x8
	s_load_b256 s[20:27], s[0:1], 0x58
	s_add_co_i32 s3, s5, s3
	s_wait_xcnt 0x0
	v_cmp_eq_u32_e64 s0, 0, v0
	v_lshlrev_b32_e32 v16, 2, v0
	s_wait_kmcnt 0x0
	s_ashr_i32 s5, s4, 31
	s_ashr_i32 s41, s40, 31
	;; [unrolled: 1-line block ×3, first 2 shown]
	s_cmp_eq_u32 s2, 0
	v_cmp_gt_i32_e32 vcc_lo, s8, v0
	s_cselect_b32 s2, ttmp9, s3
	s_ashr_i32 s3, s8, 31
	s_delay_alu instid0(SALU_CYCLE_1) | instskip(SKIP_2) | instid1(SALU_CYCLE_1)
	s_lshr_b32 s3, s3, 24
	v_cndmask_b32_e32 v8, 0, v0, vcc_lo
	s_add_co_i32 s3, s8, s3
	s_and_b32 s36, s3, 0xffffff00
	s_delay_alu instid0(SALU_CYCLE_1) | instskip(SKIP_3) | instid1(VALU_DEP_1)
	v_dual_mov_b32 v1, 0 :: v_dual_bitop2_b32 v4, s36, v0 bitop3:0x54
	s_ashr_i32 s3, s2, 31
	s_cmp_gt_i32 s8, 0xff
	s_mul_u64 s[42:43], s[6:7], s[2:3]
	v_mul_u64_e32 v[6:7], s[40:41], v[0:1]
	v_ashrrev_i32_e32 v5, 31, v4
	v_cmp_gt_i32_e64 s1, s8, v4
	s_mul_u64 s[38:39], s[4:5], s[2:3]
	v_cmp_gt_u32_e64 s2, 0x80, v0
	v_cmp_gt_u32_e64 s3, 64, v0
	v_mul_u64_e32 v[2:3], s[40:41], v[4:5]
	v_cmp_gt_u32_e64 s4, 32, v0
	v_cmp_gt_u32_e64 s5, 16, v0
	;; [unrolled: 1-line block ×5, first 2 shown]
	v_lshlrev_b32_e32 v0, 2, v8
	s_cselect_b32 s33, -1, 0
	s_ashr_i32 s37, s36, 31
	s_lshl_b64 s[40:41], s[40:41], 10
	s_lshl_b64 s[18:19], s[18:19], 2
	;; [unrolled: 1-line block ×5, first 2 shown]
	v_lshlrev_b64_e32 v[4:5], 2, v[6:7]
	s_branch .LBB220_4
.LBB220_2:                              ;   in Loop: Header=BB220_4 Depth=1
	s_wait_xcnt 0x0
	s_or_b32 exec_lo, exec_lo, s10
.LBB220_3:                              ;   in Loop: Header=BB220_4 Depth=1
	s_add_co_i32 s34, s34, 0x10000
	s_delay_alu instid0(SALU_CYCLE_1)
	s_cmp_lt_u32 s34, s11
	s_cbranch_scc0 .LBB220_45
.LBB220_4:                              ; =>This Loop Header: Depth=1
                                        ;     Child Loop BB220_19 Depth 2
	s_mul_u64 s[44:45], s[14:15], s[34:35]
	s_wait_xcnt 0x0
	s_mul_u64 s[46:47], s[22:23], s[34:35]
	s_lshl_b64 s[44:45], s[44:45], 2
	s_lshl_b64 s[46:47], s[46:47], 2
	s_add_nc_u64 s[44:45], s[12:13], s[44:45]
	s_add_nc_u64 s[46:47], s[20:21], s[46:47]
	s_clause 0x1
	global_load_b32 v17, v1, s[44:45]
	global_load_b32 v6, v1, s[46:47]
	s_wait_loadcnt 0x1
	v_cmp_eq_f32_e64 s9, 0, v17
	s_wait_loadcnt 0x0
	v_cmp_eq_f32_e32 vcc_lo, 1.0, v6
	s_wait_xcnt 0x1
	v_readfirstlane_b32 s44, v6
	s_and_b32 s10, s9, vcc_lo
	s_delay_alu instid0(SALU_CYCLE_1)
	s_and_b32 vcc_lo, exec_lo, s10
	s_cbranch_vccnz .LBB220_3
; %bb.5:                                ;   in Loop: Header=BB220_4 Depth=1
	v_mov_b64_e32 v[8:9], 0
	v_mov_b64_e32 v[10:11], 0
	v_cmp_neq_f32_e64 s10, 0, v17
	s_and_b32 vcc_lo, exec_lo, s9
	s_cbranch_vccnz .LBB220_7
; %bb.6:                                ;   in Loop: Header=BB220_4 Depth=1
	s_wait_xcnt 0x0
	s_lshl_b64 s[46:47], s[34:35], 3
	s_delay_alu instid0(SALU_CYCLE_1)
	s_add_nc_u64 s[46:47], s[16:17], s[46:47]
	global_load_b64 v[6:7], v1, s[46:47]
	s_wait_loadcnt 0x0
	v_add_nc_u64_e32 v[10:11], s[18:19], v[6:7]
.LBB220_7:                              ;   in Loop: Header=BB220_4 Depth=1
	s_and_not1_b32 vcc_lo, exec_lo, s10
	s_cbranch_vccnz .LBB220_9
; %bb.8:                                ;   in Loop: Header=BB220_4 Depth=1
	s_wait_xcnt 0x0
	s_lshl_b64 s[46:47], s[34:35], 3
	s_delay_alu instid0(SALU_CYCLE_1)
	s_add_nc_u64 s[46:47], s[28:29], s[46:47]
	global_load_b64 v[6:7], v1, s[46:47]
	s_wait_loadcnt 0x0
	v_add_nc_u64_e32 v[8:9], s[30:31], v[6:7]
.LBB220_9:                              ;   in Loop: Header=BB220_4 Depth=1
	s_wait_xcnt 0x0
	s_lshl_b64 s[46:47], s[34:35], 3
	s_and_not1_b32 vcc_lo, exec_lo, s9
	s_add_nc_u64 s[46:47], s[24:25], s[46:47]
	global_load_b64 v[6:7], v1, s[46:47]
	s_wait_loadcnt 0x0
	v_add_nc_u64_e32 v[6:7], s[26:27], v[6:7]
	s_cbranch_vccnz .LBB220_13
; %bb.10:                               ;   in Loop: Header=BB220_4 Depth=1
	s_mov_b32 s10, 0
	s_mov_b32 s9, 0
                                        ; implicit-def: $vgpr12
	s_wait_xcnt 0x0
	s_and_saveexec_b32 s45, s0
	s_cbranch_execz .LBB220_14
; %bb.11:                               ;   in Loop: Header=BB220_4 Depth=1
	s_cmp_eq_f32 s44, 0
	s_cbranch_scc1 .LBB220_15
; %bb.12:                               ;   in Loop: Header=BB220_4 Depth=1
	v_add_nc_u64_e32 v[12:13], s[42:43], v[6:7]
	flat_load_b32 v12, v[12:13]
	s_wait_loadcnt_dscnt 0x0
	s_wait_xcnt 0x0
	v_mul_f32_e32 v12, s44, v12
	s_branch .LBB220_16
.LBB220_13:                             ;   in Loop: Header=BB220_4 Depth=1
	s_mov_b32 s9, 0
                                        ; implicit-def: $vgpr12
	s_cbranch_execnz .LBB220_17
	s_branch .LBB220_43
.LBB220_14:                             ;   in Loop: Header=BB220_4 Depth=1
	s_or_b32 exec_lo, exec_lo, s45
	s_delay_alu instid0(SALU_CYCLE_1)
	s_and_b32 vcc_lo, exec_lo, s10
	s_cbranch_vccnz .LBB220_17
	s_branch .LBB220_43
.LBB220_15:                             ;   in Loop: Header=BB220_4 Depth=1
	v_mov_b32_e32 v12, 0
.LBB220_16:                             ;   in Loop: Header=BB220_4 Depth=1
	s_mov_b32 s9, exec_lo
	s_or_b32 exec_lo, exec_lo, s45
	s_delay_alu instid0(SALU_CYCLE_1)
	s_and_b32 vcc_lo, exec_lo, s10
	s_cbranch_vccz .LBB220_43
.LBB220_17:                             ;   in Loop: Header=BB220_4 Depth=1
	v_add_nc_u64_e32 v[10:11], v[10:11], v[0:1]
	v_mov_b32_e32 v18, 0
	s_and_not1_b32 vcc_lo, exec_lo, s33
	s_delay_alu instid0(VALU_DEP_2)
	v_lshl_add_u64 v[10:11], s[38:39], 2, v[10:11]
	s_cbranch_vccnz .LBB220_20
; %bb.18:                               ;   in Loop: Header=BB220_4 Depth=1
	v_add_nc_u64_e32 v[12:13], v[8:9], v[4:5]
	s_delay_alu instid0(VALU_DEP_2)
	v_mov_b64_e32 v[14:15], v[10:11]
	v_mov_b32_e32 v18, 0
	s_mov_b32 s10, 0
.LBB220_19:                             ;   Parent Loop BB220_4 Depth=1
                                        ; =>  This Inner Loop Header: Depth=2
	flat_load_b32 v19, v[14:15]
	flat_load_b32 v20, v[12:13]
	s_wait_xcnt 0x0
	v_add_nc_u64_e32 v[12:13], s[40:41], v[12:13]
	v_add_nc_u64_e32 v[14:15], 0x400, v[14:15]
	s_addk_co_i32 s10, 0x100
	s_delay_alu instid0(SALU_CYCLE_1)
	s_cmp_ge_i32 s10, s36
	s_wait_loadcnt_dscnt 0x0
	v_fmac_f32_e32 v18, v19, v20
	s_cbranch_scc0 .LBB220_19
.LBB220_20:                             ;   in Loop: Header=BB220_4 Depth=1
	s_wait_xcnt 0x0
	s_and_saveexec_b32 s10, s1
	s_cbranch_execz .LBB220_22
; %bb.21:                               ;   in Loop: Header=BB220_4 Depth=1
	v_lshl_add_u64 v[10:11], s[36:37], 2, v[10:11]
	v_lshl_add_u64 v[8:9], v[2:3], 2, v[8:9]
	flat_load_b32 v12, v[10:11]
	flat_load_b32 v13, v[8:9]
	s_wait_loadcnt_dscnt 0x0
	v_fmac_f32_e32 v18, v12, v13
.LBB220_22:                             ;   in Loop: Header=BB220_4 Depth=1
	s_wait_xcnt 0x0
	s_or_b32 exec_lo, exec_lo, s10
	ds_store_b32 v16, v18
	s_wait_dscnt 0x0
	s_barrier_signal -1
	s_barrier_wait -1
	s_and_saveexec_b32 s10, s2
	s_cbranch_execz .LBB220_24
; %bb.23:                               ;   in Loop: Header=BB220_4 Depth=1
	ds_load_2addr_stride64_b32 v[8:9], v16 offset1:2
	s_wait_dscnt 0x0
	v_add_f32_e32 v8, v9, v8
	ds_store_b32 v16, v8
.LBB220_24:                             ;   in Loop: Header=BB220_4 Depth=1
	s_or_b32 exec_lo, exec_lo, s10
	s_wait_dscnt 0x0
	s_barrier_signal -1
	s_barrier_wait -1
	s_and_saveexec_b32 s10, s3
	s_cbranch_execz .LBB220_26
; %bb.25:                               ;   in Loop: Header=BB220_4 Depth=1
	ds_load_2addr_stride64_b32 v[8:9], v16 offset1:1
	s_wait_dscnt 0x0
	v_add_f32_e32 v8, v9, v8
	ds_store_b32 v16, v8
.LBB220_26:                             ;   in Loop: Header=BB220_4 Depth=1
	s_or_b32 exec_lo, exec_lo, s10
	s_wait_dscnt 0x0
	s_barrier_signal -1
	s_barrier_wait -1
	s_and_saveexec_b32 s10, s4
	s_cbranch_execz .LBB220_28
; %bb.27:                               ;   in Loop: Header=BB220_4 Depth=1
	ds_load_2addr_b32 v[8:9], v16 offset1:32
	s_wait_dscnt 0x0
	v_add_f32_e32 v8, v9, v8
	ds_store_b32 v16, v8
.LBB220_28:                             ;   in Loop: Header=BB220_4 Depth=1
	s_or_b32 exec_lo, exec_lo, s10
	s_wait_dscnt 0x0
	s_barrier_signal -1
	s_barrier_wait -1
	s_and_saveexec_b32 s10, s5
	s_cbranch_execz .LBB220_30
; %bb.29:                               ;   in Loop: Header=BB220_4 Depth=1
	ds_load_2addr_b32 v[8:9], v16 offset1:16
	s_wait_dscnt 0x0
	v_add_f32_e32 v8, v9, v8
	ds_store_b32 v16, v8
.LBB220_30:                             ;   in Loop: Header=BB220_4 Depth=1
	;; [unrolled: 12-line block ×5, first 2 shown]
	s_or_b32 exec_lo, exec_lo, s10
	s_wait_dscnt 0x0
	s_barrier_signal -1
	s_barrier_wait -1
	s_and_saveexec_b32 s10, s0
	s_cbranch_execz .LBB220_38
; %bb.37:                               ;   in Loop: Header=BB220_4 Depth=1
	ds_load_b64 v[8:9], v1
	s_wait_dscnt 0x0
	v_add_f32_e32 v8, v9, v8
	ds_store_b32 v1, v8
.LBB220_38:                             ;   in Loop: Header=BB220_4 Depth=1
	s_or_b32 exec_lo, exec_lo, s10
	s_wait_dscnt 0x0
	s_barrier_signal -1
	s_barrier_wait -1
                                        ; implicit-def: $vgpr12
	s_and_saveexec_b32 s10, s0
	s_cbranch_execz .LBB220_42
; %bb.39:                               ;   in Loop: Header=BB220_4 Depth=1
	ds_load_b32 v8, v1
	s_cmp_eq_f32 s44, 0
	s_wait_dscnt 0x0
	v_mul_f32_e32 v12, v17, v8
	s_cbranch_scc1 .LBB220_41
; %bb.40:                               ;   in Loop: Header=BB220_4 Depth=1
	v_add_nc_u64_e32 v[8:9], s[42:43], v[6:7]
	flat_load_b32 v8, v[8:9]
	s_wait_loadcnt_dscnt 0x0
	v_fmac_f32_e32 v12, s44, v8
.LBB220_41:                             ;   in Loop: Header=BB220_4 Depth=1
	s_or_b32 s9, s9, exec_lo
.LBB220_42:                             ;   in Loop: Header=BB220_4 Depth=1
	s_wait_xcnt 0x0
	s_or_b32 exec_lo, exec_lo, s10
.LBB220_43:                             ;   in Loop: Header=BB220_4 Depth=1
	s_wait_xcnt 0x0
	s_and_saveexec_b32 s10, s9
	s_cbranch_execz .LBB220_2
; %bb.44:                               ;   in Loop: Header=BB220_4 Depth=1
	v_add_nc_u64_e32 v[6:7], s[42:43], v[6:7]
	flat_store_b32 v[6:7], v12
	s_branch .LBB220_2
.LBB220_45:
	s_endpgm
	.section	.rodata,"a",@progbits
	.p2align	6, 0x0
	.amdhsa_kernel _ZL20rocblas_gemvt_kernelILb0ELi256EPKfS1_KPfEviiT2_lPKT1_lilS7_lilS4_lPT3_lili
		.amdhsa_group_segment_fixed_size 1024
		.amdhsa_private_segment_fixed_size 0
		.amdhsa_kernarg_size 140
		.amdhsa_user_sgpr_count 2
		.amdhsa_user_sgpr_dispatch_ptr 0
		.amdhsa_user_sgpr_queue_ptr 0
		.amdhsa_user_sgpr_kernarg_segment_ptr 1
		.amdhsa_user_sgpr_dispatch_id 0
		.amdhsa_user_sgpr_kernarg_preload_length 0
		.amdhsa_user_sgpr_kernarg_preload_offset 0
		.amdhsa_user_sgpr_private_segment_size 0
		.amdhsa_wavefront_size32 1
		.amdhsa_uses_dynamic_stack 0
		.amdhsa_enable_private_segment 0
		.amdhsa_system_sgpr_workgroup_id_x 1
		.amdhsa_system_sgpr_workgroup_id_y 0
		.amdhsa_system_sgpr_workgroup_id_z 1
		.amdhsa_system_sgpr_workgroup_info 0
		.amdhsa_system_vgpr_workitem_id 0
		.amdhsa_next_free_vgpr 21
		.amdhsa_next_free_sgpr 48
		.amdhsa_named_barrier_count 0
		.amdhsa_reserve_vcc 1
		.amdhsa_float_round_mode_32 0
		.amdhsa_float_round_mode_16_64 0
		.amdhsa_float_denorm_mode_32 3
		.amdhsa_float_denorm_mode_16_64 3
		.amdhsa_fp16_overflow 0
		.amdhsa_memory_ordered 1
		.amdhsa_forward_progress 1
		.amdhsa_inst_pref_size 12
		.amdhsa_round_robin_scheduling 0
		.amdhsa_exception_fp_ieee_invalid_op 0
		.amdhsa_exception_fp_denorm_src 0
		.amdhsa_exception_fp_ieee_div_zero 0
		.amdhsa_exception_fp_ieee_overflow 0
		.amdhsa_exception_fp_ieee_underflow 0
		.amdhsa_exception_fp_ieee_inexact 0
		.amdhsa_exception_int_div_zero 0
	.end_amdhsa_kernel
	.section	.text._ZL20rocblas_gemvt_kernelILb0ELi256EPKfS1_KPfEviiT2_lPKT1_lilS7_lilS4_lPT3_lili,"axG",@progbits,_ZL20rocblas_gemvt_kernelILb0ELi256EPKfS1_KPfEviiT2_lPKT1_lilS7_lilS4_lPT3_lili,comdat
.Lfunc_end220:
	.size	_ZL20rocblas_gemvt_kernelILb0ELi256EPKfS1_KPfEviiT2_lPKT1_lilS7_lilS4_lPT3_lili, .Lfunc_end220-_ZL20rocblas_gemvt_kernelILb0ELi256EPKfS1_KPfEviiT2_lPKT1_lilS7_lilS4_lPT3_lili
                                        ; -- End function
	.set _ZL20rocblas_gemvt_kernelILb0ELi256EPKfS1_KPfEviiT2_lPKT1_lilS7_lilS4_lPT3_lili.num_vgpr, 21
	.set _ZL20rocblas_gemvt_kernelILb0ELi256EPKfS1_KPfEviiT2_lPKT1_lilS7_lilS4_lPT3_lili.num_agpr, 0
	.set _ZL20rocblas_gemvt_kernelILb0ELi256EPKfS1_KPfEviiT2_lPKT1_lilS7_lilS4_lPT3_lili.numbered_sgpr, 48
	.set _ZL20rocblas_gemvt_kernelILb0ELi256EPKfS1_KPfEviiT2_lPKT1_lilS7_lilS4_lPT3_lili.num_named_barrier, 0
	.set _ZL20rocblas_gemvt_kernelILb0ELi256EPKfS1_KPfEviiT2_lPKT1_lilS7_lilS4_lPT3_lili.private_seg_size, 0
	.set _ZL20rocblas_gemvt_kernelILb0ELi256EPKfS1_KPfEviiT2_lPKT1_lilS7_lilS4_lPT3_lili.uses_vcc, 1
	.set _ZL20rocblas_gemvt_kernelILb0ELi256EPKfS1_KPfEviiT2_lPKT1_lilS7_lilS4_lPT3_lili.uses_flat_scratch, 0
	.set _ZL20rocblas_gemvt_kernelILb0ELi256EPKfS1_KPfEviiT2_lPKT1_lilS7_lilS4_lPT3_lili.has_dyn_sized_stack, 0
	.set _ZL20rocblas_gemvt_kernelILb0ELi256EPKfS1_KPfEviiT2_lPKT1_lilS7_lilS4_lPT3_lili.has_recursion, 0
	.set _ZL20rocblas_gemvt_kernelILb0ELi256EPKfS1_KPfEviiT2_lPKT1_lilS7_lilS4_lPT3_lili.has_indirect_call, 0
	.section	.AMDGPU.csdata,"",@progbits
; Kernel info:
; codeLenInByte = 1460
; TotalNumSgprs: 50
; NumVgprs: 21
; ScratchSize: 0
; MemoryBound: 0
; FloatMode: 240
; IeeeMode: 1
; LDSByteSize: 1024 bytes/workgroup (compile time only)
; SGPRBlocks: 0
; VGPRBlocks: 1
; NumSGPRsForWavesPerEU: 50
; NumVGPRsForWavesPerEU: 21
; NamedBarCnt: 0
; Occupancy: 16
; WaveLimiterHint : 1
; COMPUTE_PGM_RSRC2:SCRATCH_EN: 0
; COMPUTE_PGM_RSRC2:USER_SGPR: 2
; COMPUTE_PGM_RSRC2:TRAP_HANDLER: 0
; COMPUTE_PGM_RSRC2:TGID_X_EN: 1
; COMPUTE_PGM_RSRC2:TGID_Y_EN: 0
; COMPUTE_PGM_RSRC2:TGID_Z_EN: 1
; COMPUTE_PGM_RSRC2:TIDIG_COMP_CNT: 0
	.section	.text._ZL20rocblas_gemvt_kernelILb0ELi256EPKffKPfEviiT2_lPKT1_lilS7_lilS4_lPT3_lili,"axG",@progbits,_ZL20rocblas_gemvt_kernelILb0ELi256EPKffKPfEviiT2_lPKT1_lilS7_lilS4_lPT3_lili,comdat
	.globl	_ZL20rocblas_gemvt_kernelILb0ELi256EPKffKPfEviiT2_lPKT1_lilS7_lilS4_lPT3_lili ; -- Begin function _ZL20rocblas_gemvt_kernelILb0ELi256EPKffKPfEviiT2_lPKT1_lilS7_lilS4_lPT3_lili
	.p2align	8
	.type	_ZL20rocblas_gemvt_kernelILb0ELi256EPKffKPfEviiT2_lPKT1_lilS7_lilS4_lPT3_lili,@function
_ZL20rocblas_gemvt_kernelILb0ELi256EPKffKPfEviiT2_lPKT1_lilS7_lilS4_lPT3_lili: ; @_ZL20rocblas_gemvt_kernelILb0ELi256EPKffKPfEviiT2_lPKT1_lilS7_lilS4_lPT3_lili
; %bb.0:
	s_load_b32 s9, s[0:1], 0x88
	s_bfe_u32 s2, ttmp6, 0x40014
	s_lshr_b32 s3, ttmp7, 16
	s_add_co_i32 s2, s2, 1
	s_bfe_u32 s5, ttmp6, 0x40008
	s_mul_i32 s2, s3, s2
	s_getreg_b32 s4, hwreg(HW_REG_IB_STS2, 6, 4)
	s_add_co_i32 s5, s5, s2
	s_cmp_eq_u32 s4, 0
	s_mov_b32 s11, 0
	s_cselect_b32 s10, s3, s5
	s_wait_kmcnt 0x0
	s_cmp_ge_u32 s10, s9
	s_cbranch_scc1 .LBB221_47
; %bb.1:
	s_clause 0x7
	s_load_b32 s2, s[0:1], 0x28
	s_load_b32 s28, s[0:1], 0x48
	s_load_b32 s6, s[0:1], 0x78
	s_load_b32 s33, s[0:1], 0x8
	s_load_b32 s34, s[0:1], 0x58
	s_load_b128 s[12:15], s[0:1], 0x18
	s_load_b32 s8, s[0:1], 0x0
	s_load_b128 s[20:23], s[0:1], 0x68
	v_lshlrev_b32_e32 v17, 2, v0
	s_wait_kmcnt 0x0
	s_ashr_i32 s3, s2, 31
	s_ashr_i32 s29, s28, 31
	;; [unrolled: 1-line block ×3, first 2 shown]
	s_cmp_eq_f32 s33, 0
	s_cselect_b32 s35, -1, 0
	s_cmp_neq_f32 s34, 1.0
	s_cselect_b32 s5, -1, 0
	s_cmp_neq_f32 s33, 0
	s_cselect_b32 s16, -1, 0
	s_delay_alu instid0(SALU_CYCLE_1)
	s_or_b32 s36, s16, s5
	s_cmp_neq_f32 s34, 0
	v_cndmask_b32_e64 v16, 0, 1, s16
	s_cselect_b32 s37, -1, 0
	s_bfe_u32 s5, ttmp6, 0x4000c
	s_and_b32 s16, ttmp6, 15
	s_add_co_i32 s5, s5, 1
	s_delay_alu instid0(SALU_CYCLE_1) | instskip(NEXT) | instid1(SALU_CYCLE_1)
	s_mul_i32 s5, ttmp9, s5
	s_add_co_i32 s16, s16, s5
	s_cmp_eq_u32 s4, 0
	s_cselect_b32 s4, ttmp9, s16
	s_load_b128 s[16:19], s[0:1], 0x38
	s_ashr_i32 s5, s8, 31
	v_cmp_gt_i32_e32 vcc_lo, s8, v0
	s_lshr_b32 s5, s5, 24
	s_wait_xcnt 0x0
	v_cmp_eq_u32_e64 s0, 0, v0
	s_add_co_i32 s5, s8, s5
	s_delay_alu instid0(SALU_CYCLE_1) | instskip(NEXT) | instid1(SALU_CYCLE_1)
	s_and_b32 s24, s5, 0xffffff00
	v_dual_mov_b32 v1, 0 :: v_dual_bitop2_b32 v6, s24, v0 bitop3:0x54
	v_cndmask_b32_e32 v8, 0, v0, vcc_lo
	s_ashr_i32 s5, s4, 31
	s_cmp_gt_i32 s8, 0xff
	s_delay_alu instid0(VALU_DEP_2)
	v_mul_u64_e32 v[4:5], s[28:29], v[0:1]
	v_ashrrev_i32_e32 v7, 31, v6
	s_mul_u64 s[30:31], s[6:7], s[4:5]
	s_mul_u64 s[26:27], s[2:3], s[4:5]
	v_cmp_gt_i32_e64 s1, s8, v6
	v_cmp_gt_u32_e64 s2, 0x80, v0
	v_mul_u64_e32 v[2:3], s[28:29], v[6:7]
	v_cmp_gt_u32_e64 s3, 64, v0
	v_cmp_gt_u32_e64 s4, 32, v0
	;; [unrolled: 1-line block ×6, first 2 shown]
	v_lshlrev_b32_e32 v0, 2, v8
	s_cselect_b32 s38, -1, 0
	s_ashr_i32 s25, s24, 31
	s_lshl_b64 s[28:29], s[28:29], 10
	s_lshl_b64 s[14:15], s[14:15], 2
	s_wait_kmcnt 0x0
	s_lshl_b64 s[18:19], s[18:19], 2
	s_lshl_b64 s[22:23], s[22:23], 2
	;; [unrolled: 1-line block ×3, first 2 shown]
	v_lshlrev_b64_e32 v[4:5], 2, v[4:5]
	s_branch .LBB221_4
.LBB221_2:                              ;   in Loop: Header=BB221_4 Depth=1
	s_wait_xcnt 0x0
	s_or_b32 exec_lo, exec_lo, s40
.LBB221_3:                              ;   in Loop: Header=BB221_4 Depth=1
	s_add_co_i32 s10, s10, 0x10000
	s_delay_alu instid0(SALU_CYCLE_1)
	s_cmp_lt_u32 s10, s9
	s_cbranch_scc0 .LBB221_47
.LBB221_4:                              ; =>This Loop Header: Depth=1
                                        ;     Child Loop BB221_21 Depth 2
	s_and_not1_b32 vcc_lo, exec_lo, s36
	s_cbranch_vccnz .LBB221_3
; %bb.5:                                ;   in Loop: Header=BB221_4 Depth=1
	s_and_not1_b32 vcc_lo, exec_lo, s35
	s_cbranch_vccnz .LBB221_7
; %bb.6:                                ;   in Loop: Header=BB221_4 Depth=1
	v_mov_b64_e32 v[8:9], 0
	v_mov_b64_e32 v[10:11], 0
	s_cbranch_execz .LBB221_8
	s_branch .LBB221_9
.LBB221_7:                              ;   in Loop: Header=BB221_4 Depth=1
	v_mov_b64_e32 v[8:9], 0
	v_mov_b64_e32 v[10:11], 0
.LBB221_8:                              ;   in Loop: Header=BB221_4 Depth=1
	s_lshl_b64 s[40:41], s[10:11], 3
	s_delay_alu instid0(SALU_CYCLE_1)
	s_add_nc_u64 s[40:41], s[12:13], s[40:41]
	global_load_b64 v[6:7], v1, s[40:41]
	s_wait_loadcnt 0x0
	v_add_nc_u64_e32 v[10:11], s[14:15], v[6:7]
.LBB221_9:                              ;   in Loop: Header=BB221_4 Depth=1
	v_cmp_ne_u32_e32 vcc_lo, 1, v16
	s_cbranch_vccnz .LBB221_11
; %bb.10:                               ;   in Loop: Header=BB221_4 Depth=1
	s_wait_xcnt 0x0
	s_lshl_b64 s[40:41], s[10:11], 3
	s_delay_alu instid0(SALU_CYCLE_1)
	s_add_nc_u64 s[40:41], s[16:17], s[40:41]
	global_load_b64 v[6:7], v1, s[40:41]
	s_wait_loadcnt 0x0
	v_add_nc_u64_e32 v[8:9], s[18:19], v[6:7]
.LBB221_11:                             ;   in Loop: Header=BB221_4 Depth=1
	s_wait_xcnt 0x0
	s_lshl_b64 s[40:41], s[10:11], 3
	s_and_not1_b32 vcc_lo, exec_lo, s35
	s_add_nc_u64 s[40:41], s[20:21], s[40:41]
	global_load_b64 v[6:7], v1, s[40:41]
	s_wait_loadcnt 0x0
	v_add_nc_u64_e32 v[6:7], s[22:23], v[6:7]
	s_cbranch_vccnz .LBB221_15
; %bb.12:                               ;   in Loop: Header=BB221_4 Depth=1
	s_wait_xcnt 0x0
	s_mov_b32 s40, 0
	s_mov_b32 s39, 0
                                        ; implicit-def: $vgpr12
	s_and_saveexec_b32 s41, s0
	s_cbranch_execz .LBB221_16
; %bb.13:                               ;   in Loop: Header=BB221_4 Depth=1
	s_and_not1_b32 vcc_lo, exec_lo, s37
	s_cbranch_vccnz .LBB221_17
; %bb.14:                               ;   in Loop: Header=BB221_4 Depth=1
	v_add_nc_u64_e32 v[12:13], s[30:31], v[6:7]
	flat_load_b32 v12, v[12:13]
	s_wait_loadcnt_dscnt 0x0
	s_wait_xcnt 0x0
	v_mul_f32_e32 v12, s34, v12
	s_branch .LBB221_18
.LBB221_15:                             ;   in Loop: Header=BB221_4 Depth=1
	s_wait_xcnt 0x0
	s_mov_b32 s39, 0
                                        ; implicit-def: $vgpr12
	s_cbranch_execnz .LBB221_19
	s_branch .LBB221_45
.LBB221_16:                             ;   in Loop: Header=BB221_4 Depth=1
	s_or_b32 exec_lo, exec_lo, s41
	s_delay_alu instid0(SALU_CYCLE_1)
	s_and_b32 vcc_lo, exec_lo, s40
	s_cbranch_vccnz .LBB221_19
	s_branch .LBB221_45
.LBB221_17:                             ;   in Loop: Header=BB221_4 Depth=1
	v_mov_b32_e32 v12, 0
.LBB221_18:                             ;   in Loop: Header=BB221_4 Depth=1
	s_mov_b32 s39, exec_lo
	s_or_b32 exec_lo, exec_lo, s41
	s_delay_alu instid0(SALU_CYCLE_1)
	s_and_b32 vcc_lo, exec_lo, s40
	s_cbranch_vccz .LBB221_45
.LBB221_19:                             ;   in Loop: Header=BB221_4 Depth=1
	v_add_nc_u64_e32 v[10:11], v[10:11], v[0:1]
	v_mov_b32_e32 v18, 0
	s_and_not1_b32 vcc_lo, exec_lo, s38
	s_delay_alu instid0(VALU_DEP_2)
	v_lshl_add_u64 v[10:11], s[26:27], 2, v[10:11]
	s_cbranch_vccnz .LBB221_22
; %bb.20:                               ;   in Loop: Header=BB221_4 Depth=1
	v_add_nc_u64_e32 v[12:13], v[8:9], v[4:5]
	s_delay_alu instid0(VALU_DEP_2)
	v_mov_b64_e32 v[14:15], v[10:11]
	v_mov_b32_e32 v18, 0
	s_mov_b32 s40, 0
.LBB221_21:                             ;   Parent Loop BB221_4 Depth=1
                                        ; =>  This Inner Loop Header: Depth=2
	flat_load_b32 v19, v[14:15]
	flat_load_b32 v20, v[12:13]
	s_wait_xcnt 0x0
	v_add_nc_u64_e32 v[12:13], s[28:29], v[12:13]
	v_add_nc_u64_e32 v[14:15], 0x400, v[14:15]
	s_addk_co_i32 s40, 0x100
	s_delay_alu instid0(SALU_CYCLE_1)
	s_cmp_ge_i32 s40, s24
	s_wait_loadcnt_dscnt 0x0
	v_fmac_f32_e32 v18, v19, v20
	s_cbranch_scc0 .LBB221_21
.LBB221_22:                             ;   in Loop: Header=BB221_4 Depth=1
	s_and_saveexec_b32 s40, s1
	s_cbranch_execz .LBB221_24
; %bb.23:                               ;   in Loop: Header=BB221_4 Depth=1
	s_delay_alu instid0(VALU_DEP_1)
	v_lshl_add_u64 v[10:11], s[24:25], 2, v[10:11]
	v_lshl_add_u64 v[8:9], v[2:3], 2, v[8:9]
	flat_load_b32 v12, v[10:11]
	flat_load_b32 v13, v[8:9]
	s_wait_loadcnt_dscnt 0x0
	v_fmac_f32_e32 v18, v12, v13
.LBB221_24:                             ;   in Loop: Header=BB221_4 Depth=1
	s_wait_xcnt 0x0
	s_or_b32 exec_lo, exec_lo, s40
	ds_store_b32 v17, v18
	s_wait_dscnt 0x0
	s_barrier_signal -1
	s_barrier_wait -1
	s_and_saveexec_b32 s40, s2
	s_cbranch_execz .LBB221_26
; %bb.25:                               ;   in Loop: Header=BB221_4 Depth=1
	ds_load_2addr_stride64_b32 v[8:9], v17 offset1:2
	s_wait_dscnt 0x0
	v_add_f32_e32 v8, v9, v8
	ds_store_b32 v17, v8
.LBB221_26:                             ;   in Loop: Header=BB221_4 Depth=1
	s_or_b32 exec_lo, exec_lo, s40
	s_wait_dscnt 0x0
	s_barrier_signal -1
	s_barrier_wait -1
	s_and_saveexec_b32 s40, s3
	s_cbranch_execz .LBB221_28
; %bb.27:                               ;   in Loop: Header=BB221_4 Depth=1
	ds_load_2addr_stride64_b32 v[8:9], v17 offset1:1
	s_wait_dscnt 0x0
	v_add_f32_e32 v8, v9, v8
	ds_store_b32 v17, v8
.LBB221_28:                             ;   in Loop: Header=BB221_4 Depth=1
	s_or_b32 exec_lo, exec_lo, s40
	s_wait_dscnt 0x0
	s_barrier_signal -1
	s_barrier_wait -1
	s_and_saveexec_b32 s40, s4
	s_cbranch_execz .LBB221_30
; %bb.29:                               ;   in Loop: Header=BB221_4 Depth=1
	ds_load_2addr_b32 v[8:9], v17 offset1:32
	s_wait_dscnt 0x0
	v_add_f32_e32 v8, v9, v8
	ds_store_b32 v17, v8
.LBB221_30:                             ;   in Loop: Header=BB221_4 Depth=1
	s_or_b32 exec_lo, exec_lo, s40
	s_wait_dscnt 0x0
	s_barrier_signal -1
	s_barrier_wait -1
	s_and_saveexec_b32 s40, s5
	s_cbranch_execz .LBB221_32
; %bb.31:                               ;   in Loop: Header=BB221_4 Depth=1
	ds_load_2addr_b32 v[8:9], v17 offset1:16
	s_wait_dscnt 0x0
	v_add_f32_e32 v8, v9, v8
	ds_store_b32 v17, v8
.LBB221_32:                             ;   in Loop: Header=BB221_4 Depth=1
	;; [unrolled: 12-line block ×5, first 2 shown]
	s_or_b32 exec_lo, exec_lo, s40
	s_wait_dscnt 0x0
	s_barrier_signal -1
	s_barrier_wait -1
	s_and_saveexec_b32 s40, s0
	s_cbranch_execz .LBB221_40
; %bb.39:                               ;   in Loop: Header=BB221_4 Depth=1
	ds_load_b64 v[8:9], v1
	s_wait_dscnt 0x0
	v_add_f32_e32 v8, v9, v8
	ds_store_b32 v1, v8
.LBB221_40:                             ;   in Loop: Header=BB221_4 Depth=1
	s_or_b32 exec_lo, exec_lo, s40
	s_wait_dscnt 0x0
	s_barrier_signal -1
	s_barrier_wait -1
                                        ; implicit-def: $vgpr12
	s_and_saveexec_b32 s40, s0
	s_cbranch_execz .LBB221_44
; %bb.41:                               ;   in Loop: Header=BB221_4 Depth=1
	ds_load_b32 v8, v1
	s_and_not1_b32 vcc_lo, exec_lo, s37
	s_wait_dscnt 0x0
	v_mul_f32_e32 v12, s33, v8
	s_cbranch_vccnz .LBB221_43
; %bb.42:                               ;   in Loop: Header=BB221_4 Depth=1
	v_add_nc_u64_e32 v[8:9], s[30:31], v[6:7]
	flat_load_b32 v8, v[8:9]
	s_wait_loadcnt_dscnt 0x0
	v_fmac_f32_e32 v12, s34, v8
.LBB221_43:                             ;   in Loop: Header=BB221_4 Depth=1
	s_or_b32 s39, s39, exec_lo
.LBB221_44:                             ;   in Loop: Header=BB221_4 Depth=1
	s_wait_xcnt 0x0
	s_or_b32 exec_lo, exec_lo, s40
.LBB221_45:                             ;   in Loop: Header=BB221_4 Depth=1
	s_and_saveexec_b32 s40, s39
	s_cbranch_execz .LBB221_2
; %bb.46:                               ;   in Loop: Header=BB221_4 Depth=1
	v_add_nc_u64_e32 v[6:7], s[30:31], v[6:7]
	flat_store_b32 v[6:7], v12
	s_branch .LBB221_2
.LBB221_47:
	s_endpgm
	.section	.rodata,"a",@progbits
	.p2align	6, 0x0
	.amdhsa_kernel _ZL20rocblas_gemvt_kernelILb0ELi256EPKffKPfEviiT2_lPKT1_lilS7_lilS4_lPT3_lili
		.amdhsa_group_segment_fixed_size 1024
		.amdhsa_private_segment_fixed_size 0
		.amdhsa_kernarg_size 140
		.amdhsa_user_sgpr_count 2
		.amdhsa_user_sgpr_dispatch_ptr 0
		.amdhsa_user_sgpr_queue_ptr 0
		.amdhsa_user_sgpr_kernarg_segment_ptr 1
		.amdhsa_user_sgpr_dispatch_id 0
		.amdhsa_user_sgpr_kernarg_preload_length 0
		.amdhsa_user_sgpr_kernarg_preload_offset 0
		.amdhsa_user_sgpr_private_segment_size 0
		.amdhsa_wavefront_size32 1
		.amdhsa_uses_dynamic_stack 0
		.amdhsa_enable_private_segment 0
		.amdhsa_system_sgpr_workgroup_id_x 1
		.amdhsa_system_sgpr_workgroup_id_y 0
		.amdhsa_system_sgpr_workgroup_id_z 1
		.amdhsa_system_sgpr_workgroup_info 0
		.amdhsa_system_vgpr_workitem_id 0
		.amdhsa_next_free_vgpr 21
		.amdhsa_next_free_sgpr 42
		.amdhsa_named_barrier_count 0
		.amdhsa_reserve_vcc 1
		.amdhsa_float_round_mode_32 0
		.amdhsa_float_round_mode_16_64 0
		.amdhsa_float_denorm_mode_32 3
		.amdhsa_float_denorm_mode_16_64 3
		.amdhsa_fp16_overflow 0
		.amdhsa_memory_ordered 1
		.amdhsa_forward_progress 1
		.amdhsa_inst_pref_size 12
		.amdhsa_round_robin_scheduling 0
		.amdhsa_exception_fp_ieee_invalid_op 0
		.amdhsa_exception_fp_denorm_src 0
		.amdhsa_exception_fp_ieee_div_zero 0
		.amdhsa_exception_fp_ieee_overflow 0
		.amdhsa_exception_fp_ieee_underflow 0
		.amdhsa_exception_fp_ieee_inexact 0
		.amdhsa_exception_int_div_zero 0
	.end_amdhsa_kernel
	.section	.text._ZL20rocblas_gemvt_kernelILb0ELi256EPKffKPfEviiT2_lPKT1_lilS7_lilS4_lPT3_lili,"axG",@progbits,_ZL20rocblas_gemvt_kernelILb0ELi256EPKffKPfEviiT2_lPKT1_lilS7_lilS4_lPT3_lili,comdat
.Lfunc_end221:
	.size	_ZL20rocblas_gemvt_kernelILb0ELi256EPKffKPfEviiT2_lPKT1_lilS7_lilS4_lPT3_lili, .Lfunc_end221-_ZL20rocblas_gemvt_kernelILb0ELi256EPKffKPfEviiT2_lPKT1_lilS7_lilS4_lPT3_lili
                                        ; -- End function
	.set _ZL20rocblas_gemvt_kernelILb0ELi256EPKffKPfEviiT2_lPKT1_lilS7_lilS4_lPT3_lili.num_vgpr, 21
	.set _ZL20rocblas_gemvt_kernelILb0ELi256EPKffKPfEviiT2_lPKT1_lilS7_lilS4_lPT3_lili.num_agpr, 0
	.set _ZL20rocblas_gemvt_kernelILb0ELi256EPKffKPfEviiT2_lPKT1_lilS7_lilS4_lPT3_lili.numbered_sgpr, 42
	.set _ZL20rocblas_gemvt_kernelILb0ELi256EPKffKPfEviiT2_lPKT1_lilS7_lilS4_lPT3_lili.num_named_barrier, 0
	.set _ZL20rocblas_gemvt_kernelILb0ELi256EPKffKPfEviiT2_lPKT1_lilS7_lilS4_lPT3_lili.private_seg_size, 0
	.set _ZL20rocblas_gemvt_kernelILb0ELi256EPKffKPfEviiT2_lPKT1_lilS7_lilS4_lPT3_lili.uses_vcc, 1
	.set _ZL20rocblas_gemvt_kernelILb0ELi256EPKffKPfEviiT2_lPKT1_lilS7_lilS4_lPT3_lili.uses_flat_scratch, 0
	.set _ZL20rocblas_gemvt_kernelILb0ELi256EPKffKPfEviiT2_lPKT1_lilS7_lilS4_lPT3_lili.has_dyn_sized_stack, 0
	.set _ZL20rocblas_gemvt_kernelILb0ELi256EPKffKPfEviiT2_lPKT1_lilS7_lilS4_lPT3_lili.has_recursion, 0
	.set _ZL20rocblas_gemvt_kernelILb0ELi256EPKffKPfEviiT2_lPKT1_lilS7_lilS4_lPT3_lili.has_indirect_call, 0
	.section	.AMDGPU.csdata,"",@progbits
; Kernel info:
; codeLenInByte = 1440
; TotalNumSgprs: 44
; NumVgprs: 21
; ScratchSize: 0
; MemoryBound: 0
; FloatMode: 240
; IeeeMode: 1
; LDSByteSize: 1024 bytes/workgroup (compile time only)
; SGPRBlocks: 0
; VGPRBlocks: 1
; NumSGPRsForWavesPerEU: 44
; NumVGPRsForWavesPerEU: 21
; NamedBarCnt: 0
; Occupancy: 16
; WaveLimiterHint : 1
; COMPUTE_PGM_RSRC2:SCRATCH_EN: 0
; COMPUTE_PGM_RSRC2:USER_SGPR: 2
; COMPUTE_PGM_RSRC2:TRAP_HANDLER: 0
; COMPUTE_PGM_RSRC2:TGID_X_EN: 1
; COMPUTE_PGM_RSRC2:TGID_Y_EN: 0
; COMPUTE_PGM_RSRC2:TGID_Z_EN: 1
; COMPUTE_PGM_RSRC2:TIDIG_COMP_CNT: 0
	.section	.text._ZL32rocblas_gemvt_warp_reduce_kernelILb0ELi1024EiPKfS1_KPfEviiT3_lPKT2_lT1_lS7_lS8_lS4_lPT4_lS8_li,"axG",@progbits,_ZL32rocblas_gemvt_warp_reduce_kernelILb0ELi1024EiPKfS1_KPfEviiT3_lPKT2_lT1_lS7_lS8_lS4_lPT4_lS8_li,comdat
	.globl	_ZL32rocblas_gemvt_warp_reduce_kernelILb0ELi1024EiPKfS1_KPfEviiT3_lPKT2_lT1_lS7_lS8_lS4_lPT4_lS8_li ; -- Begin function _ZL32rocblas_gemvt_warp_reduce_kernelILb0ELi1024EiPKfS1_KPfEviiT3_lPKT2_lT1_lS7_lS8_lS4_lPT4_lS8_li
	.p2align	8
	.type	_ZL32rocblas_gemvt_warp_reduce_kernelILb0ELi1024EiPKfS1_KPfEviiT3_lPKT2_lT1_lS7_lS8_lS4_lPT4_lS8_li,@function
_ZL32rocblas_gemvt_warp_reduce_kernelILb0ELi1024EiPKfS1_KPfEviiT3_lPKT2_lT1_lS7_lS8_lS4_lPT4_lS8_li: ; @_ZL32rocblas_gemvt_warp_reduce_kernelILb0ELi1024EiPKfS1_KPfEviiT3_lPKT2_lT1_lS7_lS8_lS4_lPT4_lS8_li
; %bb.0:
	s_load_b32 s7, s[0:1], 0x88
	s_bfe_u32 s2, ttmp6, 0x40014
	s_lshr_b32 s3, ttmp7, 16
	s_add_co_i32 s2, s2, 1
	s_bfe_u32 s5, ttmp6, 0x40008
	s_mul_i32 s4, s3, s2
	s_getreg_b32 s2, hwreg(HW_REG_IB_STS2, 6, 4)
	s_add_co_i32 s5, s5, s4
	s_cmp_eq_u32 s2, 0
	s_mov_b32 s29, 0
	s_cselect_b32 s28, s3, s5
	s_wait_kmcnt 0x0
	s_cmp_ge_u32 s28, s7
	s_cbranch_scc1 .LBB222_38
; %bb.1:
	s_clause 0x6
	s_load_b32 s4, s[0:1], 0x0
	s_load_b256 s[8:15], s[0:1], 0x8
	s_load_b32 s3, s[0:1], 0x28
	s_load_b128 s[24:27], s[0:1], 0x38
	s_load_b32 s5, s[0:1], 0x48
	s_load_b256 s[16:23], s[0:1], 0x58
	s_load_b32 s6, s[0:1], 0x78
	s_wait_xcnt 0x0
	s_bfe_u32 s1, ttmp6, 0x4000c
	s_and_b32 s30, ttmp6, 15
	s_add_co_i32 s1, s1, 1
	v_dual_mov_b32 v3, 0 :: v_dual_bitop2_b32 v2, 31, v0 bitop3:0x40
	s_mul_i32 s1, ttmp9, s1
	v_lshrrev_b32_e32 v4, 3, v0
	s_add_co_i32 s30, s30, s1
	s_cmp_eq_u32 s2, 0
	v_lshlrev_b32_e32 v14, 2, v2
	s_cselect_b32 s31, ttmp9, s30
	v_and_b32_e32 v15, 0x7c, v4
	v_mbcnt_lo_u32_b32 v1, -1, 0
	s_wait_kmcnt 0x0
	s_ashr_i32 s2, s4, 31
	v_cmp_gt_i32_e32 vcc_lo, s4, v0
	s_lshr_b32 s2, s2, 22
	v_cmp_eq_u32_e64 s0, 0, v0
	s_add_co_i32 s2, s4, s2
	v_mul_lo_u32 v16, v0, s5
	s_and_b32 s30, s2, 0xfffffc00
	v_cmp_eq_u32_e64 s2, 0, v2
	v_dual_cndmask_b32 v2, 0, v0, vcc_lo :: v_dual_bitop2_b32 v5, s30, v0 bitop3:0x54
	s_mul_i32 s36, s6, s31
	v_cmp_gt_u32_e64 s1, 32, v0
	s_mul_i32 s34, s3, s31
	v_mul_lo_u32 v4, s5, v5
	v_lshlrev_b32_e32 v2, 2, v2
	v_cmp_gt_i32_e64 s3, s30, v0
	v_cmp_gt_i32_e64 s4, s4, v5
	v_lshl_or_b32 v17, v1, 2, 64
	s_ashr_i32 s37, s36, 31
	s_lshl_b32 s33, s5, 10
	s_lshl_b64 s[14:15], s[14:15], 2
	s_ashr_i32 s35, s34, 31
	s_ashr_i32 s31, s30, 31
	s_lshl_b64 s[26:27], s[26:27], 2
	v_ashrrev_i32_e32 v5, 31, v4
	s_lshl_b64 s[22:23], s[22:23], 2
	s_lshl_b64 s[36:37], s[36:37], 2
	s_branch .LBB222_4
.LBB222_2:                              ;   in Loop: Header=BB222_4 Depth=1
	s_wait_xcnt 0x0
	s_or_b32 exec_lo, exec_lo, s6
.LBB222_3:                              ;   in Loop: Header=BB222_4 Depth=1
	s_add_co_i32 s28, s28, 0x10000
	s_delay_alu instid0(SALU_CYCLE_1)
	s_cmp_lt_u32 s28, s7
	s_cbranch_scc0 .LBB222_38
.LBB222_4:                              ; =>This Loop Header: Depth=1
                                        ;     Child Loop BB222_27 Depth 2
	s_mul_u64 s[38:39], s[10:11], s[28:29]
	s_wait_xcnt 0x0
	s_mul_u64 s[40:41], s[18:19], s[28:29]
	s_lshl_b64 s[38:39], s[38:39], 2
	s_lshl_b64 s[40:41], s[40:41], 2
	s_add_nc_u64 s[38:39], s[8:9], s[38:39]
	s_add_nc_u64 s[40:41], s[16:17], s[40:41]
	s_clause 0x1
	global_load_b32 v18, v3, s[38:39]
	global_load_b32 v6, v3, s[40:41]
	s_wait_loadcnt 0x1
	v_cmp_eq_f32_e64 s5, 0, v18
	s_wait_loadcnt 0x0
	v_cmp_eq_f32_e32 vcc_lo, 1.0, v6
	s_wait_xcnt 0x1
	v_readfirstlane_b32 s38, v6
	s_and_b32 s6, s5, vcc_lo
	s_delay_alu instid0(SALU_CYCLE_1)
	s_and_b32 vcc_lo, exec_lo, s6
	s_cbranch_vccnz .LBB222_3
; %bb.5:                                ;   in Loop: Header=BB222_4 Depth=1
	v_mov_b64_e32 v[8:9], 0
	v_mov_b64_e32 v[10:11], 0
	v_cmp_neq_f32_e64 s6, 0, v18
	s_and_b32 vcc_lo, exec_lo, s5
	s_cbranch_vccnz .LBB222_7
; %bb.6:                                ;   in Loop: Header=BB222_4 Depth=1
	s_wait_xcnt 0x0
	s_lshl_b64 s[40:41], s[28:29], 3
	s_delay_alu instid0(SALU_CYCLE_1)
	s_add_nc_u64 s[40:41], s[12:13], s[40:41]
	global_load_b64 v[6:7], v3, s[40:41]
	s_wait_loadcnt 0x0
	v_add_nc_u64_e32 v[10:11], s[14:15], v[6:7]
.LBB222_7:                              ;   in Loop: Header=BB222_4 Depth=1
	s_and_not1_b32 vcc_lo, exec_lo, s6
	s_cbranch_vccnz .LBB222_9
; %bb.8:                                ;   in Loop: Header=BB222_4 Depth=1
	s_wait_xcnt 0x0
	s_lshl_b64 s[40:41], s[28:29], 3
	s_delay_alu instid0(SALU_CYCLE_1)
	s_add_nc_u64 s[40:41], s[24:25], s[40:41]
	global_load_b64 v[6:7], v3, s[40:41]
	s_wait_loadcnt 0x0
	v_add_nc_u64_e32 v[8:9], s[26:27], v[6:7]
.LBB222_9:                              ;   in Loop: Header=BB222_4 Depth=1
	s_wait_xcnt 0x0
	s_lshl_b64 s[40:41], s[28:29], 3
	s_and_not1_b32 vcc_lo, exec_lo, s5
	s_add_nc_u64 s[40:41], s[20:21], s[40:41]
	global_load_b64 v[6:7], v3, s[40:41]
	s_wait_loadcnt 0x0
	v_add_nc_u64_e32 v[6:7], s[22:23], v[6:7]
	s_cbranch_vccnz .LBB222_13
; %bb.10:                               ;   in Loop: Header=BB222_4 Depth=1
	s_mov_b32 s6, 0
	s_mov_b32 s5, 0
                                        ; implicit-def: $vgpr12
	s_wait_xcnt 0x0
	s_and_saveexec_b32 s39, s0
	s_cbranch_execz .LBB222_14
; %bb.11:                               ;   in Loop: Header=BB222_4 Depth=1
	s_cmp_eq_f32 s38, 0
	s_cbranch_scc1 .LBB222_15
; %bb.12:                               ;   in Loop: Header=BB222_4 Depth=1
	s_wait_dscnt 0x0
	v_add_nc_u64_e32 v[12:13], s[36:37], v[6:7]
	flat_load_b32 v12, v[12:13]
	s_wait_loadcnt_dscnt 0x0
	s_wait_xcnt 0x0
	v_mul_f32_e32 v12, s38, v12
	s_branch .LBB222_16
.LBB222_13:                             ;   in Loop: Header=BB222_4 Depth=1
	s_mov_b32 s5, 0
                                        ; implicit-def: $vgpr12
	s_cbranch_execnz .LBB222_17
	s_branch .LBB222_36
.LBB222_14:                             ;   in Loop: Header=BB222_4 Depth=1
	s_or_b32 exec_lo, exec_lo, s39
	s_delay_alu instid0(SALU_CYCLE_1)
	s_and_b32 vcc_lo, exec_lo, s6
	s_cbranch_vccnz .LBB222_17
	s_branch .LBB222_36
.LBB222_15:                             ;   in Loop: Header=BB222_4 Depth=1
	v_mov_b32_e32 v12, 0
.LBB222_16:                             ;   in Loop: Header=BB222_4 Depth=1
	s_mov_b32 s5, exec_lo
	s_or_b32 exec_lo, exec_lo, s39
	s_delay_alu instid0(SALU_CYCLE_1)
	s_and_b32 vcc_lo, exec_lo, s6
	s_cbranch_vccz .LBB222_36
.LBB222_17:                             ;   in Loop: Header=BB222_4 Depth=1
	v_add_nc_u64_e32 v[10:11], v[10:11], v[2:3]
	v_mov_b32_e32 v19, 0
	s_delay_alu instid0(VALU_DEP_2)
	v_lshl_add_u64 v[10:11], s[34:35], 2, v[10:11]
	s_wait_xcnt 0x0
	s_and_saveexec_b32 s6, s3
	s_cbranch_execnz .LBB222_26
; %bb.18:                               ;   in Loop: Header=BB222_4 Depth=1
	s_or_b32 exec_lo, exec_lo, s6
	s_and_saveexec_b32 s6, s4
	s_cbranch_execnz .LBB222_29
.LBB222_19:                             ;   in Loop: Header=BB222_4 Depth=1
	s_or_b32 exec_lo, exec_lo, s6
	s_and_saveexec_b32 s6, s1
.LBB222_20:                             ;   in Loop: Header=BB222_4 Depth=1
	ds_store_b32 v14, v3
.LBB222_21:                             ;   in Loop: Header=BB222_4 Depth=1
	s_or_b32 exec_lo, exec_lo, s6
	ds_bpermute_b32 v9, v17, v19
	v_cmp_gt_u32_e32 vcc_lo, 24, v1
	s_wait_dscnt 0x0
	s_barrier_signal -1
	s_barrier_wait -1
	v_cndmask_b32_e64 v8, 0, 8, vcc_lo
	v_cmp_gt_u32_e32 vcc_lo, 28, v1
	s_delay_alu instid0(VALU_DEP_2)
	v_add_lshl_u32 v8, v8, v1, 2
	v_add_f32_e32 v10, v19, v9
	v_cndmask_b32_e64 v9, 0, 4, vcc_lo
	v_cmp_gt_u32_e32 vcc_lo, 30, v1
	ds_bpermute_b32 v11, v8, v10
	v_add_lshl_u32 v9, v9, v1, 2
	s_wait_dscnt 0x0
	v_add_f32_e32 v11, v10, v11
	v_cndmask_b32_e64 v10, 0, 2, vcc_lo
	v_cmp_ne_u32_e32 vcc_lo, 31, v1
	ds_bpermute_b32 v12, v9, v11
	v_add_lshl_u32 v10, v10, v1, 2
	v_add_co_ci_u32_e64 v13, null, 0, v1, vcc_lo
	s_wait_dscnt 0x0
	v_add_f32_e32 v11, v11, v12
	ds_bpermute_b32 v12, v10, v11
	s_wait_dscnt 0x0
	v_dual_add_f32 v12, v11, v12 :: v_dual_lshlrev_b32 v11, 2, v13
	ds_bpermute_b32 v13, v11, v12
	s_and_saveexec_b32 s6, s2
	s_cbranch_execz .LBB222_23
; %bb.22:                               ;   in Loop: Header=BB222_4 Depth=1
	s_wait_dscnt 0x0
	v_add_f32_e32 v12, v12, v13
	ds_store_b32 v15, v12
.LBB222_23:                             ;   in Loop: Header=BB222_4 Depth=1
	s_or_b32 exec_lo, exec_lo, s6
	s_wait_dscnt 0x0
	v_mov_b32_e32 v13, 0
	s_barrier_signal -1
	s_barrier_wait -1
	s_and_saveexec_b32 s6, s1
	s_cbranch_execnz .LBB222_30
; %bb.24:                               ;   in Loop: Header=BB222_4 Depth=1
	s_or_b32 exec_lo, exec_lo, s6
	s_and_saveexec_b32 s6, s1
	s_cbranch_execnz .LBB222_31
.LBB222_25:                             ;   in Loop: Header=BB222_4 Depth=1
	s_or_b32 exec_lo, exec_lo, s6
                                        ; implicit-def: $vgpr12
	s_and_saveexec_b32 s6, s0
	s_cbranch_execnz .LBB222_32
	s_branch .LBB222_35
.LBB222_26:                             ;   in Loop: Header=BB222_4 Depth=1
	s_wait_dscnt 0x0
	v_mov_b64_e32 v[12:13], v[10:11]
	v_dual_mov_b32 v19, 0 :: v_dual_mov_b32 v20, v0
	v_mov_b32_e32 v21, v16
	s_mov_b32 s39, 0
.LBB222_27:                             ;   Parent Loop BB222_4 Depth=1
                                        ; =>  This Inner Loop Header: Depth=2
	v_readfirstlane_b32 s40, v8
	v_readfirstlane_b32 s41, v9
	flat_load_b32 v22, v[12:13]
	flat_load_b32 v23, v21, s[40:41] scale_offset
	v_add_nc_u32_e32 v20, 0x400, v20
	s_wait_xcnt 0x1
	v_add_nc_u64_e32 v[12:13], 0x1000, v[12:13]
	s_wait_loadcnt_dscnt 0x0
	s_wait_xcnt 0x0
	v_dual_add_nc_u32 v21, s33, v21 :: v_dual_fmac_f32 v19, v22, v23
	v_cmp_le_i32_e32 vcc_lo, s30, v20
	s_or_b32 s39, vcc_lo, s39
	s_delay_alu instid0(SALU_CYCLE_1)
	s_and_not1_b32 exec_lo, exec_lo, s39
	s_cbranch_execnz .LBB222_27
; %bb.28:                               ;   in Loop: Header=BB222_4 Depth=1
	s_or_b32 exec_lo, exec_lo, s39
	s_delay_alu instid0(SALU_CYCLE_1)
	s_or_b32 exec_lo, exec_lo, s6
	s_and_saveexec_b32 s6, s4
	s_cbranch_execz .LBB222_19
.LBB222_29:                             ;   in Loop: Header=BB222_4 Depth=1
	v_lshl_add_u64 v[10:11], s[30:31], 2, v[10:11]
	v_lshl_add_u64 v[8:9], v[4:5], 2, v[8:9]
	flat_load_b32 v12, v[10:11]
	s_wait_dscnt 0x1
	flat_load_b32 v13, v[8:9]
	s_wait_loadcnt_dscnt 0x0
	v_fmac_f32_e32 v19, v12, v13
	s_wait_xcnt 0x0
	s_or_b32 exec_lo, exec_lo, s6
	s_and_saveexec_b32 s6, s1
	s_cbranch_execnz .LBB222_20
	s_branch .LBB222_21
.LBB222_30:                             ;   in Loop: Header=BB222_4 Depth=1
	ds_load_b32 v13, v14
	s_or_b32 exec_lo, exec_lo, s6
	s_and_saveexec_b32 s6, s1
	s_cbranch_execz .LBB222_25
.LBB222_31:                             ;   in Loop: Header=BB222_4 Depth=1
	s_wait_dscnt 0x0
	ds_bpermute_b32 v12, v17, v13
	s_wait_dscnt 0x0
	v_add_f32_e32 v12, v13, v12
	ds_bpermute_b32 v8, v8, v12
	s_wait_dscnt 0x0
	v_add_f32_e32 v8, v12, v8
	;; [unrolled: 3-line block ×5, first 2 shown]
	s_or_b32 exec_lo, exec_lo, s6
                                        ; implicit-def: $vgpr12
	s_and_saveexec_b32 s6, s0
	s_cbranch_execz .LBB222_35
.LBB222_32:                             ;   in Loop: Header=BB222_4 Depth=1
	s_wait_dscnt 0x0
	v_mul_f32_e32 v12, v18, v13
	s_cmp_eq_f32 s38, 0
	s_cbranch_scc1 .LBB222_34
; %bb.33:                               ;   in Loop: Header=BB222_4 Depth=1
	v_add_nc_u64_e32 v[8:9], s[36:37], v[6:7]
	flat_load_b32 v8, v[8:9]
	s_wait_loadcnt_dscnt 0x0
	v_fmac_f32_e32 v12, s38, v8
.LBB222_34:                             ;   in Loop: Header=BB222_4 Depth=1
	s_or_b32 s5, s5, exec_lo
.LBB222_35:                             ;   in Loop: Header=BB222_4 Depth=1
	s_wait_xcnt 0x0
	s_or_b32 exec_lo, exec_lo, s6
.LBB222_36:                             ;   in Loop: Header=BB222_4 Depth=1
	s_wait_xcnt 0x0
	s_and_saveexec_b32 s6, s5
	s_cbranch_execz .LBB222_2
; %bb.37:                               ;   in Loop: Header=BB222_4 Depth=1
	v_add_nc_u64_e32 v[6:7], s[36:37], v[6:7]
	flat_store_b32 v[6:7], v12
	s_branch .LBB222_2
.LBB222_38:
	s_endpgm
	.section	.rodata,"a",@progbits
	.p2align	6, 0x0
	.amdhsa_kernel _ZL32rocblas_gemvt_warp_reduce_kernelILb0ELi1024EiPKfS1_KPfEviiT3_lPKT2_lT1_lS7_lS8_lS4_lPT4_lS8_li
		.amdhsa_group_segment_fixed_size 128
		.amdhsa_private_segment_fixed_size 0
		.amdhsa_kernarg_size 140
		.amdhsa_user_sgpr_count 2
		.amdhsa_user_sgpr_dispatch_ptr 0
		.amdhsa_user_sgpr_queue_ptr 0
		.amdhsa_user_sgpr_kernarg_segment_ptr 1
		.amdhsa_user_sgpr_dispatch_id 0
		.amdhsa_user_sgpr_kernarg_preload_length 0
		.amdhsa_user_sgpr_kernarg_preload_offset 0
		.amdhsa_user_sgpr_private_segment_size 0
		.amdhsa_wavefront_size32 1
		.amdhsa_uses_dynamic_stack 0
		.amdhsa_enable_private_segment 0
		.amdhsa_system_sgpr_workgroup_id_x 1
		.amdhsa_system_sgpr_workgroup_id_y 0
		.amdhsa_system_sgpr_workgroup_id_z 1
		.amdhsa_system_sgpr_workgroup_info 0
		.amdhsa_system_vgpr_workitem_id 0
		.amdhsa_next_free_vgpr 24
		.amdhsa_next_free_sgpr 42
		.amdhsa_named_barrier_count 0
		.amdhsa_reserve_vcc 1
		.amdhsa_float_round_mode_32 0
		.amdhsa_float_round_mode_16_64 0
		.amdhsa_float_denorm_mode_32 3
		.amdhsa_float_denorm_mode_16_64 3
		.amdhsa_fp16_overflow 0
		.amdhsa_memory_ordered 1
		.amdhsa_forward_progress 1
		.amdhsa_inst_pref_size 12
		.amdhsa_round_robin_scheduling 0
		.amdhsa_exception_fp_ieee_invalid_op 0
		.amdhsa_exception_fp_denorm_src 0
		.amdhsa_exception_fp_ieee_div_zero 0
		.amdhsa_exception_fp_ieee_overflow 0
		.amdhsa_exception_fp_ieee_underflow 0
		.amdhsa_exception_fp_ieee_inexact 0
		.amdhsa_exception_int_div_zero 0
	.end_amdhsa_kernel
	.section	.text._ZL32rocblas_gemvt_warp_reduce_kernelILb0ELi1024EiPKfS1_KPfEviiT3_lPKT2_lT1_lS7_lS8_lS4_lPT4_lS8_li,"axG",@progbits,_ZL32rocblas_gemvt_warp_reduce_kernelILb0ELi1024EiPKfS1_KPfEviiT3_lPKT2_lT1_lS7_lS8_lS4_lPT4_lS8_li,comdat
.Lfunc_end222:
	.size	_ZL32rocblas_gemvt_warp_reduce_kernelILb0ELi1024EiPKfS1_KPfEviiT3_lPKT2_lT1_lS7_lS8_lS4_lPT4_lS8_li, .Lfunc_end222-_ZL32rocblas_gemvt_warp_reduce_kernelILb0ELi1024EiPKfS1_KPfEviiT3_lPKT2_lT1_lS7_lS8_lS4_lPT4_lS8_li
                                        ; -- End function
	.set _ZL32rocblas_gemvt_warp_reduce_kernelILb0ELi1024EiPKfS1_KPfEviiT3_lPKT2_lT1_lS7_lS8_lS4_lPT4_lS8_li.num_vgpr, 24
	.set _ZL32rocblas_gemvt_warp_reduce_kernelILb0ELi1024EiPKfS1_KPfEviiT3_lPKT2_lT1_lS7_lS8_lS4_lPT4_lS8_li.num_agpr, 0
	.set _ZL32rocblas_gemvt_warp_reduce_kernelILb0ELi1024EiPKfS1_KPfEviiT3_lPKT2_lT1_lS7_lS8_lS4_lPT4_lS8_li.numbered_sgpr, 42
	.set _ZL32rocblas_gemvt_warp_reduce_kernelILb0ELi1024EiPKfS1_KPfEviiT3_lPKT2_lT1_lS7_lS8_lS4_lPT4_lS8_li.num_named_barrier, 0
	.set _ZL32rocblas_gemvt_warp_reduce_kernelILb0ELi1024EiPKfS1_KPfEviiT3_lPKT2_lT1_lS7_lS8_lS4_lPT4_lS8_li.private_seg_size, 0
	.set _ZL32rocblas_gemvt_warp_reduce_kernelILb0ELi1024EiPKfS1_KPfEviiT3_lPKT2_lT1_lS7_lS8_lS4_lPT4_lS8_li.uses_vcc, 1
	.set _ZL32rocblas_gemvt_warp_reduce_kernelILb0ELi1024EiPKfS1_KPfEviiT3_lPKT2_lT1_lS7_lS8_lS4_lPT4_lS8_li.uses_flat_scratch, 0
	.set _ZL32rocblas_gemvt_warp_reduce_kernelILb0ELi1024EiPKfS1_KPfEviiT3_lPKT2_lT1_lS7_lS8_lS4_lPT4_lS8_li.has_dyn_sized_stack, 0
	.set _ZL32rocblas_gemvt_warp_reduce_kernelILb0ELi1024EiPKfS1_KPfEviiT3_lPKT2_lT1_lS7_lS8_lS4_lPT4_lS8_li.has_recursion, 0
	.set _ZL32rocblas_gemvt_warp_reduce_kernelILb0ELi1024EiPKfS1_KPfEviiT3_lPKT2_lT1_lS7_lS8_lS4_lPT4_lS8_li.has_indirect_call, 0
	.section	.AMDGPU.csdata,"",@progbits
; Kernel info:
; codeLenInByte = 1464
; TotalNumSgprs: 44
; NumVgprs: 24
; ScratchSize: 0
; MemoryBound: 0
; FloatMode: 240
; IeeeMode: 1
; LDSByteSize: 128 bytes/workgroup (compile time only)
; SGPRBlocks: 0
; VGPRBlocks: 1
; NumSGPRsForWavesPerEU: 44
; NumVGPRsForWavesPerEU: 24
; NamedBarCnt: 0
; Occupancy: 16
; WaveLimiterHint : 1
; COMPUTE_PGM_RSRC2:SCRATCH_EN: 0
; COMPUTE_PGM_RSRC2:USER_SGPR: 2
; COMPUTE_PGM_RSRC2:TRAP_HANDLER: 0
; COMPUTE_PGM_RSRC2:TGID_X_EN: 1
; COMPUTE_PGM_RSRC2:TGID_Y_EN: 0
; COMPUTE_PGM_RSRC2:TGID_Z_EN: 1
; COMPUTE_PGM_RSRC2:TIDIG_COMP_CNT: 0
	.section	.text._ZL32rocblas_gemvt_warp_reduce_kernelILb0ELi1024ElPKfS1_KPfEviiT3_lPKT2_lT1_lS7_lS8_lS4_lPT4_lS8_li,"axG",@progbits,_ZL32rocblas_gemvt_warp_reduce_kernelILb0ELi1024ElPKfS1_KPfEviiT3_lPKT2_lT1_lS7_lS8_lS4_lPT4_lS8_li,comdat
	.globl	_ZL32rocblas_gemvt_warp_reduce_kernelILb0ELi1024ElPKfS1_KPfEviiT3_lPKT2_lT1_lS7_lS8_lS4_lPT4_lS8_li ; -- Begin function _ZL32rocblas_gemvt_warp_reduce_kernelILb0ELi1024ElPKfS1_KPfEviiT3_lPKT2_lT1_lS7_lS8_lS4_lPT4_lS8_li
	.p2align	8
	.type	_ZL32rocblas_gemvt_warp_reduce_kernelILb0ELi1024ElPKfS1_KPfEviiT3_lPKT2_lT1_lS7_lS8_lS4_lPT4_lS8_li,@function
_ZL32rocblas_gemvt_warp_reduce_kernelILb0ELi1024ElPKfS1_KPfEviiT3_lPKT2_lT1_lS7_lS8_lS4_lPT4_lS8_li: ; @_ZL32rocblas_gemvt_warp_reduce_kernelILb0ELi1024ElPKfS1_KPfEviiT3_lPKT2_lT1_lS7_lS8_lS4_lPT4_lS8_li
; %bb.0:
	s_load_b32 s7, s[0:1], 0x88
	s_bfe_u32 s2, ttmp6, 0x40014
	s_lshr_b32 s3, ttmp7, 16
	s_add_co_i32 s2, s2, 1
	s_bfe_u32 s5, ttmp6, 0x40008
	s_mul_i32 s4, s3, s2
	s_getreg_b32 s2, hwreg(HW_REG_IB_STS2, 6, 4)
	s_add_co_i32 s5, s5, s4
	s_cmp_eq_u32 s2, 0
	s_mov_b32 s29, 0
	s_cselect_b32 s28, s3, s5
	s_wait_kmcnt 0x0
	s_cmp_ge_u32 s28, s7
	s_cbranch_scc1 .LBB223_38
; %bb.1:
	s_clause 0x1
	s_load_b32 s6, s[0:1], 0x0
	s_load_b64 s[36:37], s[0:1], 0x48
	s_bfe_u32 s3, ttmp6, 0x4000c
	s_and_b32 s4, ttmp6, 15
	s_add_co_i32 s3, s3, 1
	s_clause 0x2
	s_load_b256 s[8:15], s[0:1], 0x8
	s_load_b128 s[24:27], s[0:1], 0x38
	s_load_b256 s[16:23], s[0:1], 0x58
	s_mul_i32 s3, ttmp9, s3
	v_mbcnt_lo_u32_b32 v19, -1, 0
	s_add_co_i32 s4, s4, s3
	s_cmp_eq_u32 s2, 0
	s_load_b64 s[34:35], s[0:1], 0x28
	s_cselect_b32 s2, ttmp9, s4
	s_load_b64 s[4:5], s[0:1], 0x78
	s_wait_xcnt 0x0
	v_cmp_eq_u32_e64 s0, 0, v0
	v_lshl_or_b32 v20, v19, 2, 64
	s_wait_kmcnt 0x0
	s_ashr_i32 s3, s6, 31
	v_cmp_gt_i32_e32 vcc_lo, s6, v0
	s_lshr_b32 s3, s3, 22
	s_lshl_b64 s[14:15], s[14:15], 2
	s_add_co_i32 s3, s6, s3
	s_lshl_b64 s[26:27], s[26:27], 2
	s_and_b32 s30, s3, 0xfffffc00
	s_delay_alu instid0(SALU_CYCLE_1) | instskip(SKIP_3) | instid1(VALU_DEP_2)
	v_dual_mov_b32 v3, 0 :: v_dual_bitop2_b32 v6, s30, v0 bitop3:0x54
	s_ashr_i32 s3, s2, 31
	v_cndmask_b32_e32 v2, 0, v0, vcc_lo
	s_mul_u64 s[34:35], s[34:35], s[2:3]
	v_dual_mov_b32 v1, v3 :: v_dual_ashrrev_i32 v7, 31, v6
	s_mul_u64 s[38:39], s[4:5], s[2:3]
	v_cmp_gt_i32_e64 s2, s6, v6
	v_cmp_gt_i32_e64 s1, s30, v0
	s_delay_alu instid0(VALU_DEP_3)
	v_mul_u64_e32 v[8:9], s[36:37], v[0:1]
	v_mul_u64_e32 v[4:5], s[36:37], v[6:7]
	v_dual_lshrrev_b32 v6, 3, v0 :: v_dual_bitop2_b32 v7, 31, v0 bitop3:0x40
	v_cmp_gt_u32_e64 s3, 32, v0
	v_lshlrev_b32_e32 v2, 2, v2
	s_ashr_i32 s31, s30, 31
	v_lshlrev_b32_e32 v1, 2, v7
	v_cmp_eq_u32_e64 s4, 0, v7
	v_and_b32_e32 v18, 0x7c, v6
	s_lshl_b64 s[36:37], s[36:37], 12
	s_lshl_b64 s[22:23], s[22:23], 2
	;; [unrolled: 1-line block ×3, first 2 shown]
	v_lshlrev_b64_e32 v[6:7], 2, v[8:9]
	s_branch .LBB223_4
.LBB223_2:                              ;   in Loop: Header=BB223_4 Depth=1
	s_wait_xcnt 0x0
	s_or_b32 exec_lo, exec_lo, s6
.LBB223_3:                              ;   in Loop: Header=BB223_4 Depth=1
	s_add_co_i32 s28, s28, 0x10000
	s_delay_alu instid0(SALU_CYCLE_1)
	s_cmp_lt_u32 s28, s7
	s_cbranch_scc0 .LBB223_38
.LBB223_4:                              ; =>This Loop Header: Depth=1
                                        ;     Child Loop BB223_27 Depth 2
	s_wait_xcnt 0x1
	s_mul_u64 s[40:41], s[10:11], s[28:29]
	s_wait_xcnt 0x0
	s_mul_u64 s[42:43], s[18:19], s[28:29]
	s_lshl_b64 s[40:41], s[40:41], 2
	s_lshl_b64 s[42:43], s[42:43], 2
	s_add_nc_u64 s[40:41], s[8:9], s[40:41]
	s_add_nc_u64 s[42:43], s[16:17], s[42:43]
	s_clause 0x1
	global_load_b32 v21, v3, s[40:41]
	global_load_b32 v8, v3, s[42:43]
	s_wait_loadcnt 0x1
	v_cmp_eq_f32_e64 s5, 0, v21
	s_wait_loadcnt 0x0
	v_cmp_eq_f32_e32 vcc_lo, 1.0, v8
	v_readfirstlane_b32 s33, v8
	s_and_b32 s6, s5, vcc_lo
	s_delay_alu instid0(SALU_CYCLE_1)
	s_and_b32 vcc_lo, exec_lo, s6
	s_cbranch_vccnz .LBB223_3
; %bb.5:                                ;   in Loop: Header=BB223_4 Depth=1
	v_mov_b64_e32 v[10:11], 0
	v_mov_b64_e32 v[12:13], 0
	v_cmp_neq_f32_e64 s6, 0, v21
	s_and_b32 vcc_lo, exec_lo, s5
	s_cbranch_vccnz .LBB223_7
; %bb.6:                                ;   in Loop: Header=BB223_4 Depth=1
	s_wait_xcnt 0x1
	s_lshl_b64 s[40:41], s[28:29], 3
	s_delay_alu instid0(SALU_CYCLE_1)
	s_add_nc_u64 s[40:41], s[12:13], s[40:41]
	global_load_b64 v[8:9], v3, s[40:41]
	s_wait_loadcnt 0x0
	v_add_nc_u64_e32 v[12:13], s[14:15], v[8:9]
.LBB223_7:                              ;   in Loop: Header=BB223_4 Depth=1
	s_and_not1_b32 vcc_lo, exec_lo, s6
	s_cbranch_vccnz .LBB223_9
; %bb.8:                                ;   in Loop: Header=BB223_4 Depth=1
	s_wait_xcnt 0x0
	s_lshl_b64 s[40:41], s[28:29], 3
	s_delay_alu instid0(SALU_CYCLE_1)
	s_add_nc_u64 s[40:41], s[24:25], s[40:41]
	global_load_b64 v[8:9], v3, s[40:41]
	s_wait_loadcnt 0x0
	v_add_nc_u64_e32 v[10:11], s[26:27], v[8:9]
.LBB223_9:                              ;   in Loop: Header=BB223_4 Depth=1
	s_wait_xcnt 0x0
	s_lshl_b64 s[40:41], s[28:29], 3
	s_and_not1_b32 vcc_lo, exec_lo, s5
	s_add_nc_u64 s[40:41], s[20:21], s[40:41]
	global_load_b64 v[8:9], v3, s[40:41]
	s_wait_loadcnt 0x0
	v_add_nc_u64_e32 v[8:9], s[22:23], v[8:9]
	s_cbranch_vccnz .LBB223_13
; %bb.10:                               ;   in Loop: Header=BB223_4 Depth=1
	s_mov_b32 s6, 0
	s_mov_b32 s5, 0
                                        ; implicit-def: $vgpr14
	s_wait_xcnt 0x0
	s_and_saveexec_b32 s40, s0
	s_cbranch_execz .LBB223_14
; %bb.11:                               ;   in Loop: Header=BB223_4 Depth=1
	s_cmp_eq_f32 s33, 0
	s_cbranch_scc1 .LBB223_15
; %bb.12:                               ;   in Loop: Header=BB223_4 Depth=1
	s_wait_dscnt 0x0
	v_add_nc_u64_e32 v[14:15], s[38:39], v[8:9]
	flat_load_b32 v14, v[14:15]
	s_wait_loadcnt_dscnt 0x0
	s_wait_xcnt 0x0
	v_mul_f32_e32 v14, s33, v14
	s_branch .LBB223_16
.LBB223_13:                             ;   in Loop: Header=BB223_4 Depth=1
	s_mov_b32 s5, 0
                                        ; implicit-def: $vgpr14
	s_cbranch_execnz .LBB223_17
	s_branch .LBB223_36
.LBB223_14:                             ;   in Loop: Header=BB223_4 Depth=1
	s_or_b32 exec_lo, exec_lo, s40
	s_delay_alu instid0(SALU_CYCLE_1)
	s_and_b32 vcc_lo, exec_lo, s6
	s_cbranch_vccnz .LBB223_17
	s_branch .LBB223_36
.LBB223_15:                             ;   in Loop: Header=BB223_4 Depth=1
	v_mov_b32_e32 v14, 0
.LBB223_16:                             ;   in Loop: Header=BB223_4 Depth=1
	s_mov_b32 s5, exec_lo
	s_or_b32 exec_lo, exec_lo, s40
	s_delay_alu instid0(SALU_CYCLE_1)
	s_and_b32 vcc_lo, exec_lo, s6
	s_cbranch_vccz .LBB223_36
.LBB223_17:                             ;   in Loop: Header=BB223_4 Depth=1
	v_add_nc_u64_e32 v[12:13], v[12:13], v[2:3]
	v_mov_b32_e32 v22, 0
	s_delay_alu instid0(VALU_DEP_2)
	v_lshl_add_u64 v[12:13], s[34:35], 2, v[12:13]
	s_wait_xcnt 0x0
	s_and_saveexec_b32 s6, s1
	s_cbranch_execnz .LBB223_26
; %bb.18:                               ;   in Loop: Header=BB223_4 Depth=1
	s_or_b32 exec_lo, exec_lo, s6
	s_and_saveexec_b32 s6, s2
	s_cbranch_execnz .LBB223_29
.LBB223_19:                             ;   in Loop: Header=BB223_4 Depth=1
	s_or_b32 exec_lo, exec_lo, s6
	s_and_saveexec_b32 s6, s3
.LBB223_20:                             ;   in Loop: Header=BB223_4 Depth=1
	ds_store_b32 v1, v3
.LBB223_21:                             ;   in Loop: Header=BB223_4 Depth=1
	s_or_b32 exec_lo, exec_lo, s6
	ds_bpermute_b32 v11, v20, v22
	v_cmp_gt_u32_e32 vcc_lo, 24, v19
	s_wait_dscnt 0x0
	s_barrier_signal -1
	s_barrier_wait -1
	v_cndmask_b32_e64 v10, 0, 8, vcc_lo
	v_cmp_gt_u32_e32 vcc_lo, 28, v19
	s_delay_alu instid0(VALU_DEP_2)
	v_add_lshl_u32 v10, v10, v19, 2
	v_add_f32_e32 v12, v22, v11
	v_cndmask_b32_e64 v11, 0, 4, vcc_lo
	v_cmp_gt_u32_e32 vcc_lo, 30, v19
	ds_bpermute_b32 v13, v10, v12
	v_add_lshl_u32 v11, v11, v19, 2
	s_wait_dscnt 0x0
	v_add_f32_e32 v13, v12, v13
	v_cndmask_b32_e64 v12, 0, 2, vcc_lo
	v_cmp_ne_u32_e32 vcc_lo, 31, v19
	ds_bpermute_b32 v14, v11, v13
	v_add_lshl_u32 v12, v12, v19, 2
	v_add_co_ci_u32_e64 v15, null, 0, v19, vcc_lo
	s_wait_dscnt 0x0
	v_add_f32_e32 v13, v13, v14
	ds_bpermute_b32 v14, v12, v13
	s_wait_dscnt 0x0
	v_dual_add_f32 v14, v13, v14 :: v_dual_lshlrev_b32 v13, 2, v15
	ds_bpermute_b32 v15, v13, v14
	s_and_saveexec_b32 s6, s4
	s_cbranch_execz .LBB223_23
; %bb.22:                               ;   in Loop: Header=BB223_4 Depth=1
	s_wait_dscnt 0x0
	v_add_f32_e32 v14, v14, v15
	ds_store_b32 v18, v14
.LBB223_23:                             ;   in Loop: Header=BB223_4 Depth=1
	s_or_b32 exec_lo, exec_lo, s6
	s_wait_dscnt 0x0
	v_mov_b32_e32 v15, 0
	s_barrier_signal -1
	s_barrier_wait -1
	s_and_saveexec_b32 s6, s3
	s_cbranch_execnz .LBB223_30
; %bb.24:                               ;   in Loop: Header=BB223_4 Depth=1
	s_or_b32 exec_lo, exec_lo, s6
	s_and_saveexec_b32 s6, s3
	s_cbranch_execnz .LBB223_31
.LBB223_25:                             ;   in Loop: Header=BB223_4 Depth=1
	s_or_b32 exec_lo, exec_lo, s6
                                        ; implicit-def: $vgpr14
	s_and_saveexec_b32 s6, s0
	s_cbranch_execnz .LBB223_32
	s_branch .LBB223_35
.LBB223_26:                             ;   in Loop: Header=BB223_4 Depth=1
	s_wait_dscnt 0x0
	v_add_nc_u64_e32 v[14:15], v[10:11], v[6:7]
	v_mov_b64_e32 v[16:17], v[12:13]
	v_dual_mov_b32 v22, 0 :: v_dual_mov_b32 v23, v0
	s_mov_b32 s40, 0
.LBB223_27:                             ;   Parent Loop BB223_4 Depth=1
                                        ; =>  This Inner Loop Header: Depth=2
	flat_load_b32 v24, v[16:17]
	flat_load_b32 v25, v[14:15]
	v_add_nc_u32_e32 v23, 0x400, v23
	s_wait_xcnt 0x1
	v_add_nc_u64_e32 v[16:17], 0x1000, v[16:17]
	s_wait_xcnt 0x0
	v_add_nc_u64_e32 v[14:15], s[36:37], v[14:15]
	s_wait_loadcnt_dscnt 0x0
	v_fmac_f32_e32 v22, v24, v25
	v_cmp_le_i32_e32 vcc_lo, s30, v23
	s_or_b32 s40, vcc_lo, s40
	s_delay_alu instid0(SALU_CYCLE_1)
	s_and_not1_b32 exec_lo, exec_lo, s40
	s_cbranch_execnz .LBB223_27
; %bb.28:                               ;   in Loop: Header=BB223_4 Depth=1
	s_or_b32 exec_lo, exec_lo, s40
	s_delay_alu instid0(SALU_CYCLE_1)
	s_or_b32 exec_lo, exec_lo, s6
	s_and_saveexec_b32 s6, s2
	s_cbranch_execz .LBB223_19
.LBB223_29:                             ;   in Loop: Header=BB223_4 Depth=1
	v_lshl_add_u64 v[12:13], s[30:31], 2, v[12:13]
	v_lshl_add_u64 v[10:11], v[4:5], 2, v[10:11]
	flat_load_b32 v14, v[12:13]
	s_wait_dscnt 0x1
	flat_load_b32 v15, v[10:11]
	s_wait_loadcnt_dscnt 0x0
	v_fmac_f32_e32 v22, v14, v15
	s_wait_xcnt 0x0
	s_or_b32 exec_lo, exec_lo, s6
	s_and_saveexec_b32 s6, s3
	s_cbranch_execnz .LBB223_20
	s_branch .LBB223_21
.LBB223_30:                             ;   in Loop: Header=BB223_4 Depth=1
	ds_load_b32 v15, v1
	s_or_b32 exec_lo, exec_lo, s6
	s_and_saveexec_b32 s6, s3
	s_cbranch_execz .LBB223_25
.LBB223_31:                             ;   in Loop: Header=BB223_4 Depth=1
	s_wait_dscnt 0x0
	ds_bpermute_b32 v14, v20, v15
	s_wait_dscnt 0x0
	v_add_f32_e32 v14, v15, v14
	ds_bpermute_b32 v10, v10, v14
	s_wait_dscnt 0x0
	v_add_f32_e32 v10, v14, v10
	;; [unrolled: 3-line block ×5, first 2 shown]
	s_or_b32 exec_lo, exec_lo, s6
                                        ; implicit-def: $vgpr14
	s_and_saveexec_b32 s6, s0
	s_cbranch_execz .LBB223_35
.LBB223_32:                             ;   in Loop: Header=BB223_4 Depth=1
	s_wait_dscnt 0x0
	v_mul_f32_e32 v14, v21, v15
	s_cmp_eq_f32 s33, 0
	s_cbranch_scc1 .LBB223_34
; %bb.33:                               ;   in Loop: Header=BB223_4 Depth=1
	v_add_nc_u64_e32 v[10:11], s[38:39], v[8:9]
	flat_load_b32 v10, v[10:11]
	s_wait_loadcnt_dscnt 0x0
	v_fmac_f32_e32 v14, s33, v10
.LBB223_34:                             ;   in Loop: Header=BB223_4 Depth=1
	s_or_b32 s5, s5, exec_lo
.LBB223_35:                             ;   in Loop: Header=BB223_4 Depth=1
	s_wait_xcnt 0x0
	s_or_b32 exec_lo, exec_lo, s6
.LBB223_36:                             ;   in Loop: Header=BB223_4 Depth=1
	s_wait_xcnt 0x0
	s_and_saveexec_b32 s6, s5
	s_cbranch_execz .LBB223_2
; %bb.37:                               ;   in Loop: Header=BB223_4 Depth=1
	v_add_nc_u64_e32 v[8:9], s[38:39], v[8:9]
	flat_store_b32 v[8:9], v14
	s_branch .LBB223_2
.LBB223_38:
	s_endpgm
	.section	.rodata,"a",@progbits
	.p2align	6, 0x0
	.amdhsa_kernel _ZL32rocblas_gemvt_warp_reduce_kernelILb0ELi1024ElPKfS1_KPfEviiT3_lPKT2_lT1_lS7_lS8_lS4_lPT4_lS8_li
		.amdhsa_group_segment_fixed_size 128
		.amdhsa_private_segment_fixed_size 0
		.amdhsa_kernarg_size 140
		.amdhsa_user_sgpr_count 2
		.amdhsa_user_sgpr_dispatch_ptr 0
		.amdhsa_user_sgpr_queue_ptr 0
		.amdhsa_user_sgpr_kernarg_segment_ptr 1
		.amdhsa_user_sgpr_dispatch_id 0
		.amdhsa_user_sgpr_kernarg_preload_length 0
		.amdhsa_user_sgpr_kernarg_preload_offset 0
		.amdhsa_user_sgpr_private_segment_size 0
		.amdhsa_wavefront_size32 1
		.amdhsa_uses_dynamic_stack 0
		.amdhsa_enable_private_segment 0
		.amdhsa_system_sgpr_workgroup_id_x 1
		.amdhsa_system_sgpr_workgroup_id_y 0
		.amdhsa_system_sgpr_workgroup_id_z 1
		.amdhsa_system_sgpr_workgroup_info 0
		.amdhsa_system_vgpr_workitem_id 0
		.amdhsa_next_free_vgpr 26
		.amdhsa_next_free_sgpr 44
		.amdhsa_named_barrier_count 0
		.amdhsa_reserve_vcc 1
		.amdhsa_float_round_mode_32 0
		.amdhsa_float_round_mode_16_64 0
		.amdhsa_float_denorm_mode_32 3
		.amdhsa_float_denorm_mode_16_64 3
		.amdhsa_fp16_overflow 0
		.amdhsa_memory_ordered 1
		.amdhsa_forward_progress 1
		.amdhsa_inst_pref_size 12
		.amdhsa_round_robin_scheduling 0
		.amdhsa_exception_fp_ieee_invalid_op 0
		.amdhsa_exception_fp_denorm_src 0
		.amdhsa_exception_fp_ieee_div_zero 0
		.amdhsa_exception_fp_ieee_overflow 0
		.amdhsa_exception_fp_ieee_underflow 0
		.amdhsa_exception_fp_ieee_inexact 0
		.amdhsa_exception_int_div_zero 0
	.end_amdhsa_kernel
	.section	.text._ZL32rocblas_gemvt_warp_reduce_kernelILb0ELi1024ElPKfS1_KPfEviiT3_lPKT2_lT1_lS7_lS8_lS4_lPT4_lS8_li,"axG",@progbits,_ZL32rocblas_gemvt_warp_reduce_kernelILb0ELi1024ElPKfS1_KPfEviiT3_lPKT2_lT1_lS7_lS8_lS4_lPT4_lS8_li,comdat
.Lfunc_end223:
	.size	_ZL32rocblas_gemvt_warp_reduce_kernelILb0ELi1024ElPKfS1_KPfEviiT3_lPKT2_lT1_lS7_lS8_lS4_lPT4_lS8_li, .Lfunc_end223-_ZL32rocblas_gemvt_warp_reduce_kernelILb0ELi1024ElPKfS1_KPfEviiT3_lPKT2_lT1_lS7_lS8_lS4_lPT4_lS8_li
                                        ; -- End function
	.set _ZL32rocblas_gemvt_warp_reduce_kernelILb0ELi1024ElPKfS1_KPfEviiT3_lPKT2_lT1_lS7_lS8_lS4_lPT4_lS8_li.num_vgpr, 26
	.set _ZL32rocblas_gemvt_warp_reduce_kernelILb0ELi1024ElPKfS1_KPfEviiT3_lPKT2_lT1_lS7_lS8_lS4_lPT4_lS8_li.num_agpr, 0
	.set _ZL32rocblas_gemvt_warp_reduce_kernelILb0ELi1024ElPKfS1_KPfEviiT3_lPKT2_lT1_lS7_lS8_lS4_lPT4_lS8_li.numbered_sgpr, 44
	.set _ZL32rocblas_gemvt_warp_reduce_kernelILb0ELi1024ElPKfS1_KPfEviiT3_lPKT2_lT1_lS7_lS8_lS4_lPT4_lS8_li.num_named_barrier, 0
	.set _ZL32rocblas_gemvt_warp_reduce_kernelILb0ELi1024ElPKfS1_KPfEviiT3_lPKT2_lT1_lS7_lS8_lS4_lPT4_lS8_li.private_seg_size, 0
	.set _ZL32rocblas_gemvt_warp_reduce_kernelILb0ELi1024ElPKfS1_KPfEviiT3_lPKT2_lT1_lS7_lS8_lS4_lPT4_lS8_li.uses_vcc, 1
	.set _ZL32rocblas_gemvt_warp_reduce_kernelILb0ELi1024ElPKfS1_KPfEviiT3_lPKT2_lT1_lS7_lS8_lS4_lPT4_lS8_li.uses_flat_scratch, 0
	.set _ZL32rocblas_gemvt_warp_reduce_kernelILb0ELi1024ElPKfS1_KPfEviiT3_lPKT2_lT1_lS7_lS8_lS4_lPT4_lS8_li.has_dyn_sized_stack, 0
	.set _ZL32rocblas_gemvt_warp_reduce_kernelILb0ELi1024ElPKfS1_KPfEviiT3_lPKT2_lT1_lS7_lS8_lS4_lPT4_lS8_li.has_recursion, 0
	.set _ZL32rocblas_gemvt_warp_reduce_kernelILb0ELi1024ElPKfS1_KPfEviiT3_lPKT2_lT1_lS7_lS8_lS4_lPT4_lS8_li.has_indirect_call, 0
	.section	.AMDGPU.csdata,"",@progbits
; Kernel info:
; codeLenInByte = 1464
; TotalNumSgprs: 46
; NumVgprs: 26
; ScratchSize: 0
; MemoryBound: 0
; FloatMode: 240
; IeeeMode: 1
; LDSByteSize: 128 bytes/workgroup (compile time only)
; SGPRBlocks: 0
; VGPRBlocks: 1
; NumSGPRsForWavesPerEU: 46
; NumVGPRsForWavesPerEU: 26
; NamedBarCnt: 0
; Occupancy: 16
; WaveLimiterHint : 1
; COMPUTE_PGM_RSRC2:SCRATCH_EN: 0
; COMPUTE_PGM_RSRC2:USER_SGPR: 2
; COMPUTE_PGM_RSRC2:TRAP_HANDLER: 0
; COMPUTE_PGM_RSRC2:TGID_X_EN: 1
; COMPUTE_PGM_RSRC2:TGID_Y_EN: 0
; COMPUTE_PGM_RSRC2:TGID_Z_EN: 1
; COMPUTE_PGM_RSRC2:TIDIG_COMP_CNT: 0
	.section	.text._ZL32rocblas_gemvt_warp_reduce_kernelILb0ELi1024EiPKffKPfEviiT3_lPKT2_lT1_lS7_lS8_lS4_lPT4_lS8_li,"axG",@progbits,_ZL32rocblas_gemvt_warp_reduce_kernelILb0ELi1024EiPKffKPfEviiT3_lPKT2_lT1_lS7_lS8_lS4_lPT4_lS8_li,comdat
	.globl	_ZL32rocblas_gemvt_warp_reduce_kernelILb0ELi1024EiPKffKPfEviiT3_lPKT2_lT1_lS7_lS8_lS4_lPT4_lS8_li ; -- Begin function _ZL32rocblas_gemvt_warp_reduce_kernelILb0ELi1024EiPKffKPfEviiT3_lPKT2_lT1_lS7_lS8_lS4_lPT4_lS8_li
	.p2align	8
	.type	_ZL32rocblas_gemvt_warp_reduce_kernelILb0ELi1024EiPKffKPfEviiT3_lPKT2_lT1_lS7_lS8_lS4_lPT4_lS8_li,@function
_ZL32rocblas_gemvt_warp_reduce_kernelILb0ELi1024EiPKffKPfEviiT3_lPKT2_lT1_lS7_lS8_lS4_lPT4_lS8_li: ; @_ZL32rocblas_gemvt_warp_reduce_kernelILb0ELi1024EiPKffKPfEviiT3_lPKT2_lT1_lS7_lS8_lS4_lPT4_lS8_li
; %bb.0:
	s_load_b32 s5, s[0:1], 0x88
	s_bfe_u32 s2, ttmp6, 0x40014
	s_lshr_b32 s3, ttmp7, 16
	s_add_co_i32 s2, s2, 1
	s_bfe_u32 s6, ttmp6, 0x40008
	s_mul_i32 s4, s3, s2
	s_getreg_b32 s2, hwreg(HW_REG_IB_STS2, 6, 4)
	s_add_co_i32 s6, s6, s4
	s_cmp_eq_u32 s2, 0
	s_mov_b32 s7, 0
	s_cselect_b32 s6, s3, s6
	s_wait_kmcnt 0x0
	s_cmp_ge_u32 s6, s5
	s_cbranch_scc1 .LBB224_40
; %bb.1:
	s_clause 0x8
	s_load_b32 s26, s[0:1], 0x8
	s_load_b32 s27, s[0:1], 0x58
	s_load_b128 s[8:11], s[0:1], 0x18
	s_load_b32 s3, s[0:1], 0x28
	s_load_b32 s4, s[0:1], 0x0
	s_load_b128 s[12:15], s[0:1], 0x38
	s_load_b32 s21, s[0:1], 0x48
	s_load_b128 s[16:19], s[0:1], 0x68
	s_load_b32 s22, s[0:1], 0x78
	v_dual_mov_b32 v3, 0 :: v_dual_bitop2_b32 v2, 31, v0 bitop3:0x40
	v_lshrrev_b32_e32 v4, 3, v0
	v_mbcnt_lo_u32_b32 v14, -1, 0
	s_wait_xcnt 0x0
	v_cmp_gt_u32_e64 s1, 32, v0
	v_lshlrev_b32_e32 v15, 2, v2
	v_and_b32_e32 v16, 0x7c, v4
	v_lshl_or_b32 v18, v14, 2, 64
	s_wait_kmcnt 0x0
	s_cmp_eq_f32 s26, 0
	v_mul_lo_u32 v17, v0, s21
	s_cselect_b32 s28, -1, 0
	s_cmp_neq_f32 s27, 1.0
	v_cmp_gt_i32_e32 vcc_lo, s4, v0
	s_cselect_b32 s20, -1, 0
	s_cmp_neq_f32 s26, 0
	s_cselect_b32 s0, -1, 0
	s_delay_alu instid0(SALU_CYCLE_1)
	s_or_b32 s29, s0, s20
	s_cmp_neq_f32 s27, 0
	v_cndmask_b32_e64 v1, 0, 1, s0
	v_cmp_eq_u32_e64 s0, 0, v0
	s_cselect_b32 s30, -1, 0
	s_bfe_u32 s20, ttmp6, 0x4000c
	s_and_b32 s23, ttmp6, 15
	s_add_co_i32 s20, s20, 1
	s_delay_alu instid0(SALU_CYCLE_1) | instskip(NEXT) | instid1(SALU_CYCLE_1)
	s_mul_i32 s20, ttmp9, s20
	s_add_co_i32 s23, s23, s20
	s_cmp_eq_u32 s2, 0
	s_cselect_b32 s23, ttmp9, s23
	s_ashr_i32 s2, s4, 31
	s_mul_i32 s24, s22, s23
	s_lshr_b32 s20, s2, 22
	v_cmp_eq_u32_e64 s2, 0, v2
	s_add_co_i32 s20, s4, s20
	s_mul_i32 s22, s3, s23
	s_and_b32 s20, s20, 0xfffffc00
	s_delay_alu instid0(SALU_CYCLE_1)
	v_dual_cndmask_b32 v2, 0, v0, vcc_lo :: v_dual_bitop2_b32 v5, s20, v0 bitop3:0x54
	v_cmp_gt_i32_e64 s3, s20, v0
	s_ashr_i32 s25, s24, 31
	s_lshl_b32 s31, s21, 10
	s_lshl_b64 s[10:11], s[10:11], 2
	v_mul_lo_u32 v4, s21, v5
	v_lshlrev_b32_e32 v2, 2, v2
	v_cmp_gt_i32_e64 s4, s4, v5
	s_ashr_i32 s23, s22, 31
	s_ashr_i32 s21, s20, 31
	s_lshl_b64 s[14:15], s[14:15], 2
	s_lshl_b64 s[18:19], s[18:19], 2
	;; [unrolled: 1-line block ×3, first 2 shown]
	v_ashrrev_i32_e32 v5, 31, v4
	s_branch .LBB224_4
.LBB224_2:                              ;   in Loop: Header=BB224_4 Depth=1
	s_wait_xcnt 0x0
	s_or_b32 exec_lo, exec_lo, s34
.LBB224_3:                              ;   in Loop: Header=BB224_4 Depth=1
	s_add_co_i32 s6, s6, 0x10000
	s_delay_alu instid0(SALU_CYCLE_1)
	s_cmp_lt_u32 s6, s5
	s_cbranch_scc0 .LBB224_40
.LBB224_4:                              ; =>This Loop Header: Depth=1
                                        ;     Child Loop BB224_29 Depth 2
	s_and_not1_b32 vcc_lo, exec_lo, s29
	s_cbranch_vccnz .LBB224_3
; %bb.5:                                ;   in Loop: Header=BB224_4 Depth=1
	s_and_not1_b32 vcc_lo, exec_lo, s28
	s_cbranch_vccnz .LBB224_7
; %bb.6:                                ;   in Loop: Header=BB224_4 Depth=1
	v_mov_b64_e32 v[8:9], 0
	v_mov_b64_e32 v[10:11], 0
	s_cbranch_execz .LBB224_8
	s_branch .LBB224_9
.LBB224_7:                              ;   in Loop: Header=BB224_4 Depth=1
	v_mov_b64_e32 v[8:9], 0
	v_mov_b64_e32 v[10:11], 0
.LBB224_8:                              ;   in Loop: Header=BB224_4 Depth=1
	s_lshl_b64 s[34:35], s[6:7], 3
	s_delay_alu instid0(SALU_CYCLE_1)
	s_add_nc_u64 s[34:35], s[8:9], s[34:35]
	global_load_b64 v[6:7], v3, s[34:35]
	s_wait_loadcnt 0x0
	v_add_nc_u64_e32 v[10:11], s[10:11], v[6:7]
.LBB224_9:                              ;   in Loop: Header=BB224_4 Depth=1
	v_cmp_ne_u32_e32 vcc_lo, 1, v1
	s_cbranch_vccnz .LBB224_11
; %bb.10:                               ;   in Loop: Header=BB224_4 Depth=1
	s_wait_xcnt 0x0
	s_lshl_b64 s[34:35], s[6:7], 3
	s_delay_alu instid0(SALU_CYCLE_1)
	s_add_nc_u64 s[34:35], s[12:13], s[34:35]
	global_load_b64 v[6:7], v3, s[34:35]
	s_wait_loadcnt 0x0
	v_add_nc_u64_e32 v[8:9], s[14:15], v[6:7]
.LBB224_11:                             ;   in Loop: Header=BB224_4 Depth=1
	s_wait_xcnt 0x0
	s_lshl_b64 s[34:35], s[6:7], 3
	s_and_not1_b32 vcc_lo, exec_lo, s28
	s_add_nc_u64 s[34:35], s[16:17], s[34:35]
	global_load_b64 v[6:7], v3, s[34:35]
	s_wait_loadcnt 0x0
	v_add_nc_u64_e32 v[6:7], s[18:19], v[6:7]
	s_cbranch_vccnz .LBB224_15
; %bb.12:                               ;   in Loop: Header=BB224_4 Depth=1
	s_wait_xcnt 0x0
	s_mov_b32 s34, 0
	s_mov_b32 s33, 0
                                        ; implicit-def: $vgpr12
	s_and_saveexec_b32 s35, s0
	s_cbranch_execz .LBB224_16
; %bb.13:                               ;   in Loop: Header=BB224_4 Depth=1
	s_and_not1_b32 vcc_lo, exec_lo, s30
	s_cbranch_vccnz .LBB224_17
; %bb.14:                               ;   in Loop: Header=BB224_4 Depth=1
	s_wait_dscnt 0x0
	v_add_nc_u64_e32 v[12:13], s[24:25], v[6:7]
	flat_load_b32 v12, v[12:13]
	s_wait_loadcnt_dscnt 0x0
	s_wait_xcnt 0x0
	v_mul_f32_e32 v12, s27, v12
	s_branch .LBB224_18
.LBB224_15:                             ;   in Loop: Header=BB224_4 Depth=1
	s_wait_xcnt 0x0
	s_mov_b32 s33, 0
                                        ; implicit-def: $vgpr12
	s_cbranch_execnz .LBB224_19
	s_branch .LBB224_38
.LBB224_16:                             ;   in Loop: Header=BB224_4 Depth=1
	s_or_b32 exec_lo, exec_lo, s35
	s_delay_alu instid0(SALU_CYCLE_1)
	s_and_b32 vcc_lo, exec_lo, s34
	s_cbranch_vccnz .LBB224_19
	s_branch .LBB224_38
.LBB224_17:                             ;   in Loop: Header=BB224_4 Depth=1
	v_mov_b32_e32 v12, 0
.LBB224_18:                             ;   in Loop: Header=BB224_4 Depth=1
	s_mov_b32 s33, exec_lo
	s_or_b32 exec_lo, exec_lo, s35
	s_delay_alu instid0(SALU_CYCLE_1)
	s_and_b32 vcc_lo, exec_lo, s34
	s_cbranch_vccz .LBB224_38
.LBB224_19:                             ;   in Loop: Header=BB224_4 Depth=1
	v_add_nc_u64_e32 v[10:11], v[10:11], v[2:3]
	v_mov_b32_e32 v19, 0
	s_delay_alu instid0(VALU_DEP_2)
	v_lshl_add_u64 v[10:11], s[22:23], 2, v[10:11]
	s_and_saveexec_b32 s34, s3
	s_cbranch_execnz .LBB224_28
; %bb.20:                               ;   in Loop: Header=BB224_4 Depth=1
	s_or_b32 exec_lo, exec_lo, s34
	s_and_saveexec_b32 s34, s4
	s_cbranch_execnz .LBB224_31
.LBB224_21:                             ;   in Loop: Header=BB224_4 Depth=1
	s_or_b32 exec_lo, exec_lo, s34
	s_and_saveexec_b32 s34, s1
.LBB224_22:                             ;   in Loop: Header=BB224_4 Depth=1
	ds_store_b32 v15, v3
.LBB224_23:                             ;   in Loop: Header=BB224_4 Depth=1
	s_or_b32 exec_lo, exec_lo, s34
	ds_bpermute_b32 v9, v18, v19
	v_cmp_gt_u32_e32 vcc_lo, 24, v14
	s_wait_dscnt 0x0
	s_barrier_signal -1
	s_barrier_wait -1
	v_cndmask_b32_e64 v8, 0, 8, vcc_lo
	v_cmp_gt_u32_e32 vcc_lo, 28, v14
	s_delay_alu instid0(VALU_DEP_2)
	v_add_lshl_u32 v8, v8, v14, 2
	v_add_f32_e32 v10, v19, v9
	v_cndmask_b32_e64 v9, 0, 4, vcc_lo
	v_cmp_gt_u32_e32 vcc_lo, 30, v14
	ds_bpermute_b32 v11, v8, v10
	v_add_lshl_u32 v9, v9, v14, 2
	s_wait_dscnt 0x0
	v_add_f32_e32 v11, v10, v11
	v_cndmask_b32_e64 v10, 0, 2, vcc_lo
	v_cmp_ne_u32_e32 vcc_lo, 31, v14
	ds_bpermute_b32 v12, v9, v11
	v_add_lshl_u32 v10, v10, v14, 2
	v_add_co_ci_u32_e64 v13, null, 0, v14, vcc_lo
	s_wait_dscnt 0x0
	v_add_f32_e32 v11, v11, v12
	ds_bpermute_b32 v12, v10, v11
	s_wait_dscnt 0x0
	v_dual_add_f32 v12, v11, v12 :: v_dual_lshlrev_b32 v11, 2, v13
	ds_bpermute_b32 v13, v11, v12
	s_and_saveexec_b32 s34, s2
	s_cbranch_execz .LBB224_25
; %bb.24:                               ;   in Loop: Header=BB224_4 Depth=1
	s_wait_dscnt 0x0
	v_add_f32_e32 v12, v12, v13
	ds_store_b32 v16, v12
.LBB224_25:                             ;   in Loop: Header=BB224_4 Depth=1
	s_or_b32 exec_lo, exec_lo, s34
	s_wait_dscnt 0x0
	v_mov_b32_e32 v13, 0
	s_barrier_signal -1
	s_barrier_wait -1
	s_and_saveexec_b32 s34, s1
	s_cbranch_execnz .LBB224_32
; %bb.26:                               ;   in Loop: Header=BB224_4 Depth=1
	s_or_b32 exec_lo, exec_lo, s34
	s_and_saveexec_b32 s34, s1
	s_cbranch_execnz .LBB224_33
.LBB224_27:                             ;   in Loop: Header=BB224_4 Depth=1
	s_or_b32 exec_lo, exec_lo, s34
                                        ; implicit-def: $vgpr12
	s_and_saveexec_b32 s34, s0
	s_cbranch_execnz .LBB224_34
	s_branch .LBB224_37
.LBB224_28:                             ;   in Loop: Header=BB224_4 Depth=1
	s_wait_dscnt 0x0
	s_delay_alu instid0(VALU_DEP_1)
	v_mov_b64_e32 v[12:13], v[10:11]
	v_dual_mov_b32 v19, 0 :: v_dual_mov_b32 v20, v0
	v_mov_b32_e32 v21, v17
	s_mov_b32 s35, 0
.LBB224_29:                             ;   Parent Loop BB224_4 Depth=1
                                        ; =>  This Inner Loop Header: Depth=2
	v_readfirstlane_b32 s36, v8
	v_readfirstlane_b32 s37, v9
	flat_load_b32 v22, v[12:13]
	flat_load_b32 v23, v21, s[36:37] scale_offset
	v_add_nc_u32_e32 v20, 0x400, v20
	s_wait_xcnt 0x1
	v_add_nc_u64_e32 v[12:13], 0x1000, v[12:13]
	s_wait_loadcnt_dscnt 0x0
	s_wait_xcnt 0x0
	v_dual_add_nc_u32 v21, s31, v21 :: v_dual_fmac_f32 v19, v22, v23
	v_cmp_le_i32_e32 vcc_lo, s20, v20
	s_or_b32 s35, vcc_lo, s35
	s_delay_alu instid0(SALU_CYCLE_1)
	s_and_not1_b32 exec_lo, exec_lo, s35
	s_cbranch_execnz .LBB224_29
; %bb.30:                               ;   in Loop: Header=BB224_4 Depth=1
	s_or_b32 exec_lo, exec_lo, s35
	s_delay_alu instid0(SALU_CYCLE_1)
	s_or_b32 exec_lo, exec_lo, s34
	s_and_saveexec_b32 s34, s4
	s_cbranch_execz .LBB224_21
.LBB224_31:                             ;   in Loop: Header=BB224_4 Depth=1
	v_lshl_add_u64 v[10:11], s[20:21], 2, v[10:11]
	v_lshl_add_u64 v[8:9], v[4:5], 2, v[8:9]
	flat_load_b32 v12, v[10:11]
	s_wait_dscnt 0x1
	flat_load_b32 v13, v[8:9]
	s_wait_loadcnt_dscnt 0x0
	v_fmac_f32_e32 v19, v12, v13
	s_wait_xcnt 0x0
	s_or_b32 exec_lo, exec_lo, s34
	s_and_saveexec_b32 s34, s1
	s_cbranch_execnz .LBB224_22
	s_branch .LBB224_23
.LBB224_32:                             ;   in Loop: Header=BB224_4 Depth=1
	ds_load_b32 v13, v15
	s_or_b32 exec_lo, exec_lo, s34
	s_and_saveexec_b32 s34, s1
	s_cbranch_execz .LBB224_27
.LBB224_33:                             ;   in Loop: Header=BB224_4 Depth=1
	s_wait_dscnt 0x0
	ds_bpermute_b32 v12, v18, v13
	s_wait_dscnt 0x0
	v_add_f32_e32 v12, v13, v12
	ds_bpermute_b32 v8, v8, v12
	s_wait_dscnt 0x0
	v_add_f32_e32 v8, v12, v8
	;; [unrolled: 3-line block ×5, first 2 shown]
	s_or_b32 exec_lo, exec_lo, s34
                                        ; implicit-def: $vgpr12
	s_and_saveexec_b32 s34, s0
	s_cbranch_execz .LBB224_37
.LBB224_34:                             ;   in Loop: Header=BB224_4 Depth=1
	s_wait_dscnt 0x0
	v_mul_f32_e32 v12, s26, v13
	s_and_not1_b32 vcc_lo, exec_lo, s30
	s_cbranch_vccnz .LBB224_36
; %bb.35:                               ;   in Loop: Header=BB224_4 Depth=1
	v_add_nc_u64_e32 v[8:9], s[24:25], v[6:7]
	flat_load_b32 v8, v[8:9]
	s_wait_loadcnt_dscnt 0x0
	v_fmac_f32_e32 v12, s27, v8
.LBB224_36:                             ;   in Loop: Header=BB224_4 Depth=1
	s_or_b32 s33, s33, exec_lo
.LBB224_37:                             ;   in Loop: Header=BB224_4 Depth=1
	s_wait_xcnt 0x0
	s_or_b32 exec_lo, exec_lo, s34
.LBB224_38:                             ;   in Loop: Header=BB224_4 Depth=1
	s_and_saveexec_b32 s34, s33
	s_cbranch_execz .LBB224_2
; %bb.39:                               ;   in Loop: Header=BB224_4 Depth=1
	v_add_nc_u64_e32 v[6:7], s[24:25], v[6:7]
	flat_store_b32 v[6:7], v12
	s_branch .LBB224_2
.LBB224_40:
	s_endpgm
	.section	.rodata,"a",@progbits
	.p2align	6, 0x0
	.amdhsa_kernel _ZL32rocblas_gemvt_warp_reduce_kernelILb0ELi1024EiPKffKPfEviiT3_lPKT2_lT1_lS7_lS8_lS4_lPT4_lS8_li
		.amdhsa_group_segment_fixed_size 128
		.amdhsa_private_segment_fixed_size 0
		.amdhsa_kernarg_size 140
		.amdhsa_user_sgpr_count 2
		.amdhsa_user_sgpr_dispatch_ptr 0
		.amdhsa_user_sgpr_queue_ptr 0
		.amdhsa_user_sgpr_kernarg_segment_ptr 1
		.amdhsa_user_sgpr_dispatch_id 0
		.amdhsa_user_sgpr_kernarg_preload_length 0
		.amdhsa_user_sgpr_kernarg_preload_offset 0
		.amdhsa_user_sgpr_private_segment_size 0
		.amdhsa_wavefront_size32 1
		.amdhsa_uses_dynamic_stack 0
		.amdhsa_enable_private_segment 0
		.amdhsa_system_sgpr_workgroup_id_x 1
		.amdhsa_system_sgpr_workgroup_id_y 0
		.amdhsa_system_sgpr_workgroup_id_z 1
		.amdhsa_system_sgpr_workgroup_info 0
		.amdhsa_system_vgpr_workitem_id 0
		.amdhsa_next_free_vgpr 24
		.amdhsa_next_free_sgpr 38
		.amdhsa_named_barrier_count 0
		.amdhsa_reserve_vcc 1
		.amdhsa_float_round_mode_32 0
		.amdhsa_float_round_mode_16_64 0
		.amdhsa_float_denorm_mode_32 3
		.amdhsa_float_denorm_mode_16_64 3
		.amdhsa_fp16_overflow 0
		.amdhsa_memory_ordered 1
		.amdhsa_forward_progress 1
		.amdhsa_inst_pref_size 12
		.amdhsa_round_robin_scheduling 0
		.amdhsa_exception_fp_ieee_invalid_op 0
		.amdhsa_exception_fp_denorm_src 0
		.amdhsa_exception_fp_ieee_div_zero 0
		.amdhsa_exception_fp_ieee_overflow 0
		.amdhsa_exception_fp_ieee_underflow 0
		.amdhsa_exception_fp_ieee_inexact 0
		.amdhsa_exception_int_div_zero 0
	.end_amdhsa_kernel
	.section	.text._ZL32rocblas_gemvt_warp_reduce_kernelILb0ELi1024EiPKffKPfEviiT3_lPKT2_lT1_lS7_lS8_lS4_lPT4_lS8_li,"axG",@progbits,_ZL32rocblas_gemvt_warp_reduce_kernelILb0ELi1024EiPKffKPfEviiT3_lPKT2_lT1_lS7_lS8_lS4_lPT4_lS8_li,comdat
.Lfunc_end224:
	.size	_ZL32rocblas_gemvt_warp_reduce_kernelILb0ELi1024EiPKffKPfEviiT3_lPKT2_lT1_lS7_lS8_lS4_lPT4_lS8_li, .Lfunc_end224-_ZL32rocblas_gemvt_warp_reduce_kernelILb0ELi1024EiPKffKPfEviiT3_lPKT2_lT1_lS7_lS8_lS4_lPT4_lS8_li
                                        ; -- End function
	.set _ZL32rocblas_gemvt_warp_reduce_kernelILb0ELi1024EiPKffKPfEviiT3_lPKT2_lT1_lS7_lS8_lS4_lPT4_lS8_li.num_vgpr, 24
	.set _ZL32rocblas_gemvt_warp_reduce_kernelILb0ELi1024EiPKffKPfEviiT3_lPKT2_lT1_lS7_lS8_lS4_lPT4_lS8_li.num_agpr, 0
	.set _ZL32rocblas_gemvt_warp_reduce_kernelILb0ELi1024EiPKffKPfEviiT3_lPKT2_lT1_lS7_lS8_lS4_lPT4_lS8_li.numbered_sgpr, 38
	.set _ZL32rocblas_gemvt_warp_reduce_kernelILb0ELi1024EiPKffKPfEviiT3_lPKT2_lT1_lS7_lS8_lS4_lPT4_lS8_li.num_named_barrier, 0
	.set _ZL32rocblas_gemvt_warp_reduce_kernelILb0ELi1024EiPKffKPfEviiT3_lPKT2_lT1_lS7_lS8_lS4_lPT4_lS8_li.private_seg_size, 0
	.set _ZL32rocblas_gemvt_warp_reduce_kernelILb0ELi1024EiPKffKPfEviiT3_lPKT2_lT1_lS7_lS8_lS4_lPT4_lS8_li.uses_vcc, 1
	.set _ZL32rocblas_gemvt_warp_reduce_kernelILb0ELi1024EiPKffKPfEviiT3_lPKT2_lT1_lS7_lS8_lS4_lPT4_lS8_li.uses_flat_scratch, 0
	.set _ZL32rocblas_gemvt_warp_reduce_kernelILb0ELi1024EiPKffKPfEviiT3_lPKT2_lT1_lS7_lS8_lS4_lPT4_lS8_li.has_dyn_sized_stack, 0
	.set _ZL32rocblas_gemvt_warp_reduce_kernelILb0ELi1024EiPKffKPfEviiT3_lPKT2_lT1_lS7_lS8_lS4_lPT4_lS8_li.has_recursion, 0
	.set _ZL32rocblas_gemvt_warp_reduce_kernelILb0ELi1024EiPKffKPfEviiT3_lPKT2_lT1_lS7_lS8_lS4_lPT4_lS8_li.has_indirect_call, 0
	.section	.AMDGPU.csdata,"",@progbits
; Kernel info:
; codeLenInByte = 1448
; TotalNumSgprs: 40
; NumVgprs: 24
; ScratchSize: 0
; MemoryBound: 0
; FloatMode: 240
; IeeeMode: 1
; LDSByteSize: 128 bytes/workgroup (compile time only)
; SGPRBlocks: 0
; VGPRBlocks: 1
; NumSGPRsForWavesPerEU: 40
; NumVGPRsForWavesPerEU: 24
; NamedBarCnt: 0
; Occupancy: 16
; WaveLimiterHint : 1
; COMPUTE_PGM_RSRC2:SCRATCH_EN: 0
; COMPUTE_PGM_RSRC2:USER_SGPR: 2
; COMPUTE_PGM_RSRC2:TRAP_HANDLER: 0
; COMPUTE_PGM_RSRC2:TGID_X_EN: 1
; COMPUTE_PGM_RSRC2:TGID_Y_EN: 0
; COMPUTE_PGM_RSRC2:TGID_Z_EN: 1
; COMPUTE_PGM_RSRC2:TIDIG_COMP_CNT: 0
	.section	.text._ZL32rocblas_gemvt_warp_reduce_kernelILb0ELi1024ElPKffKPfEviiT3_lPKT2_lT1_lS7_lS8_lS4_lPT4_lS8_li,"axG",@progbits,_ZL32rocblas_gemvt_warp_reduce_kernelILb0ELi1024ElPKffKPfEviiT3_lPKT2_lT1_lS7_lS8_lS4_lPT4_lS8_li,comdat
	.globl	_ZL32rocblas_gemvt_warp_reduce_kernelILb0ELi1024ElPKffKPfEviiT3_lPKT2_lT1_lS7_lS8_lS4_lPT4_lS8_li ; -- Begin function _ZL32rocblas_gemvt_warp_reduce_kernelILb0ELi1024ElPKffKPfEviiT3_lPKT2_lT1_lS7_lS8_lS4_lPT4_lS8_li
	.p2align	8
	.type	_ZL32rocblas_gemvt_warp_reduce_kernelILb0ELi1024ElPKffKPfEviiT3_lPKT2_lT1_lS7_lS8_lS4_lPT4_lS8_li,@function
_ZL32rocblas_gemvt_warp_reduce_kernelILb0ELi1024ElPKffKPfEviiT3_lPKT2_lT1_lS7_lS8_lS4_lPT4_lS8_li: ; @_ZL32rocblas_gemvt_warp_reduce_kernelILb0ELi1024ElPKffKPfEviiT3_lPKT2_lT1_lS7_lS8_lS4_lPT4_lS8_li
; %bb.0:
	s_load_b32 s5, s[0:1], 0x88
	s_bfe_u32 s2, ttmp6, 0x40014
	s_lshr_b32 s3, ttmp7, 16
	s_add_co_i32 s2, s2, 1
	s_bfe_u32 s6, ttmp6, 0x40008
	s_mul_i32 s4, s3, s2
	s_getreg_b32 s2, hwreg(HW_REG_IB_STS2, 6, 4)
	s_add_co_i32 s6, s6, s4
	s_cmp_eq_u32 s2, 0
	s_mov_b32 s7, 0
	s_cselect_b32 s6, s3, s6
	s_wait_kmcnt 0x0
	s_cmp_ge_u32 s6, s5
	s_cbranch_scc1 .LBB225_40
; %bb.1:
	s_clause 0x7
	s_load_b32 s28, s[0:1], 0x8
	s_load_b32 s29, s[0:1], 0x58
	s_load_b128 s[8:11], s[0:1], 0x18
	s_load_b64 s[22:23], s[0:1], 0x28
	s_load_b32 s4, s[0:1], 0x0
	s_load_b128 s[12:15], s[0:1], 0x68
	s_load_b64 s[24:25], s[0:1], 0x48
	s_load_b64 s[26:27], s[0:1], 0x78
	v_mbcnt_lo_u32_b32 v20, -1, 0
	s_delay_alu instid0(VALU_DEP_1)
	v_lshl_or_b32 v21, v20, 2, 64
	s_wait_kmcnt 0x0
	s_cmp_eq_f32 s28, 0
	s_cselect_b32 s30, -1, 0
	s_cmp_neq_f32 s29, 1.0
	s_cselect_b32 s3, -1, 0
	s_cmp_neq_f32 s28, 0
	s_cselect_b32 s16, -1, 0
	s_delay_alu instid0(SALU_CYCLE_1)
	s_or_b32 s31, s16, s3
	s_cmp_neq_f32 s29, 0
	v_cndmask_b32_e64 v18, 0, 1, s16
	s_cselect_b32 s33, -1, 0
	s_bfe_u32 s3, ttmp6, 0x4000c
	s_and_b32 s16, ttmp6, 15
	s_add_co_i32 s3, s3, 1
	s_delay_alu instid0(SALU_CYCLE_1) | instskip(NEXT) | instid1(SALU_CYCLE_1)
	s_mul_i32 s3, ttmp9, s3
	s_add_co_i32 s16, s16, s3
	s_cmp_eq_u32 s2, 0
	s_cselect_b32 s2, ttmp9, s16
	s_load_b128 s[16:19], s[0:1], 0x38
	s_ashr_i32 s3, s4, 31
	v_cmp_gt_i32_e32 vcc_lo, s4, v0
	s_lshr_b32 s3, s3, 22
	s_wait_xcnt 0x0
	v_cmp_eq_u32_e64 s0, 0, v0
	s_add_co_i32 s3, s4, s3
	s_lshl_b64 s[10:11], s[10:11], 2
	s_and_b32 s20, s3, 0xfffffc00
	s_delay_alu instid0(SALU_CYCLE_1) | instskip(SKIP_3) | instid1(VALU_DEP_2)
	v_dual_mov_b32 v3, 0 :: v_dual_bitop2_b32 v8, s20, v0 bitop3:0x54
	s_ashr_i32 s3, s2, 31
	v_cndmask_b32_e32 v2, 0, v0, vcc_lo
	s_mul_u64 s[26:27], s[26:27], s[2:3]
	v_dual_mov_b32 v1, v3 :: v_dual_ashrrev_i32 v9, 31, v8
	s_mul_u64 s[22:23], s[22:23], s[2:3]
	v_cmp_gt_i32_e64 s2, s4, v8
	v_cmp_gt_i32_e64 s1, s20, v0
	s_delay_alu instid0(VALU_DEP_3)
	v_mul_u64_e32 v[6:7], s[24:25], v[0:1]
	v_mul_u64_e32 v[4:5], s[24:25], v[8:9]
	v_dual_lshrrev_b32 v8, 3, v0 :: v_dual_bitop2_b32 v9, 31, v0 bitop3:0x40
	v_cmp_gt_u32_e64 s3, 32, v0
	v_lshlrev_b32_e32 v2, 2, v2
	s_ashr_i32 s21, s20, 31
	v_lshlrev_b32_e32 v1, 2, v9
	v_cmp_eq_u32_e64 s4, 0, v9
	v_and_b32_e32 v19, 0x7c, v8
	s_lshl_b64 s[24:25], s[24:25], 12
	s_wait_kmcnt 0x0
	s_lshl_b64 s[18:19], s[18:19], 2
	s_lshl_b64 s[14:15], s[14:15], 2
	;; [unrolled: 1-line block ×3, first 2 shown]
	v_lshlrev_b64_e32 v[6:7], 2, v[6:7]
	s_branch .LBB225_4
.LBB225_2:                              ;   in Loop: Header=BB225_4 Depth=1
	s_wait_xcnt 0x0
	s_or_b32 exec_lo, exec_lo, s35
.LBB225_3:                              ;   in Loop: Header=BB225_4 Depth=1
	s_add_co_i32 s6, s6, 0x10000
	s_delay_alu instid0(SALU_CYCLE_1)
	s_cmp_lt_u32 s6, s5
	s_cbranch_scc0 .LBB225_40
.LBB225_4:                              ; =>This Loop Header: Depth=1
                                        ;     Child Loop BB225_29 Depth 2
	s_and_not1_b32 vcc_lo, exec_lo, s31
	s_cbranch_vccnz .LBB225_3
; %bb.5:                                ;   in Loop: Header=BB225_4 Depth=1
	s_and_not1_b32 vcc_lo, exec_lo, s30
	s_cbranch_vccnz .LBB225_7
; %bb.6:                                ;   in Loop: Header=BB225_4 Depth=1
	v_mov_b64_e32 v[10:11], 0
	v_mov_b64_e32 v[12:13], 0
	s_cbranch_execz .LBB225_8
	s_branch .LBB225_9
.LBB225_7:                              ;   in Loop: Header=BB225_4 Depth=1
	v_mov_b64_e32 v[10:11], 0
	v_mov_b64_e32 v[12:13], 0
.LBB225_8:                              ;   in Loop: Header=BB225_4 Depth=1
	s_lshl_b64 s[34:35], s[6:7], 3
	s_delay_alu instid0(SALU_CYCLE_1)
	s_add_nc_u64 s[34:35], s[8:9], s[34:35]
	global_load_b64 v[8:9], v3, s[34:35]
	s_wait_loadcnt 0x0
	v_add_nc_u64_e32 v[12:13], s[10:11], v[8:9]
.LBB225_9:                              ;   in Loop: Header=BB225_4 Depth=1
	v_cmp_ne_u32_e32 vcc_lo, 1, v18
	s_cbranch_vccnz .LBB225_11
; %bb.10:                               ;   in Loop: Header=BB225_4 Depth=1
	s_wait_xcnt 0x0
	s_lshl_b64 s[34:35], s[6:7], 3
	s_delay_alu instid0(SALU_CYCLE_1)
	s_add_nc_u64 s[34:35], s[16:17], s[34:35]
	global_load_b64 v[8:9], v3, s[34:35]
	s_wait_loadcnt 0x0
	v_add_nc_u64_e32 v[10:11], s[18:19], v[8:9]
.LBB225_11:                             ;   in Loop: Header=BB225_4 Depth=1
	s_wait_xcnt 0x0
	s_lshl_b64 s[34:35], s[6:7], 3
	s_and_not1_b32 vcc_lo, exec_lo, s30
	s_add_nc_u64 s[34:35], s[12:13], s[34:35]
	global_load_b64 v[8:9], v3, s[34:35]
	s_wait_loadcnt 0x0
	v_add_nc_u64_e32 v[8:9], s[14:15], v[8:9]
	s_cbranch_vccnz .LBB225_15
; %bb.12:                               ;   in Loop: Header=BB225_4 Depth=1
	s_wait_xcnt 0x0
	s_mov_b32 s35, 0
	s_mov_b32 s34, 0
                                        ; implicit-def: $vgpr14
	s_and_saveexec_b32 s36, s0
	s_cbranch_execz .LBB225_16
; %bb.13:                               ;   in Loop: Header=BB225_4 Depth=1
	s_and_not1_b32 vcc_lo, exec_lo, s33
	s_cbranch_vccnz .LBB225_17
; %bb.14:                               ;   in Loop: Header=BB225_4 Depth=1
	s_wait_dscnt 0x0
	v_add_nc_u64_e32 v[14:15], s[26:27], v[8:9]
	flat_load_b32 v14, v[14:15]
	s_wait_loadcnt_dscnt 0x0
	s_wait_xcnt 0x0
	v_mul_f32_e32 v14, s29, v14
	s_branch .LBB225_18
.LBB225_15:                             ;   in Loop: Header=BB225_4 Depth=1
	s_wait_xcnt 0x0
	s_mov_b32 s34, 0
                                        ; implicit-def: $vgpr14
	s_cbranch_execnz .LBB225_19
	s_branch .LBB225_38
.LBB225_16:                             ;   in Loop: Header=BB225_4 Depth=1
	s_or_b32 exec_lo, exec_lo, s36
	s_delay_alu instid0(SALU_CYCLE_1)
	s_and_b32 vcc_lo, exec_lo, s35
	s_cbranch_vccnz .LBB225_19
	s_branch .LBB225_38
.LBB225_17:                             ;   in Loop: Header=BB225_4 Depth=1
	v_mov_b32_e32 v14, 0
.LBB225_18:                             ;   in Loop: Header=BB225_4 Depth=1
	s_mov_b32 s34, exec_lo
	s_or_b32 exec_lo, exec_lo, s36
	s_delay_alu instid0(SALU_CYCLE_1)
	s_and_b32 vcc_lo, exec_lo, s35
	s_cbranch_vccz .LBB225_38
.LBB225_19:                             ;   in Loop: Header=BB225_4 Depth=1
	v_add_nc_u64_e32 v[12:13], v[12:13], v[2:3]
	v_mov_b32_e32 v22, 0
	s_delay_alu instid0(VALU_DEP_2)
	v_lshl_add_u64 v[12:13], s[22:23], 2, v[12:13]
	s_and_saveexec_b32 s35, s1
	s_cbranch_execnz .LBB225_28
; %bb.20:                               ;   in Loop: Header=BB225_4 Depth=1
	s_or_b32 exec_lo, exec_lo, s35
	s_and_saveexec_b32 s35, s2
	s_cbranch_execnz .LBB225_31
.LBB225_21:                             ;   in Loop: Header=BB225_4 Depth=1
	s_or_b32 exec_lo, exec_lo, s35
	s_and_saveexec_b32 s35, s3
.LBB225_22:                             ;   in Loop: Header=BB225_4 Depth=1
	ds_store_b32 v1, v3
.LBB225_23:                             ;   in Loop: Header=BB225_4 Depth=1
	s_or_b32 exec_lo, exec_lo, s35
	ds_bpermute_b32 v11, v21, v22
	v_cmp_gt_u32_e32 vcc_lo, 24, v20
	s_wait_dscnt 0x0
	s_barrier_signal -1
	s_barrier_wait -1
	v_cndmask_b32_e64 v10, 0, 8, vcc_lo
	v_cmp_gt_u32_e32 vcc_lo, 28, v20
	s_delay_alu instid0(VALU_DEP_2)
	v_add_lshl_u32 v10, v10, v20, 2
	v_add_f32_e32 v12, v22, v11
	v_cndmask_b32_e64 v11, 0, 4, vcc_lo
	v_cmp_gt_u32_e32 vcc_lo, 30, v20
	ds_bpermute_b32 v13, v10, v12
	v_add_lshl_u32 v11, v11, v20, 2
	s_wait_dscnt 0x0
	v_add_f32_e32 v13, v12, v13
	v_cndmask_b32_e64 v12, 0, 2, vcc_lo
	v_cmp_ne_u32_e32 vcc_lo, 31, v20
	ds_bpermute_b32 v14, v11, v13
	v_add_lshl_u32 v12, v12, v20, 2
	v_add_co_ci_u32_e64 v15, null, 0, v20, vcc_lo
	s_wait_dscnt 0x0
	v_add_f32_e32 v13, v13, v14
	ds_bpermute_b32 v14, v12, v13
	s_wait_dscnt 0x0
	v_dual_add_f32 v14, v13, v14 :: v_dual_lshlrev_b32 v13, 2, v15
	ds_bpermute_b32 v15, v13, v14
	s_and_saveexec_b32 s35, s4
	s_cbranch_execz .LBB225_25
; %bb.24:                               ;   in Loop: Header=BB225_4 Depth=1
	s_wait_dscnt 0x0
	v_add_f32_e32 v14, v14, v15
	ds_store_b32 v19, v14
.LBB225_25:                             ;   in Loop: Header=BB225_4 Depth=1
	s_or_b32 exec_lo, exec_lo, s35
	s_wait_dscnt 0x0
	v_mov_b32_e32 v15, 0
	s_barrier_signal -1
	s_barrier_wait -1
	s_and_saveexec_b32 s35, s3
	s_cbranch_execnz .LBB225_32
; %bb.26:                               ;   in Loop: Header=BB225_4 Depth=1
	s_or_b32 exec_lo, exec_lo, s35
	s_and_saveexec_b32 s35, s3
	s_cbranch_execnz .LBB225_33
.LBB225_27:                             ;   in Loop: Header=BB225_4 Depth=1
	s_or_b32 exec_lo, exec_lo, s35
                                        ; implicit-def: $vgpr14
	s_and_saveexec_b32 s35, s0
	s_cbranch_execnz .LBB225_34
	s_branch .LBB225_37
.LBB225_28:                             ;   in Loop: Header=BB225_4 Depth=1
	s_wait_dscnt 0x0
	v_add_nc_u64_e32 v[14:15], v[10:11], v[6:7]
	v_mov_b64_e32 v[16:17], v[12:13]
	v_dual_mov_b32 v22, 0 :: v_dual_mov_b32 v23, v0
	s_mov_b32 s36, 0
.LBB225_29:                             ;   Parent Loop BB225_4 Depth=1
                                        ; =>  This Inner Loop Header: Depth=2
	flat_load_b32 v24, v[16:17]
	flat_load_b32 v25, v[14:15]
	v_add_nc_u32_e32 v23, 0x400, v23
	s_wait_xcnt 0x1
	v_add_nc_u64_e32 v[16:17], 0x1000, v[16:17]
	s_wait_xcnt 0x0
	v_add_nc_u64_e32 v[14:15], s[24:25], v[14:15]
	s_wait_loadcnt_dscnt 0x0
	v_fmac_f32_e32 v22, v24, v25
	v_cmp_le_i32_e32 vcc_lo, s20, v23
	s_or_b32 s36, vcc_lo, s36
	s_delay_alu instid0(SALU_CYCLE_1)
	s_and_not1_b32 exec_lo, exec_lo, s36
	s_cbranch_execnz .LBB225_29
; %bb.30:                               ;   in Loop: Header=BB225_4 Depth=1
	s_or_b32 exec_lo, exec_lo, s36
	s_delay_alu instid0(SALU_CYCLE_1)
	s_or_b32 exec_lo, exec_lo, s35
	s_and_saveexec_b32 s35, s2
	s_cbranch_execz .LBB225_21
.LBB225_31:                             ;   in Loop: Header=BB225_4 Depth=1
	v_lshl_add_u64 v[12:13], s[20:21], 2, v[12:13]
	v_lshl_add_u64 v[10:11], v[4:5], 2, v[10:11]
	flat_load_b32 v14, v[12:13]
	s_wait_dscnt 0x1
	flat_load_b32 v15, v[10:11]
	s_wait_loadcnt_dscnt 0x0
	v_fmac_f32_e32 v22, v14, v15
	s_wait_xcnt 0x0
	s_or_b32 exec_lo, exec_lo, s35
	s_and_saveexec_b32 s35, s3
	s_cbranch_execnz .LBB225_22
	s_branch .LBB225_23
.LBB225_32:                             ;   in Loop: Header=BB225_4 Depth=1
	ds_load_b32 v15, v1
	s_or_b32 exec_lo, exec_lo, s35
	s_and_saveexec_b32 s35, s3
	s_cbranch_execz .LBB225_27
.LBB225_33:                             ;   in Loop: Header=BB225_4 Depth=1
	s_wait_dscnt 0x0
	ds_bpermute_b32 v14, v21, v15
	s_wait_dscnt 0x0
	v_add_f32_e32 v14, v15, v14
	ds_bpermute_b32 v10, v10, v14
	s_wait_dscnt 0x0
	v_add_f32_e32 v10, v14, v10
	;; [unrolled: 3-line block ×5, first 2 shown]
	s_or_b32 exec_lo, exec_lo, s35
                                        ; implicit-def: $vgpr14
	s_and_saveexec_b32 s35, s0
	s_cbranch_execz .LBB225_37
.LBB225_34:                             ;   in Loop: Header=BB225_4 Depth=1
	s_wait_dscnt 0x0
	v_mul_f32_e32 v14, s28, v15
	s_and_not1_b32 vcc_lo, exec_lo, s33
	s_cbranch_vccnz .LBB225_36
; %bb.35:                               ;   in Loop: Header=BB225_4 Depth=1
	v_add_nc_u64_e32 v[10:11], s[26:27], v[8:9]
	flat_load_b32 v10, v[10:11]
	s_wait_loadcnt_dscnt 0x0
	v_fmac_f32_e32 v14, s29, v10
.LBB225_36:                             ;   in Loop: Header=BB225_4 Depth=1
	s_or_b32 s34, s34, exec_lo
.LBB225_37:                             ;   in Loop: Header=BB225_4 Depth=1
	s_wait_xcnt 0x0
	s_or_b32 exec_lo, exec_lo, s35
.LBB225_38:                             ;   in Loop: Header=BB225_4 Depth=1
	s_and_saveexec_b32 s35, s34
	s_cbranch_execz .LBB225_2
; %bb.39:                               ;   in Loop: Header=BB225_4 Depth=1
	v_add_nc_u64_e32 v[8:9], s[26:27], v[8:9]
	flat_store_b32 v[8:9], v14
	s_branch .LBB225_2
.LBB225_40:
	s_endpgm
	.section	.rodata,"a",@progbits
	.p2align	6, 0x0
	.amdhsa_kernel _ZL32rocblas_gemvt_warp_reduce_kernelILb0ELi1024ElPKffKPfEviiT3_lPKT2_lT1_lS7_lS8_lS4_lPT4_lS8_li
		.amdhsa_group_segment_fixed_size 128
		.amdhsa_private_segment_fixed_size 0
		.amdhsa_kernarg_size 140
		.amdhsa_user_sgpr_count 2
		.amdhsa_user_sgpr_dispatch_ptr 0
		.amdhsa_user_sgpr_queue_ptr 0
		.amdhsa_user_sgpr_kernarg_segment_ptr 1
		.amdhsa_user_sgpr_dispatch_id 0
		.amdhsa_user_sgpr_kernarg_preload_length 0
		.amdhsa_user_sgpr_kernarg_preload_offset 0
		.amdhsa_user_sgpr_private_segment_size 0
		.amdhsa_wavefront_size32 1
		.amdhsa_uses_dynamic_stack 0
		.amdhsa_enable_private_segment 0
		.amdhsa_system_sgpr_workgroup_id_x 1
		.amdhsa_system_sgpr_workgroup_id_y 0
		.amdhsa_system_sgpr_workgroup_id_z 1
		.amdhsa_system_sgpr_workgroup_info 0
		.amdhsa_system_vgpr_workitem_id 0
		.amdhsa_next_free_vgpr 26
		.amdhsa_next_free_sgpr 37
		.amdhsa_named_barrier_count 0
		.amdhsa_reserve_vcc 1
		.amdhsa_float_round_mode_32 0
		.amdhsa_float_round_mode_16_64 0
		.amdhsa_float_denorm_mode_32 3
		.amdhsa_float_denorm_mode_16_64 3
		.amdhsa_fp16_overflow 0
		.amdhsa_memory_ordered 1
		.amdhsa_forward_progress 1
		.amdhsa_inst_pref_size 12
		.amdhsa_round_robin_scheduling 0
		.amdhsa_exception_fp_ieee_invalid_op 0
		.amdhsa_exception_fp_denorm_src 0
		.amdhsa_exception_fp_ieee_div_zero 0
		.amdhsa_exception_fp_ieee_overflow 0
		.amdhsa_exception_fp_ieee_underflow 0
		.amdhsa_exception_fp_ieee_inexact 0
		.amdhsa_exception_int_div_zero 0
	.end_amdhsa_kernel
	.section	.text._ZL32rocblas_gemvt_warp_reduce_kernelILb0ELi1024ElPKffKPfEviiT3_lPKT2_lT1_lS7_lS8_lS4_lPT4_lS8_li,"axG",@progbits,_ZL32rocblas_gemvt_warp_reduce_kernelILb0ELi1024ElPKffKPfEviiT3_lPKT2_lT1_lS7_lS8_lS4_lPT4_lS8_li,comdat
.Lfunc_end225:
	.size	_ZL32rocblas_gemvt_warp_reduce_kernelILb0ELi1024ElPKffKPfEviiT3_lPKT2_lT1_lS7_lS8_lS4_lPT4_lS8_li, .Lfunc_end225-_ZL32rocblas_gemvt_warp_reduce_kernelILb0ELi1024ElPKffKPfEviiT3_lPKT2_lT1_lS7_lS8_lS4_lPT4_lS8_li
                                        ; -- End function
	.set _ZL32rocblas_gemvt_warp_reduce_kernelILb0ELi1024ElPKffKPfEviiT3_lPKT2_lT1_lS7_lS8_lS4_lPT4_lS8_li.num_vgpr, 26
	.set _ZL32rocblas_gemvt_warp_reduce_kernelILb0ELi1024ElPKffKPfEviiT3_lPKT2_lT1_lS7_lS8_lS4_lPT4_lS8_li.num_agpr, 0
	.set _ZL32rocblas_gemvt_warp_reduce_kernelILb0ELi1024ElPKffKPfEviiT3_lPKT2_lT1_lS7_lS8_lS4_lPT4_lS8_li.numbered_sgpr, 37
	.set _ZL32rocblas_gemvt_warp_reduce_kernelILb0ELi1024ElPKffKPfEviiT3_lPKT2_lT1_lS7_lS8_lS4_lPT4_lS8_li.num_named_barrier, 0
	.set _ZL32rocblas_gemvt_warp_reduce_kernelILb0ELi1024ElPKffKPfEviiT3_lPKT2_lT1_lS7_lS8_lS4_lPT4_lS8_li.private_seg_size, 0
	.set _ZL32rocblas_gemvt_warp_reduce_kernelILb0ELi1024ElPKffKPfEviiT3_lPKT2_lT1_lS7_lS8_lS4_lPT4_lS8_li.uses_vcc, 1
	.set _ZL32rocblas_gemvt_warp_reduce_kernelILb0ELi1024ElPKffKPfEviiT3_lPKT2_lT1_lS7_lS8_lS4_lPT4_lS8_li.uses_flat_scratch, 0
	.set _ZL32rocblas_gemvt_warp_reduce_kernelILb0ELi1024ElPKffKPfEviiT3_lPKT2_lT1_lS7_lS8_lS4_lPT4_lS8_li.has_dyn_sized_stack, 0
	.set _ZL32rocblas_gemvt_warp_reduce_kernelILb0ELi1024ElPKffKPfEviiT3_lPKT2_lT1_lS7_lS8_lS4_lPT4_lS8_li.has_recursion, 0
	.set _ZL32rocblas_gemvt_warp_reduce_kernelILb0ELi1024ElPKffKPfEviiT3_lPKT2_lT1_lS7_lS8_lS4_lPT4_lS8_li.has_indirect_call, 0
	.section	.AMDGPU.csdata,"",@progbits
; Kernel info:
; codeLenInByte = 1444
; TotalNumSgprs: 39
; NumVgprs: 26
; ScratchSize: 0
; MemoryBound: 0
; FloatMode: 240
; IeeeMode: 1
; LDSByteSize: 128 bytes/workgroup (compile time only)
; SGPRBlocks: 0
; VGPRBlocks: 1
; NumSGPRsForWavesPerEU: 39
; NumVGPRsForWavesPerEU: 26
; NamedBarCnt: 0
; Occupancy: 16
; WaveLimiterHint : 1
; COMPUTE_PGM_RSRC2:SCRATCH_EN: 0
; COMPUTE_PGM_RSRC2:USER_SGPR: 2
; COMPUTE_PGM_RSRC2:TRAP_HANDLER: 0
; COMPUTE_PGM_RSRC2:TGID_X_EN: 1
; COMPUTE_PGM_RSRC2:TGID_Y_EN: 0
; COMPUTE_PGM_RSRC2:TGID_Z_EN: 1
; COMPUTE_PGM_RSRC2:TIDIG_COMP_CNT: 0
	.section	.text._ZL22rocblas_gemvtsm_kernelILb1ELi256EPKfS1_KPfEviiT2_lPKT1_lilS7_lilS4_lPT3_lil,"axG",@progbits,_ZL22rocblas_gemvtsm_kernelILb1ELi256EPKfS1_KPfEviiT2_lPKT1_lilS7_lilS4_lPT3_lil,comdat
	.globl	_ZL22rocblas_gemvtsm_kernelILb1ELi256EPKfS1_KPfEviiT2_lPKT1_lilS7_lilS4_lPT3_lil ; -- Begin function _ZL22rocblas_gemvtsm_kernelILb1ELi256EPKfS1_KPfEviiT2_lPKT1_lilS7_lilS4_lPT3_lil
	.p2align	8
	.type	_ZL22rocblas_gemvtsm_kernelILb1ELi256EPKfS1_KPfEviiT2_lPKT1_lilS7_lilS4_lPT3_lil,@function
_ZL22rocblas_gemvtsm_kernelILb1ELi256EPKfS1_KPfEviiT2_lPKT1_lilS7_lilS4_lPT3_lil: ; @_ZL22rocblas_gemvtsm_kernelILb1ELi256EPKfS1_KPfEviiT2_lPKT1_lilS7_lilS4_lPT3_lil
; %bb.0:
	s_clause 0x1
	s_load_b256 s[12:19], s[0:1], 0x8
	s_load_b256 s[4:11], s[0:1], 0x58
	s_bfe_u32 s2, ttmp6, 0x4000c
	s_and_b32 s3, ttmp6, 15
	s_add_co_i32 s2, s2, 1
	s_getreg_b32 s20, hwreg(HW_REG_IB_STS2, 6, 4)
	s_mul_i32 s2, ttmp9, s2
	s_delay_alu instid0(SALU_CYCLE_1)
	s_add_co_i32 s2, s3, s2
	s_cmp_eq_u32 s20, 0
	s_mov_b32 s3, 0
	s_cselect_b32 s2, ttmp9, s2
	s_wait_kmcnt 0x0
	s_mul_u64 s[14:15], s[14:15], s[2:3]
	s_mul_u64 s[6:7], s[6:7], s[2:3]
	s_lshl_b64 s[14:15], s[14:15], 2
	s_lshl_b64 s[6:7], s[6:7], 2
	s_add_nc_u64 s[12:13], s[12:13], s[14:15]
	s_add_nc_u64 s[4:5], s[4:5], s[6:7]
	s_load_b32 s21, s[12:13], 0x0
	s_load_b32 s20, s[4:5], 0x0
	s_wait_kmcnt 0x0
	s_cmp_eq_f32 s21, 0
	s_cselect_b32 s4, -1, 0
	s_cmp_eq_f32 s20, 1.0
	s_cselect_b32 s5, -1, 0
	s_delay_alu instid0(SALU_CYCLE_1) | instskip(NEXT) | instid1(SALU_CYCLE_1)
	s_and_b32 s4, s4, s5
	s_and_b32 vcc_lo, exec_lo, s4
	s_cbranch_vccnz .LBB226_38
; %bb.1:
	s_cmp_neq_f32 s21, 0
	s_mov_b64 s[12:13], 0
	s_mov_b64 s[6:7], 0
	s_cselect_b32 s4, -1, 0
	s_cmp_eq_f32 s21, 0
	s_cselect_b32 s5, -1, 0
	s_delay_alu instid0(SALU_CYCLE_1)
	s_and_b32 vcc_lo, exec_lo, s5
	s_cbranch_vccnz .LBB226_3
; %bb.2:
	s_lshl_b64 s[6:7], s[2:3], 3
	s_lshl_b64 s[14:15], s[18:19], 2
	s_add_nc_u64 s[6:7], s[16:17], s[6:7]
	s_load_b64 s[6:7], s[6:7], 0x0
	s_wait_kmcnt 0x0
	s_add_nc_u64 s[6:7], s[6:7], s[14:15]
.LBB226_3:
	s_and_not1_b32 vcc_lo, exec_lo, s4
	s_cbranch_vccnz .LBB226_5
; %bb.4:
	s_load_b128 s[12:15], s[0:1], 0x38
	s_lshl_b64 s[16:17], s[2:3], 3
	s_wait_kmcnt 0x0
	s_add_nc_u64 s[12:13], s[12:13], s[16:17]
	s_lshl_b64 s[14:15], s[14:15], 2
	s_load_b64 s[12:13], s[12:13], 0x0
	s_wait_kmcnt 0x0
	s_add_nc_u64 s[12:13], s[12:13], s[14:15]
.LBB226_5:
	s_lshl_b64 s[2:3], s[2:3], 3
	s_and_not1_b32 vcc_lo, exec_lo, s5
	s_add_nc_u64 s[14:15], s[8:9], s[2:3]
	s_clause 0x1
	s_load_b64 s[2:3], s[0:1], 0x0
	s_load_b32 s4, s[0:1], 0x78
	s_load_b64 s[8:9], s[14:15], 0x0
	s_mov_b32 s5, -1
	s_cbranch_vccnz .LBB226_20
; %bb.6:
	s_wait_kmcnt 0x0
	s_cmp_gt_i32 s3, 0
	s_cselect_b32 s16, -1, 0
	s_cmp_neq_f32 s20, 0
	v_cndmask_b32_e64 v1, 0, 1, s16
	s_delay_alu instid0(VALU_DEP_1)
	v_cmp_ne_u32_e32 vcc_lo, 1, v1
	s_cbranch_scc1 .LBB226_13
; %bb.7:
	s_and_b32 vcc_lo, exec_lo, vcc_lo
	s_cbranch_vccnz .LBB226_12
; %bb.8:
	v_mov_b32_e32 v1, 0
	s_ashr_i32 s5, s4, 31
	s_lshl_b64 s[14:15], s[10:11], 2
	s_delay_alu instid0(SALU_CYCLE_1) | instskip(NEXT) | instid1(VALU_DEP_1)
	s_add_nc_u64 s[14:15], s[8:9], s[14:15]
	v_mul_u64_e32 v[2:3], s[4:5], v[0:1]
	s_delay_alu instid0(VALU_DEP_1)
	v_lshl_add_u64 v[2:3], v[2:3], 2, s[14:15]
	s_lshl_b64 s[14:15], s[4:5], 10
	s_mov_b32 s5, 0
	s_branch .LBB226_10
.LBB226_9:                              ;   in Loop: Header=BB226_10 Depth=1
	s_wait_xcnt 0x0
	s_or_b32 exec_lo, exec_lo, s17
	v_add_nc_u64_e32 v[2:3], s[14:15], v[2:3]
	s_addk_co_i32 s5, 0x100
	s_delay_alu instid0(SALU_CYCLE_1)
	s_cmp_ge_i32 s5, s3
	s_cbranch_scc1 .LBB226_12
.LBB226_10:                             ; =>This Inner Loop Header: Depth=1
	v_add_nc_u32_e32 v4, s5, v0
	s_mov_b32 s17, exec_lo
	s_delay_alu instid0(VALU_DEP_1)
	v_cmpx_gt_i32_e64 s3, v4
	s_cbranch_execz .LBB226_9
; %bb.11:                               ;   in Loop: Header=BB226_10 Depth=1
	flat_store_b32 v[2:3], v1
	s_branch .LBB226_9
.LBB226_12:
	s_mov_b32 s5, 0
.LBB226_13:
	s_delay_alu instid0(SALU_CYCLE_1)
	s_and_not1_b32 vcc_lo, exec_lo, s5
	s_cbranch_vccnz .LBB226_19
; %bb.14:
	s_and_not1_b32 vcc_lo, exec_lo, s16
	s_cbranch_vccnz .LBB226_19
; %bb.15:
	v_mov_b32_e32 v1, 0
	s_ashr_i32 s5, s4, 31
	s_lshl_b64 s[14:15], s[10:11], 2
	s_delay_alu instid0(SALU_CYCLE_1) | instskip(NEXT) | instid1(VALU_DEP_1)
	s_add_nc_u64 s[14:15], s[8:9], s[14:15]
	v_mul_u64_e32 v[2:3], s[4:5], v[0:1]
	s_delay_alu instid0(VALU_DEP_1)
	v_lshl_add_u64 v[2:3], v[2:3], 2, s[14:15]
	s_lshl_b64 s[14:15], s[4:5], 10
	s_mov_b32 s5, 0
	s_branch .LBB226_17
.LBB226_16:                             ;   in Loop: Header=BB226_17 Depth=1
	s_wait_xcnt 0x0
	s_or_b32 exec_lo, exec_lo, s16
	v_add_nc_u64_e32 v[2:3], s[14:15], v[2:3]
	s_addk_co_i32 s5, 0x100
	s_delay_alu instid0(SALU_CYCLE_1)
	s_cmp_ge_i32 s5, s3
	s_cbranch_scc1 .LBB226_19
.LBB226_17:                             ; =>This Inner Loop Header: Depth=1
	v_add_nc_u32_e32 v1, s5, v0
	s_mov_b32 s16, exec_lo
	s_delay_alu instid0(VALU_DEP_1)
	v_cmpx_gt_i32_e64 s3, v1
	s_cbranch_execz .LBB226_16
; %bb.18:                               ;   in Loop: Header=BB226_17 Depth=1
	flat_load_b32 v1, v[2:3]
	s_wait_loadcnt_dscnt 0x0
	v_mul_f32_e32 v1, s20, v1
	flat_store_b32 v[2:3], v1
	s_branch .LBB226_16
.LBB226_19:
	s_mov_b32 s5, 0
.LBB226_20:
	s_delay_alu instid0(SALU_CYCLE_1)
	s_and_not1_b32 vcc_lo, exec_lo, s5
	s_cbranch_vccnz .LBB226_38
; %bb.21:
	s_mov_b32 s5, exec_lo
	s_wait_kmcnt 0x0
	v_cmpx_gt_i32_e64 s2, v0
	s_cbranch_execz .LBB226_23
; %bb.22:
	s_load_b32 s14, s[0:1], 0x48
	v_mov_b32_e32 v1, 0
	s_wait_kmcnt 0x0
	s_ashr_i32 s15, s14, 31
	s_delay_alu instid0(VALU_DEP_1) | instid1(SALU_CYCLE_1)
	v_mul_u64_e32 v[2:3], s[14:15], v[0:1]
	s_delay_alu instid0(VALU_DEP_1)
	v_lshl_add_u64 v[2:3], v[2:3], 2, s[12:13]
	flat_load_b32 v1, v[2:3]
	s_wait_loadcnt_dscnt 0x0
	v_dual_mul_f32 v1, s21, v1 :: v_dual_lshlrev_b32 v2, 2, v0
	ds_store_b32 v2, v1
.LBB226_23:
	s_or_b32 exec_lo, exec_lo, s5
	s_cmp_lt_i32 s3, 1
	s_wait_storecnt_dscnt 0x0
	s_barrier_signal -1
	s_barrier_wait -1
	s_cbranch_scc1 .LBB226_38
; %bb.24:
	s_load_b32 s16, s[0:1], 0x28
	v_mov_b32_e32 v3, 0
	s_wait_xcnt 0x0
	s_lshl_b64 s[0:1], s[10:11], 2
	s_ashr_i32 s5, s4, 31
	s_add_nc_u64 s[0:1], s[8:9], s[0:1]
	s_mov_b32 s15, 0
	v_mov_b32_e32 v1, v3
	s_wait_kmcnt 0x0
	s_ashr_i32 s17, s16, 31
	s_cmp_neq_f32 s20, 0
	s_delay_alu instid0(VALU_DEP_1)
	v_mul_u64_e32 v[4:5], s[16:17], v[0:1]
	s_cselect_b32 s10, -1, 0
	s_cmp_gt_i32 s2, 0
	s_cselect_b32 s11, -1, 0
	s_and_b32 s12, s2, 7
	s_cmp_gt_u32 s2, 7
	s_cselect_b32 s13, -1, 0
	s_and_b32 s2, s2, 0x7ffffff8
	s_cmp_lg_u32 s12, 0
	s_cselect_b32 s14, -1, 0
	s_lshl_b64 s[8:9], s[16:17], 10
	s_delay_alu instid0(VALU_DEP_1) | instskip(SKIP_1) | instid1(VALU_DEP_1)
	v_lshl_add_u64 v[4:5], v[4:5], 2, s[6:7]
	s_mov_b32 s7, 0
	v_add_nc_u64_e32 v[6:7], 28, v[4:5]
	s_branch .LBB226_27
.LBB226_25:                             ;   in Loop: Header=BB226_27 Depth=1
	flat_store_b32 v[8:9], v1
.LBB226_26:                             ;   in Loop: Header=BB226_27 Depth=1
	s_wait_xcnt 0x0
	s_or_b32 exec_lo, exec_lo, s16
	v_add_nc_u64_e32 v[6:7], s[8:9], v[6:7]
	v_add_nc_u64_e32 v[4:5], s[8:9], v[4:5]
	s_addk_co_i32 s15, 0x100
	s_delay_alu instid0(SALU_CYCLE_1)
	s_cmp_ge_i32 s15, s3
	s_cbranch_scc1 .LBB226_38
.LBB226_27:                             ; =>This Loop Header: Depth=1
                                        ;     Child Loop BB226_33 Depth 2
                                        ;     Child Loop BB226_37 Depth 2
	v_add_nc_u32_e32 v2, s15, v0
	s_mov_b32 s16, exec_lo
	s_delay_alu instid0(VALU_DEP_1)
	v_cmpx_gt_i32_e64 s3, v2
	s_cbranch_execz .LBB226_26
; %bb.28:                               ;   in Loop: Header=BB226_27 Depth=1
	v_mul_u64_e32 v[8:9], s[4:5], v[2:3]
	s_and_not1_b32 vcc_lo, exec_lo, s10
	s_delay_alu instid0(VALU_DEP_1)
	v_lshl_add_u64 v[8:9], v[8:9], 2, s[0:1]
	s_cbranch_vccnz .LBB226_30
; %bb.29:                               ;   in Loop: Header=BB226_27 Depth=1
	flat_load_b32 v1, v[8:9]
	s_wait_loadcnt_dscnt 0x0
	v_mul_f32_e32 v1, s20, v1
	s_and_not1_b32 vcc_lo, exec_lo, s11
	s_cbranch_vccz .LBB226_31
	s_branch .LBB226_25
.LBB226_30:                             ;   in Loop: Header=BB226_27 Depth=1
	v_mov_b32_e32 v1, 0
	s_and_not1_b32 vcc_lo, exec_lo, s11
	s_cbranch_vccnz .LBB226_25
.LBB226_31:                             ;   in Loop: Header=BB226_27 Depth=1
	s_and_not1_b32 vcc_lo, exec_lo, s13
	s_mov_b32 s6, 0
	s_cbranch_vccnz .LBB226_35
; %bb.32:                               ;   in Loop: Header=BB226_27 Depth=1
	v_mov_b64_e32 v[10:11], v[6:7]
	s_mov_b32 s17, 0
.LBB226_33:                             ;   Parent Loop BB226_27 Depth=1
                                        ; =>  This Inner Loop Header: Depth=2
	s_clause 0x1
	flat_load_b128 v[12:15], v[10:11] offset:-28
	flat_load_b128 v[16:19], v[10:11] offset:-12
	v_mov_b32_e32 v2, s6
	s_wait_xcnt 0x0
	v_add_nc_u64_e32 v[10:11], 32, v[10:11]
	s_add_co_i32 s17, s17, 8
	s_add_co_i32 s6, s6, 32
	ds_load_b128 v[20:23], v2
	ds_load_b128 v[24:27], v2 offset:16
	s_cmp_eq_u32 s2, s17
	s_wait_loadcnt_dscnt 0x101
	v_fmac_f32_e32 v1, v20, v12
	s_delay_alu instid0(VALU_DEP_1) | instskip(NEXT) | instid1(VALU_DEP_1)
	v_fmac_f32_e32 v1, v21, v13
	v_fmac_f32_e32 v1, v22, v14
	s_delay_alu instid0(VALU_DEP_1) | instskip(SKIP_1) | instid1(VALU_DEP_1)
	v_fmac_f32_e32 v1, v23, v15
	s_wait_loadcnt_dscnt 0x0
	v_fmac_f32_e32 v1, v24, v16
	s_delay_alu instid0(VALU_DEP_1) | instskip(NEXT) | instid1(VALU_DEP_1)
	v_fmac_f32_e32 v1, v25, v17
	v_fmac_f32_e32 v1, v26, v18
	s_delay_alu instid0(VALU_DEP_1)
	v_fmac_f32_e32 v1, v27, v19
	s_cbranch_scc0 .LBB226_33
; %bb.34:                               ;   in Loop: Header=BB226_27 Depth=1
	s_mov_b32 s6, s2
.LBB226_35:                             ;   in Loop: Header=BB226_27 Depth=1
	s_and_not1_b32 vcc_lo, exec_lo, s14
	s_cbranch_vccnz .LBB226_25
; %bb.36:                               ;   in Loop: Header=BB226_27 Depth=1
	v_lshl_add_u64 v[10:11], s[6:7], 2, v[4:5]
	s_lshl_b32 s6, s6, 2
	s_mov_b32 s17, s12
.LBB226_37:                             ;   Parent Loop BB226_27 Depth=1
                                        ; =>  This Inner Loop Header: Depth=2
	flat_load_b32 v2, v[10:11]
	v_mov_b32_e32 v12, s6
	s_wait_xcnt 0x0
	v_add_nc_u64_e32 v[10:11], 4, v[10:11]
	s_add_co_i32 s17, s17, -1
	s_add_co_i32 s6, s6, 4
	s_cmp_lg_u32 s17, 0
	ds_load_b32 v12, v12
	s_wait_loadcnt_dscnt 0x0
	v_fmac_f32_e32 v1, v12, v2
	s_cbranch_scc1 .LBB226_37
	s_branch .LBB226_25
.LBB226_38:
	s_endpgm
	.section	.rodata,"a",@progbits
	.p2align	6, 0x0
	.amdhsa_kernel _ZL22rocblas_gemvtsm_kernelILb1ELi256EPKfS1_KPfEviiT2_lPKT1_lilS7_lilS4_lPT3_lil
		.amdhsa_group_segment_fixed_size 256
		.amdhsa_private_segment_fixed_size 0
		.amdhsa_kernarg_size 136
		.amdhsa_user_sgpr_count 2
		.amdhsa_user_sgpr_dispatch_ptr 0
		.amdhsa_user_sgpr_queue_ptr 0
		.amdhsa_user_sgpr_kernarg_segment_ptr 1
		.amdhsa_user_sgpr_dispatch_id 0
		.amdhsa_user_sgpr_kernarg_preload_length 0
		.amdhsa_user_sgpr_kernarg_preload_offset 0
		.amdhsa_user_sgpr_private_segment_size 0
		.amdhsa_wavefront_size32 1
		.amdhsa_uses_dynamic_stack 0
		.amdhsa_enable_private_segment 0
		.amdhsa_system_sgpr_workgroup_id_x 1
		.amdhsa_system_sgpr_workgroup_id_y 0
		.amdhsa_system_sgpr_workgroup_id_z 0
		.amdhsa_system_sgpr_workgroup_info 0
		.amdhsa_system_vgpr_workitem_id 0
		.amdhsa_next_free_vgpr 28
		.amdhsa_next_free_sgpr 22
		.amdhsa_named_barrier_count 0
		.amdhsa_reserve_vcc 1
		.amdhsa_float_round_mode_32 0
		.amdhsa_float_round_mode_16_64 0
		.amdhsa_float_denorm_mode_32 3
		.amdhsa_float_denorm_mode_16_64 3
		.amdhsa_fp16_overflow 0
		.amdhsa_memory_ordered 1
		.amdhsa_forward_progress 1
		.amdhsa_inst_pref_size 10
		.amdhsa_round_robin_scheduling 0
		.amdhsa_exception_fp_ieee_invalid_op 0
		.amdhsa_exception_fp_denorm_src 0
		.amdhsa_exception_fp_ieee_div_zero 0
		.amdhsa_exception_fp_ieee_overflow 0
		.amdhsa_exception_fp_ieee_underflow 0
		.amdhsa_exception_fp_ieee_inexact 0
		.amdhsa_exception_int_div_zero 0
	.end_amdhsa_kernel
	.section	.text._ZL22rocblas_gemvtsm_kernelILb1ELi256EPKfS1_KPfEviiT2_lPKT1_lilS7_lilS4_lPT3_lil,"axG",@progbits,_ZL22rocblas_gemvtsm_kernelILb1ELi256EPKfS1_KPfEviiT2_lPKT1_lilS7_lilS4_lPT3_lil,comdat
.Lfunc_end226:
	.size	_ZL22rocblas_gemvtsm_kernelILb1ELi256EPKfS1_KPfEviiT2_lPKT1_lilS7_lilS4_lPT3_lil, .Lfunc_end226-_ZL22rocblas_gemvtsm_kernelILb1ELi256EPKfS1_KPfEviiT2_lPKT1_lilS7_lilS4_lPT3_lil
                                        ; -- End function
	.set _ZL22rocblas_gemvtsm_kernelILb1ELi256EPKfS1_KPfEviiT2_lPKT1_lilS7_lilS4_lPT3_lil.num_vgpr, 28
	.set _ZL22rocblas_gemvtsm_kernelILb1ELi256EPKfS1_KPfEviiT2_lPKT1_lilS7_lilS4_lPT3_lil.num_agpr, 0
	.set _ZL22rocblas_gemvtsm_kernelILb1ELi256EPKfS1_KPfEviiT2_lPKT1_lilS7_lilS4_lPT3_lil.numbered_sgpr, 22
	.set _ZL22rocblas_gemvtsm_kernelILb1ELi256EPKfS1_KPfEviiT2_lPKT1_lilS7_lilS4_lPT3_lil.num_named_barrier, 0
	.set _ZL22rocblas_gemvtsm_kernelILb1ELi256EPKfS1_KPfEviiT2_lPKT1_lilS7_lilS4_lPT3_lil.private_seg_size, 0
	.set _ZL22rocblas_gemvtsm_kernelILb1ELi256EPKfS1_KPfEviiT2_lPKT1_lilS7_lilS4_lPT3_lil.uses_vcc, 1
	.set _ZL22rocblas_gemvtsm_kernelILb1ELi256EPKfS1_KPfEviiT2_lPKT1_lilS7_lilS4_lPT3_lil.uses_flat_scratch, 1
	.set _ZL22rocblas_gemvtsm_kernelILb1ELi256EPKfS1_KPfEviiT2_lPKT1_lilS7_lilS4_lPT3_lil.has_dyn_sized_stack, 0
	.set _ZL22rocblas_gemvtsm_kernelILb1ELi256EPKfS1_KPfEviiT2_lPKT1_lilS7_lilS4_lPT3_lil.has_recursion, 0
	.set _ZL22rocblas_gemvtsm_kernelILb1ELi256EPKfS1_KPfEviiT2_lPKT1_lilS7_lilS4_lPT3_lil.has_indirect_call, 0
	.section	.AMDGPU.csdata,"",@progbits
; Kernel info:
; codeLenInByte = 1256
; TotalNumSgprs: 24
; NumVgprs: 28
; ScratchSize: 0
; MemoryBound: 0
; FloatMode: 240
; IeeeMode: 1
; LDSByteSize: 256 bytes/workgroup (compile time only)
; SGPRBlocks: 0
; VGPRBlocks: 1
; NumSGPRsForWavesPerEU: 24
; NumVGPRsForWavesPerEU: 28
; NamedBarCnt: 0
; Occupancy: 16
; WaveLimiterHint : 1
; COMPUTE_PGM_RSRC2:SCRATCH_EN: 0
; COMPUTE_PGM_RSRC2:USER_SGPR: 2
; COMPUTE_PGM_RSRC2:TRAP_HANDLER: 0
; COMPUTE_PGM_RSRC2:TGID_X_EN: 1
; COMPUTE_PGM_RSRC2:TGID_Y_EN: 0
; COMPUTE_PGM_RSRC2:TGID_Z_EN: 0
; COMPUTE_PGM_RSRC2:TIDIG_COMP_CNT: 0
	.section	.text._ZL22rocblas_gemvtsm_kernelILb1ELi256EPKffKPfEviiT2_lPKT1_lilS7_lilS4_lPT3_lil,"axG",@progbits,_ZL22rocblas_gemvtsm_kernelILb1ELi256EPKffKPfEviiT2_lPKT1_lilS7_lilS4_lPT3_lil,comdat
	.globl	_ZL22rocblas_gemvtsm_kernelILb1ELi256EPKffKPfEviiT2_lPKT1_lilS7_lilS4_lPT3_lil ; -- Begin function _ZL22rocblas_gemvtsm_kernelILb1ELi256EPKffKPfEviiT2_lPKT1_lilS7_lilS4_lPT3_lil
	.p2align	8
	.type	_ZL22rocblas_gemvtsm_kernelILb1ELi256EPKffKPfEviiT2_lPKT1_lilS7_lilS4_lPT3_lil,@function
_ZL22rocblas_gemvtsm_kernelILb1ELi256EPKffKPfEviiT2_lPKT1_lilS7_lilS4_lPT3_lil: ; @_ZL22rocblas_gemvtsm_kernelILb1ELi256EPKffKPfEviiT2_lPKT1_lilS7_lilS4_lPT3_lil
; %bb.0:
	s_clause 0x1
	s_load_b96 s[8:10], s[0:1], 0x0
	s_load_b32 s11, s[0:1], 0x58
	s_mov_b32 s5, 0
	s_wait_kmcnt 0x0
	s_cmp_eq_f32 s10, 0
	s_cselect_b32 s2, -1, 0
	s_cmp_eq_f32 s11, 1.0
	s_cselect_b32 s3, -1, 0
	s_delay_alu instid0(SALU_CYCLE_1) | instskip(NEXT) | instid1(SALU_CYCLE_1)
	s_and_b32 s2, s2, s3
	s_and_b32 vcc_lo, exec_lo, s2
	s_cbranch_vccnz .LBB227_40
; %bb.1:
	s_bfe_u32 s2, ttmp6, 0x4000c
	s_and_b32 s3, ttmp6, 15
	s_add_co_i32 s2, s2, 1
	s_getreg_b32 s4, hwreg(HW_REG_IB_STS2, 6, 4)
	s_mul_i32 s2, ttmp9, s2
	s_delay_alu instid0(SALU_CYCLE_1)
	s_add_co_i32 s3, s3, s2
	s_cmp_eq_u32 s4, 0
	s_cselect_b32 s4, ttmp9, s3
	s_cmp_neq_f32 s10, 0
	s_cselect_b32 s6, -1, 0
	s_cmp_eq_f32 s10, 0
	s_cselect_b32 s16, -1, 0
	s_and_b32 vcc_lo, exec_lo, s6
	s_cbranch_vccnz .LBB227_3
; %bb.2:
	s_mov_b32 s3, 0
	s_mov_b32 s2, s4
	;; [unrolled: 1-line block ×3, first 2 shown]
	s_mov_b64 s[14:15], 0
	s_and_not1_b32 vcc_lo, exec_lo, s7
	s_mov_b64 s[12:13], 0
	s_cbranch_vccz .LBB227_4
	s_branch .LBB227_5
.LBB227_3:
	s_mov_b64 s[2:3], s[4:5]
	s_mov_b64 s[14:15], 0
	;; [unrolled: 1-line block ×3, first 2 shown]
.LBB227_4:
	s_load_b128 s[20:23], s[0:1], 0x18
	s_lshl_b64 s[4:5], s[4:5], 3
	s_wait_kmcnt 0x0
	s_add_nc_u64 s[4:5], s[20:21], s[4:5]
	s_lshl_b64 s[12:13], s[22:23], 2
	s_load_b64 s[4:5], s[4:5], 0x0
	s_wait_kmcnt 0x0
	s_add_nc_u64 s[12:13], s[4:5], s[12:13]
.LBB227_5:
	s_and_not1_b32 vcc_lo, exec_lo, s6
	s_cbranch_vccnz .LBB227_7
; %bb.6:
	s_load_b128 s[4:7], s[0:1], 0x38
	s_lshl_b64 s[14:15], s[2:3], 3
	s_wait_kmcnt 0x0
	s_add_nc_u64 s[4:5], s[4:5], s[14:15]
	s_lshl_b64 s[6:7], s[6:7], 2
	s_load_b64 s[4:5], s[4:5], 0x0
	s_wait_kmcnt 0x0
	s_add_nc_u64 s[14:15], s[4:5], s[6:7]
.LBB227_7:
	s_load_b128 s[4:7], s[0:1], 0x68
	s_lshl_b64 s[18:19], s[2:3], 3
	s_load_b32 s2, s[0:1], 0x78
	s_and_not1_b32 vcc_lo, exec_lo, s16
	s_mov_b32 s3, -1
	s_wait_kmcnt 0x0
	s_add_nc_u64 s[4:5], s[4:5], s[18:19]
	s_load_b64 s[4:5], s[4:5], 0x0
	s_cbranch_vccnz .LBB227_22
; %bb.8:
	s_cmp_gt_i32 s9, 0
	s_cselect_b32 s18, -1, 0
	s_cmp_neq_f32 s11, 0
	v_cndmask_b32_e64 v1, 0, 1, s18
	s_delay_alu instid0(VALU_DEP_1)
	v_cmp_ne_u32_e32 vcc_lo, 1, v1
	s_cbranch_scc1 .LBB227_15
; %bb.9:
	s_and_b32 vcc_lo, exec_lo, vcc_lo
	s_cbranch_vccnz .LBB227_14
; %bb.10:
	v_mov_b32_e32 v1, 0
	s_ashr_i32 s3, s2, 31
	s_lshl_b64 s[16:17], s[6:7], 2
	s_wait_kmcnt 0x0
	s_add_nc_u64 s[16:17], s[4:5], s[16:17]
	v_mul_u64_e32 v[2:3], s[2:3], v[0:1]
	s_delay_alu instid0(VALU_DEP_1)
	v_lshl_add_u64 v[2:3], v[2:3], 2, s[16:17]
	s_lshl_b64 s[16:17], s[2:3], 10
	s_mov_b32 s3, 0
	s_branch .LBB227_12
.LBB227_11:                             ;   in Loop: Header=BB227_12 Depth=1
	s_wait_xcnt 0x0
	s_or_b32 exec_lo, exec_lo, s19
	v_add_nc_u64_e32 v[2:3], s[16:17], v[2:3]
	s_addk_co_i32 s3, 0x100
	s_delay_alu instid0(SALU_CYCLE_1)
	s_cmp_ge_i32 s3, s9
	s_cbranch_scc1 .LBB227_14
.LBB227_12:                             ; =>This Inner Loop Header: Depth=1
	v_add_nc_u32_e32 v4, s3, v0
	s_mov_b32 s19, exec_lo
	s_delay_alu instid0(VALU_DEP_1)
	v_cmpx_gt_i32_e64 s9, v4
	s_cbranch_execz .LBB227_11
; %bb.13:                               ;   in Loop: Header=BB227_12 Depth=1
	flat_store_b32 v[2:3], v1
	s_branch .LBB227_11
.LBB227_14:
	s_mov_b32 s3, 0
.LBB227_15:
	s_delay_alu instid0(SALU_CYCLE_1)
	s_and_not1_b32 vcc_lo, exec_lo, s3
	s_cbranch_vccnz .LBB227_21
; %bb.16:
	s_and_not1_b32 vcc_lo, exec_lo, s18
	s_cbranch_vccnz .LBB227_21
; %bb.17:
	v_mov_b32_e32 v1, 0
	s_ashr_i32 s3, s2, 31
	s_lshl_b64 s[16:17], s[6:7], 2
	s_wait_kmcnt 0x0
	s_add_nc_u64 s[16:17], s[4:5], s[16:17]
	v_mul_u64_e32 v[2:3], s[2:3], v[0:1]
	s_delay_alu instid0(VALU_DEP_1)
	v_lshl_add_u64 v[2:3], v[2:3], 2, s[16:17]
	s_lshl_b64 s[16:17], s[2:3], 10
	s_mov_b32 s3, 0
	s_branch .LBB227_19
.LBB227_18:                             ;   in Loop: Header=BB227_19 Depth=1
	s_wait_xcnt 0x0
	s_or_b32 exec_lo, exec_lo, s18
	v_add_nc_u64_e32 v[2:3], s[16:17], v[2:3]
	s_addk_co_i32 s3, 0x100
	s_delay_alu instid0(SALU_CYCLE_1)
	s_cmp_ge_i32 s3, s9
	s_cbranch_scc1 .LBB227_21
.LBB227_19:                             ; =>This Inner Loop Header: Depth=1
	v_add_nc_u32_e32 v1, s3, v0
	s_mov_b32 s18, exec_lo
	s_delay_alu instid0(VALU_DEP_1)
	v_cmpx_gt_i32_e64 s9, v1
	s_cbranch_execz .LBB227_18
; %bb.20:                               ;   in Loop: Header=BB227_19 Depth=1
	flat_load_b32 v1, v[2:3]
	s_wait_loadcnt_dscnt 0x0
	v_mul_f32_e32 v1, s11, v1
	flat_store_b32 v[2:3], v1
	s_branch .LBB227_18
.LBB227_21:
	s_mov_b32 s3, 0
.LBB227_22:
	s_delay_alu instid0(SALU_CYCLE_1)
	s_and_not1_b32 vcc_lo, exec_lo, s3
	s_cbranch_vccnz .LBB227_40
; %bb.23:
	s_mov_b32 s3, exec_lo
	v_cmpx_gt_i32_e64 s8, v0
	s_cbranch_execz .LBB227_25
; %bb.24:
	s_load_b32 s16, s[0:1], 0x48
	v_mov_b32_e32 v1, 0
	s_wait_kmcnt 0x0
	s_ashr_i32 s17, s16, 31
	s_delay_alu instid0(VALU_DEP_1) | instid1(SALU_CYCLE_1)
	v_mul_u64_e32 v[2:3], s[16:17], v[0:1]
	s_delay_alu instid0(VALU_DEP_1)
	v_lshl_add_u64 v[2:3], v[2:3], 2, s[14:15]
	flat_load_b32 v1, v[2:3]
	s_wait_loadcnt_dscnt 0x0
	v_dual_mul_f32 v1, s10, v1 :: v_dual_lshlrev_b32 v2, 2, v0
	ds_store_b32 v2, v1
.LBB227_25:
	s_or_b32 exec_lo, exec_lo, s3
	s_cmp_lt_i32 s9, 1
	s_wait_storecnt_dscnt 0x0
	s_barrier_signal -1
	s_barrier_wait -1
	s_cbranch_scc1 .LBB227_40
; %bb.26:
	s_load_b32 s16, s[0:1], 0x28
	v_mov_b32_e32 v3, 0
	s_wait_xcnt 0x0
	s_lshl_b64 s[0:1], s[6:7], 2
	s_ashr_i32 s3, s2, 31
	s_wait_kmcnt 0x0
	s_add_nc_u64 s[0:1], s[4:5], s[0:1]
	s_mov_b32 s5, 0
	v_mov_b32_e32 v1, v3
	s_ashr_i32 s17, s16, 31
	s_cmp_neq_f32 s11, 0
	s_delay_alu instid0(VALU_DEP_1)
	v_mul_u64_e32 v[4:5], s[16:17], v[0:1]
	s_cselect_b32 s10, -1, 0
	s_cmp_gt_i32 s8, 0
	s_cselect_b32 s14, -1, 0
	s_and_b32 s15, s8, 7
	s_cmp_gt_u32 s8, 7
	s_delay_alu instid0(VALU_DEP_1)
	v_lshl_add_u64 v[4:5], v[4:5], 2, s[12:13]
	s_cselect_b32 s12, -1, 0
	s_and_b32 s8, s8, 0x7ffffff8
	s_cmp_lg_u32 s15, 0
	s_cselect_b32 s13, -1, 0
	v_add_nc_u64_e32 v[6:7], 28, v[4:5]
	s_lshl_b64 s[6:7], s[16:17], 10
	s_mov_b32 s16, 0
	s_branch .LBB227_29
.LBB227_27:                             ;   in Loop: Header=BB227_29 Depth=1
	flat_store_b32 v[8:9], v1
.LBB227_28:                             ;   in Loop: Header=BB227_29 Depth=1
	s_wait_xcnt 0x0
	s_or_b32 exec_lo, exec_lo, s17
	v_add_nc_u64_e32 v[6:7], s[6:7], v[6:7]
	v_add_nc_u64_e32 v[4:5], s[6:7], v[4:5]
	s_addk_co_i32 s16, 0x100
	s_delay_alu instid0(SALU_CYCLE_1)
	s_cmp_ge_i32 s16, s9
	s_cbranch_scc1 .LBB227_40
.LBB227_29:                             ; =>This Loop Header: Depth=1
                                        ;     Child Loop BB227_35 Depth 2
                                        ;     Child Loop BB227_39 Depth 2
	v_add_nc_u32_e32 v2, s16, v0
	s_mov_b32 s17, exec_lo
	s_delay_alu instid0(VALU_DEP_1)
	v_cmpx_gt_i32_e64 s9, v2
	s_cbranch_execz .LBB227_28
; %bb.30:                               ;   in Loop: Header=BB227_29 Depth=1
	v_mul_u64_e32 v[8:9], s[2:3], v[2:3]
	s_and_not1_b32 vcc_lo, exec_lo, s10
	s_delay_alu instid0(VALU_DEP_1)
	v_lshl_add_u64 v[8:9], v[8:9], 2, s[0:1]
	s_cbranch_vccnz .LBB227_32
; %bb.31:                               ;   in Loop: Header=BB227_29 Depth=1
	flat_load_b32 v1, v[8:9]
	s_wait_loadcnt_dscnt 0x0
	v_mul_f32_e32 v1, s11, v1
	s_and_not1_b32 vcc_lo, exec_lo, s14
	s_cbranch_vccz .LBB227_33
	s_branch .LBB227_27
.LBB227_32:                             ;   in Loop: Header=BB227_29 Depth=1
	v_mov_b32_e32 v1, 0
	s_and_not1_b32 vcc_lo, exec_lo, s14
	s_cbranch_vccnz .LBB227_27
.LBB227_33:                             ;   in Loop: Header=BB227_29 Depth=1
	s_and_not1_b32 vcc_lo, exec_lo, s12
	s_mov_b32 s4, 0
	s_cbranch_vccnz .LBB227_37
; %bb.34:                               ;   in Loop: Header=BB227_29 Depth=1
	v_mov_b64_e32 v[10:11], v[6:7]
	s_mov_b32 s18, 0
.LBB227_35:                             ;   Parent Loop BB227_29 Depth=1
                                        ; =>  This Inner Loop Header: Depth=2
	s_clause 0x1
	flat_load_b128 v[12:15], v[10:11] offset:-28
	flat_load_b128 v[16:19], v[10:11] offset:-12
	v_mov_b32_e32 v2, s4
	s_wait_xcnt 0x0
	v_add_nc_u64_e32 v[10:11], 32, v[10:11]
	s_add_co_i32 s18, s18, 8
	s_add_co_i32 s4, s4, 32
	ds_load_b128 v[20:23], v2
	ds_load_b128 v[24:27], v2 offset:16
	s_cmp_eq_u32 s8, s18
	s_wait_loadcnt_dscnt 0x101
	v_fmac_f32_e32 v1, v20, v12
	s_delay_alu instid0(VALU_DEP_1) | instskip(NEXT) | instid1(VALU_DEP_1)
	v_fmac_f32_e32 v1, v21, v13
	v_fmac_f32_e32 v1, v22, v14
	s_delay_alu instid0(VALU_DEP_1) | instskip(SKIP_1) | instid1(VALU_DEP_1)
	v_fmac_f32_e32 v1, v23, v15
	s_wait_loadcnt_dscnt 0x0
	v_fmac_f32_e32 v1, v24, v16
	s_delay_alu instid0(VALU_DEP_1) | instskip(NEXT) | instid1(VALU_DEP_1)
	v_fmac_f32_e32 v1, v25, v17
	v_fmac_f32_e32 v1, v26, v18
	s_delay_alu instid0(VALU_DEP_1)
	v_fmac_f32_e32 v1, v27, v19
	s_cbranch_scc0 .LBB227_35
; %bb.36:                               ;   in Loop: Header=BB227_29 Depth=1
	s_mov_b32 s4, s8
.LBB227_37:                             ;   in Loop: Header=BB227_29 Depth=1
	s_and_not1_b32 vcc_lo, exec_lo, s13
	s_cbranch_vccnz .LBB227_27
; %bb.38:                               ;   in Loop: Header=BB227_29 Depth=1
	v_lshl_add_u64 v[10:11], s[4:5], 2, v[4:5]
	s_lshl_b32 s4, s4, 2
	s_mov_b32 s18, s15
.LBB227_39:                             ;   Parent Loop BB227_29 Depth=1
                                        ; =>  This Inner Loop Header: Depth=2
	flat_load_b32 v2, v[10:11]
	v_mov_b32_e32 v12, s4
	s_wait_xcnt 0x0
	v_add_nc_u64_e32 v[10:11], 4, v[10:11]
	s_add_co_i32 s18, s18, -1
	s_add_co_i32 s4, s4, 4
	s_cmp_lg_u32 s18, 0
	ds_load_b32 v12, v12
	s_wait_loadcnt_dscnt 0x0
	v_fmac_f32_e32 v1, v12, v2
	s_cbranch_scc1 .LBB227_39
	s_branch .LBB227_27
.LBB227_40:
	s_endpgm
	.section	.rodata,"a",@progbits
	.p2align	6, 0x0
	.amdhsa_kernel _ZL22rocblas_gemvtsm_kernelILb1ELi256EPKffKPfEviiT2_lPKT1_lilS7_lilS4_lPT3_lil
		.amdhsa_group_segment_fixed_size 256
		.amdhsa_private_segment_fixed_size 0
		.amdhsa_kernarg_size 136
		.amdhsa_user_sgpr_count 2
		.amdhsa_user_sgpr_dispatch_ptr 0
		.amdhsa_user_sgpr_queue_ptr 0
		.amdhsa_user_sgpr_kernarg_segment_ptr 1
		.amdhsa_user_sgpr_dispatch_id 0
		.amdhsa_user_sgpr_kernarg_preload_length 0
		.amdhsa_user_sgpr_kernarg_preload_offset 0
		.amdhsa_user_sgpr_private_segment_size 0
		.amdhsa_wavefront_size32 1
		.amdhsa_uses_dynamic_stack 0
		.amdhsa_enable_private_segment 0
		.amdhsa_system_sgpr_workgroup_id_x 1
		.amdhsa_system_sgpr_workgroup_id_y 0
		.amdhsa_system_sgpr_workgroup_id_z 0
		.amdhsa_system_sgpr_workgroup_info 0
		.amdhsa_system_vgpr_workitem_id 0
		.amdhsa_next_free_vgpr 28
		.amdhsa_next_free_sgpr 24
		.amdhsa_named_barrier_count 0
		.amdhsa_reserve_vcc 1
		.amdhsa_float_round_mode_32 0
		.amdhsa_float_round_mode_16_64 0
		.amdhsa_float_denorm_mode_32 3
		.amdhsa_float_denorm_mode_16_64 3
		.amdhsa_fp16_overflow 0
		.amdhsa_memory_ordered 1
		.amdhsa_forward_progress 1
		.amdhsa_inst_pref_size 10
		.amdhsa_round_robin_scheduling 0
		.amdhsa_exception_fp_ieee_invalid_op 0
		.amdhsa_exception_fp_denorm_src 0
		.amdhsa_exception_fp_ieee_div_zero 0
		.amdhsa_exception_fp_ieee_overflow 0
		.amdhsa_exception_fp_ieee_underflow 0
		.amdhsa_exception_fp_ieee_inexact 0
		.amdhsa_exception_int_div_zero 0
	.end_amdhsa_kernel
	.section	.text._ZL22rocblas_gemvtsm_kernelILb1ELi256EPKffKPfEviiT2_lPKT1_lilS7_lilS4_lPT3_lil,"axG",@progbits,_ZL22rocblas_gemvtsm_kernelILb1ELi256EPKffKPfEviiT2_lPKT1_lilS7_lilS4_lPT3_lil,comdat
.Lfunc_end227:
	.size	_ZL22rocblas_gemvtsm_kernelILb1ELi256EPKffKPfEviiT2_lPKT1_lilS7_lilS4_lPT3_lil, .Lfunc_end227-_ZL22rocblas_gemvtsm_kernelILb1ELi256EPKffKPfEviiT2_lPKT1_lilS7_lilS4_lPT3_lil
                                        ; -- End function
	.set _ZL22rocblas_gemvtsm_kernelILb1ELi256EPKffKPfEviiT2_lPKT1_lilS7_lilS4_lPT3_lil.num_vgpr, 28
	.set _ZL22rocblas_gemvtsm_kernelILb1ELi256EPKffKPfEviiT2_lPKT1_lilS7_lilS4_lPT3_lil.num_agpr, 0
	.set _ZL22rocblas_gemvtsm_kernelILb1ELi256EPKffKPfEviiT2_lPKT1_lilS7_lilS4_lPT3_lil.numbered_sgpr, 24
	.set _ZL22rocblas_gemvtsm_kernelILb1ELi256EPKffKPfEviiT2_lPKT1_lilS7_lilS4_lPT3_lil.num_named_barrier, 0
	.set _ZL22rocblas_gemvtsm_kernelILb1ELi256EPKffKPfEviiT2_lPKT1_lilS7_lilS4_lPT3_lil.private_seg_size, 0
	.set _ZL22rocblas_gemvtsm_kernelILb1ELi256EPKffKPfEviiT2_lPKT1_lilS7_lilS4_lPT3_lil.uses_vcc, 1
	.set _ZL22rocblas_gemvtsm_kernelILb1ELi256EPKffKPfEviiT2_lPKT1_lilS7_lilS4_lPT3_lil.uses_flat_scratch, 1
	.set _ZL22rocblas_gemvtsm_kernelILb1ELi256EPKffKPfEviiT2_lPKT1_lilS7_lilS4_lPT3_lil.has_dyn_sized_stack, 0
	.set _ZL22rocblas_gemvtsm_kernelILb1ELi256EPKffKPfEviiT2_lPKT1_lilS7_lilS4_lPT3_lil.has_recursion, 0
	.set _ZL22rocblas_gemvtsm_kernelILb1ELi256EPKffKPfEviiT2_lPKT1_lilS7_lilS4_lPT3_lil.has_indirect_call, 0
	.section	.AMDGPU.csdata,"",@progbits
; Kernel info:
; codeLenInByte = 1248
; TotalNumSgprs: 26
; NumVgprs: 28
; ScratchSize: 0
; MemoryBound: 0
; FloatMode: 240
; IeeeMode: 1
; LDSByteSize: 256 bytes/workgroup (compile time only)
; SGPRBlocks: 0
; VGPRBlocks: 1
; NumSGPRsForWavesPerEU: 26
; NumVGPRsForWavesPerEU: 28
; NamedBarCnt: 0
; Occupancy: 16
; WaveLimiterHint : 1
; COMPUTE_PGM_RSRC2:SCRATCH_EN: 0
; COMPUTE_PGM_RSRC2:USER_SGPR: 2
; COMPUTE_PGM_RSRC2:TRAP_HANDLER: 0
; COMPUTE_PGM_RSRC2:TGID_X_EN: 1
; COMPUTE_PGM_RSRC2:TGID_Y_EN: 0
; COMPUTE_PGM_RSRC2:TGID_Z_EN: 0
; COMPUTE_PGM_RSRC2:TIDIG_COMP_CNT: 0
	.section	.text._ZL23rocblas_gemvt_sn_kernelILb1ELi256ELi4EiPKfS1_fEviiT4_lPKT3_lilS5_lilPT5_i,"axG",@progbits,_ZL23rocblas_gemvt_sn_kernelILb1ELi256ELi4EiPKfS1_fEviiT4_lPKT3_lilS5_lilPT5_i,comdat
	.globl	_ZL23rocblas_gemvt_sn_kernelILb1ELi256ELi4EiPKfS1_fEviiT4_lPKT3_lilS5_lilPT5_i ; -- Begin function _ZL23rocblas_gemvt_sn_kernelILb1ELi256ELi4EiPKfS1_fEviiT4_lPKT3_lilS5_lilPT5_i
	.p2align	8
	.type	_ZL23rocblas_gemvt_sn_kernelILb1ELi256ELi4EiPKfS1_fEviiT4_lPKT3_lilS5_lilPT5_i,@function
_ZL23rocblas_gemvt_sn_kernelILb1ELi256ELi4EiPKfS1_fEviiT4_lPKT3_lilS5_lilPT5_i: ; @_ZL23rocblas_gemvt_sn_kernelILb1ELi256ELi4EiPKfS1_fEviiT4_lPKT3_lilS5_lilPT5_i
; %bb.0:
	s_load_b32 s33, s[0:1], 0x60
	s_bfe_u32 s2, ttmp6, 0x40014
	s_lshr_b32 s3, ttmp7, 16
	s_add_co_i32 s2, s2, 1
	s_bfe_u32 s5, ttmp6, 0x40008
	s_mul_i32 s2, s3, s2
	s_getreg_b32 s4, hwreg(HW_REG_IB_STS2, 6, 4)
	s_add_co_i32 s5, s5, s2
	s_cmp_eq_u32 s4, 0
	s_mov_b32 s25, 0
	s_cselect_b32 s10, s3, s5
	s_wait_kmcnt 0x0
	s_cmp_ge_u32 s10, s33
	s_cbranch_scc1 .LBB228_92
; %bb.1:
	s_clause 0x6
	s_load_b64 s[26:27], s[0:1], 0x0
	s_load_b256 s[12:19], s[0:1], 0x8
	s_load_b32 s28, s[0:1], 0x28
	s_load_b128 s[20:23], s[0:1], 0x38
	s_load_b32 s68, s[0:1], 0x48
	s_load_b64 s[30:31], s[0:1], 0x58
	s_load_b32 s34, s[0:1], 0x68
	s_wait_xcnt 0x0
	v_cmp_eq_u32_e64 s0, 0, v0
	v_dual_lshrrev_b32 v2, 3, v0 :: v_dual_bitop2_b32 v1, 31, v0 bitop3:0x40
	v_cmp_gt_u32_e64 s1, 32, v0
	v_cmp_gt_u32_e64 s2, 8, v0
	v_mbcnt_lo_u32_b32 v42, -1, 0
	s_delay_alu instid0(VALU_DEP_4)
	v_cmp_eq_u32_e64 s3, 0, v1
	v_dual_lshlrev_b32 v40, 2, v1 :: v_dual_bitop2_b32 v41, 28, v2 bitop3:0x40
	v_mov_b64_e32 v[20:21], 0
	s_mov_b32 s35, s25
	s_mov_b32 s37, s25
	v_lshl_or_b32 v43, v42, 2, 64
	s_wait_kmcnt 0x0
	s_ashr_i32 s7, s27, 31
	s_cmp_gt_i32 s27, 0
	s_mov_b32 s6, s27
	s_cselect_b32 s5, -1, 0
	s_bfe_u32 s8, ttmp6, 0x4000c
	s_and_b32 s9, ttmp6, 15
	s_add_co_i32 s8, s8, 1
	s_and_b32 s69, s0, s5
	s_mul_i32 s8, ttmp9, s8
	s_mul_u64 s[38:39], s[6:7], s[34:35]
	s_add_co_i32 s9, s9, s8
	s_cmp_eq_u32 s4, 0
	s_mov_b32 s29, s25
	s_cselect_b32 s36, ttmp9, s9
	s_ashr_i32 s5, s26, 31
	s_lshl_b32 s8, s36, 10
	s_lshr_b32 s5, s5, 30
	v_lshl_or_b32 v8, v0, 2, s8
	s_add_co_i32 s5, s26, s5
	s_lshr_b32 s4, s7, 30
	s_and_b32 s5, s5, -4
	s_add_co_i32 s4, s27, s4
	v_mul_lo_u32 v10, s68, v8
	s_sub_co_i32 s71, s26, s5
	s_and_b32 s70, s4, -4
	v_add_nc_u32_e32 v1, s71, v8
	s_cmp_gt_i32 s70, 0
	v_dual_ashrrev_i32 v9, 31, v8 :: v_dual_add_nc_u32 v0, 4, v8
	s_cselect_b32 s72, -1, 0
	s_cmp_gt_i32 s71, 0
	s_mov_b32 s51, s25
	s_cselect_b32 s73, -1, 0
	s_delay_alu instid0(VALU_DEP_3)
	v_add_nc_u32_e32 v12, s68, v10
	s_cmp_gt_u32 s27, 1
	v_cmp_ge_i32_e64 s4, s26, v0
	s_cselect_b32 s8, -1, 0
	s_cmp_eq_u32 s34, 1
	v_dual_add_nc_u32 v14, s68, v12 :: v_dual_ashrrev_i32 v11, 31, v10
	s_cselect_b32 s9, -1, 0
	v_cmp_ge_i32_e64 s5, s26, v1
	s_and_b32 s26, s27, 0x7ffffffe
	v_dual_add_nc_u32 v16, s68, v14 :: v_dual_ashrrev_i32 v13, 31, v12
	s_and_b32 s74, s8, s9
	s_cmp_lg_u32 s27, s26
	v_lshlrev_b64_e32 v[18:19], 2, v[8:9]
	s_cselect_b32 s75, -1, 0
	s_lshl_b32 s24, s28, 1
	v_dual_ashrrev_i32 v15, 31, v14 :: v_dual_ashrrev_i32 v17, 31, v16
	v_mov_b32_e32 v0, 0
	s_lshl_b64 s[40:41], s[36:37], 2
	s_mov_b64 s[52:53], s[24:25]
	s_mul_i32 s24, s28, 3
	s_lshl_b64 s[42:43], s[38:39], 2
	s_add_nc_u64 s[44:45], s[30:31], s[40:41]
	s_lshl_b64 s[46:47], s[6:7], 2
	s_lshl_b64 s[48:49], s[34:35], 2
	s_lshl_b32 s50, s28, 2
	s_mov_b64 s[54:55], s[24:25]
	s_lshl_b64 s[18:19], s[18:19], 2
	s_lshl_b64 s[22:23], s[22:23], 2
	s_branch .LBB228_3
.LBB228_2:                              ;   in Loop: Header=BB228_3 Depth=1
	s_add_co_i32 s10, s10, 0x10000
	s_delay_alu instid0(SALU_CYCLE_1)
	s_cmp_lt_u32 s10, s33
	s_cbranch_scc0 .LBB228_92
.LBB228_3:                              ; =>This Loop Header: Depth=1
                                        ;     Child Loop BB228_11 Depth 2
                                        ;     Child Loop BB228_15 Depth 2
	;; [unrolled: 1-line block ×3, first 2 shown]
                                        ;       Child Loop BB228_52 Depth 3
                                        ;       Child Loop BB228_55 Depth 3
                                        ;     Child Loop BB228_71 Depth 2
                                        ;       Child Loop BB228_84 Depth 3
                                        ;       Child Loop BB228_87 Depth 3
	s_mov_b32 s11, s25
	v_mov_b64_e32 v[2:3], 0
	s_mul_u64 s[6:7], s[14:15], s[10:11]
	s_delay_alu instid0(SALU_CYCLE_1) | instskip(NEXT) | instid1(SALU_CYCLE_1)
	s_lshl_b64 s[6:7], s[6:7], 2
	s_add_nc_u64 s[6:7], s[12:13], s[6:7]
	global_load_b32 v44, v0, s[6:7]
	s_wait_loadcnt 0x0
	s_wait_xcnt 0x0
	v_cmp_eq_f32_e64 s6, 0, v44
	v_cmp_neq_f32_e64 s7, 0, v44
	s_and_b32 vcc_lo, exec_lo, s6
	s_cbranch_vccnz .LBB228_5
; %bb.4:                                ;   in Loop: Header=BB228_3 Depth=1
	s_lshl_b64 s[8:9], s[10:11], 3
	s_delay_alu instid0(SALU_CYCLE_1)
	s_add_nc_u64 s[8:9], s[16:17], s[8:9]
	global_load_b64 v[2:3], v0, s[8:9]
	s_wait_loadcnt 0x0
	v_add_nc_u64_e32 v[2:3], s[18:19], v[2:3]
.LBB228_5:                              ;   in Loop: Header=BB228_3 Depth=1
	v_mov_b64_e32 v[22:23], 0
	s_and_not1_b32 vcc_lo, exec_lo, s7
	s_cbranch_vccnz .LBB228_7
; %bb.6:                                ;   in Loop: Header=BB228_3 Depth=1
	s_wait_xcnt 0x0
	s_lshl_b64 s[8:9], s[10:11], 3
	s_delay_alu instid0(SALU_CYCLE_1)
	s_add_nc_u64 s[8:9], s[20:21], s[8:9]
	global_load_b64 v[4:5], v0, s[8:9]
	s_wait_loadcnt 0x0
	v_add_nc_u64_e32 v[22:23], s[22:23], v[4:5]
.LBB228_7:                              ;   in Loop: Header=BB228_3 Depth=1
	s_and_not1_b32 vcc_lo, exec_lo, s6
	s_mov_b32 s6, -1
	s_cbranch_vccnz .LBB228_17
; %bb.8:                                ;   in Loop: Header=BB228_3 Depth=1
	s_wait_xcnt 0x0
	s_and_saveexec_b32 s8, s69
	s_cbranch_execz .LBB228_16
; %bb.9:                                ;   in Loop: Header=BB228_3 Depth=1
	s_and_not1_b32 vcc_lo, exec_lo, s74
	s_cbranch_vccnz .LBB228_13
; %bb.10:                               ;   in Loop: Header=BB228_3 Depth=1
	s_mul_u64 s[6:7], s[42:43], s[10:11]
	s_mov_b32 s9, s26
	s_add_nc_u64 s[6:7], s[44:45], s[6:7]
.LBB228_11:                             ;   Parent Loop BB228_3 Depth=1
                                        ; =>  This Inner Loop Header: Depth=2
	s_add_co_i32 s9, s9, -2
	global_store_b64 v0, v[20:21], s[6:7]
	s_wait_xcnt 0x0
	s_add_nc_u64 s[6:7], s[6:7], 8
	s_mov_b32 s24, s26
	s_cmp_lg_u32 s9, 0
	s_mov_b32 s37, s75
	s_cbranch_scc1 .LBB228_11
; %bb.12:                               ;   in Loop: Header=BB228_3 Depth=1
	s_and_b32 vcc_lo, exec_lo, s37
	s_cbranch_vccnz .LBB228_14
	s_branch .LBB228_16
.LBB228_13:                             ;   in Loop: Header=BB228_3 Depth=1
	s_mov_b32 s24, 0
	s_cbranch_execz .LBB228_16
.LBB228_14:                             ;   in Loop: Header=BB228_3 Depth=1
	s_mul_u64 s[6:7], s[46:47], s[10:11]
	s_lshl_b64 s[56:57], s[24:25], 2
	s_sub_co_i32 s9, s27, s24
	s_add_nc_u64 s[6:7], s[6:7], s[56:57]
	s_delay_alu instid0(SALU_CYCLE_1) | instskip(NEXT) | instid1(SALU_CYCLE_1)
	s_mul_u64 s[6:7], s[34:35], s[6:7]
	s_add_nc_u64 s[6:7], s[44:45], s[6:7]
.LBB228_15:                             ;   Parent Loop BB228_3 Depth=1
                                        ; =>  This Inner Loop Header: Depth=2
	s_add_co_i32 s9, s9, -1
	global_store_b32 v0, v0, s[6:7]
	s_cmp_eq_u32 s9, 0
	s_wait_xcnt 0x0
	s_add_nc_u64 s[6:7], s[6:7], s[48:49]
	s_cbranch_scc0 .LBB228_15
.LBB228_16:                             ;   in Loop: Header=BB228_3 Depth=1
	s_or_b32 exec_lo, exec_lo, s8
	s_mov_b32 s6, 0
.LBB228_17:                             ;   in Loop: Header=BB228_3 Depth=1
	s_delay_alu instid0(SALU_CYCLE_1)
	s_and_not1_b32 vcc_lo, exec_lo, s6
	s_cbranch_vccnz .LBB228_2
; %bb.18:                               ;   in Loop: Header=BB228_3 Depth=1
	v_add_nc_u64_e32 v[34:35], v[2:3], v[18:19]
	s_mul_u64 s[56:57], s[38:39], s[10:11]
	v_lshl_add_u64 v[24:25], v[8:9], 2, v[2:3]
	v_lshl_add_u64 v[26:27], v[10:11], 2, v[22:23]
	;; [unrolled: 1-line block ×5, first 2 shown]
	s_wait_xcnt 0x0
	v_cmp_gt_u32_e64 s9, 24, v42
	v_cmp_gt_u32_e64 s8, 28, v42
	;; [unrolled: 1-line block ×3, first 2 shown]
	v_cmp_ne_u32_e64 s6, 31, v42
	s_lshl_b64 s[56:57], s[56:57], 2
	s_and_not1_b32 vcc_lo, exec_lo, s72
	s_add_nc_u64 s[56:57], s[30:31], s[56:57]
	s_cbranch_vccnz .LBB228_67
; %bb.19:                               ;   in Loop: Header=BB228_3 Depth=1
	v_cndmask_b32_e64 v1, 0, 8, s9
	v_cndmask_b32_e64 v4, 0, 4, s8
	;; [unrolled: 1-line block ×3, first 2 shown]
	s_wait_dscnt 0x0
	v_add_co_ci_u32_e64 v6, null, 0, v42, s6
	v_add_lshl_u32 v45, v1, v42, 2
	v_dual_mov_b32 v1, v0 :: v_dual_mov_b32 v2, v0
	s_delay_alu instid0(VALU_DEP_3) | instskip(SKIP_3) | instid1(VALU_DEP_3)
	v_dual_mov_b32 v3, v0 :: v_dual_lshlrev_b32 v48, 2, v6
	v_add_lshl_u32 v46, v4, v42, 2
	v_add_lshl_u32 v47, v5, v42, 2
	s_mov_b32 s58, 0
	v_mov_b64_e32 v[4:5], v[2:3]
	v_mov_b64_e32 v[2:3], v[0:1]
	s_mov_b64 s[60:61], s[54:55]
	s_mov_b64 s[62:63], s[52:53]
	;; [unrolled: 1-line block ×3, first 2 shown]
	s_mov_b32 s24, s58
	s_branch .LBB228_21
.LBB228_20:                             ;   in Loop: Header=BB228_21 Depth=2
	s_wait_xcnt 0x0
	s_or_b32 exec_lo, exec_lo, s6
	s_add_co_i32 s24, s24, 4
	s_add_co_i32 s58, s58, s50
	s_add_nc_u64 s[64:65], s[64:65], s[50:51]
	s_add_nc_u64 s[62:63], s[62:63], s[50:51]
	s_cmp_ge_i32 s24, s70
	s_add_nc_u64 s[60:61], s[60:61], s[50:51]
	s_cbranch_scc1 .LBB228_68
.LBB228_21:                             ;   Parent Loop BB228_3 Depth=1
                                        ; =>  This Loop Header: Depth=2
                                        ;       Child Loop BB228_52 Depth 3
                                        ;       Child Loop BB228_55 Depth 3
                                        ; implicit-def: $vgpr7
                                        ; implicit-def: $vgpr37
	s_and_saveexec_b32 s6, s4
	s_delay_alu instid0(SALU_CYCLE_1)
	s_xor_b32 s6, exec_lo, s6
	s_cbranch_execnz .LBB228_48
; %bb.22:                               ;   in Loop: Header=BB228_21 Depth=2
	s_and_not1_saveexec_b32 s9, s6
	s_cbranch_execnz .LBB228_49
.LBB228_23:                             ;   in Loop: Header=BB228_21 Depth=2
	s_or_b32 exec_lo, exec_lo, s9
	s_and_saveexec_b32 s6, s1
.LBB228_24:                             ;   in Loop: Header=BB228_21 Depth=2
	ds_store_b32 v40, v0
.LBB228_25:                             ;   in Loop: Header=BB228_21 Depth=2
	s_or_b32 exec_lo, exec_lo, s6
	ds_bpermute_b32 v1, v43, v36
	s_wait_storecnt_dscnt 0x0
	s_barrier_signal -1
	s_barrier_wait -1
	v_add_f32_e32 v1, v36, v1
	ds_bpermute_b32 v36, v45, v1
	s_wait_dscnt 0x0
	v_add_f32_e32 v1, v1, v36
	ds_bpermute_b32 v36, v46, v1
	s_wait_dscnt 0x0
	v_add_f32_e32 v1, v1, v36
	ds_bpermute_b32 v36, v47, v1
	s_wait_dscnt 0x0
	v_add_f32_e32 v1, v1, v36
	ds_bpermute_b32 v36, v48, v1
	s_and_saveexec_b32 s6, s3
	s_cbranch_execz .LBB228_27
; %bb.26:                               ;   in Loop: Header=BB228_21 Depth=2
	s_wait_dscnt 0x0
	v_add_f32_e32 v1, v1, v36
	ds_store_b32 v41, v1
.LBB228_27:                             ;   in Loop: Header=BB228_21 Depth=2
	s_or_b32 exec_lo, exec_lo, s6
	v_mov_b32_e32 v1, 0
	s_wait_dscnt 0x0
	s_barrier_signal -1
	s_barrier_wait -1
	s_and_saveexec_b32 s6, s2
	s_cbranch_execnz .LBB228_56
; %bb.28:                               ;   in Loop: Header=BB228_21 Depth=2
	s_or_b32 exec_lo, exec_lo, s6
	s_and_saveexec_b32 s6, s1
	s_cbranch_execnz .LBB228_57
.LBB228_29:                             ;   in Loop: Header=BB228_21 Depth=2
	s_or_b32 exec_lo, exec_lo, s6
	s_and_saveexec_b32 s6, s1
.LBB228_30:                             ;   in Loop: Header=BB228_21 Depth=2
	ds_store_b32 v40, v0
.LBB228_31:                             ;   in Loop: Header=BB228_21 Depth=2
	s_or_b32 exec_lo, exec_lo, s6
	ds_bpermute_b32 v36, v43, v37
	s_wait_dscnt 0x0
	s_barrier_signal -1
	s_barrier_wait -1
	v_add_f32_e32 v36, v37, v36
	ds_bpermute_b32 v37, v45, v36
	s_wait_dscnt 0x0
	v_add_f32_e32 v36, v36, v37
	ds_bpermute_b32 v37, v46, v36
	s_wait_dscnt 0x0
	;; [unrolled: 3-line block ×3, first 2 shown]
	v_add_f32_e32 v36, v36, v37
	ds_bpermute_b32 v37, v48, v36
	s_and_saveexec_b32 s6, s3
	s_cbranch_execz .LBB228_33
; %bb.32:                               ;   in Loop: Header=BB228_21 Depth=2
	s_wait_dscnt 0x0
	v_add_f32_e32 v36, v36, v37
	ds_store_b32 v41, v36
.LBB228_33:                             ;   in Loop: Header=BB228_21 Depth=2
	s_or_b32 exec_lo, exec_lo, s6
	v_mov_b32_e32 v36, 0
	s_wait_dscnt 0x0
	s_barrier_signal -1
	s_barrier_wait -1
	s_and_saveexec_b32 s6, s2
	s_cbranch_execnz .LBB228_58
; %bb.34:                               ;   in Loop: Header=BB228_21 Depth=2
	s_or_b32 exec_lo, exec_lo, s6
	s_and_saveexec_b32 s6, s1
	s_cbranch_execnz .LBB228_59
.LBB228_35:                             ;   in Loop: Header=BB228_21 Depth=2
	s_or_b32 exec_lo, exec_lo, s6
	s_and_saveexec_b32 s6, s1
.LBB228_36:                             ;   in Loop: Header=BB228_21 Depth=2
	ds_store_b32 v40, v0
.LBB228_37:                             ;   in Loop: Header=BB228_21 Depth=2
	s_or_b32 exec_lo, exec_lo, s6
	ds_bpermute_b32 v37, v43, v6
	s_wait_dscnt 0x0
	s_barrier_signal -1
	s_barrier_wait -1
	v_add_f32_e32 v6, v6, v37
	ds_bpermute_b32 v37, v45, v6
	s_wait_dscnt 0x0
	v_add_f32_e32 v6, v6, v37
	ds_bpermute_b32 v37, v46, v6
	s_wait_dscnt 0x0
	;; [unrolled: 3-line block ×3, first 2 shown]
	v_add_f32_e32 v6, v6, v37
	ds_bpermute_b32 v37, v48, v6
	s_and_saveexec_b32 s6, s3
	s_cbranch_execz .LBB228_39
; %bb.38:                               ;   in Loop: Header=BB228_21 Depth=2
	s_wait_dscnt 0x0
	v_add_f32_e32 v6, v6, v37
	ds_store_b32 v41, v6
.LBB228_39:                             ;   in Loop: Header=BB228_21 Depth=2
	s_or_b32 exec_lo, exec_lo, s6
	v_mov_b32_e32 v6, 0
	s_wait_dscnt 0x0
	s_barrier_signal -1
	s_barrier_wait -1
	s_and_saveexec_b32 s6, s2
	s_cbranch_execnz .LBB228_60
; %bb.40:                               ;   in Loop: Header=BB228_21 Depth=2
	s_or_b32 exec_lo, exec_lo, s6
	s_and_saveexec_b32 s6, s1
	s_cbranch_execnz .LBB228_61
.LBB228_41:                             ;   in Loop: Header=BB228_21 Depth=2
	s_or_b32 exec_lo, exec_lo, s6
	s_and_saveexec_b32 s6, s1
.LBB228_42:                             ;   in Loop: Header=BB228_21 Depth=2
	ds_store_b32 v40, v0
.LBB228_43:                             ;   in Loop: Header=BB228_21 Depth=2
	s_or_b32 exec_lo, exec_lo, s6
	ds_bpermute_b32 v37, v43, v7
	s_wait_dscnt 0x0
	s_barrier_signal -1
	s_barrier_wait -1
	v_add_f32_e32 v7, v7, v37
	ds_bpermute_b32 v37, v45, v7
	s_wait_dscnt 0x0
	v_add_f32_e32 v7, v7, v37
	ds_bpermute_b32 v37, v46, v7
	s_wait_dscnt 0x0
	v_add_f32_e32 v7, v7, v37
	ds_bpermute_b32 v37, v47, v7
	s_wait_dscnt 0x0
	v_add_f32_e32 v7, v7, v37
	ds_bpermute_b32 v37, v48, v7
	s_and_saveexec_b32 s6, s3
	s_cbranch_execz .LBB228_45
; %bb.44:                               ;   in Loop: Header=BB228_21 Depth=2
	s_wait_dscnt 0x0
	v_add_f32_e32 v7, v7, v37
	ds_store_b32 v41, v7
.LBB228_45:                             ;   in Loop: Header=BB228_21 Depth=2
	s_or_b32 exec_lo, exec_lo, s6
	v_mov_b32_e32 v7, 0
	s_wait_dscnt 0x0
	s_barrier_signal -1
	s_barrier_wait -1
	s_and_saveexec_b32 s6, s2
	s_cbranch_execnz .LBB228_62
; %bb.46:                               ;   in Loop: Header=BB228_21 Depth=2
	s_or_b32 exec_lo, exec_lo, s6
	s_and_saveexec_b32 s6, s1
	s_cbranch_execnz .LBB228_63
.LBB228_47:                             ;   in Loop: Header=BB228_21 Depth=2
	s_or_b32 exec_lo, exec_lo, s6
	s_and_saveexec_b32 s6, s0
	s_cbranch_execz .LBB228_20
	s_branch .LBB228_64
.LBB228_48:                             ;   in Loop: Header=BB228_21 Depth=2
	s_mul_i32 s8, s24, s28
	s_delay_alu instid0(SALU_CYCLE_1)
	s_ashr_i32 s9, s8, 31
	s_add_co_i32 s66, s8, s28
	s_wait_dscnt 0x0
	v_lshl_add_u64 v[6:7], s[8:9], 2, v[24:25]
	s_add_co_i32 s8, s66, s28
	s_ashr_i32 s67, s66, 31
	s_add_co_i32 s76, s8, s28
	s_ashr_i32 s9, s8, 31
	s_ashr_i32 s77, s76, 31
	v_lshl_add_u64 v[54:55], s[66:67], 2, v[24:25]
	v_lshl_add_u64 v[36:37], s[76:77], 2, v[24:25]
	;; [unrolled: 1-line block ×3, first 2 shown]
	s_clause 0x2
	flat_load_b32 v2, v[26:27]
	flat_load_b32 v3, v[28:29]
	;; [unrolled: 1-line block ×3, first 2 shown]
	s_clause 0x3
	flat_load_b128 v[36:39], v[36:37]
	flat_load_b128 v[50:53], v[6:7]
	;; [unrolled: 1-line block ×4, first 2 shown]
	flat_load_b32 v4, v[30:31]
	s_wait_loadcnt_dscnt 0x505
	s_wait_xcnt 0x3
	v_dual_mov_b32 v6, v3 :: v_dual_mov_b32 v62, v5
	s_wait_loadcnt_dscnt 0x404
	v_pk_mul_f32 v[36:37], v[2:3], v[36:37]
	s_wait_loadcnt_dscnt 0x303
	v_dual_mov_b32 v64, v50 :: v_dual_mov_b32 v50, v52
	s_wait_loadcnt_dscnt 0x202
	v_mov_b32_e32 v65, v54
	s_wait_loadcnt_dscnt 0x101
	s_wait_xcnt 0x2
	v_dual_mul_f32 v66, v2, v58 :: v_dual_mov_b32 v54, v51
	v_dual_mov_b32 v67, v36 :: v_dual_mul_f32 v36, v3, v59
	v_mov_b32_e32 v51, v56
	s_wait_loadcnt_dscnt 0x0
	v_pk_mul_f32 v[38:39], v[4:5], v[38:39]
	v_pk_fma_f32 v[64:65], v[2:3], v[64:65], 0 op_sel_hi:[0,1,0]
	s_wait_xcnt 0x1
	v_pk_add_f32 v[58:59], v[66:67], 0 op_sel_hi:[1,0]
	v_dual_mul_f32 v66, v4, v60 :: v_dual_mov_b32 v56, v53
	v_mov_b32_e32 v67, v38
	v_pk_fma_f32 v[6:7], v[6:7], v[54:55], v[64:65] op_sel_hi:[0,1,1]
	s_delay_alu instid0(VALU_DEP_4) | instskip(SKIP_1) | instid1(VALU_DEP_3)
	v_pk_add_f32 v[36:37], v[58:59], v[36:37]
	v_mul_f32_e32 v38, v5, v61
	v_pk_fma_f32 v[50:51], v[4:5], v[50:51], v[6:7] op_sel_hi:[0,1,1]
	s_delay_alu instid0(VALU_DEP_3) | instskip(NEXT) | instid1(VALU_DEP_1)
	v_pk_add_f32 v[36:37], v[36:37], v[66:67]
	v_pk_add_f32 v[6:7], v[36:37], v[38:39]
	s_delay_alu instid0(VALU_DEP_3)
	v_pk_fma_f32 v[36:37], v[62:63], v[56:57], v[50:51] op_sel_hi:[0,1,1]
	s_wait_xcnt 0x0
	s_and_not1_saveexec_b32 s9, s6
	s_cbranch_execz .LBB228_23
.LBB228_49:                             ;   in Loop: Header=BB228_21 Depth=2
	s_wait_dscnt 0x0
	v_dual_mov_b32 v7, 0 :: v_dual_mov_b32 v6, 0
	v_dual_mov_b32 v37, 0 :: v_dual_mov_b32 v36, 0
	s_and_saveexec_b32 s11, s5
	s_cbranch_execz .LBB228_66
; %bb.50:                               ;   in Loop: Header=BB228_21 Depth=2
	s_and_not1_b32 vcc_lo, exec_lo, s73
	s_cbranch_vccnz .LBB228_53
; %bb.51:                               ;   in Loop: Header=BB228_21 Depth=2
	v_mov_b32_e32 v1, v10
	s_mov_b64 s[66:67], 0
.LBB228_52:                             ;   Parent Loop BB228_3 Depth=1
                                        ;     Parent Loop BB228_21 Depth=2
                                        ; =>    This Inner Loop Header: Depth=3
	v_readfirstlane_b32 s6, v22
	v_readfirstlane_b32 s7, v23
	s_cmp_eq_u32 s66, 3
	s_cselect_b32 vcc_lo, -1, 0
	s_cmp_eq_u32 s66, 2
	flat_load_b32 v6, v1, s[6:7] scale_offset
	s_wait_xcnt 0x0
	s_cselect_b32 s6, -1, 0
	s_cmp_eq_u32 s66, 1
	v_add_nc_u32_e32 v1, s68, v1
	s_cselect_b32 s7, -1, 0
	s_cmp_eq_u32 s66, 0
	s_add_nc_u64 s[66:67], s[66:67], 1
	s_cselect_b32 s8, -1, 0
	s_cmp_eq_u32 s71, s66
	s_wait_loadcnt_dscnt 0x0
	v_dual_cndmask_b32 v5, v5, v6, vcc_lo :: v_dual_cndmask_b32 v4, v4, v6, s6
	v_dual_cndmask_b32 v3, v3, v6, s7 :: v_dual_cndmask_b32 v2, v2, v6, s8
	s_cbranch_scc0 .LBB228_52
.LBB228_53:                             ;   in Loop: Header=BB228_21 Depth=2
	s_and_not1_b32 vcc_lo, exec_lo, s73
	s_cbranch_vccnz .LBB228_65
; %bb.54:                               ;   in Loop: Header=BB228_21 Depth=2
	v_mov_b32_e32 v36, 0
	s_ashr_i32 s59, s58, 31
	s_mov_b64 s[6:7], 0
	v_lshl_add_u64 v[38:39], s[58:59], 2, v[34:35]
	s_delay_alu instid0(VALU_DEP_2)
	v_dual_mov_b32 v37, v36 :: v_dual_mov_b32 v6, v36
	v_mov_b32_e32 v7, v36
.LBB228_55:                             ;   Parent Loop BB228_3 Depth=1
                                        ;     Parent Loop BB228_21 Depth=2
                                        ; =>    This Inner Loop Header: Depth=3
	s_cmp_eq_u32 s6, 1
	s_cselect_b32 vcc_lo, -1, 0
	s_cmp_eq_u32 s6, 2
	v_cndmask_b32_e32 v1, v2, v3, vcc_lo
	s_cselect_b32 vcc_lo, -1, 0
	s_cmp_eq_u32 s6, 3
	s_delay_alu instid0(VALU_DEP_1)
	v_cndmask_b32_e32 v1, v1, v4, vcc_lo
	s_cselect_b32 vcc_lo, -1, 0
	s_add_co_i32 s76, s62, s6
	s_add_co_i32 s78, s60, s6
	s_add_co_i32 s66, s64, s6
	s_ashr_i32 s77, s76, 31
	s_ashr_i32 s79, s78, 31
	;; [unrolled: 1-line block ×3, first 2 shown]
	v_lshl_add_u64 v[50:51], s[76:77], 2, v[24:25]
	v_lshl_add_u64 v[52:53], s[78:79], 2, v[24:25]
	s_wait_xcnt 0x0
	v_lshl_add_u64 v[54:55], s[66:67], 2, v[24:25]
	flat_load_b32 v56, v[38:39]
	s_clause 0x2
	flat_load_b32 v50, v[50:51]
	flat_load_b32 v51, v[52:53]
	flat_load_b32 v57, v[54:55]
	s_wait_xcnt 0x1
	v_cndmask_b32_e32 v52, v1, v5, vcc_lo
	v_add_nc_u64_e32 v[38:39], 4, v[38:39]
	s_add_nc_u64 s[6:7], s[6:7], 1
	s_delay_alu instid0(SALU_CYCLE_1)
	s_cmp_lg_u32 s71, s6
	s_wait_loadcnt_dscnt 0x101
	v_pk_fma_f32 v[6:7], v[52:53], v[50:51], v[6:7] op_sel_hi:[0,1,1]
	s_wait_loadcnt_dscnt 0x0
	v_pk_fma_f32 v[36:37], v[52:53], v[56:57], v[36:37] op_sel_hi:[0,1,1]
	s_cbranch_scc1 .LBB228_55
	s_branch .LBB228_66
.LBB228_56:                             ;   in Loop: Header=BB228_21 Depth=2
	ds_load_b32 v1, v40
	s_or_b32 exec_lo, exec_lo, s6
	s_and_saveexec_b32 s6, s1
	s_cbranch_execz .LBB228_29
.LBB228_57:                             ;   in Loop: Header=BB228_21 Depth=2
	s_wait_dscnt 0x0
	ds_bpermute_b32 v36, v46, v1
	s_wait_dscnt 0x0
	v_add_f32_e32 v1, v1, v36
	ds_bpermute_b32 v36, v47, v1
	s_wait_dscnt 0x0
	v_add_f32_e32 v1, v1, v36
	;; [unrolled: 3-line block ×3, first 2 shown]
	s_or_b32 exec_lo, exec_lo, s6
	s_and_saveexec_b32 s6, s1
	s_cbranch_execnz .LBB228_30
	s_branch .LBB228_31
.LBB228_58:                             ;   in Loop: Header=BB228_21 Depth=2
	ds_load_b32 v36, v40
	s_or_b32 exec_lo, exec_lo, s6
	s_and_saveexec_b32 s6, s1
	s_cbranch_execz .LBB228_35
.LBB228_59:                             ;   in Loop: Header=BB228_21 Depth=2
	s_wait_dscnt 0x0
	ds_bpermute_b32 v37, v46, v36
	s_wait_dscnt 0x0
	v_add_f32_e32 v36, v36, v37
	ds_bpermute_b32 v37, v47, v36
	s_wait_dscnt 0x0
	v_add_f32_e32 v36, v36, v37
	;; [unrolled: 3-line block ×3, first 2 shown]
	s_or_b32 exec_lo, exec_lo, s6
	s_and_saveexec_b32 s6, s1
	s_cbranch_execnz .LBB228_36
	s_branch .LBB228_37
.LBB228_60:                             ;   in Loop: Header=BB228_21 Depth=2
	ds_load_b32 v6, v40
	s_or_b32 exec_lo, exec_lo, s6
	s_and_saveexec_b32 s6, s1
	s_cbranch_execz .LBB228_41
.LBB228_61:                             ;   in Loop: Header=BB228_21 Depth=2
	s_wait_dscnt 0x0
	ds_bpermute_b32 v37, v46, v6
	s_wait_dscnt 0x0
	v_add_f32_e32 v6, v6, v37
	ds_bpermute_b32 v37, v47, v6
	s_wait_dscnt 0x0
	v_add_f32_e32 v6, v6, v37
	;; [unrolled: 3-line block ×3, first 2 shown]
	s_or_b32 exec_lo, exec_lo, s6
	s_and_saveexec_b32 s6, s1
	s_cbranch_execnz .LBB228_42
	s_branch .LBB228_43
.LBB228_62:                             ;   in Loop: Header=BB228_21 Depth=2
	ds_load_b32 v7, v40
	s_or_b32 exec_lo, exec_lo, s6
	s_and_saveexec_b32 s6, s1
	s_cbranch_execz .LBB228_47
.LBB228_63:                             ;   in Loop: Header=BB228_21 Depth=2
	s_wait_dscnt 0x0
	ds_bpermute_b32 v37, v46, v7
	s_wait_dscnt 0x0
	v_add_f32_e32 v7, v7, v37
	ds_bpermute_b32 v37, v47, v7
	s_wait_dscnt 0x0
	v_add_f32_e32 v7, v7, v37
	;; [unrolled: 3-line block ×3, first 2 shown]
	s_or_b32 exec_lo, exec_lo, s6
	s_and_saveexec_b32 s6, s0
	s_cbranch_execz .LBB228_20
.LBB228_64:                             ;   in Loop: Header=BB228_21 Depth=2
	s_mul_i32 s7, s24, s34
	v_dual_mul_f32 v1, v44, v1 :: v_dual_mul_f32 v36, v44, v36
	s_add_co_i32 s7, s7, s36
	s_delay_alu instid0(SALU_CYCLE_1) | instskip(NEXT) | instid1(SALU_CYCLE_1)
	s_add_co_i32 s8, s7, s34
	v_dual_mov_b32 v37, s7 :: v_dual_mov_b32 v38, s8
	s_add_co_i32 s7, s8, s34
	s_delay_alu instid0(SALU_CYCLE_1)
	v_dual_mul_f32 v6, v44, v6 :: v_dual_mov_b32 v39, s7
	s_add_co_i32 s7, s7, s34
	s_wait_dscnt 0x0
	v_dual_mul_f32 v7, v44, v7 :: v_dual_mov_b32 v49, s7
	s_clause 0x3
	global_store_b32 v37, v1, s[56:57] scale_offset
	global_store_b32 v38, v36, s[56:57] scale_offset
	global_store_b32 v39, v6, s[56:57] scale_offset
	global_store_b32 v49, v7, s[56:57] scale_offset
	s_branch .LBB228_20
.LBB228_65:                             ;   in Loop: Header=BB228_21 Depth=2
	v_mov_b32_e32 v7, 0
	s_delay_alu instid0(VALU_DEP_1)
	v_dual_mov_b32 v6, v7 :: v_dual_mov_b32 v37, v7
	v_mov_b32_e32 v36, v7
.LBB228_66:                             ;   in Loop: Header=BB228_21 Depth=2
	s_wait_xcnt 0x0
	s_or_b32 exec_lo, exec_lo, s11
	s_delay_alu instid0(SALU_CYCLE_1)
	s_or_b32 exec_lo, exec_lo, s9
	s_and_saveexec_b32 s6, s1
	s_cbranch_execnz .LBB228_24
	s_branch .LBB228_25
.LBB228_67:                             ;   in Loop: Header=BB228_3 Depth=1
	v_dual_mov_b32 v1, v0 :: v_dual_mov_b32 v2, v0
	v_mov_b32_e32 v3, v0
	s_mov_b32 s24, 0
	s_delay_alu instid0(VALU_DEP_1) | instskip(NEXT) | instid1(VALU_DEP_3)
	v_mov_b64_e32 v[4:5], v[2:3]
	v_mov_b64_e32 v[2:3], v[0:1]
.LBB228_68:                             ;   in Loop: Header=BB228_3 Depth=1
	s_cmp_ge_i32 s24, s27
	s_cbranch_scc1 .LBB228_2
; %bb.69:                               ;   in Loop: Header=BB228_3 Depth=1
	v_cmp_gt_u32_e32 vcc_lo, 24, v42
	s_add_nc_u64 s[56:57], s[56:57], s[40:41]
	s_mul_i32 s58, s28, s24
	v_cndmask_b32_e64 v1, 0, 8, vcc_lo
	v_cmp_gt_u32_e32 vcc_lo, 28, v42
	s_delay_alu instid0(VALU_DEP_2) | instskip(SKIP_4) | instid1(VALU_DEP_2)
	v_add_lshl_u32 v1, v1, v42, 2
	s_wait_dscnt 0x0
	v_cndmask_b32_e64 v6, 0, 4, vcc_lo
	v_cmp_gt_u32_e32 vcc_lo, 30, v42
	s_wait_dscnt 0x0
	v_add_lshl_u32 v7, v6, v42, 2
	v_cndmask_b32_e64 v36, 0, 2, vcc_lo
	v_cmp_ne_u32_e32 vcc_lo, 31, v42
	s_delay_alu instid0(VALU_DEP_2) | instskip(SKIP_1) | instid1(VALU_DEP_1)
	v_add_lshl_u32 v38, v36, v42, 2
	v_add_co_ci_u32_e64 v37, null, 0, v42, vcc_lo
	v_lshlrev_b32_e32 v39, 2, v37
	s_branch .LBB228_71
.LBB228_70:                             ;   in Loop: Header=BB228_71 Depth=2
	s_wait_xcnt 0x0
	s_or_b32 exec_lo, exec_lo, s6
	s_add_co_i32 s24, s24, 1
	s_add_co_i32 s58, s58, s28
	s_cmp_ge_i32 s24, s27
	s_cbranch_scc1 .LBB228_2
.LBB228_71:                             ;   Parent Loop BB228_3 Depth=1
                                        ; =>  This Loop Header: Depth=2
                                        ;       Child Loop BB228_84 Depth 3
                                        ;       Child Loop BB228_87 Depth 3
	s_wait_dscnt 0x0
	v_mov_b32_e32 v6, s25
	s_and_saveexec_b32 s6, s4
	s_delay_alu instid0(SALU_CYCLE_1)
	s_xor_b32 s6, exec_lo, s6
	s_cbranch_execnz .LBB228_80
; %bb.72:                               ;   in Loop: Header=BB228_71 Depth=2
	s_and_not1_saveexec_b32 s9, s6
	s_cbranch_execnz .LBB228_81
.LBB228_73:                             ;   in Loop: Header=BB228_71 Depth=2
	s_or_b32 exec_lo, exec_lo, s9
	s_and_saveexec_b32 s6, s1
.LBB228_74:                             ;   in Loop: Header=BB228_71 Depth=2
	ds_store_b32 v40, v0
.LBB228_75:                             ;   in Loop: Header=BB228_71 Depth=2
	s_or_b32 exec_lo, exec_lo, s6
	ds_bpermute_b32 v36, v43, v6
	s_wait_storecnt_dscnt 0x0
	s_barrier_signal -1
	s_barrier_wait -1
	v_add_f32_e32 v6, v6, v36
	ds_bpermute_b32 v36, v1, v6
	s_wait_dscnt 0x0
	v_add_f32_e32 v6, v6, v36
	ds_bpermute_b32 v36, v7, v6
	s_wait_dscnt 0x0
	;; [unrolled: 3-line block ×3, first 2 shown]
	v_add_f32_e32 v6, v6, v36
	ds_bpermute_b32 v36, v39, v6
	s_and_saveexec_b32 s6, s3
	s_cbranch_execz .LBB228_77
; %bb.76:                               ;   in Loop: Header=BB228_71 Depth=2
	s_wait_dscnt 0x0
	v_add_f32_e32 v6, v6, v36
	ds_store_b32 v41, v6
.LBB228_77:                             ;   in Loop: Header=BB228_71 Depth=2
	s_or_b32 exec_lo, exec_lo, s6
	v_mov_b32_e32 v6, 0
	s_wait_dscnt 0x0
	s_barrier_signal -1
	s_barrier_wait -1
	s_and_saveexec_b32 s6, s2
	s_cbranch_execnz .LBB228_89
; %bb.78:                               ;   in Loop: Header=BB228_71 Depth=2
	s_or_b32 exec_lo, exec_lo, s6
	s_and_saveexec_b32 s6, s1
	s_cbranch_execnz .LBB228_90
.LBB228_79:                             ;   in Loop: Header=BB228_71 Depth=2
	s_or_b32 exec_lo, exec_lo, s6
	s_and_saveexec_b32 s6, s0
	s_cbranch_execz .LBB228_70
	s_branch .LBB228_91
.LBB228_80:                             ;   in Loop: Header=BB228_71 Depth=2
	s_mul_i32 s8, s24, s28
	s_delay_alu instid0(SALU_CYCLE_1) | instskip(NEXT) | instid1(SALU_CYCLE_1)
	s_ashr_i32 s9, s8, 31
	v_lshl_add_u64 v[2:3], s[8:9], 2, v[24:25]
	flat_load_b128 v[46:49], v[2:3]
	s_clause 0x3
	flat_load_b32 v2, v[26:27]
	flat_load_b32 v3, v[28:29]
	;; [unrolled: 1-line block ×4, first 2 shown]
	s_wait_loadcnt_dscnt 0x202
	v_pk_mul_f32 v[36:37], v[2:3], v[46:47]
	s_delay_alu instid0(VALU_DEP_1) | instskip(NEXT) | instid1(VALU_DEP_1)
	v_add_f32_e32 v6, 0, v36
	v_add_f32_e32 v6, v6, v37
	s_wait_loadcnt_dscnt 0x0
	v_pk_mul_f32 v[36:37], v[4:5], v[48:49]
	s_delay_alu instid0(VALU_DEP_1) | instskip(NEXT) | instid1(VALU_DEP_1)
	v_add_f32_e32 v6, v6, v36
	v_add_f32_e32 v6, v6, v37
	s_wait_xcnt 0x0
	s_and_not1_saveexec_b32 s9, s6
	s_cbranch_execz .LBB228_73
.LBB228_81:                             ;   in Loop: Header=BB228_71 Depth=2
	s_and_saveexec_b32 s11, s5
	s_cbranch_execz .LBB228_88
; %bb.82:                               ;   in Loop: Header=BB228_71 Depth=2
	s_and_not1_b32 vcc_lo, exec_lo, s73
	s_cbranch_vccnz .LBB228_85
; %bb.83:                               ;   in Loop: Header=BB228_71 Depth=2
	v_mov_b32_e32 v36, v10
	s_mov_b64 s[60:61], 0
.LBB228_84:                             ;   Parent Loop BB228_3 Depth=1
                                        ;     Parent Loop BB228_71 Depth=2
                                        ; =>    This Inner Loop Header: Depth=3
	v_readfirstlane_b32 s6, v22
	v_readfirstlane_b32 s7, v23
	s_cmp_eq_u32 s60, 3
	s_cselect_b32 vcc_lo, -1, 0
	s_cmp_eq_u32 s60, 2
	flat_load_b32 v37, v36, s[6:7] scale_offset
	s_wait_xcnt 0x0
	s_cselect_b32 s6, -1, 0
	s_cmp_eq_u32 s60, 1
	v_add_nc_u32_e32 v36, s68, v36
	s_cselect_b32 s7, -1, 0
	s_cmp_eq_u32 s60, 0
	s_add_nc_u64 s[60:61], s[60:61], 1
	s_cselect_b32 s8, -1, 0
	s_cmp_eq_u32 s71, s60
	s_wait_loadcnt_dscnt 0x0
	v_dual_cndmask_b32 v5, v5, v37, vcc_lo :: v_dual_cndmask_b32 v4, v4, v37, s6
	v_dual_cndmask_b32 v3, v3, v37, s7 :: v_dual_cndmask_b32 v2, v2, v37, s8
	s_cbranch_scc0 .LBB228_84
.LBB228_85:                             ;   in Loop: Header=BB228_71 Depth=2
	s_and_not1_b32 vcc_lo, exec_lo, s73
	s_cbranch_vccnz .LBB228_88
; %bb.86:                               ;   in Loop: Header=BB228_71 Depth=2
	s_ashr_i32 s59, s58, 31
	s_mov_b64 s[6:7], 0
	v_lshl_add_u64 v[36:37], s[58:59], 2, v[34:35]
.LBB228_87:                             ;   Parent Loop BB228_3 Depth=1
                                        ;     Parent Loop BB228_71 Depth=2
                                        ; =>    This Inner Loop Header: Depth=3
	flat_load_b32 v45, v[36:37]
	s_cmp_eq_u32 s6, 1
	s_wait_xcnt 0x0
	v_add_nc_u64_e32 v[36:37], 4, v[36:37]
	s_cselect_b32 vcc_lo, -1, 0
	s_cmp_eq_u32 s6, 2
	v_cndmask_b32_e32 v46, v2, v3, vcc_lo
	s_cselect_b32 vcc_lo, -1, 0
	s_cmp_eq_u32 s6, 3
	s_add_nc_u64 s[6:7], s[6:7], 1
	s_delay_alu instid0(VALU_DEP_1) | instskip(SKIP_2) | instid1(VALU_DEP_1)
	v_cndmask_b32_e32 v46, v46, v4, vcc_lo
	s_cselect_b32 vcc_lo, -1, 0
	s_cmp_lg_u32 s71, s6
	v_cndmask_b32_e32 v46, v46, v5, vcc_lo
	s_wait_loadcnt_dscnt 0x0
	s_delay_alu instid0(VALU_DEP_1)
	v_fmac_f32_e32 v6, v46, v45
	s_cbranch_scc1 .LBB228_87
.LBB228_88:                             ;   in Loop: Header=BB228_71 Depth=2
	s_or_b32 exec_lo, exec_lo, s11
	s_delay_alu instid0(SALU_CYCLE_1)
	s_or_b32 exec_lo, exec_lo, s9
	s_and_saveexec_b32 s6, s1
	s_cbranch_execnz .LBB228_74
	s_branch .LBB228_75
.LBB228_89:                             ;   in Loop: Header=BB228_71 Depth=2
	ds_load_b32 v6, v40
	s_or_b32 exec_lo, exec_lo, s6
	s_and_saveexec_b32 s6, s1
	s_cbranch_execz .LBB228_79
.LBB228_90:                             ;   in Loop: Header=BB228_71 Depth=2
	s_wait_dscnt 0x0
	ds_bpermute_b32 v36, v7, v6
	s_wait_dscnt 0x0
	v_add_f32_e32 v6, v6, v36
	ds_bpermute_b32 v36, v38, v6
	s_wait_dscnt 0x0
	v_add_f32_e32 v6, v6, v36
	;; [unrolled: 3-line block ×3, first 2 shown]
	s_or_b32 exec_lo, exec_lo, s6
	s_and_saveexec_b32 s6, s0
	s_cbranch_execz .LBB228_70
.LBB228_91:                             ;   in Loop: Header=BB228_71 Depth=2
	s_mul_u64 s[8:9], s[24:25], s[34:35]
	s_wait_dscnt 0x0
	v_mul_f32_e32 v6, v44, v6
	s_lshl_b64 s[8:9], s[8:9], 2
	s_delay_alu instid0(SALU_CYCLE_1)
	s_add_nc_u64 s[8:9], s[56:57], s[8:9]
	global_store_b32 v0, v6, s[8:9]
	s_branch .LBB228_70
.LBB228_92:
	s_sendmsg sendmsg(MSG_DEALLOC_VGPRS)
	s_endpgm
	.section	.rodata,"a",@progbits
	.p2align	6, 0x0
	.amdhsa_kernel _ZL23rocblas_gemvt_sn_kernelILb1ELi256ELi4EiPKfS1_fEviiT4_lPKT3_lilS5_lilPT5_i
		.amdhsa_group_segment_fixed_size 128
		.amdhsa_private_segment_fixed_size 0
		.amdhsa_kernarg_size 360
		.amdhsa_user_sgpr_count 2
		.amdhsa_user_sgpr_dispatch_ptr 0
		.amdhsa_user_sgpr_queue_ptr 0
		.amdhsa_user_sgpr_kernarg_segment_ptr 1
		.amdhsa_user_sgpr_dispatch_id 0
		.amdhsa_user_sgpr_kernarg_preload_length 0
		.amdhsa_user_sgpr_kernarg_preload_offset 0
		.amdhsa_user_sgpr_private_segment_size 0
		.amdhsa_wavefront_size32 1
		.amdhsa_uses_dynamic_stack 0
		.amdhsa_enable_private_segment 0
		.amdhsa_system_sgpr_workgroup_id_x 1
		.amdhsa_system_sgpr_workgroup_id_y 0
		.amdhsa_system_sgpr_workgroup_id_z 1
		.amdhsa_system_sgpr_workgroup_info 0
		.amdhsa_system_vgpr_workitem_id 0
		.amdhsa_next_free_vgpr 68
		.amdhsa_next_free_sgpr 80
		.amdhsa_named_barrier_count 0
		.amdhsa_reserve_vcc 1
		.amdhsa_float_round_mode_32 0
		.amdhsa_float_round_mode_16_64 0
		.amdhsa_float_denorm_mode_32 3
		.amdhsa_float_denorm_mode_16_64 3
		.amdhsa_fp16_overflow 0
		.amdhsa_memory_ordered 1
		.amdhsa_forward_progress 1
		.amdhsa_inst_pref_size 32
		.amdhsa_round_robin_scheduling 0
		.amdhsa_exception_fp_ieee_invalid_op 0
		.amdhsa_exception_fp_denorm_src 0
		.amdhsa_exception_fp_ieee_div_zero 0
		.amdhsa_exception_fp_ieee_overflow 0
		.amdhsa_exception_fp_ieee_underflow 0
		.amdhsa_exception_fp_ieee_inexact 0
		.amdhsa_exception_int_div_zero 0
	.end_amdhsa_kernel
	.section	.text._ZL23rocblas_gemvt_sn_kernelILb1ELi256ELi4EiPKfS1_fEviiT4_lPKT3_lilS5_lilPT5_i,"axG",@progbits,_ZL23rocblas_gemvt_sn_kernelILb1ELi256ELi4EiPKfS1_fEviiT4_lPKT3_lilS5_lilPT5_i,comdat
.Lfunc_end228:
	.size	_ZL23rocblas_gemvt_sn_kernelILb1ELi256ELi4EiPKfS1_fEviiT4_lPKT3_lilS5_lilPT5_i, .Lfunc_end228-_ZL23rocblas_gemvt_sn_kernelILb1ELi256ELi4EiPKfS1_fEviiT4_lPKT3_lilS5_lilPT5_i
                                        ; -- End function
	.set _ZL23rocblas_gemvt_sn_kernelILb1ELi256ELi4EiPKfS1_fEviiT4_lPKT3_lilS5_lilPT5_i.num_vgpr, 68
	.set _ZL23rocblas_gemvt_sn_kernelILb1ELi256ELi4EiPKfS1_fEviiT4_lPKT3_lilS5_lilPT5_i.num_agpr, 0
	.set _ZL23rocblas_gemvt_sn_kernelILb1ELi256ELi4EiPKfS1_fEviiT4_lPKT3_lilS5_lilPT5_i.numbered_sgpr, 80
	.set _ZL23rocblas_gemvt_sn_kernelILb1ELi256ELi4EiPKfS1_fEviiT4_lPKT3_lilS5_lilPT5_i.num_named_barrier, 0
	.set _ZL23rocblas_gemvt_sn_kernelILb1ELi256ELi4EiPKfS1_fEviiT4_lPKT3_lilS5_lilPT5_i.private_seg_size, 0
	.set _ZL23rocblas_gemvt_sn_kernelILb1ELi256ELi4EiPKfS1_fEviiT4_lPKT3_lilS5_lilPT5_i.uses_vcc, 1
	.set _ZL23rocblas_gemvt_sn_kernelILb1ELi256ELi4EiPKfS1_fEviiT4_lPKT3_lilS5_lilPT5_i.uses_flat_scratch, 1
	.set _ZL23rocblas_gemvt_sn_kernelILb1ELi256ELi4EiPKfS1_fEviiT4_lPKT3_lilS5_lilPT5_i.has_dyn_sized_stack, 0
	.set _ZL23rocblas_gemvt_sn_kernelILb1ELi256ELi4EiPKfS1_fEviiT4_lPKT3_lilS5_lilPT5_i.has_recursion, 0
	.set _ZL23rocblas_gemvt_sn_kernelILb1ELi256ELi4EiPKfS1_fEviiT4_lPKT3_lilS5_lilPT5_i.has_indirect_call, 0
	.section	.AMDGPU.csdata,"",@progbits
; Kernel info:
; codeLenInByte = 4024
; TotalNumSgprs: 82
; NumVgprs: 68
; ScratchSize: 0
; MemoryBound: 0
; FloatMode: 240
; IeeeMode: 1
; LDSByteSize: 128 bytes/workgroup (compile time only)
; SGPRBlocks: 0
; VGPRBlocks: 4
; NumSGPRsForWavesPerEU: 82
; NumVGPRsForWavesPerEU: 68
; NamedBarCnt: 0
; Occupancy: 12
; WaveLimiterHint : 0
; COMPUTE_PGM_RSRC2:SCRATCH_EN: 0
; COMPUTE_PGM_RSRC2:USER_SGPR: 2
; COMPUTE_PGM_RSRC2:TRAP_HANDLER: 0
; COMPUTE_PGM_RSRC2:TGID_X_EN: 1
; COMPUTE_PGM_RSRC2:TGID_Y_EN: 0
; COMPUTE_PGM_RSRC2:TGID_Z_EN: 1
; COMPUTE_PGM_RSRC2:TIDIG_COMP_CNT: 0
	.section	.text._ZL23rocblas_gemvt_sn_kernelILb1ELi256ELi4ElPKfS1_fEviiT4_lPKT3_lilS5_lilPT5_i,"axG",@progbits,_ZL23rocblas_gemvt_sn_kernelILb1ELi256ELi4ElPKfS1_fEviiT4_lPKT3_lilS5_lilPT5_i,comdat
	.globl	_ZL23rocblas_gemvt_sn_kernelILb1ELi256ELi4ElPKfS1_fEviiT4_lPKT3_lilS5_lilPT5_i ; -- Begin function _ZL23rocblas_gemvt_sn_kernelILb1ELi256ELi4ElPKfS1_fEviiT4_lPKT3_lilS5_lilPT5_i
	.p2align	8
	.type	_ZL23rocblas_gemvt_sn_kernelILb1ELi256ELi4ElPKfS1_fEviiT4_lPKT3_lilS5_lilPT5_i,@function
_ZL23rocblas_gemvt_sn_kernelILb1ELi256ELi4ElPKfS1_fEviiT4_lPKT3_lilS5_lilPT5_i: ; @_ZL23rocblas_gemvt_sn_kernelILb1ELi256ELi4ElPKfS1_fEviiT4_lPKT3_lilS5_lilPT5_i
; %bb.0:
	s_load_b32 s33, s[0:1], 0x60
	s_bfe_u32 s2, ttmp6, 0x40014
	s_lshr_b32 s3, ttmp7, 16
	s_add_co_i32 s2, s2, 1
	s_bfe_u32 s5, ttmp6, 0x40008
	s_mul_i32 s2, s3, s2
	s_getreg_b32 s4, hwreg(HW_REG_IB_STS2, 6, 4)
	s_add_co_i32 s5, s5, s2
	s_cmp_eq_u32 s4, 0
	s_mov_b32 s25, 0
	s_cselect_b32 s10, s3, s5
	s_wait_kmcnt 0x0
	s_cmp_ge_u32 s10, s33
	s_cbranch_scc1 .LBB229_92
; %bb.1:
	s_clause 0x6
	s_load_b32 s26, s[0:1], 0x28
	s_load_b32 s6, s[0:1], 0x48
	s_load_b64 s[28:29], s[0:1], 0x0
	s_load_b32 s30, s[0:1], 0x68
	s_load_b256 s[12:19], s[0:1], 0x8
	s_load_b128 s[20:23], s[0:1], 0x38
	s_load_b64 s[34:35], s[0:1], 0x58
	s_wait_xcnt 0x0
	v_cmp_eq_u32_e64 s0, 0, v0
	v_dual_lshrrev_b32 v2, 3, v0 :: v_dual_bitop2_b32 v1, 31, v0 bitop3:0x40
	v_cmp_gt_u32_e64 s1, 32, v0
	v_cmp_gt_u32_e64 s2, 8, v0
	v_mbcnt_lo_u32_b32 v48, -1, 0
	s_delay_alu instid0(VALU_DEP_4)
	v_dual_lshlrev_b32 v46, 2, v1 :: v_dual_bitop2_b32 v47, 28, v2 bitop3:0x40
	v_cmp_eq_u32_e64 s3, 0, v1
	v_mov_b64_e32 v[22:23], 0
	s_mov_b32 s31, s25
	v_lshl_or_b32 v49, v48, 2, 64
	s_wait_kmcnt 0x0
	s_ashr_i32 s27, s26, 31
	s_ashr_i32 s7, s6, 31
	;; [unrolled: 1-line block ×3, first 2 shown]
	s_cmp_gt_i32 s29, 0
	s_mov_b32 s8, s29
	s_cselect_b32 s5, -1, 0
	s_bfe_u32 s11, ttmp6, 0x4000c
	s_and_b32 s24, ttmp6, 15
	s_add_co_i32 s11, s11, 1
	s_and_b32 s62, s0, s5
	s_mul_i32 s11, ttmp9, s11
	s_mul_u64 s[36:37], s[8:9], s[30:31]
	s_add_co_i32 s24, s24, s11
	s_cmp_eq_u32 s4, 0
	s_mul_u64 s[38:39], s[26:27], 12
	s_cselect_b32 s24, ttmp9, s24
	s_ashr_i32 s5, s28, 31
	s_lshl_b32 s11, s24, 10
	s_lshr_b32 s4, s9, 30
	v_lshl_or_b32 v8, v0, 2, s11
	s_lshr_b32 s5, s5, 30
	s_add_co_i32 s4, s29, s4
	s_add_co_i32 s5, s28, s5
	s_and_b32 s63, s4, -4
	s_and_b32 s4, s5, -4
	v_dual_ashrrev_i32 v9, 31, v8 :: v_dual_bitop2_b32 v0, 1, v8 bitop3:0x54
	s_sub_co_i32 s64, s28, s4
	v_dual_add_nc_u32 v6, 4, v8 :: v_dual_bitop2_b32 v2, 2, v8 bitop3:0x54
	v_dual_add_nc_u32 v7, s64, v8 :: v_dual_bitop2_b32 v4, 3, v8 bitop3:0x54
	s_delay_alu instid0(VALU_DEP_3) | instskip(NEXT) | instid1(VALU_DEP_3)
	v_mul_u64_e32 v[10:11], s[6:7], v[8:9]
	v_dual_ashrrev_i32 v1, 31, v0 :: v_dual_ashrrev_i32 v3, 31, v2
	s_delay_alu instid0(VALU_DEP_3) | instskip(SKIP_2) | instid1(VALU_DEP_3)
	v_ashrrev_i32_e32 v5, 31, v4
	s_cmp_gt_i32 s63, 0
	v_lshlrev_b64_e32 v[18:19], 2, v[8:9]
	v_mul_u64_e32 v[12:13], s[6:7], v[0:1]
	v_mul_u64_e32 v[14:15], s[6:7], v[2:3]
	v_mov_b32_e32 v0, 0
	v_mul_u64_e32 v[16:17], s[6:7], v[4:5]
	s_cselect_b32 s65, -1, 0
	s_cmp_gt_i32 s64, 0
	v_cmp_ge_i32_e64 s4, s28, v6
	s_cselect_b32 s66, -1, 0
	s_cmp_gt_u32 s29, 1
	s_cselect_b32 s5, -1, 0
	s_cmp_eq_u32 s30, 1
	s_cselect_b32 s11, -1, 0
	s_and_b32 s67, s29, 0x7ffffffe
	s_and_b32 s68, s5, s11
	s_cmp_lg_u32 s29, s67
	v_cmp_ge_i32_e64 s5, s28, v7
	s_cselect_b32 s28, -1, 0
	s_lshl_b64 s[40:41], s[24:25], 2
	s_lshl_b64 s[42:43], s[36:37], 2
	;; [unrolled: 1-line block ×7, first 2 shown]
	v_lshlrev_b64_e32 v[20:21], 2, v[10:11]
	s_add_nc_u64 s[54:55], s[34:35], s[40:41]
	s_lshl_b64 s[56:57], s[26:27], 2
	s_lshl_b64 s[18:19], s[18:19], 2
	;; [unrolled: 1-line block ×3, first 2 shown]
	s_branch .LBB229_3
.LBB229_2:                              ;   in Loop: Header=BB229_3 Depth=1
	s_add_co_i32 s10, s10, 0x10000
	s_delay_alu instid0(SALU_CYCLE_1)
	s_cmp_lt_u32 s10, s33
	s_cbranch_scc0 .LBB229_92
.LBB229_3:                              ; =>This Loop Header: Depth=1
                                        ;     Child Loop BB229_11 Depth 2
                                        ;     Child Loop BB229_15 Depth 2
	;; [unrolled: 1-line block ×3, first 2 shown]
                                        ;       Child Loop BB229_52 Depth 3
                                        ;       Child Loop BB229_55 Depth 3
                                        ;     Child Loop BB229_71 Depth 2
                                        ;       Child Loop BB229_84 Depth 3
                                        ;       Child Loop BB229_87 Depth 3
	s_mov_b32 s11, s25
	s_wait_dscnt 0x0
	v_mov_b64_e32 v[6:7], 0
	s_mul_u64 s[6:7], s[14:15], s[10:11]
	s_delay_alu instid0(SALU_CYCLE_1) | instskip(NEXT) | instid1(SALU_CYCLE_1)
	s_lshl_b64 s[6:7], s[6:7], 2
	s_add_nc_u64 s[6:7], s[12:13], s[6:7]
	global_load_b32 v50, v0, s[6:7]
	s_wait_loadcnt 0x0
	s_wait_xcnt 0x0
	v_cmp_eq_f32_e64 s6, 0, v50
	v_cmp_neq_f32_e64 s7, 0, v50
	s_and_b32 vcc_lo, exec_lo, s6
	s_cbranch_vccnz .LBB229_5
; %bb.4:                                ;   in Loop: Header=BB229_3 Depth=1
	s_lshl_b64 s[8:9], s[10:11], 3
	s_delay_alu instid0(SALU_CYCLE_1)
	s_add_nc_u64 s[8:9], s[16:17], s[8:9]
	global_load_b64 v[2:3], v0, s[8:9]
	s_wait_loadcnt 0x0
	v_add_nc_u64_e32 v[6:7], s[18:19], v[2:3]
.LBB229_5:                              ;   in Loop: Header=BB229_3 Depth=1
	v_mov_b64_e32 v[4:5], 0
	s_and_not1_b32 vcc_lo, exec_lo, s7
	s_cbranch_vccnz .LBB229_7
; %bb.6:                                ;   in Loop: Header=BB229_3 Depth=1
	s_wait_xcnt 0x0
	s_lshl_b64 s[8:9], s[10:11], 3
	s_delay_alu instid0(SALU_CYCLE_1)
	s_add_nc_u64 s[8:9], s[20:21], s[8:9]
	global_load_b64 v[2:3], v0, s[8:9]
	s_wait_loadcnt 0x0
	v_add_nc_u64_e32 v[4:5], s[22:23], v[2:3]
.LBB229_7:                              ;   in Loop: Header=BB229_3 Depth=1
	s_and_not1_b32 vcc_lo, exec_lo, s6
	s_mov_b32 s6, -1
	s_cbranch_vccnz .LBB229_17
; %bb.8:                                ;   in Loop: Header=BB229_3 Depth=1
	s_wait_xcnt 0x0
	s_and_saveexec_b32 s8, s62
	s_cbranch_execz .LBB229_16
; %bb.9:                                ;   in Loop: Header=BB229_3 Depth=1
	s_and_not1_b32 vcc_lo, exec_lo, s68
	s_cbranch_vccnz .LBB229_13
; %bb.10:                               ;   in Loop: Header=BB229_3 Depth=1
	s_mul_u64 s[6:7], s[42:43], s[10:11]
	s_mov_b32 s9, s67
	s_add_nc_u64 s[6:7], s[54:55], s[6:7]
.LBB229_11:                             ;   Parent Loop BB229_3 Depth=1
                                        ; =>  This Inner Loop Header: Depth=2
	s_add_co_i32 s9, s9, -2
	global_store_b64 v0, v[22:23], s[6:7]
	s_wait_xcnt 0x0
	s_add_nc_u64 s[6:7], s[6:7], 8
	s_mov_b32 s24, s67
	s_cmp_lg_u32 s9, 0
	s_mov_b32 s58, s28
	s_cbranch_scc1 .LBB229_11
; %bb.12:                               ;   in Loop: Header=BB229_3 Depth=1
	s_and_b32 vcc_lo, exec_lo, s58
	s_cbranch_vccnz .LBB229_14
	s_branch .LBB229_16
.LBB229_13:                             ;   in Loop: Header=BB229_3 Depth=1
	s_mov_b32 s24, 0
	s_cbranch_execz .LBB229_16
.LBB229_14:                             ;   in Loop: Header=BB229_3 Depth=1
	s_mul_u64 s[6:7], s[44:45], s[10:11]
	s_lshl_b64 s[58:59], s[24:25], 2
	s_sub_co_i32 s9, s29, s24
	s_add_nc_u64 s[6:7], s[6:7], s[58:59]
	s_delay_alu instid0(SALU_CYCLE_1) | instskip(NEXT) | instid1(SALU_CYCLE_1)
	s_mul_u64 s[6:7], s[30:31], s[6:7]
	s_add_nc_u64 s[6:7], s[54:55], s[6:7]
.LBB229_15:                             ;   Parent Loop BB229_3 Depth=1
                                        ; =>  This Inner Loop Header: Depth=2
	s_add_co_i32 s9, s9, -1
	global_store_b32 v0, v0, s[6:7]
	s_cmp_eq_u32 s9, 0
	s_wait_xcnt 0x0
	s_add_nc_u64 s[6:7], s[6:7], s[46:47]
	s_cbranch_scc0 .LBB229_15
.LBB229_16:                             ;   in Loop: Header=BB229_3 Depth=1
	s_or_b32 exec_lo, exec_lo, s8
	s_mov_b32 s6, 0
.LBB229_17:                             ;   in Loop: Header=BB229_3 Depth=1
	s_delay_alu instid0(SALU_CYCLE_1)
	s_and_not1_b32 vcc_lo, exec_lo, s6
	s_cbranch_vccnz .LBB229_2
; %bb.18:                               ;   in Loop: Header=BB229_3 Depth=1
	s_mul_u64 s[6:7], s[36:37], s[10:11]
	v_add_nc_u64_e32 v[34:35], v[4:5], v[20:21]
	s_lshl_b64 s[58:59], s[6:7], 2
	v_lshl_add_u64 v[24:25], v[8:9], 2, v[6:7]
	v_lshl_add_u64 v[26:27], v[10:11], 2, v[4:5]
	;; [unrolled: 1-line block ×5, first 2 shown]
	s_wait_xcnt 0x0
	v_cmp_gt_u32_e64 s8, 24, v48
	v_cmp_gt_u32_e64 s6, 28, v48
	v_cmp_gt_u32_e64 s9, 30, v48
	v_cmp_ne_u32_e64 s7, 31, v48
	s_add_nc_u64 s[58:59], s[34:35], s[58:59]
	s_and_not1_b32 vcc_lo, exec_lo, s65
	s_add_nc_u64 s[58:59], s[58:59], s[40:41]
	s_cbranch_vccnz .LBB229_67
; %bb.19:                               ;   in Loop: Header=BB229_3 Depth=1
	v_cndmask_b32_e64 v1, 0, 8, s8
	v_cndmask_b32_e64 v2, 0, 4, s6
	;; [unrolled: 1-line block ×3, first 2 shown]
	v_add_co_ci_u32_e64 v37, null, 0, v48, s7
	s_delay_alu instid0(VALU_DEP_4) | instskip(NEXT) | instid1(VALU_DEP_4)
	v_add_lshl_u32 v51, v1, v48, 2
	v_add_lshl_u32 v52, v2, v48, 2
	v_dual_mov_b32 v1, v0 :: v_dual_mov_b32 v2, v0
	s_delay_alu instid0(VALU_DEP_4) | instskip(SKIP_3) | instid1(VALU_DEP_4)
	v_dual_mov_b32 v3, v0 :: v_dual_lshlrev_b32 v54, 2, v37
	v_add_lshl_u32 v53, v36, v48, 2
	v_add_nc_u64_e32 v[36:37], v[4:5], v[20:21]
	v_mov_b64_e32 v[38:39], v[24:25]
	v_mov_b64_e32 v[4:5], v[2:3]
	;; [unrolled: 1-line block ×3, first 2 shown]
	s_mov_b32 s24, 0
	s_branch .LBB229_21
.LBB229_20:                             ;   in Loop: Header=BB229_21 Depth=2
	s_wait_xcnt 0x0
	s_or_b32 exec_lo, exec_lo, s6
	v_add_nc_u64_e32 v[38:39], s[50:51], v[38:39]
	s_add_co_i32 s24, s24, 4
	s_delay_alu instid0(SALU_CYCLE_1)
	s_cmp_ge_i32 s24, s63
	s_cbranch_scc1 .LBB229_68
.LBB229_21:                             ;   Parent Loop BB229_3 Depth=1
                                        ; =>  This Loop Header: Depth=2
                                        ;       Child Loop BB229_52 Depth 3
                                        ;       Child Loop BB229_55 Depth 3
                                        ; implicit-def: $vgpr41
                                        ; implicit-def: $vgpr43
	s_and_saveexec_b32 s6, s4
	s_delay_alu instid0(SALU_CYCLE_1)
	s_xor_b32 s6, exec_lo, s6
	s_cbranch_execnz .LBB229_48
; %bb.22:                               ;   in Loop: Header=BB229_21 Depth=2
	s_and_not1_saveexec_b32 s9, s6
	s_cbranch_execnz .LBB229_49
.LBB229_23:                             ;   in Loop: Header=BB229_21 Depth=2
	s_or_b32 exec_lo, exec_lo, s9
	s_and_saveexec_b32 s6, s1
.LBB229_24:                             ;   in Loop: Header=BB229_21 Depth=2
	ds_store_b32 v46, v0
.LBB229_25:                             ;   in Loop: Header=BB229_21 Depth=2
	s_or_b32 exec_lo, exec_lo, s6
	ds_bpermute_b32 v1, v49, v42
	s_wait_storecnt_dscnt 0x0
	s_barrier_signal -1
	s_barrier_wait -1
	v_add_f32_e32 v1, v42, v1
	ds_bpermute_b32 v42, v51, v1
	s_wait_dscnt 0x0
	v_add_f32_e32 v1, v1, v42
	ds_bpermute_b32 v42, v52, v1
	s_wait_dscnt 0x0
	;; [unrolled: 3-line block ×3, first 2 shown]
	v_add_f32_e32 v1, v1, v42
	ds_bpermute_b32 v42, v54, v1
	s_and_saveexec_b32 s6, s3
	s_cbranch_execz .LBB229_27
; %bb.26:                               ;   in Loop: Header=BB229_21 Depth=2
	s_wait_dscnt 0x0
	v_add_f32_e32 v1, v1, v42
	ds_store_b32 v47, v1
.LBB229_27:                             ;   in Loop: Header=BB229_21 Depth=2
	s_or_b32 exec_lo, exec_lo, s6
	v_mov_b32_e32 v1, 0
	s_wait_dscnt 0x0
	s_barrier_signal -1
	s_barrier_wait -1
	s_and_saveexec_b32 s6, s2
	s_cbranch_execnz .LBB229_56
; %bb.28:                               ;   in Loop: Header=BB229_21 Depth=2
	s_or_b32 exec_lo, exec_lo, s6
	s_and_saveexec_b32 s6, s1
	s_cbranch_execnz .LBB229_57
.LBB229_29:                             ;   in Loop: Header=BB229_21 Depth=2
	s_or_b32 exec_lo, exec_lo, s6
	s_and_saveexec_b32 s6, s1
.LBB229_30:                             ;   in Loop: Header=BB229_21 Depth=2
	ds_store_b32 v46, v0
.LBB229_31:                             ;   in Loop: Header=BB229_21 Depth=2
	s_or_b32 exec_lo, exec_lo, s6
	ds_bpermute_b32 v42, v49, v43
	s_wait_dscnt 0x0
	s_barrier_signal -1
	s_barrier_wait -1
	v_add_f32_e32 v42, v43, v42
	ds_bpermute_b32 v43, v51, v42
	s_wait_dscnt 0x0
	v_add_f32_e32 v42, v42, v43
	ds_bpermute_b32 v43, v52, v42
	s_wait_dscnt 0x0
	;; [unrolled: 3-line block ×3, first 2 shown]
	v_add_f32_e32 v42, v42, v43
	ds_bpermute_b32 v43, v54, v42
	s_and_saveexec_b32 s6, s3
	s_cbranch_execz .LBB229_33
; %bb.32:                               ;   in Loop: Header=BB229_21 Depth=2
	s_wait_dscnt 0x0
	v_add_f32_e32 v42, v42, v43
	ds_store_b32 v47, v42
.LBB229_33:                             ;   in Loop: Header=BB229_21 Depth=2
	s_or_b32 exec_lo, exec_lo, s6
	v_mov_b32_e32 v42, 0
	s_wait_dscnt 0x0
	s_barrier_signal -1
	s_barrier_wait -1
	s_and_saveexec_b32 s6, s2
	s_cbranch_execnz .LBB229_58
; %bb.34:                               ;   in Loop: Header=BB229_21 Depth=2
	s_or_b32 exec_lo, exec_lo, s6
	s_and_saveexec_b32 s6, s1
	s_cbranch_execnz .LBB229_59
.LBB229_35:                             ;   in Loop: Header=BB229_21 Depth=2
	s_or_b32 exec_lo, exec_lo, s6
	s_and_saveexec_b32 s6, s1
.LBB229_36:                             ;   in Loop: Header=BB229_21 Depth=2
	ds_store_b32 v46, v0
.LBB229_37:                             ;   in Loop: Header=BB229_21 Depth=2
	s_or_b32 exec_lo, exec_lo, s6
	ds_bpermute_b32 v43, v49, v40
	s_wait_dscnt 0x0
	s_barrier_signal -1
	s_barrier_wait -1
	v_add_f32_e32 v40, v40, v43
	ds_bpermute_b32 v43, v51, v40
	s_wait_dscnt 0x0
	v_add_f32_e32 v40, v40, v43
	ds_bpermute_b32 v43, v52, v40
	s_wait_dscnt 0x0
	;; [unrolled: 3-line block ×3, first 2 shown]
	v_add_f32_e32 v40, v40, v43
	ds_bpermute_b32 v43, v54, v40
	s_and_saveexec_b32 s6, s3
	s_cbranch_execz .LBB229_39
; %bb.38:                               ;   in Loop: Header=BB229_21 Depth=2
	s_wait_dscnt 0x0
	v_add_f32_e32 v40, v40, v43
	ds_store_b32 v47, v40
.LBB229_39:                             ;   in Loop: Header=BB229_21 Depth=2
	s_or_b32 exec_lo, exec_lo, s6
	v_mov_b32_e32 v40, 0
	s_wait_dscnt 0x0
	s_barrier_signal -1
	s_barrier_wait -1
	s_and_saveexec_b32 s6, s2
	s_cbranch_execnz .LBB229_60
; %bb.40:                               ;   in Loop: Header=BB229_21 Depth=2
	s_or_b32 exec_lo, exec_lo, s6
	s_and_saveexec_b32 s6, s1
	s_cbranch_execnz .LBB229_61
.LBB229_41:                             ;   in Loop: Header=BB229_21 Depth=2
	s_or_b32 exec_lo, exec_lo, s6
	s_and_saveexec_b32 s6, s1
.LBB229_42:                             ;   in Loop: Header=BB229_21 Depth=2
	ds_store_b32 v46, v0
.LBB229_43:                             ;   in Loop: Header=BB229_21 Depth=2
	s_or_b32 exec_lo, exec_lo, s6
	ds_bpermute_b32 v43, v49, v41
	s_wait_dscnt 0x0
	s_barrier_signal -1
	s_barrier_wait -1
	v_add_f32_e32 v41, v41, v43
	ds_bpermute_b32 v43, v51, v41
	s_wait_dscnt 0x0
	v_add_f32_e32 v41, v41, v43
	ds_bpermute_b32 v43, v52, v41
	s_wait_dscnt 0x0
	;; [unrolled: 3-line block ×3, first 2 shown]
	v_add_f32_e32 v41, v41, v43
	ds_bpermute_b32 v43, v54, v41
	s_and_saveexec_b32 s6, s3
	s_cbranch_execz .LBB229_45
; %bb.44:                               ;   in Loop: Header=BB229_21 Depth=2
	s_wait_dscnt 0x0
	v_add_f32_e32 v41, v41, v43
	ds_store_b32 v47, v41
.LBB229_45:                             ;   in Loop: Header=BB229_21 Depth=2
	s_or_b32 exec_lo, exec_lo, s6
	v_mov_b32_e32 v41, 0
	s_wait_dscnt 0x0
	s_barrier_signal -1
	s_barrier_wait -1
	s_and_saveexec_b32 s6, s2
	s_cbranch_execnz .LBB229_62
; %bb.46:                               ;   in Loop: Header=BB229_21 Depth=2
	s_or_b32 exec_lo, exec_lo, s6
	s_and_saveexec_b32 s6, s1
	s_cbranch_execnz .LBB229_63
.LBB229_47:                             ;   in Loop: Header=BB229_21 Depth=2
	s_or_b32 exec_lo, exec_lo, s6
	s_and_saveexec_b32 s6, s0
	s_cbranch_execz .LBB229_20
	s_branch .LBB229_64
.LBB229_48:                             ;   in Loop: Header=BB229_21 Depth=2
	s_or_b32 s60, s24, 3
	s_mov_b32 s61, s25
	s_mul_u64 s[8:9], s[24:25], s[26:27]
	s_or_b32 s70, s24, 2
	s_mul_u64 s[60:61], s[60:61], s[26:27]
	s_mov_b32 s71, s25
	v_lshl_add_u64 v[44:45], s[8:9], 2, v[24:25]
	s_or_b32 s8, s24, 1
	s_mov_b32 s9, s25
	s_wait_dscnt 0x0
	v_lshl_add_u64 v[40:41], s[60:61], 2, v[24:25]
	s_mul_u64 s[60:61], s[70:71], s[26:27]
	s_mul_u64 s[8:9], s[8:9], s[26:27]
	s_clause 0x2
	flat_load_b32 v2, v[26:27]
	flat_load_b32 v3, v[28:29]
	;; [unrolled: 1-line block ×3, first 2 shown]
	v_lshl_add_u64 v[60:61], s[60:61], 2, v[24:25]
	v_lshl_add_u64 v[64:65], s[8:9], 2, v[24:25]
	s_clause 0x3
	flat_load_b128 v[40:43], v[40:41]
	flat_load_b128 v[56:59], v[44:45]
	flat_load_b128 v[60:63], v[60:61]
	flat_load_b128 v[64:67], v[64:65]
	flat_load_b32 v4, v[30:31]
	s_wait_loadcnt_dscnt 0x505
	s_wait_xcnt 0x3
	v_dual_mov_b32 v44, v3 :: v_dual_mov_b32 v68, v5
	s_wait_loadcnt_dscnt 0x404
	v_pk_mul_f32 v[40:41], v[2:3], v[40:41]
	s_wait_loadcnt_dscnt 0x303
	v_dual_mov_b32 v70, v56 :: v_dual_mov_b32 v56, v58
	s_wait_loadcnt_dscnt 0x202
	s_wait_xcnt 0x2
	v_dual_mul_f32 v60, v2, v60 :: v_dual_mul_f32 v72, v3, v61
	s_wait_loadcnt_dscnt 0x101
	v_dual_mov_b32 v61, v40 :: v_dual_mov_b32 v71, v64
	s_wait_xcnt 0x1
	v_dual_mov_b32 v64, v57 :: v_dual_mov_b32 v73, v41
	s_wait_loadcnt_dscnt 0x0
	v_pk_mul_f32 v[42:43], v[4:5], v[42:43]
	v_pk_add_f32 v[40:41], v[60:61], 0 op_sel_hi:[1,0]
	v_pk_fma_f32 v[60:61], v[2:3], v[70:71], 0 op_sel_hi:[0,1,0]
	v_dual_mul_f32 v70, v4, v62 :: v_dual_mov_b32 v57, v66
	s_delay_alu instid0(VALU_DEP_4) | instskip(NEXT) | instid1(VALU_DEP_4)
	v_dual_mov_b32 v71, v42 :: v_dual_mov_b32 v66, v59
	v_pk_add_f32 v[40:41], v[40:41], v[72:73]
	s_delay_alu instid0(VALU_DEP_4) | instskip(SKIP_1) | instid1(VALU_DEP_3)
	v_pk_fma_f32 v[44:45], v[44:45], v[64:65], v[60:61] op_sel_hi:[0,1,1]
	v_mul_f32_e32 v42, v5, v63
	v_pk_add_f32 v[40:41], v[40:41], v[70:71]
	s_delay_alu instid0(VALU_DEP_3) | instskip(NEXT) | instid1(VALU_DEP_2)
	v_pk_fma_f32 v[44:45], v[4:5], v[56:57], v[44:45] op_sel_hi:[0,1,1]
	v_pk_add_f32 v[40:41], v[40:41], v[42:43]
	s_delay_alu instid0(VALU_DEP_2)
	v_pk_fma_f32 v[42:43], v[68:69], v[66:67], v[44:45] op_sel_hi:[0,1,1]
	s_wait_xcnt 0x0
	s_and_not1_saveexec_b32 s9, s6
	s_cbranch_execz .LBB229_23
.LBB229_49:                             ;   in Loop: Header=BB229_21 Depth=2
	s_wait_dscnt 0x0
	v_dual_mov_b32 v41, 0 :: v_dual_mov_b32 v40, 0
	v_dual_mov_b32 v43, 0 :: v_dual_mov_b32 v42, 0
	s_and_saveexec_b32 s11, s5
	s_cbranch_execz .LBB229_66
; %bb.50:                               ;   in Loop: Header=BB229_21 Depth=2
	s_and_not1_b32 vcc_lo, exec_lo, s66
	s_cbranch_vccnz .LBB229_53
; %bb.51:                               ;   in Loop: Header=BB229_21 Depth=2
	v_mov_b64_e32 v[40:41], v[36:37]
	s_mov_b64 s[60:61], 0
.LBB229_52:                             ;   Parent Loop BB229_3 Depth=1
                                        ;     Parent Loop BB229_21 Depth=2
                                        ; =>    This Inner Loop Header: Depth=3
	flat_load_b32 v1, v[40:41]
	s_cmp_eq_u32 s60, 3
	s_wait_xcnt 0x0
	v_add_nc_u64_e32 v[40:41], s[48:49], v[40:41]
	s_cselect_b32 vcc_lo, -1, 0
	s_cmp_eq_u32 s60, 2
	s_cselect_b32 s6, -1, 0
	s_cmp_eq_u32 s60, 1
	s_cselect_b32 s7, -1, 0
	s_cmp_eq_u32 s60, 0
	s_add_nc_u64 s[60:61], s[60:61], 1
	s_cselect_b32 s8, -1, 0
	s_cmp_eq_u32 s64, s60
	s_wait_loadcnt_dscnt 0x0
	v_dual_cndmask_b32 v5, v5, v1, vcc_lo :: v_dual_cndmask_b32 v4, v4, v1, s6
	v_dual_cndmask_b32 v3, v3, v1, s7 :: v_dual_cndmask_b32 v2, v2, v1, s8
	s_cbranch_scc0 .LBB229_52
.LBB229_53:                             ;   in Loop: Header=BB229_21 Depth=2
	s_and_not1_b32 vcc_lo, exec_lo, s66
	s_cbranch_vccnz .LBB229_65
; %bb.54:                               ;   in Loop: Header=BB229_21 Depth=2
	v_mov_b32_e32 v42, 0
	v_mov_b64_e32 v[44:45], v[38:39]
	s_mov_b64 s[6:7], 0
	s_delay_alu instid0(VALU_DEP_2)
	v_dual_mov_b32 v43, v42 :: v_dual_mov_b32 v40, v42
	v_mov_b32_e32 v41, v42
.LBB229_55:                             ;   Parent Loop BB229_3 Depth=1
                                        ;     Parent Loop BB229_21 Depth=2
                                        ; =>    This Inner Loop Header: Depth=3
	s_delay_alu instid0(VALU_DEP_3)
	v_add_nc_u64_e32 v[56:57], s[52:53], v[44:45]
	v_add_nc_u64_e32 v[58:59], s[38:39], v[44:45]
	s_wait_xcnt 0x0
	v_add_nc_u64_e32 v[60:61], s[56:57], v[44:45]
	s_cmp_eq_u32 s6, 1
	s_clause 0x3
	flat_load_b32 v62, v[44:45]
	flat_load_b32 v56, v[56:57]
	;; [unrolled: 1-line block ×4, first 2 shown]
	s_cselect_b32 vcc_lo, -1, 0
	s_cmp_eq_u32 s6, 2
	v_cndmask_b32_e32 v1, v2, v3, vcc_lo
	s_cselect_b32 vcc_lo, -1, 0
	s_cmp_eq_u32 s6, 3
	v_add_nc_u64_e32 v[44:45], 4, v[44:45]
	s_add_nc_u64 s[6:7], s[6:7], 1
	v_cndmask_b32_e32 v1, v1, v4, vcc_lo
	s_cselect_b32 vcc_lo, -1, 0
	s_cmp_lg_u32 s64, s6
	s_wait_xcnt 0x1
	s_delay_alu instid0(VALU_DEP_1) | instskip(SKIP_1) | instid1(VALU_DEP_1)
	v_cndmask_b32_e32 v58, v1, v5, vcc_lo
	s_wait_loadcnt_dscnt 0x101
	v_pk_fma_f32 v[40:41], v[58:59], v[56:57], v[40:41] op_sel_hi:[0,1,1]
	s_wait_loadcnt_dscnt 0x0
	v_pk_fma_f32 v[42:43], v[58:59], v[62:63], v[42:43] op_sel_hi:[0,1,1]
	s_cbranch_scc1 .LBB229_55
	s_branch .LBB229_66
.LBB229_56:                             ;   in Loop: Header=BB229_21 Depth=2
	ds_load_b32 v1, v46
	s_or_b32 exec_lo, exec_lo, s6
	s_and_saveexec_b32 s6, s1
	s_cbranch_execz .LBB229_29
.LBB229_57:                             ;   in Loop: Header=BB229_21 Depth=2
	s_wait_dscnt 0x0
	ds_bpermute_b32 v42, v52, v1
	s_wait_dscnt 0x0
	v_add_f32_e32 v1, v1, v42
	ds_bpermute_b32 v42, v53, v1
	s_wait_dscnt 0x0
	v_add_f32_e32 v1, v1, v42
	;; [unrolled: 3-line block ×3, first 2 shown]
	s_or_b32 exec_lo, exec_lo, s6
	s_and_saveexec_b32 s6, s1
	s_cbranch_execnz .LBB229_30
	s_branch .LBB229_31
.LBB229_58:                             ;   in Loop: Header=BB229_21 Depth=2
	ds_load_b32 v42, v46
	s_or_b32 exec_lo, exec_lo, s6
	s_and_saveexec_b32 s6, s1
	s_cbranch_execz .LBB229_35
.LBB229_59:                             ;   in Loop: Header=BB229_21 Depth=2
	s_wait_dscnt 0x0
	ds_bpermute_b32 v43, v52, v42
	s_wait_dscnt 0x0
	v_add_f32_e32 v42, v42, v43
	ds_bpermute_b32 v43, v53, v42
	s_wait_dscnt 0x0
	v_add_f32_e32 v42, v42, v43
	;; [unrolled: 3-line block ×3, first 2 shown]
	s_or_b32 exec_lo, exec_lo, s6
	s_and_saveexec_b32 s6, s1
	s_cbranch_execnz .LBB229_36
	s_branch .LBB229_37
.LBB229_60:                             ;   in Loop: Header=BB229_21 Depth=2
	ds_load_b32 v40, v46
	s_or_b32 exec_lo, exec_lo, s6
	s_and_saveexec_b32 s6, s1
	s_cbranch_execz .LBB229_41
.LBB229_61:                             ;   in Loop: Header=BB229_21 Depth=2
	s_wait_dscnt 0x0
	ds_bpermute_b32 v43, v52, v40
	s_wait_dscnt 0x0
	v_add_f32_e32 v40, v40, v43
	ds_bpermute_b32 v43, v53, v40
	s_wait_dscnt 0x0
	v_add_f32_e32 v40, v40, v43
	;; [unrolled: 3-line block ×3, first 2 shown]
	s_or_b32 exec_lo, exec_lo, s6
	s_and_saveexec_b32 s6, s1
	s_cbranch_execnz .LBB229_42
	s_branch .LBB229_43
.LBB229_62:                             ;   in Loop: Header=BB229_21 Depth=2
	ds_load_b32 v41, v46
	s_or_b32 exec_lo, exec_lo, s6
	s_and_saveexec_b32 s6, s1
	s_cbranch_execz .LBB229_47
.LBB229_63:                             ;   in Loop: Header=BB229_21 Depth=2
	s_wait_dscnt 0x0
	ds_bpermute_b32 v43, v52, v41
	s_wait_dscnt 0x0
	v_add_f32_e32 v41, v41, v43
	ds_bpermute_b32 v43, v53, v41
	s_wait_dscnt 0x0
	v_add_f32_e32 v41, v41, v43
	;; [unrolled: 3-line block ×3, first 2 shown]
	s_or_b32 exec_lo, exec_lo, s6
	s_and_saveexec_b32 s6, s0
	s_cbranch_execz .LBB229_20
.LBB229_64:                             ;   in Loop: Header=BB229_21 Depth=2
	s_or_b32 s60, s24, 1
	s_mov_b32 s61, s25
	s_mul_u64 s[8:9], s[24:25], s[30:31]
	v_dual_mul_f32 v1, v50, v1 :: v_dual_mul_f32 v42, v50, v42
	s_mul_u64 s[60:61], s[60:61], s[30:31]
	s_lshl_b64 s[8:9], s[8:9], 2
	s_lshl_b64 s[60:61], s[60:61], 2
	s_add_nc_u64 s[8:9], s[58:59], s[8:9]
	s_add_nc_u64 s[60:61], s[58:59], s[60:61]
	s_clause 0x1
	global_store_b32 v0, v1, s[8:9]
	global_store_b32 v0, v42, s[60:61]
	s_wait_xcnt 0x1
	s_or_b32 s8, s24, 2
	s_mov_b32 s9, s25
	s_wait_xcnt 0x0
	s_or_b32 s60, s24, 3
	s_mov_b32 s61, s25
	s_mul_u64 s[8:9], s[8:9], s[30:31]
	s_wait_dscnt 0x0
	v_dual_mul_f32 v1, v50, v40 :: v_dual_mul_f32 v40, v50, v41
	s_mul_u64 s[60:61], s[60:61], s[30:31]
	s_lshl_b64 s[8:9], s[8:9], 2
	s_lshl_b64 s[60:61], s[60:61], 2
	s_add_nc_u64 s[8:9], s[58:59], s[8:9]
	s_add_nc_u64 s[60:61], s[58:59], s[60:61]
	s_clause 0x1
	global_store_b32 v0, v1, s[8:9]
	global_store_b32 v0, v40, s[60:61]
	s_branch .LBB229_20
.LBB229_65:                             ;   in Loop: Header=BB229_21 Depth=2
	v_mov_b32_e32 v41, 0
	s_delay_alu instid0(VALU_DEP_1)
	v_dual_mov_b32 v40, v41 :: v_dual_mov_b32 v43, v41
	v_mov_b32_e32 v42, v41
.LBB229_66:                             ;   in Loop: Header=BB229_21 Depth=2
	s_wait_xcnt 0x0
	s_or_b32 exec_lo, exec_lo, s11
	s_delay_alu instid0(SALU_CYCLE_1)
	s_or_b32 exec_lo, exec_lo, s9
	s_and_saveexec_b32 s6, s1
	s_cbranch_execnz .LBB229_24
	s_branch .LBB229_25
.LBB229_67:                             ;   in Loop: Header=BB229_3 Depth=1
	v_dual_mov_b32 v1, v0 :: v_dual_mov_b32 v2, v0
	v_mov_b32_e32 v3, v0
	s_mov_b32 s24, 0
	s_delay_alu instid0(VALU_DEP_1) | instskip(NEXT) | instid1(VALU_DEP_3)
	v_mov_b64_e32 v[4:5], v[2:3]
	v_mov_b64_e32 v[2:3], v[0:1]
.LBB229_68:                             ;   in Loop: Header=BB229_3 Depth=1
	s_cmp_ge_i32 s24, s29
	s_cbranch_scc1 .LBB229_2
; %bb.69:                               ;   in Loop: Header=BB229_3 Depth=1
	v_cmp_gt_u32_e32 vcc_lo, 24, v48
	v_add_nc_u64_e32 v[6:7], v[6:7], v[18:19]
	v_cndmask_b32_e64 v1, 0, 8, vcc_lo
	v_cmp_gt_u32_e32 vcc_lo, 28, v48
	s_delay_alu instid0(VALU_DEP_3) | instskip(NEXT) | instid1(VALU_DEP_3)
	v_mad_nc_u64_u32 v[36:37], s56, s24, v[6:7]
	v_add_lshl_u32 v1, v1, v48, 2
	v_cndmask_b32_e64 v6, 0, 4, vcc_lo
	v_cmp_gt_u32_e32 vcc_lo, 30, v48
	s_delay_alu instid0(VALU_DEP_2) | instskip(SKIP_3) | instid1(VALU_DEP_3)
	v_add_lshl_u32 v7, v6, v48, 2
	v_cndmask_b32_e64 v38, 0, 2, vcc_lo
	v_cmp_ne_u32_e32 vcc_lo, 31, v48
	v_mad_u32 v37, s57, s24, v37
	v_add_lshl_u32 v40, v38, v48, 2
	v_add_co_ci_u32_e64 v39, null, 0, v48, vcc_lo
	s_wait_dscnt 0x0
	s_delay_alu instid0(VALU_DEP_1)
	v_lshlrev_b32_e32 v41, 2, v39
	s_branch .LBB229_71
.LBB229_70:                             ;   in Loop: Header=BB229_71 Depth=2
	s_wait_xcnt 0x0
	s_or_b32 exec_lo, exec_lo, s6
	v_add_nc_u64_e32 v[36:37], s[56:57], v[36:37]
	s_add_co_i32 s24, s24, 1
	s_delay_alu instid0(SALU_CYCLE_1)
	s_cmp_ge_i32 s24, s29
	s_cbranch_scc1 .LBB229_2
.LBB229_71:                             ;   Parent Loop BB229_3 Depth=1
                                        ; =>  This Loop Header: Depth=2
                                        ;       Child Loop BB229_84 Depth 3
                                        ;       Child Loop BB229_87 Depth 3
	s_wait_dscnt 0x0
	v_mov_b32_e32 v6, s25
	s_and_saveexec_b32 s6, s4
	s_delay_alu instid0(SALU_CYCLE_1)
	s_xor_b32 s6, exec_lo, s6
	s_cbranch_execnz .LBB229_80
; %bb.72:                               ;   in Loop: Header=BB229_71 Depth=2
	s_and_not1_saveexec_b32 s9, s6
	s_cbranch_execnz .LBB229_81
.LBB229_73:                             ;   in Loop: Header=BB229_71 Depth=2
	s_or_b32 exec_lo, exec_lo, s9
	s_and_saveexec_b32 s6, s1
.LBB229_74:                             ;   in Loop: Header=BB229_71 Depth=2
	ds_store_b32 v46, v0
.LBB229_75:                             ;   in Loop: Header=BB229_71 Depth=2
	s_or_b32 exec_lo, exec_lo, s6
	ds_bpermute_b32 v38, v49, v6
	s_wait_storecnt_dscnt 0x0
	s_barrier_signal -1
	s_barrier_wait -1
	v_add_f32_e32 v6, v6, v38
	ds_bpermute_b32 v38, v1, v6
	s_wait_dscnt 0x0
	v_add_f32_e32 v6, v6, v38
	ds_bpermute_b32 v38, v7, v6
	s_wait_dscnt 0x0
	;; [unrolled: 3-line block ×3, first 2 shown]
	v_add_f32_e32 v6, v6, v38
	ds_bpermute_b32 v38, v41, v6
	s_and_saveexec_b32 s6, s3
	s_cbranch_execz .LBB229_77
; %bb.76:                               ;   in Loop: Header=BB229_71 Depth=2
	s_wait_dscnt 0x0
	v_add_f32_e32 v6, v6, v38
	ds_store_b32 v47, v6
.LBB229_77:                             ;   in Loop: Header=BB229_71 Depth=2
	s_or_b32 exec_lo, exec_lo, s6
	v_mov_b32_e32 v6, 0
	s_wait_dscnt 0x0
	s_barrier_signal -1
	s_barrier_wait -1
	s_and_saveexec_b32 s6, s2
	s_cbranch_execnz .LBB229_89
; %bb.78:                               ;   in Loop: Header=BB229_71 Depth=2
	s_or_b32 exec_lo, exec_lo, s6
	s_and_saveexec_b32 s6, s1
	s_cbranch_execnz .LBB229_90
.LBB229_79:                             ;   in Loop: Header=BB229_71 Depth=2
	s_or_b32 exec_lo, exec_lo, s6
	s_and_saveexec_b32 s6, s0
	s_cbranch_execz .LBB229_70
	s_branch .LBB229_91
.LBB229_80:                             ;   in Loop: Header=BB229_71 Depth=2
	s_mul_u64 s[8:9], s[24:25], s[26:27]
	s_delay_alu instid0(SALU_CYCLE_1)
	v_lshl_add_u64 v[2:3], s[8:9], 2, v[24:25]
	flat_load_b128 v[42:45], v[2:3]
	s_clause 0x3
	flat_load_b32 v2, v[26:27]
	flat_load_b32 v3, v[28:29]
	;; [unrolled: 1-line block ×4, first 2 shown]
	s_wait_loadcnt_dscnt 0x202
	v_pk_mul_f32 v[38:39], v[2:3], v[42:43]
	s_delay_alu instid0(VALU_DEP_1) | instskip(NEXT) | instid1(VALU_DEP_1)
	v_add_f32_e32 v6, 0, v38
	v_add_f32_e32 v6, v6, v39
	s_wait_loadcnt_dscnt 0x0
	v_pk_mul_f32 v[38:39], v[4:5], v[44:45]
	s_delay_alu instid0(VALU_DEP_1) | instskip(NEXT) | instid1(VALU_DEP_1)
	v_add_f32_e32 v6, v6, v38
	v_add_f32_e32 v6, v6, v39
	s_wait_xcnt 0x0
	s_and_not1_saveexec_b32 s9, s6
	s_cbranch_execz .LBB229_73
.LBB229_81:                             ;   in Loop: Header=BB229_71 Depth=2
	s_and_saveexec_b32 s11, s5
	s_cbranch_execz .LBB229_88
; %bb.82:                               ;   in Loop: Header=BB229_71 Depth=2
	s_and_not1_b32 vcc_lo, exec_lo, s66
	s_cbranch_vccnz .LBB229_85
; %bb.83:                               ;   in Loop: Header=BB229_71 Depth=2
	v_mov_b64_e32 v[38:39], v[34:35]
	s_mov_b64 s[60:61], 0
.LBB229_84:                             ;   Parent Loop BB229_3 Depth=1
                                        ;     Parent Loop BB229_71 Depth=2
                                        ; =>    This Inner Loop Header: Depth=3
	flat_load_b32 v42, v[38:39]
	s_cmp_eq_u32 s60, 3
	s_wait_xcnt 0x0
	v_add_nc_u64_e32 v[38:39], s[48:49], v[38:39]
	s_cselect_b32 vcc_lo, -1, 0
	s_cmp_eq_u32 s60, 2
	s_cselect_b32 s6, -1, 0
	s_cmp_eq_u32 s60, 1
	s_cselect_b32 s7, -1, 0
	s_cmp_eq_u32 s60, 0
	s_add_nc_u64 s[60:61], s[60:61], 1
	s_cselect_b32 s8, -1, 0
	s_cmp_eq_u32 s64, s60
	s_wait_loadcnt_dscnt 0x0
	v_dual_cndmask_b32 v5, v5, v42, vcc_lo :: v_dual_cndmask_b32 v4, v4, v42, s6
	v_dual_cndmask_b32 v3, v3, v42, s7 :: v_dual_cndmask_b32 v2, v2, v42, s8
	s_cbranch_scc0 .LBB229_84
.LBB229_85:                             ;   in Loop: Header=BB229_71 Depth=2
	s_and_not1_b32 vcc_lo, exec_lo, s66
	s_cbranch_vccnz .LBB229_88
; %bb.86:                               ;   in Loop: Header=BB229_71 Depth=2
	v_mov_b64_e32 v[38:39], v[36:37]
	s_mov_b64 s[6:7], 0
.LBB229_87:                             ;   Parent Loop BB229_3 Depth=1
                                        ;     Parent Loop BB229_71 Depth=2
                                        ; =>    This Inner Loop Header: Depth=3
	flat_load_b32 v42, v[38:39]
	s_cmp_eq_u32 s6, 1
	s_wait_xcnt 0x0
	v_add_nc_u64_e32 v[38:39], 4, v[38:39]
	s_cselect_b32 vcc_lo, -1, 0
	s_cmp_eq_u32 s6, 2
	v_cndmask_b32_e32 v43, v2, v3, vcc_lo
	s_cselect_b32 vcc_lo, -1, 0
	s_cmp_eq_u32 s6, 3
	s_add_nc_u64 s[6:7], s[6:7], 1
	s_delay_alu instid0(VALU_DEP_1) | instskip(SKIP_2) | instid1(VALU_DEP_1)
	v_cndmask_b32_e32 v43, v43, v4, vcc_lo
	s_cselect_b32 vcc_lo, -1, 0
	s_cmp_lg_u32 s64, s6
	v_cndmask_b32_e32 v43, v43, v5, vcc_lo
	s_wait_loadcnt_dscnt 0x0
	s_delay_alu instid0(VALU_DEP_1)
	v_fmac_f32_e32 v6, v43, v42
	s_cbranch_scc1 .LBB229_87
.LBB229_88:                             ;   in Loop: Header=BB229_71 Depth=2
	s_or_b32 exec_lo, exec_lo, s11
	s_delay_alu instid0(SALU_CYCLE_1)
	s_or_b32 exec_lo, exec_lo, s9
	s_and_saveexec_b32 s6, s1
	s_cbranch_execnz .LBB229_74
	s_branch .LBB229_75
.LBB229_89:                             ;   in Loop: Header=BB229_71 Depth=2
	ds_load_b32 v6, v46
	s_or_b32 exec_lo, exec_lo, s6
	s_and_saveexec_b32 s6, s1
	s_cbranch_execz .LBB229_79
.LBB229_90:                             ;   in Loop: Header=BB229_71 Depth=2
	s_wait_dscnt 0x0
	ds_bpermute_b32 v38, v7, v6
	s_wait_dscnt 0x0
	v_add_f32_e32 v6, v6, v38
	ds_bpermute_b32 v38, v40, v6
	s_wait_dscnt 0x0
	v_add_f32_e32 v6, v6, v38
	;; [unrolled: 3-line block ×3, first 2 shown]
	s_or_b32 exec_lo, exec_lo, s6
	s_and_saveexec_b32 s6, s0
	s_cbranch_execz .LBB229_70
.LBB229_91:                             ;   in Loop: Header=BB229_71 Depth=2
	s_mul_u64 s[8:9], s[24:25], s[30:31]
	s_wait_dscnt 0x0
	v_mul_f32_e32 v6, v50, v6
	s_lshl_b64 s[8:9], s[8:9], 2
	s_delay_alu instid0(SALU_CYCLE_1)
	s_add_nc_u64 s[8:9], s[58:59], s[8:9]
	global_store_b32 v0, v6, s[8:9]
	s_branch .LBB229_70
.LBB229_92:
	s_sendmsg sendmsg(MSG_DEALLOC_VGPRS)
	s_endpgm
	.section	.rodata,"a",@progbits
	.p2align	6, 0x0
	.amdhsa_kernel _ZL23rocblas_gemvt_sn_kernelILb1ELi256ELi4ElPKfS1_fEviiT4_lPKT3_lilS5_lilPT5_i
		.amdhsa_group_segment_fixed_size 128
		.amdhsa_private_segment_fixed_size 0
		.amdhsa_kernarg_size 360
		.amdhsa_user_sgpr_count 2
		.amdhsa_user_sgpr_dispatch_ptr 0
		.amdhsa_user_sgpr_queue_ptr 0
		.amdhsa_user_sgpr_kernarg_segment_ptr 1
		.amdhsa_user_sgpr_dispatch_id 0
		.amdhsa_user_sgpr_kernarg_preload_length 0
		.amdhsa_user_sgpr_kernarg_preload_offset 0
		.amdhsa_user_sgpr_private_segment_size 0
		.amdhsa_wavefront_size32 1
		.amdhsa_uses_dynamic_stack 0
		.amdhsa_enable_private_segment 0
		.amdhsa_system_sgpr_workgroup_id_x 1
		.amdhsa_system_sgpr_workgroup_id_y 0
		.amdhsa_system_sgpr_workgroup_id_z 1
		.amdhsa_system_sgpr_workgroup_info 0
		.amdhsa_system_vgpr_workitem_id 0
		.amdhsa_next_free_vgpr 74
		.amdhsa_next_free_sgpr 72
		.amdhsa_named_barrier_count 0
		.amdhsa_reserve_vcc 1
		.amdhsa_float_round_mode_32 0
		.amdhsa_float_round_mode_16_64 0
		.amdhsa_float_denorm_mode_32 3
		.amdhsa_float_denorm_mode_16_64 3
		.amdhsa_fp16_overflow 0
		.amdhsa_memory_ordered 1
		.amdhsa_forward_progress 1
		.amdhsa_inst_pref_size 32
		.amdhsa_round_robin_scheduling 0
		.amdhsa_exception_fp_ieee_invalid_op 0
		.amdhsa_exception_fp_denorm_src 0
		.amdhsa_exception_fp_ieee_div_zero 0
		.amdhsa_exception_fp_ieee_overflow 0
		.amdhsa_exception_fp_ieee_underflow 0
		.amdhsa_exception_fp_ieee_inexact 0
		.amdhsa_exception_int_div_zero 0
	.end_amdhsa_kernel
	.section	.text._ZL23rocblas_gemvt_sn_kernelILb1ELi256ELi4ElPKfS1_fEviiT4_lPKT3_lilS5_lilPT5_i,"axG",@progbits,_ZL23rocblas_gemvt_sn_kernelILb1ELi256ELi4ElPKfS1_fEviiT4_lPKT3_lilS5_lilPT5_i,comdat
.Lfunc_end229:
	.size	_ZL23rocblas_gemvt_sn_kernelILb1ELi256ELi4ElPKfS1_fEviiT4_lPKT3_lilS5_lilPT5_i, .Lfunc_end229-_ZL23rocblas_gemvt_sn_kernelILb1ELi256ELi4ElPKfS1_fEviiT4_lPKT3_lilS5_lilPT5_i
                                        ; -- End function
	.set _ZL23rocblas_gemvt_sn_kernelILb1ELi256ELi4ElPKfS1_fEviiT4_lPKT3_lilS5_lilPT5_i.num_vgpr, 74
	.set _ZL23rocblas_gemvt_sn_kernelILb1ELi256ELi4ElPKfS1_fEviiT4_lPKT3_lilS5_lilPT5_i.num_agpr, 0
	.set _ZL23rocblas_gemvt_sn_kernelILb1ELi256ELi4ElPKfS1_fEviiT4_lPKT3_lilS5_lilPT5_i.numbered_sgpr, 72
	.set _ZL23rocblas_gemvt_sn_kernelILb1ELi256ELi4ElPKfS1_fEviiT4_lPKT3_lilS5_lilPT5_i.num_named_barrier, 0
	.set _ZL23rocblas_gemvt_sn_kernelILb1ELi256ELi4ElPKfS1_fEviiT4_lPKT3_lilS5_lilPT5_i.private_seg_size, 0
	.set _ZL23rocblas_gemvt_sn_kernelILb1ELi256ELi4ElPKfS1_fEviiT4_lPKT3_lilS5_lilPT5_i.uses_vcc, 1
	.set _ZL23rocblas_gemvt_sn_kernelILb1ELi256ELi4ElPKfS1_fEviiT4_lPKT3_lilS5_lilPT5_i.uses_flat_scratch, 1
	.set _ZL23rocblas_gemvt_sn_kernelILb1ELi256ELi4ElPKfS1_fEviiT4_lPKT3_lilS5_lilPT5_i.has_dyn_sized_stack, 0
	.set _ZL23rocblas_gemvt_sn_kernelILb1ELi256ELi4ElPKfS1_fEviiT4_lPKT3_lilS5_lilPT5_i.has_recursion, 0
	.set _ZL23rocblas_gemvt_sn_kernelILb1ELi256ELi4ElPKfS1_fEviiT4_lPKT3_lilS5_lilPT5_i.has_indirect_call, 0
	.section	.AMDGPU.csdata,"",@progbits
; Kernel info:
; codeLenInByte = 4016
; TotalNumSgprs: 74
; NumVgprs: 74
; ScratchSize: 0
; MemoryBound: 0
; FloatMode: 240
; IeeeMode: 1
; LDSByteSize: 128 bytes/workgroup (compile time only)
; SGPRBlocks: 0
; VGPRBlocks: 4
; NumSGPRsForWavesPerEU: 74
; NumVGPRsForWavesPerEU: 74
; NamedBarCnt: 0
; Occupancy: 12
; WaveLimiterHint : 0
; COMPUTE_PGM_RSRC2:SCRATCH_EN: 0
; COMPUTE_PGM_RSRC2:USER_SGPR: 2
; COMPUTE_PGM_RSRC2:TRAP_HANDLER: 0
; COMPUTE_PGM_RSRC2:TGID_X_EN: 1
; COMPUTE_PGM_RSRC2:TGID_Y_EN: 0
; COMPUTE_PGM_RSRC2:TGID_Z_EN: 1
; COMPUTE_PGM_RSRC2:TIDIG_COMP_CNT: 0
	.section	.text._ZL23rocblas_gemvt_sn_kernelILb1ELi256ELi4EiPKfffEviiT4_lPKT3_lilS5_lilPT5_i,"axG",@progbits,_ZL23rocblas_gemvt_sn_kernelILb1ELi256ELi4EiPKfffEviiT4_lPKT3_lilS5_lilPT5_i,comdat
	.globl	_ZL23rocblas_gemvt_sn_kernelILb1ELi256ELi4EiPKfffEviiT4_lPKT3_lilS5_lilPT5_i ; -- Begin function _ZL23rocblas_gemvt_sn_kernelILb1ELi256ELi4EiPKfffEviiT4_lPKT3_lilS5_lilPT5_i
	.p2align	8
	.type	_ZL23rocblas_gemvt_sn_kernelILb1ELi256ELi4EiPKfffEviiT4_lPKT3_lilS5_lilPT5_i,@function
_ZL23rocblas_gemvt_sn_kernelILb1ELi256ELi4EiPKfffEviiT4_lPKT3_lilS5_lilPT5_i: ; @_ZL23rocblas_gemvt_sn_kernelILb1ELi256ELi4EiPKfffEviiT4_lPKT3_lilS5_lilPT5_i
; %bb.0:
	s_load_b32 s23, s[0:1], 0x60
	s_bfe_u32 s2, ttmp6, 0x40014
	s_lshr_b32 s3, ttmp7, 16
	s_add_co_i32 s2, s2, 1
	s_bfe_u32 s5, ttmp6, 0x40008
	s_mul_i32 s2, s3, s2
	s_getreg_b32 s4, hwreg(HW_REG_IB_STS2, 6, 4)
	s_add_co_i32 s5, s5, s2
	s_cmp_eq_u32 s4, 0
	s_mov_b32 s25, 0
	s_cselect_b32 s10, s3, s5
	s_wait_kmcnt 0x0
	s_cmp_ge_u32 s10, s23
	s_cbranch_scc1 .LBB230_94
; %bb.1:
	s_clause 0x6
	s_load_b96 s[20:22], s[0:1], 0x0
	s_load_b128 s[12:15], s[0:1], 0x18
	s_load_b32 s26, s[0:1], 0x28
	s_load_b128 s[16:19], s[0:1], 0x38
	s_load_b32 s33, s[0:1], 0x48
	s_load_b64 s[28:29], s[0:1], 0x58
	s_load_b32 s30, s[0:1], 0x68
	s_wait_xcnt 0x0
	v_cmp_eq_u32_e64 s0, 0, v0
	v_dual_lshrrev_b32 v2, 3, v0 :: v_dual_bitop2_b32 v1, 31, v0 bitop3:0x40
	v_cmp_gt_u32_e64 s1, 32, v0
	v_cmp_gt_u32_e64 s2, 8, v0
	v_mbcnt_lo_u32_b32 v40, -1, 0
	s_delay_alu instid0(VALU_DEP_4)
	v_cmp_eq_u32_e64 s3, 0, v1
	v_dual_lshlrev_b32 v38, 2, v1 :: v_dual_bitop2_b32 v39, 28, v2 bitop3:0x40
	v_mov_b64_e32 v[18:19], 0
	s_mov_b32 s35, s25
	v_lshl_or_b32 v41, v40, 2, 64
	s_mov_b32 s31, s25
	s_wait_kmcnt 0x0
	s_cmp_neq_f32 s22, 0
	s_mov_b32 s6, s21
	s_mov_b32 s27, s25
	;; [unrolled: 1-line block ×3, first 2 shown]
	s_cselect_b32 s64, -1, 0
	s_cmp_eq_f32 s22, 0
	s_cselect_b32 s65, -1, 0
	s_ashr_i32 s7, s21, 31
	s_cmp_gt_i32 s21, 0
	s_mul_u64 s[36:37], s[6:7], s[30:31]
	s_cselect_b32 s5, -1, 0
	s_bfe_u32 s8, ttmp6, 0x4000c
	s_and_b32 s9, ttmp6, 15
	s_add_co_i32 s8, s8, 1
	s_and_b32 s66, s0, s5
	s_mul_i32 s8, ttmp9, s8
	s_delay_alu instid0(SALU_CYCLE_1)
	s_add_co_i32 s9, s9, s8
	s_cmp_eq_u32 s4, 0
	s_cselect_b32 s34, ttmp9, s9
	s_ashr_i32 s5, s20, 31
	s_lshl_b32 s8, s34, 10
	s_lshr_b32 s5, s5, 30
	v_lshl_or_b32 v8, v0, 2, s8
	s_add_co_i32 s5, s20, s5
	s_lshr_b32 s4, s7, 30
	s_and_b32 s5, s5, -4
	s_add_co_i32 s4, s21, s4
	v_mul_lo_u32 v10, s33, v8
	s_sub_co_i32 s68, s20, s5
	s_and_b32 s67, s4, -4
	v_add_nc_u32_e32 v1, s68, v8
	s_cmp_gt_i32 s67, 0
	v_dual_ashrrev_i32 v9, 31, v8 :: v_dual_add_nc_u32 v0, 4, v8
	s_cselect_b32 s69, -1, 0
	s_cmp_gt_i32 s68, 0
	s_cselect_b32 s70, -1, 0
	s_delay_alu instid0(VALU_DEP_3)
	v_add_nc_u32_e32 v12, s33, v10
	s_cmp_gt_u32 s21, 1
	v_ashrrev_i32_e32 v11, 31, v10
	s_cselect_b32 s8, -1, 0
	s_cmp_eq_u32 s30, 1
	v_add_nc_u32_e32 v14, s33, v12
	s_cselect_b32 s9, -1, 0
	v_cmp_ge_i32_e64 s4, s20, v0
	v_cmp_ge_i32_e64 s5, s20, v1
	s_and_b32 s20, s21, 0x7ffffffe
	v_dual_add_nc_u32 v16, s33, v14 :: v_dual_ashrrev_i32 v13, 31, v12
	s_and_b32 s71, s8, s9
	s_cmp_lg_u32 s21, s20
	s_delay_alu instid0(VALU_DEP_1)
	v_dual_ashrrev_i32 v15, 31, v14 :: v_dual_ashrrev_i32 v17, 31, v16
	s_cselect_b32 s72, -1, 0
	s_lshl_b32 s24, s26, 1
	v_mov_b32_e32 v0, 0
	s_lshl_b64 s[38:39], s[34:35], 2
	s_mov_b64 s[48:49], s[24:25]
	s_mul_i32 s24, s26, 3
	s_lshl_b64 s[40:41], s[6:7], 2
	s_lshl_b64 s[42:43], s[30:31], 2
	s_lshl_b32 s44, s26, 2
	s_add_nc_u64 s[46:47], s[28:29], s[38:39]
	s_mov_b64 s[50:51], s[24:25]
	s_lshl_b64 s[14:15], s[14:15], 2
	s_lshl_b64 s[18:19], s[18:19], 2
	s_branch .LBB230_3
.LBB230_2:                              ;   in Loop: Header=BB230_3 Depth=1
	s_add_co_i32 s10, s10, 0x10000
	s_delay_alu instid0(SALU_CYCLE_1)
	s_cmp_lt_u32 s10, s23
	s_cbranch_scc0 .LBB230_94
.LBB230_3:                              ; =>This Loop Header: Depth=1
                                        ;     Child Loop BB230_11 Depth 2
                                        ;     Child Loop BB230_17 Depth 2
	;; [unrolled: 1-line block ×3, first 2 shown]
                                        ;       Child Loop BB230_54 Depth 3
                                        ;       Child Loop BB230_57 Depth 3
                                        ;     Child Loop BB230_73 Depth 2
                                        ;       Child Loop BB230_86 Depth 3
                                        ;       Child Loop BB230_89 Depth 3
	s_mov_b32 s11, s25
	s_and_not1_b32 vcc_lo, exec_lo, s65
	s_mov_b32 s6, -1
	s_cbranch_vccz .LBB230_13
; %bb.4:                                ;   in Loop: Header=BB230_3 Depth=1
	v_mov_b64_e32 v[20:21], 0
	v_mov_b64_e32 v[2:3], 0
	s_and_not1_b32 vcc_lo, exec_lo, s6
	s_cbranch_vccz .LBB230_14
.LBB230_5:                              ;   in Loop: Header=BB230_3 Depth=1
	s_and_not1_b32 vcc_lo, exec_lo, s64
	s_cbranch_vccnz .LBB230_7
.LBB230_6:                              ;   in Loop: Header=BB230_3 Depth=1
	s_wait_xcnt 0x0
	s_lshl_b64 s[6:7], s[10:11], 3
	s_delay_alu instid0(SALU_CYCLE_1)
	s_add_nc_u64 s[6:7], s[16:17], s[6:7]
	global_load_b64 v[4:5], v0, s[6:7]
	s_wait_loadcnt 0x0
	v_add_nc_u64_e32 v[20:21], s[18:19], v[4:5]
.LBB230_7:                              ;   in Loop: Header=BB230_3 Depth=1
	s_wait_xcnt 0x0
	s_mul_u64 s[6:7], s[36:37], s[10:11]
	s_and_not1_b32 vcc_lo, exec_lo, s65
	s_lshl_b64 s[6:7], s[6:7], 2
	s_delay_alu instid0(SALU_CYCLE_1)
	s_add_nc_u64 s[52:53], s[28:29], s[6:7]
	s_mov_b32 s6, -1
	s_cbranch_vccnz .LBB230_19
; %bb.8:                                ;   in Loop: Header=BB230_3 Depth=1
	s_and_saveexec_b32 s8, s66
	s_cbranch_execz .LBB230_18
; %bb.9:                                ;   in Loop: Header=BB230_3 Depth=1
	s_and_not1_b32 vcc_lo, exec_lo, s71
	s_cbranch_vccnz .LBB230_15
; %bb.10:                               ;   in Loop: Header=BB230_3 Depth=1
	s_add_nc_u64 s[6:7], s[52:53], s[38:39]
	s_mov_b32 s9, s20
.LBB230_11:                             ;   Parent Loop BB230_3 Depth=1
                                        ; =>  This Inner Loop Header: Depth=2
	s_delay_alu instid0(SALU_CYCLE_1)
	s_add_co_i32 s9, s9, -2
	global_store_b64 v0, v[18:19], s[6:7]
	s_wait_xcnt 0x0
	s_add_nc_u64 s[6:7], s[6:7], 8
	s_mov_b32 s24, s20
	s_cmp_lg_u32 s9, 0
	s_mov_b32 s35, s72
	s_cbranch_scc1 .LBB230_11
; %bb.12:                               ;   in Loop: Header=BB230_3 Depth=1
	s_and_b32 vcc_lo, exec_lo, s35
	s_cbranch_vccnz .LBB230_16
	s_branch .LBB230_18
.LBB230_13:                             ;   in Loop: Header=BB230_3 Depth=1
	v_mov_b64_e32 v[20:21], 0
	v_mov_b64_e32 v[2:3], 0
	s_cbranch_execnz .LBB230_5
.LBB230_14:                             ;   in Loop: Header=BB230_3 Depth=1
	s_lshl_b64 s[6:7], s[10:11], 3
	s_delay_alu instid0(SALU_CYCLE_1)
	s_add_nc_u64 s[6:7], s[12:13], s[6:7]
	global_load_b64 v[2:3], v0, s[6:7]
	s_wait_loadcnt 0x0
	v_add_nc_u64_e32 v[2:3], s[14:15], v[2:3]
	s_and_not1_b32 vcc_lo, exec_lo, s64
	s_cbranch_vccz .LBB230_6
	s_branch .LBB230_7
.LBB230_15:                             ;   in Loop: Header=BB230_3 Depth=1
	s_mov_b32 s24, 0
	s_cbranch_execz .LBB230_18
.LBB230_16:                             ;   in Loop: Header=BB230_3 Depth=1
	s_mul_u64 s[6:7], s[40:41], s[10:11]
	s_lshl_b64 s[54:55], s[24:25], 2
	s_sub_co_i32 s9, s21, s24
	s_add_nc_u64 s[6:7], s[6:7], s[54:55]
	s_delay_alu instid0(SALU_CYCLE_1) | instskip(NEXT) | instid1(SALU_CYCLE_1)
	s_mul_u64 s[6:7], s[30:31], s[6:7]
	s_add_nc_u64 s[6:7], s[46:47], s[6:7]
.LBB230_17:                             ;   Parent Loop BB230_3 Depth=1
                                        ; =>  This Inner Loop Header: Depth=2
	s_add_co_i32 s9, s9, -1
	global_store_b32 v0, v0, s[6:7]
	s_cmp_eq_u32 s9, 0
	s_wait_xcnt 0x0
	s_add_nc_u64 s[6:7], s[6:7], s[42:43]
	s_cbranch_scc0 .LBB230_17
.LBB230_18:                             ;   in Loop: Header=BB230_3 Depth=1
	s_or_b32 exec_lo, exec_lo, s8
	s_mov_b32 s6, 0
.LBB230_19:                             ;   in Loop: Header=BB230_3 Depth=1
	s_delay_alu instid0(SALU_CYCLE_1)
	s_and_not1_b32 vcc_lo, exec_lo, s6
	s_cbranch_vccnz .LBB230_2
; %bb.20:                               ;   in Loop: Header=BB230_3 Depth=1
	v_lshlrev_b64_e32 v[4:5], 2, v[8:9]
	v_lshl_add_u64 v[22:23], v[8:9], 2, v[2:3]
	v_lshl_add_u64 v[24:25], v[10:11], 2, v[20:21]
	;; [unrolled: 1-line block ×5, first 2 shown]
	v_cmp_gt_u32_e64 s9, 24, v40
	v_add_nc_u64_e32 v[32:33], v[2:3], v[4:5]
	v_cmp_gt_u32_e64 s8, 28, v40
	v_cmp_gt_u32_e64 s7, 30, v40
	v_cmp_ne_u32_e64 s6, 31, v40
	s_and_not1_b32 vcc_lo, exec_lo, s69
	s_cbranch_vccnz .LBB230_69
; %bb.21:                               ;   in Loop: Header=BB230_3 Depth=1
	v_cndmask_b32_e64 v1, 0, 8, s9
	v_cndmask_b32_e64 v4, 0, 4, s8
	;; [unrolled: 1-line block ×3, first 2 shown]
	s_wait_dscnt 0x0
	v_add_co_ci_u32_e64 v6, null, 0, v40, s6
	v_add_lshl_u32 v42, v1, v40, 2
	v_dual_mov_b32 v1, v0 :: v_dual_mov_b32 v2, v0
	s_delay_alu instid0(VALU_DEP_3) | instskip(SKIP_3) | instid1(VALU_DEP_3)
	v_dual_mov_b32 v3, v0 :: v_dual_lshlrev_b32 v45, 2, v6
	v_add_lshl_u32 v43, v4, v40, 2
	v_add_lshl_u32 v44, v5, v40, 2
	s_mov_b32 s54, 0
	v_mov_b64_e32 v[4:5], v[2:3]
	v_mov_b64_e32 v[2:3], v[0:1]
	s_mov_b64 s[56:57], s[50:51]
	s_mov_b64 s[58:59], s[48:49]
	;; [unrolled: 1-line block ×3, first 2 shown]
	s_mov_b32 s24, s54
	s_branch .LBB230_23
.LBB230_22:                             ;   in Loop: Header=BB230_23 Depth=2
	s_wait_xcnt 0x0
	s_or_b32 exec_lo, exec_lo, s6
	s_add_co_i32 s24, s24, 4
	s_add_co_i32 s54, s54, s44
	s_add_nc_u64 s[60:61], s[60:61], s[44:45]
	s_add_nc_u64 s[58:59], s[58:59], s[44:45]
	s_cmp_ge_i32 s24, s67
	s_add_nc_u64 s[56:57], s[56:57], s[44:45]
	s_cbranch_scc1 .LBB230_70
.LBB230_23:                             ;   Parent Loop BB230_3 Depth=1
                                        ; =>  This Loop Header: Depth=2
                                        ;       Child Loop BB230_54 Depth 3
                                        ;       Child Loop BB230_57 Depth 3
                                        ; implicit-def: $vgpr7
                                        ; implicit-def: $vgpr35
	s_and_saveexec_b32 s6, s4
	s_delay_alu instid0(SALU_CYCLE_1)
	s_xor_b32 s6, exec_lo, s6
	s_cbranch_execnz .LBB230_50
; %bb.24:                               ;   in Loop: Header=BB230_23 Depth=2
	s_and_not1_saveexec_b32 s9, s6
	s_cbranch_execnz .LBB230_51
.LBB230_25:                             ;   in Loop: Header=BB230_23 Depth=2
	s_or_b32 exec_lo, exec_lo, s9
	s_and_saveexec_b32 s6, s1
.LBB230_26:                             ;   in Loop: Header=BB230_23 Depth=2
	ds_store_b32 v38, v0
.LBB230_27:                             ;   in Loop: Header=BB230_23 Depth=2
	s_or_b32 exec_lo, exec_lo, s6
	ds_bpermute_b32 v1, v41, v34
	s_wait_storecnt_dscnt 0x0
	s_barrier_signal -1
	s_barrier_wait -1
	v_add_f32_e32 v1, v34, v1
	ds_bpermute_b32 v34, v42, v1
	s_wait_dscnt 0x0
	v_add_f32_e32 v1, v1, v34
	ds_bpermute_b32 v34, v43, v1
	s_wait_dscnt 0x0
	;; [unrolled: 3-line block ×3, first 2 shown]
	v_add_f32_e32 v1, v1, v34
	ds_bpermute_b32 v34, v45, v1
	s_and_saveexec_b32 s6, s3
	s_cbranch_execz .LBB230_29
; %bb.28:                               ;   in Loop: Header=BB230_23 Depth=2
	s_wait_dscnt 0x0
	v_add_f32_e32 v1, v1, v34
	ds_store_b32 v39, v1
.LBB230_29:                             ;   in Loop: Header=BB230_23 Depth=2
	s_or_b32 exec_lo, exec_lo, s6
	v_mov_b32_e32 v1, 0
	s_wait_dscnt 0x0
	s_barrier_signal -1
	s_barrier_wait -1
	s_and_saveexec_b32 s6, s2
	s_cbranch_execnz .LBB230_58
; %bb.30:                               ;   in Loop: Header=BB230_23 Depth=2
	s_or_b32 exec_lo, exec_lo, s6
	s_and_saveexec_b32 s6, s1
	s_cbranch_execnz .LBB230_59
.LBB230_31:                             ;   in Loop: Header=BB230_23 Depth=2
	s_or_b32 exec_lo, exec_lo, s6
	s_and_saveexec_b32 s6, s1
.LBB230_32:                             ;   in Loop: Header=BB230_23 Depth=2
	ds_store_b32 v38, v0
.LBB230_33:                             ;   in Loop: Header=BB230_23 Depth=2
	s_or_b32 exec_lo, exec_lo, s6
	ds_bpermute_b32 v34, v41, v35
	s_wait_dscnt 0x0
	s_barrier_signal -1
	s_barrier_wait -1
	v_add_f32_e32 v34, v35, v34
	ds_bpermute_b32 v35, v42, v34
	s_wait_dscnt 0x0
	v_add_f32_e32 v34, v34, v35
	ds_bpermute_b32 v35, v43, v34
	s_wait_dscnt 0x0
	v_add_f32_e32 v34, v34, v35
	ds_bpermute_b32 v35, v44, v34
	s_wait_dscnt 0x0
	v_add_f32_e32 v34, v34, v35
	ds_bpermute_b32 v35, v45, v34
	s_and_saveexec_b32 s6, s3
	s_cbranch_execz .LBB230_35
; %bb.34:                               ;   in Loop: Header=BB230_23 Depth=2
	s_wait_dscnt 0x0
	v_add_f32_e32 v34, v34, v35
	ds_store_b32 v39, v34
.LBB230_35:                             ;   in Loop: Header=BB230_23 Depth=2
	s_or_b32 exec_lo, exec_lo, s6
	v_mov_b32_e32 v34, 0
	s_wait_dscnt 0x0
	s_barrier_signal -1
	s_barrier_wait -1
	s_and_saveexec_b32 s6, s2
	s_cbranch_execnz .LBB230_60
; %bb.36:                               ;   in Loop: Header=BB230_23 Depth=2
	s_or_b32 exec_lo, exec_lo, s6
	s_and_saveexec_b32 s6, s1
	s_cbranch_execnz .LBB230_61
.LBB230_37:                             ;   in Loop: Header=BB230_23 Depth=2
	s_or_b32 exec_lo, exec_lo, s6
	s_and_saveexec_b32 s6, s1
.LBB230_38:                             ;   in Loop: Header=BB230_23 Depth=2
	ds_store_b32 v38, v0
.LBB230_39:                             ;   in Loop: Header=BB230_23 Depth=2
	s_or_b32 exec_lo, exec_lo, s6
	ds_bpermute_b32 v35, v41, v6
	s_wait_dscnt 0x0
	s_barrier_signal -1
	s_barrier_wait -1
	v_add_f32_e32 v6, v6, v35
	ds_bpermute_b32 v35, v42, v6
	s_wait_dscnt 0x0
	v_add_f32_e32 v6, v6, v35
	ds_bpermute_b32 v35, v43, v6
	s_wait_dscnt 0x0
	;; [unrolled: 3-line block ×3, first 2 shown]
	v_add_f32_e32 v6, v6, v35
	ds_bpermute_b32 v35, v45, v6
	s_and_saveexec_b32 s6, s3
	s_cbranch_execz .LBB230_41
; %bb.40:                               ;   in Loop: Header=BB230_23 Depth=2
	s_wait_dscnt 0x0
	v_add_f32_e32 v6, v6, v35
	ds_store_b32 v39, v6
.LBB230_41:                             ;   in Loop: Header=BB230_23 Depth=2
	s_or_b32 exec_lo, exec_lo, s6
	v_mov_b32_e32 v6, 0
	s_wait_dscnt 0x0
	s_barrier_signal -1
	s_barrier_wait -1
	s_and_saveexec_b32 s6, s2
	s_cbranch_execnz .LBB230_62
; %bb.42:                               ;   in Loop: Header=BB230_23 Depth=2
	s_or_b32 exec_lo, exec_lo, s6
	s_and_saveexec_b32 s6, s1
	s_cbranch_execnz .LBB230_63
.LBB230_43:                             ;   in Loop: Header=BB230_23 Depth=2
	s_or_b32 exec_lo, exec_lo, s6
	s_and_saveexec_b32 s6, s1
.LBB230_44:                             ;   in Loop: Header=BB230_23 Depth=2
	ds_store_b32 v38, v0
.LBB230_45:                             ;   in Loop: Header=BB230_23 Depth=2
	s_or_b32 exec_lo, exec_lo, s6
	ds_bpermute_b32 v35, v41, v7
	s_wait_dscnt 0x0
	s_barrier_signal -1
	s_barrier_wait -1
	v_add_f32_e32 v7, v7, v35
	ds_bpermute_b32 v35, v42, v7
	s_wait_dscnt 0x0
	v_add_f32_e32 v7, v7, v35
	ds_bpermute_b32 v35, v43, v7
	s_wait_dscnt 0x0
	;; [unrolled: 3-line block ×3, first 2 shown]
	v_add_f32_e32 v7, v7, v35
	ds_bpermute_b32 v35, v45, v7
	s_and_saveexec_b32 s6, s3
	s_cbranch_execz .LBB230_47
; %bb.46:                               ;   in Loop: Header=BB230_23 Depth=2
	s_wait_dscnt 0x0
	v_add_f32_e32 v7, v7, v35
	ds_store_b32 v39, v7
.LBB230_47:                             ;   in Loop: Header=BB230_23 Depth=2
	s_or_b32 exec_lo, exec_lo, s6
	v_mov_b32_e32 v7, 0
	s_wait_dscnt 0x0
	s_barrier_signal -1
	s_barrier_wait -1
	s_and_saveexec_b32 s6, s2
	s_cbranch_execnz .LBB230_64
; %bb.48:                               ;   in Loop: Header=BB230_23 Depth=2
	s_or_b32 exec_lo, exec_lo, s6
	s_and_saveexec_b32 s6, s1
	s_cbranch_execnz .LBB230_65
.LBB230_49:                             ;   in Loop: Header=BB230_23 Depth=2
	s_or_b32 exec_lo, exec_lo, s6
	s_and_saveexec_b32 s6, s0
	s_cbranch_execz .LBB230_22
	s_branch .LBB230_66
.LBB230_50:                             ;   in Loop: Header=BB230_23 Depth=2
	s_mul_i32 s8, s24, s26
	s_clause 0x2
	flat_load_b32 v2, v[24:25]
	flat_load_b32 v3, v[26:27]
	;; [unrolled: 1-line block ×3, first 2 shown]
	s_add_co_i32 s62, s8, s26
	s_ashr_i32 s9, s8, 31
	s_add_co_i32 s74, s62, s26
	s_ashr_i32 s63, s62, 31
	s_add_co_i32 s76, s74, s26
	s_wait_dscnt 0x3
	v_lshl_add_u64 v[6:7], s[8:9], 2, v[22:23]
	s_ashr_i32 s77, s76, 31
	s_ashr_i32 s75, s74, 31
	v_lshl_add_u64 v[34:35], s[76:77], 2, v[22:23]
	v_lshl_add_u64 v[50:51], s[62:63], 2, v[22:23]
	;; [unrolled: 1-line block ×3, first 2 shown]
	s_clause 0x3
	flat_load_b128 v[34:37], v[34:35]
	flat_load_b128 v[46:49], v[6:7]
	;; [unrolled: 1-line block ×4, first 2 shown]
	flat_load_b32 v4, v[28:29]
	s_wait_loadcnt_dscnt 0x505
	s_wait_xcnt 0x3
	v_dual_mov_b32 v6, v3 :: v_dual_mov_b32 v58, v5
	s_wait_loadcnt_dscnt 0x404
	v_pk_mul_f32 v[34:35], v[2:3], v[34:35]
	s_wait_loadcnt_dscnt 0x303
	v_dual_mov_b32 v60, v46 :: v_dual_mov_b32 v46, v48
	s_wait_loadcnt_dscnt 0x202
	v_mov_b32_e32 v61, v50
	s_wait_loadcnt_dscnt 0x101
	s_wait_xcnt 0x2
	v_dual_mul_f32 v62, v2, v54 :: v_dual_mov_b32 v50, v47
	v_dual_mov_b32 v63, v34 :: v_dual_mul_f32 v34, v3, v55
	v_mov_b32_e32 v47, v52
	s_wait_loadcnt_dscnt 0x0
	v_pk_mul_f32 v[36:37], v[4:5], v[36:37]
	v_pk_fma_f32 v[60:61], v[2:3], v[60:61], 0 op_sel_hi:[0,1,0]
	s_wait_xcnt 0x1
	v_pk_add_f32 v[54:55], v[62:63], 0 op_sel_hi:[1,0]
	v_dual_mul_f32 v62, v4, v56 :: v_dual_mov_b32 v52, v49
	v_dual_mov_b32 v63, v36 :: v_dual_mul_f32 v36, v5, v57
	s_delay_alu instid0(VALU_DEP_3) | instskip(SKIP_1) | instid1(VALU_DEP_2)
	v_pk_add_f32 v[34:35], v[54:55], v[34:35]
	v_pk_fma_f32 v[6:7], v[6:7], v[50:51], v[60:61] op_sel_hi:[0,1,1]
	v_pk_add_f32 v[34:35], v[34:35], v[62:63]
	s_delay_alu instid0(VALU_DEP_2) | instskip(NEXT) | instid1(VALU_DEP_2)
	v_pk_fma_f32 v[46:47], v[4:5], v[46:47], v[6:7] op_sel_hi:[0,1,1]
	v_pk_add_f32 v[6:7], v[34:35], v[36:37]
	s_delay_alu instid0(VALU_DEP_2)
	v_pk_fma_f32 v[34:35], v[58:59], v[52:53], v[46:47] op_sel_hi:[0,1,1]
	s_wait_xcnt 0x0
	s_and_not1_saveexec_b32 s9, s6
	s_cbranch_execz .LBB230_25
.LBB230_51:                             ;   in Loop: Header=BB230_23 Depth=2
	s_wait_dscnt 0x0
	v_dual_mov_b32 v7, 0 :: v_dual_mov_b32 v6, 0
	v_dual_mov_b32 v35, 0 :: v_dual_mov_b32 v34, 0
	s_and_saveexec_b32 s11, s5
	s_cbranch_execz .LBB230_68
; %bb.52:                               ;   in Loop: Header=BB230_23 Depth=2
	s_and_not1_b32 vcc_lo, exec_lo, s70
	s_cbranch_vccnz .LBB230_55
; %bb.53:                               ;   in Loop: Header=BB230_23 Depth=2
	v_mov_b32_e32 v1, v10
	s_mov_b64 s[62:63], 0
.LBB230_54:                             ;   Parent Loop BB230_3 Depth=1
                                        ;     Parent Loop BB230_23 Depth=2
                                        ; =>    This Inner Loop Header: Depth=3
	v_readfirstlane_b32 s6, v20
	v_readfirstlane_b32 s7, v21
	s_cmp_eq_u32 s62, 3
	s_cselect_b32 vcc_lo, -1, 0
	s_cmp_eq_u32 s62, 2
	flat_load_b32 v6, v1, s[6:7] scale_offset
	s_wait_xcnt 0x0
	s_cselect_b32 s6, -1, 0
	s_cmp_eq_u32 s62, 1
	v_add_nc_u32_e32 v1, s33, v1
	s_cselect_b32 s7, -1, 0
	s_cmp_eq_u32 s62, 0
	s_add_nc_u64 s[62:63], s[62:63], 1
	s_cselect_b32 s8, -1, 0
	s_cmp_eq_u32 s68, s62
	s_wait_loadcnt_dscnt 0x0
	v_dual_cndmask_b32 v5, v5, v6, vcc_lo :: v_dual_cndmask_b32 v4, v4, v6, s6
	v_dual_cndmask_b32 v3, v3, v6, s7 :: v_dual_cndmask_b32 v2, v2, v6, s8
	s_cbranch_scc0 .LBB230_54
.LBB230_55:                             ;   in Loop: Header=BB230_23 Depth=2
	s_and_not1_b32 vcc_lo, exec_lo, s70
	s_cbranch_vccnz .LBB230_67
; %bb.56:                               ;   in Loop: Header=BB230_23 Depth=2
	v_mov_b32_e32 v34, 0
	s_ashr_i32 s55, s54, 31
	s_mov_b64 s[6:7], 0
	v_lshl_add_u64 v[36:37], s[54:55], 2, v[32:33]
	s_delay_alu instid0(VALU_DEP_2)
	v_dual_mov_b32 v35, v34 :: v_dual_mov_b32 v6, v34
	v_mov_b32_e32 v7, v34
.LBB230_57:                             ;   Parent Loop BB230_3 Depth=1
                                        ;     Parent Loop BB230_23 Depth=2
                                        ; =>    This Inner Loop Header: Depth=3
	s_cmp_eq_u32 s6, 1
	s_cselect_b32 vcc_lo, -1, 0
	s_cmp_eq_u32 s6, 2
	v_cndmask_b32_e32 v1, v2, v3, vcc_lo
	s_cselect_b32 vcc_lo, -1, 0
	s_cmp_eq_u32 s6, 3
	s_delay_alu instid0(VALU_DEP_1)
	v_cndmask_b32_e32 v1, v1, v4, vcc_lo
	s_cselect_b32 vcc_lo, -1, 0
	s_add_co_i32 s74, s58, s6
	s_add_co_i32 s76, s56, s6
	;; [unrolled: 1-line block ×3, first 2 shown]
	s_ashr_i32 s75, s74, 31
	s_ashr_i32 s77, s76, 31
	;; [unrolled: 1-line block ×3, first 2 shown]
	v_lshl_add_u64 v[46:47], s[74:75], 2, v[22:23]
	v_lshl_add_u64 v[48:49], s[76:77], 2, v[22:23]
	s_wait_xcnt 0x0
	v_lshl_add_u64 v[50:51], s[62:63], 2, v[22:23]
	flat_load_b32 v52, v[36:37]
	s_clause 0x2
	flat_load_b32 v46, v[46:47]
	flat_load_b32 v47, v[48:49]
	;; [unrolled: 1-line block ×3, first 2 shown]
	s_wait_xcnt 0x1
	v_cndmask_b32_e32 v48, v1, v5, vcc_lo
	v_add_nc_u64_e32 v[36:37], 4, v[36:37]
	s_add_nc_u64 s[6:7], s[6:7], 1
	s_delay_alu instid0(SALU_CYCLE_1)
	s_cmp_lg_u32 s68, s6
	s_wait_loadcnt_dscnt 0x101
	v_pk_fma_f32 v[6:7], v[48:49], v[46:47], v[6:7] op_sel_hi:[0,1,1]
	s_wait_loadcnt_dscnt 0x0
	v_pk_fma_f32 v[34:35], v[48:49], v[52:53], v[34:35] op_sel_hi:[0,1,1]
	s_cbranch_scc1 .LBB230_57
	s_branch .LBB230_68
.LBB230_58:                             ;   in Loop: Header=BB230_23 Depth=2
	ds_load_b32 v1, v38
	s_or_b32 exec_lo, exec_lo, s6
	s_and_saveexec_b32 s6, s1
	s_cbranch_execz .LBB230_31
.LBB230_59:                             ;   in Loop: Header=BB230_23 Depth=2
	s_wait_dscnt 0x0
	ds_bpermute_b32 v34, v43, v1
	s_wait_dscnt 0x0
	v_add_f32_e32 v1, v1, v34
	ds_bpermute_b32 v34, v44, v1
	s_wait_dscnt 0x0
	v_add_f32_e32 v1, v1, v34
	;; [unrolled: 3-line block ×3, first 2 shown]
	s_or_b32 exec_lo, exec_lo, s6
	s_and_saveexec_b32 s6, s1
	s_cbranch_execnz .LBB230_32
	s_branch .LBB230_33
.LBB230_60:                             ;   in Loop: Header=BB230_23 Depth=2
	ds_load_b32 v34, v38
	s_or_b32 exec_lo, exec_lo, s6
	s_and_saveexec_b32 s6, s1
	s_cbranch_execz .LBB230_37
.LBB230_61:                             ;   in Loop: Header=BB230_23 Depth=2
	s_wait_dscnt 0x0
	ds_bpermute_b32 v35, v43, v34
	s_wait_dscnt 0x0
	v_add_f32_e32 v34, v34, v35
	ds_bpermute_b32 v35, v44, v34
	s_wait_dscnt 0x0
	v_add_f32_e32 v34, v34, v35
	;; [unrolled: 3-line block ×3, first 2 shown]
	s_or_b32 exec_lo, exec_lo, s6
	s_and_saveexec_b32 s6, s1
	s_cbranch_execnz .LBB230_38
	s_branch .LBB230_39
.LBB230_62:                             ;   in Loop: Header=BB230_23 Depth=2
	ds_load_b32 v6, v38
	s_or_b32 exec_lo, exec_lo, s6
	s_and_saveexec_b32 s6, s1
	s_cbranch_execz .LBB230_43
.LBB230_63:                             ;   in Loop: Header=BB230_23 Depth=2
	s_wait_dscnt 0x0
	ds_bpermute_b32 v35, v43, v6
	s_wait_dscnt 0x0
	v_add_f32_e32 v6, v6, v35
	ds_bpermute_b32 v35, v44, v6
	s_wait_dscnt 0x0
	v_add_f32_e32 v6, v6, v35
	;; [unrolled: 3-line block ×3, first 2 shown]
	s_or_b32 exec_lo, exec_lo, s6
	s_and_saveexec_b32 s6, s1
	s_cbranch_execnz .LBB230_44
	s_branch .LBB230_45
.LBB230_64:                             ;   in Loop: Header=BB230_23 Depth=2
	ds_load_b32 v7, v38
	s_or_b32 exec_lo, exec_lo, s6
	s_and_saveexec_b32 s6, s1
	s_cbranch_execz .LBB230_49
.LBB230_65:                             ;   in Loop: Header=BB230_23 Depth=2
	s_wait_dscnt 0x0
	ds_bpermute_b32 v35, v43, v7
	s_wait_dscnt 0x0
	v_add_f32_e32 v7, v7, v35
	ds_bpermute_b32 v35, v44, v7
	s_wait_dscnt 0x0
	v_add_f32_e32 v7, v7, v35
	;; [unrolled: 3-line block ×3, first 2 shown]
	s_or_b32 exec_lo, exec_lo, s6
	s_and_saveexec_b32 s6, s0
	s_cbranch_execz .LBB230_22
.LBB230_66:                             ;   in Loop: Header=BB230_23 Depth=2
	s_mul_i32 s7, s24, s30
	v_dual_mul_f32 v1, s22, v1 :: v_dual_mul_f32 v34, s22, v34
	s_add_co_i32 s7, s7, s34
	s_delay_alu instid0(SALU_CYCLE_1) | instskip(NEXT) | instid1(SALU_CYCLE_1)
	s_add_co_i32 s8, s7, s30
	v_dual_mov_b32 v35, s7 :: v_dual_mov_b32 v36, s8
	s_add_co_i32 s7, s8, s30
	s_delay_alu instid0(SALU_CYCLE_1)
	v_dual_mul_f32 v6, s22, v6 :: v_dual_mov_b32 v37, s7
	s_add_co_i32 s7, s7, s30
	s_wait_dscnt 0x0
	v_dual_mul_f32 v7, s22, v7 :: v_dual_mov_b32 v46, s7
	s_clause 0x3
	global_store_b32 v35, v1, s[52:53] scale_offset
	global_store_b32 v36, v34, s[52:53] scale_offset
	;; [unrolled: 1-line block ×4, first 2 shown]
	s_branch .LBB230_22
.LBB230_67:                             ;   in Loop: Header=BB230_23 Depth=2
	v_mov_b32_e32 v7, 0
	s_delay_alu instid0(VALU_DEP_1)
	v_dual_mov_b32 v6, v7 :: v_dual_mov_b32 v35, v7
	v_mov_b32_e32 v34, v7
.LBB230_68:                             ;   in Loop: Header=BB230_23 Depth=2
	s_wait_xcnt 0x0
	s_or_b32 exec_lo, exec_lo, s11
	s_delay_alu instid0(SALU_CYCLE_1)
	s_or_b32 exec_lo, exec_lo, s9
	s_and_saveexec_b32 s6, s1
	s_cbranch_execnz .LBB230_26
	s_branch .LBB230_27
.LBB230_69:                             ;   in Loop: Header=BB230_3 Depth=1
	v_dual_mov_b32 v1, v0 :: v_dual_mov_b32 v2, v0
	v_mov_b32_e32 v3, v0
	s_mov_b32 s24, 0
	s_delay_alu instid0(VALU_DEP_1) | instskip(NEXT) | instid1(VALU_DEP_3)
	v_mov_b64_e32 v[4:5], v[2:3]
	v_mov_b64_e32 v[2:3], v[0:1]
.LBB230_70:                             ;   in Loop: Header=BB230_3 Depth=1
	s_cmp_ge_i32 s24, s21
	s_cbranch_scc1 .LBB230_2
; %bb.71:                               ;   in Loop: Header=BB230_3 Depth=1
	v_cmp_gt_u32_e32 vcc_lo, 24, v40
	s_add_nc_u64 s[52:53], s[52:53], s[38:39]
	s_mul_i32 s54, s26, s24
	v_cndmask_b32_e64 v1, 0, 8, vcc_lo
	v_cmp_gt_u32_e32 vcc_lo, 28, v40
	s_delay_alu instid0(VALU_DEP_2) | instskip(SKIP_4) | instid1(VALU_DEP_2)
	v_add_lshl_u32 v1, v1, v40, 2
	s_wait_dscnt 0x0
	v_cndmask_b32_e64 v6, 0, 4, vcc_lo
	v_cmp_gt_u32_e32 vcc_lo, 30, v40
	s_wait_dscnt 0x0
	v_add_lshl_u32 v7, v6, v40, 2
	v_cndmask_b32_e64 v34, 0, 2, vcc_lo
	v_cmp_ne_u32_e32 vcc_lo, 31, v40
	s_delay_alu instid0(VALU_DEP_2) | instskip(SKIP_1) | instid1(VALU_DEP_1)
	v_add_lshl_u32 v36, v34, v40, 2
	v_add_co_ci_u32_e64 v35, null, 0, v40, vcc_lo
	v_lshlrev_b32_e32 v37, 2, v35
	s_branch .LBB230_73
.LBB230_72:                             ;   in Loop: Header=BB230_73 Depth=2
	s_wait_xcnt 0x0
	s_or_b32 exec_lo, exec_lo, s6
	s_add_co_i32 s24, s24, 1
	s_add_co_i32 s54, s54, s26
	s_cmp_ge_i32 s24, s21
	s_cbranch_scc1 .LBB230_2
.LBB230_73:                             ;   Parent Loop BB230_3 Depth=1
                                        ; =>  This Loop Header: Depth=2
                                        ;       Child Loop BB230_86 Depth 3
                                        ;       Child Loop BB230_89 Depth 3
	s_wait_dscnt 0x0
	v_mov_b32_e32 v6, s25
	s_and_saveexec_b32 s6, s4
	s_delay_alu instid0(SALU_CYCLE_1)
	s_xor_b32 s6, exec_lo, s6
	s_cbranch_execnz .LBB230_82
; %bb.74:                               ;   in Loop: Header=BB230_73 Depth=2
	s_and_not1_saveexec_b32 s9, s6
	s_cbranch_execnz .LBB230_83
.LBB230_75:                             ;   in Loop: Header=BB230_73 Depth=2
	s_or_b32 exec_lo, exec_lo, s9
	s_and_saveexec_b32 s6, s1
.LBB230_76:                             ;   in Loop: Header=BB230_73 Depth=2
	ds_store_b32 v38, v0
.LBB230_77:                             ;   in Loop: Header=BB230_73 Depth=2
	s_or_b32 exec_lo, exec_lo, s6
	ds_bpermute_b32 v34, v41, v6
	s_wait_storecnt_dscnt 0x0
	s_barrier_signal -1
	s_barrier_wait -1
	v_add_f32_e32 v6, v6, v34
	ds_bpermute_b32 v34, v1, v6
	s_wait_dscnt 0x0
	v_add_f32_e32 v6, v6, v34
	ds_bpermute_b32 v34, v7, v6
	s_wait_dscnt 0x0
	;; [unrolled: 3-line block ×3, first 2 shown]
	v_add_f32_e32 v6, v6, v34
	ds_bpermute_b32 v34, v37, v6
	s_and_saveexec_b32 s6, s3
	s_cbranch_execz .LBB230_79
; %bb.78:                               ;   in Loop: Header=BB230_73 Depth=2
	s_wait_dscnt 0x0
	v_add_f32_e32 v6, v6, v34
	ds_store_b32 v39, v6
.LBB230_79:                             ;   in Loop: Header=BB230_73 Depth=2
	s_or_b32 exec_lo, exec_lo, s6
	v_mov_b32_e32 v6, 0
	s_wait_dscnt 0x0
	s_barrier_signal -1
	s_barrier_wait -1
	s_and_saveexec_b32 s6, s2
	s_cbranch_execnz .LBB230_91
; %bb.80:                               ;   in Loop: Header=BB230_73 Depth=2
	s_or_b32 exec_lo, exec_lo, s6
	s_and_saveexec_b32 s6, s1
	s_cbranch_execnz .LBB230_92
.LBB230_81:                             ;   in Loop: Header=BB230_73 Depth=2
	s_or_b32 exec_lo, exec_lo, s6
	s_and_saveexec_b32 s6, s0
	s_cbranch_execz .LBB230_72
	s_branch .LBB230_93
.LBB230_82:                             ;   in Loop: Header=BB230_73 Depth=2
	s_mul_i32 s8, s24, s26
	s_delay_alu instid0(SALU_CYCLE_1) | instskip(NEXT) | instid1(SALU_CYCLE_1)
	s_ashr_i32 s9, s8, 31
	v_lshl_add_u64 v[2:3], s[8:9], 2, v[22:23]
	flat_load_b128 v[42:45], v[2:3]
	s_clause 0x3
	flat_load_b32 v2, v[24:25]
	flat_load_b32 v3, v[26:27]
	;; [unrolled: 1-line block ×4, first 2 shown]
	s_wait_loadcnt_dscnt 0x202
	v_pk_mul_f32 v[34:35], v[2:3], v[42:43]
	s_delay_alu instid0(VALU_DEP_1) | instskip(NEXT) | instid1(VALU_DEP_1)
	v_add_f32_e32 v6, 0, v34
	v_add_f32_e32 v6, v6, v35
	s_wait_loadcnt_dscnt 0x0
	v_pk_mul_f32 v[34:35], v[4:5], v[44:45]
	s_delay_alu instid0(VALU_DEP_1) | instskip(NEXT) | instid1(VALU_DEP_1)
	v_add_f32_e32 v6, v6, v34
	v_add_f32_e32 v6, v6, v35
	s_wait_xcnt 0x0
	s_and_not1_saveexec_b32 s9, s6
	s_cbranch_execz .LBB230_75
.LBB230_83:                             ;   in Loop: Header=BB230_73 Depth=2
	s_and_saveexec_b32 s11, s5
	s_cbranch_execz .LBB230_90
; %bb.84:                               ;   in Loop: Header=BB230_73 Depth=2
	s_and_not1_b32 vcc_lo, exec_lo, s70
	s_cbranch_vccnz .LBB230_87
; %bb.85:                               ;   in Loop: Header=BB230_73 Depth=2
	v_mov_b32_e32 v34, v10
	s_mov_b64 s[56:57], 0
.LBB230_86:                             ;   Parent Loop BB230_3 Depth=1
                                        ;     Parent Loop BB230_73 Depth=2
                                        ; =>    This Inner Loop Header: Depth=3
	v_readfirstlane_b32 s6, v20
	v_readfirstlane_b32 s7, v21
	s_cmp_eq_u32 s56, 3
	s_cselect_b32 vcc_lo, -1, 0
	s_cmp_eq_u32 s56, 2
	flat_load_b32 v35, v34, s[6:7] scale_offset
	s_wait_xcnt 0x0
	s_cselect_b32 s6, -1, 0
	s_cmp_eq_u32 s56, 1
	v_add_nc_u32_e32 v34, s33, v34
	s_cselect_b32 s7, -1, 0
	s_cmp_eq_u32 s56, 0
	s_add_nc_u64 s[56:57], s[56:57], 1
	s_cselect_b32 s8, -1, 0
	s_cmp_eq_u32 s68, s56
	s_wait_loadcnt_dscnt 0x0
	v_dual_cndmask_b32 v5, v5, v35, vcc_lo :: v_dual_cndmask_b32 v4, v4, v35, s6
	v_dual_cndmask_b32 v3, v3, v35, s7 :: v_dual_cndmask_b32 v2, v2, v35, s8
	s_cbranch_scc0 .LBB230_86
.LBB230_87:                             ;   in Loop: Header=BB230_73 Depth=2
	s_and_not1_b32 vcc_lo, exec_lo, s70
	s_cbranch_vccnz .LBB230_90
; %bb.88:                               ;   in Loop: Header=BB230_73 Depth=2
	s_ashr_i32 s55, s54, 31
	s_mov_b64 s[6:7], 0
	v_lshl_add_u64 v[34:35], s[54:55], 2, v[32:33]
.LBB230_89:                             ;   Parent Loop BB230_3 Depth=1
                                        ;     Parent Loop BB230_73 Depth=2
                                        ; =>    This Inner Loop Header: Depth=3
	flat_load_b32 v42, v[34:35]
	s_cmp_eq_u32 s6, 1
	s_wait_xcnt 0x0
	v_add_nc_u64_e32 v[34:35], 4, v[34:35]
	s_cselect_b32 vcc_lo, -1, 0
	s_cmp_eq_u32 s6, 2
	v_cndmask_b32_e32 v43, v2, v3, vcc_lo
	s_cselect_b32 vcc_lo, -1, 0
	s_cmp_eq_u32 s6, 3
	s_add_nc_u64 s[6:7], s[6:7], 1
	s_delay_alu instid0(VALU_DEP_1) | instskip(SKIP_2) | instid1(VALU_DEP_1)
	v_cndmask_b32_e32 v43, v43, v4, vcc_lo
	s_cselect_b32 vcc_lo, -1, 0
	s_cmp_lg_u32 s68, s6
	v_cndmask_b32_e32 v43, v43, v5, vcc_lo
	s_wait_loadcnt_dscnt 0x0
	s_delay_alu instid0(VALU_DEP_1)
	v_fmac_f32_e32 v6, v43, v42
	s_cbranch_scc1 .LBB230_89
.LBB230_90:                             ;   in Loop: Header=BB230_73 Depth=2
	s_or_b32 exec_lo, exec_lo, s11
	s_delay_alu instid0(SALU_CYCLE_1)
	s_or_b32 exec_lo, exec_lo, s9
	s_and_saveexec_b32 s6, s1
	s_cbranch_execnz .LBB230_76
	s_branch .LBB230_77
.LBB230_91:                             ;   in Loop: Header=BB230_73 Depth=2
	ds_load_b32 v6, v38
	s_or_b32 exec_lo, exec_lo, s6
	s_and_saveexec_b32 s6, s1
	s_cbranch_execz .LBB230_81
.LBB230_92:                             ;   in Loop: Header=BB230_73 Depth=2
	s_wait_dscnt 0x0
	ds_bpermute_b32 v34, v7, v6
	s_wait_dscnt 0x0
	v_add_f32_e32 v6, v6, v34
	ds_bpermute_b32 v34, v36, v6
	s_wait_dscnt 0x0
	v_add_f32_e32 v6, v6, v34
	;; [unrolled: 3-line block ×3, first 2 shown]
	s_or_b32 exec_lo, exec_lo, s6
	s_and_saveexec_b32 s6, s0
	s_cbranch_execz .LBB230_72
.LBB230_93:                             ;   in Loop: Header=BB230_73 Depth=2
	s_mul_u64 s[8:9], s[24:25], s[30:31]
	s_wait_dscnt 0x0
	v_mul_f32_e32 v6, s22, v6
	s_lshl_b64 s[8:9], s[8:9], 2
	s_delay_alu instid0(SALU_CYCLE_1)
	s_add_nc_u64 s[8:9], s[52:53], s[8:9]
	global_store_b32 v0, v6, s[8:9]
	s_branch .LBB230_72
.LBB230_94:
	s_endpgm
	.section	.rodata,"a",@progbits
	.p2align	6, 0x0
	.amdhsa_kernel _ZL23rocblas_gemvt_sn_kernelILb1ELi256ELi4EiPKfffEviiT4_lPKT3_lilS5_lilPT5_i
		.amdhsa_group_segment_fixed_size 128
		.amdhsa_private_segment_fixed_size 0
		.amdhsa_kernarg_size 360
		.amdhsa_user_sgpr_count 2
		.amdhsa_user_sgpr_dispatch_ptr 0
		.amdhsa_user_sgpr_queue_ptr 0
		.amdhsa_user_sgpr_kernarg_segment_ptr 1
		.amdhsa_user_sgpr_dispatch_id 0
		.amdhsa_user_sgpr_kernarg_preload_length 0
		.amdhsa_user_sgpr_kernarg_preload_offset 0
		.amdhsa_user_sgpr_private_segment_size 0
		.amdhsa_wavefront_size32 1
		.amdhsa_uses_dynamic_stack 0
		.amdhsa_enable_private_segment 0
		.amdhsa_system_sgpr_workgroup_id_x 1
		.amdhsa_system_sgpr_workgroup_id_y 0
		.amdhsa_system_sgpr_workgroup_id_z 1
		.amdhsa_system_sgpr_workgroup_info 0
		.amdhsa_system_vgpr_workitem_id 0
		.amdhsa_next_free_vgpr 64
		.amdhsa_next_free_sgpr 78
		.amdhsa_named_barrier_count 0
		.amdhsa_reserve_vcc 1
		.amdhsa_float_round_mode_32 0
		.amdhsa_float_round_mode_16_64 0
		.amdhsa_float_denorm_mode_32 3
		.amdhsa_float_denorm_mode_16_64 3
		.amdhsa_fp16_overflow 0
		.amdhsa_memory_ordered 1
		.amdhsa_forward_progress 1
		.amdhsa_inst_pref_size 32
		.amdhsa_round_robin_scheduling 0
		.amdhsa_exception_fp_ieee_invalid_op 0
		.amdhsa_exception_fp_denorm_src 0
		.amdhsa_exception_fp_ieee_div_zero 0
		.amdhsa_exception_fp_ieee_overflow 0
		.amdhsa_exception_fp_ieee_underflow 0
		.amdhsa_exception_fp_ieee_inexact 0
		.amdhsa_exception_int_div_zero 0
	.end_amdhsa_kernel
	.section	.text._ZL23rocblas_gemvt_sn_kernelILb1ELi256ELi4EiPKfffEviiT4_lPKT3_lilS5_lilPT5_i,"axG",@progbits,_ZL23rocblas_gemvt_sn_kernelILb1ELi256ELi4EiPKfffEviiT4_lPKT3_lilS5_lilPT5_i,comdat
.Lfunc_end230:
	.size	_ZL23rocblas_gemvt_sn_kernelILb1ELi256ELi4EiPKfffEviiT4_lPKT3_lilS5_lilPT5_i, .Lfunc_end230-_ZL23rocblas_gemvt_sn_kernelILb1ELi256ELi4EiPKfffEviiT4_lPKT3_lilS5_lilPT5_i
                                        ; -- End function
	.set _ZL23rocblas_gemvt_sn_kernelILb1ELi256ELi4EiPKfffEviiT4_lPKT3_lilS5_lilPT5_i.num_vgpr, 64
	.set _ZL23rocblas_gemvt_sn_kernelILb1ELi256ELi4EiPKfffEviiT4_lPKT3_lilS5_lilPT5_i.num_agpr, 0
	.set _ZL23rocblas_gemvt_sn_kernelILb1ELi256ELi4EiPKfffEviiT4_lPKT3_lilS5_lilPT5_i.numbered_sgpr, 78
	.set _ZL23rocblas_gemvt_sn_kernelILb1ELi256ELi4EiPKfffEviiT4_lPKT3_lilS5_lilPT5_i.num_named_barrier, 0
	.set _ZL23rocblas_gemvt_sn_kernelILb1ELi256ELi4EiPKfffEviiT4_lPKT3_lilS5_lilPT5_i.private_seg_size, 0
	.set _ZL23rocblas_gemvt_sn_kernelILb1ELi256ELi4EiPKfffEviiT4_lPKT3_lilS5_lilPT5_i.uses_vcc, 1
	.set _ZL23rocblas_gemvt_sn_kernelILb1ELi256ELi4EiPKfffEviiT4_lPKT3_lilS5_lilPT5_i.uses_flat_scratch, 1
	.set _ZL23rocblas_gemvt_sn_kernelILb1ELi256ELi4EiPKfffEviiT4_lPKT3_lilS5_lilPT5_i.has_dyn_sized_stack, 0
	.set _ZL23rocblas_gemvt_sn_kernelILb1ELi256ELi4EiPKfffEviiT4_lPKT3_lilS5_lilPT5_i.has_recursion, 0
	.set _ZL23rocblas_gemvt_sn_kernelILb1ELi256ELi4EiPKfffEviiT4_lPKT3_lilS5_lilPT5_i.has_indirect_call, 0
	.section	.AMDGPU.csdata,"",@progbits
; Kernel info:
; codeLenInByte = 4016
; TotalNumSgprs: 80
; NumVgprs: 64
; ScratchSize: 0
; MemoryBound: 0
; FloatMode: 240
; IeeeMode: 1
; LDSByteSize: 128 bytes/workgroup (compile time only)
; SGPRBlocks: 0
; VGPRBlocks: 3
; NumSGPRsForWavesPerEU: 80
; NumVGPRsForWavesPerEU: 64
; NamedBarCnt: 0
; Occupancy: 16
; WaveLimiterHint : 0
; COMPUTE_PGM_RSRC2:SCRATCH_EN: 0
; COMPUTE_PGM_RSRC2:USER_SGPR: 2
; COMPUTE_PGM_RSRC2:TRAP_HANDLER: 0
; COMPUTE_PGM_RSRC2:TGID_X_EN: 1
; COMPUTE_PGM_RSRC2:TGID_Y_EN: 0
; COMPUTE_PGM_RSRC2:TGID_Z_EN: 1
; COMPUTE_PGM_RSRC2:TIDIG_COMP_CNT: 0
	.section	.text._ZL23rocblas_gemvt_sn_kernelILb1ELi256ELi4ElPKfffEviiT4_lPKT3_lilS5_lilPT5_i,"axG",@progbits,_ZL23rocblas_gemvt_sn_kernelILb1ELi256ELi4ElPKfffEviiT4_lPKT3_lilS5_lilPT5_i,comdat
	.globl	_ZL23rocblas_gemvt_sn_kernelILb1ELi256ELi4ElPKfffEviiT4_lPKT3_lilS5_lilPT5_i ; -- Begin function _ZL23rocblas_gemvt_sn_kernelILb1ELi256ELi4ElPKfffEviiT4_lPKT3_lilS5_lilPT5_i
	.p2align	8
	.type	_ZL23rocblas_gemvt_sn_kernelILb1ELi256ELi4ElPKfffEviiT4_lPKT3_lilS5_lilPT5_i,@function
_ZL23rocblas_gemvt_sn_kernelILb1ELi256ELi4ElPKfffEviiT4_lPKT3_lilS5_lilPT5_i: ; @_ZL23rocblas_gemvt_sn_kernelILb1ELi256ELi4ElPKfffEviiT4_lPKT3_lilS5_lilPT5_i
; %bb.0:
	s_load_b32 s23, s[0:1], 0x60
	s_bfe_u32 s2, ttmp6, 0x40014
	s_lshr_b32 s3, ttmp7, 16
	s_add_co_i32 s2, s2, 1
	s_bfe_u32 s5, ttmp6, 0x40008
	s_mul_i32 s2, s3, s2
	s_getreg_b32 s4, hwreg(HW_REG_IB_STS2, 6, 4)
	s_add_co_i32 s5, s5, s2
	s_cmp_eq_u32 s4, 0
	s_mov_b32 s25, 0
	s_cselect_b32 s10, s3, s5
	s_wait_kmcnt 0x0
	s_cmp_ge_u32 s10, s23
	s_cbranch_scc1 .LBB231_94
; %bb.1:
	s_clause 0x6
	s_load_b32 s26, s[0:1], 0x28
	s_load_b32 s6, s[0:1], 0x48
	s_load_b96 s[20:22], s[0:1], 0x0
	s_load_b128 s[12:15], s[0:1], 0x18
	s_load_b128 s[16:19], s[0:1], 0x38
	s_load_b64 s[28:29], s[0:1], 0x58
	s_load_b32 s30, s[0:1], 0x68
	s_wait_xcnt 0x0
	v_cmp_eq_u32_e64 s0, 0, v0
	v_dual_lshrrev_b32 v3, 3, v0 :: v_dual_bitop2_b32 v1, 31, v0 bitop3:0x40
	v_cmp_gt_u32_e64 s1, 32, v0
	v_cmp_gt_u32_e64 s2, 8, v0
	s_delay_alu instid0(VALU_DEP_3) | instskip(SKIP_4) | instid1(VALU_DEP_2)
	v_dual_mov_b32 v2, 0 :: v_dual_lshlrev_b32 v47, 2, v1
	v_cmp_eq_u32_e64 s3, 0, v1
	v_mbcnt_lo_u32_b32 v46, -1, 0
	v_mov_b64_e32 v[22:23], 0
	s_mov_b32 s31, s25
	v_lshl_or_b32 v49, v46, 2, 64
	s_wait_kmcnt 0x0
	s_ashr_i32 s27, s26, 31
	s_ashr_i32 s7, s6, 31
	s_cmp_neq_f32 s22, 0
	s_mov_b32 s8, s21
	s_mul_u64 s[34:35], s[26:27], 12
	s_cselect_b32 s33, -1, 0
	s_cmp_eq_f32 s22, 0
	s_cselect_b32 s58, -1, 0
	s_ashr_i32 s9, s21, 31
	s_cmp_gt_i32 s21, 0
	s_mul_u64 s[36:37], s[8:9], s[30:31]
	s_cselect_b32 s5, -1, 0
	s_bfe_u32 s11, ttmp6, 0x4000c
	s_and_b32 s24, ttmp6, 15
	s_add_co_i32 s11, s11, 1
	s_and_b32 s59, s0, s5
	s_mul_i32 s11, ttmp9, s11
	s_delay_alu instid0(SALU_CYCLE_1)
	s_add_co_i32 s24, s24, s11
	s_cmp_eq_u32 s4, 0
	s_cselect_b32 s24, ttmp9, s24
	s_ashr_i32 s5, s20, 31
	s_lshl_b32 s11, s24, 10
	s_lshr_b32 s4, s9, 30
	v_lshl_or_b32 v8, v0, 2, s11
	s_lshr_b32 s5, s5, 30
	s_add_co_i32 s4, s21, s4
	s_add_co_i32 s5, s20, s5
	s_delay_alu instid0(VALU_DEP_1)
	v_dual_ashrrev_i32 v9, 31, v8 :: v_dual_bitop2_b32 v48, 28, v3 bitop3:0x40
	s_and_b32 s60, s4, -4
	s_and_b32 s4, s5, -4
	v_dual_add_nc_u32 v3, 4, v8 :: v_dual_bitop2_b32 v4, 2, v8 bitop3:0x54
	s_sub_co_i32 s61, s20, s4
	v_or_b32_e32 v6, 3, v8
	v_or_b32_e32 v0, 1, v8
	v_mul_u64_e32 v[10:11], s[6:7], v[8:9]
	v_ashrrev_i32_e32 v5, 31, v4
	s_cmp_gt_i32 s60, 0
	s_delay_alu instid0(VALU_DEP_3) | instskip(SKIP_1) | instid1(VALU_DEP_2)
	v_dual_ashrrev_i32 v7, 31, v6 :: v_dual_ashrrev_i32 v1, 31, v0
	s_cselect_b32 s62, -1, 0
	v_mul_u64_e32 v[14:15], s[6:7], v[4:5]
	s_cmp_gt_i32 s61, 0
	v_cmp_ge_i32_e64 s4, s20, v3
	v_mul_u64_e32 v[12:13], s[6:7], v[0:1]
	v_add_nc_u32_e32 v0, s61, v8
	v_mul_u64_e32 v[16:17], s[6:7], v[6:7]
	s_cselect_b32 s63, -1, 0
	s_cmp_gt_u32 s21, 1
	v_lshlrev_b64_e32 v[18:19], 2, v[8:9]
	s_cselect_b32 s11, -1, 0
	s_cmp_eq_u32 s30, 1
	v_cmp_ge_i32_e64 s5, s20, v0
	s_cselect_b32 s38, -1, 0
	s_and_b32 s20, s21, 0x7ffffffe
	s_and_b32 s64, s11, s38
	s_cmp_lg_u32 s21, s20
	s_cselect_b32 s65, -1, 0
	s_lshl_b64 s[38:39], s[24:25], 2
	s_lshl_b64 s[40:41], s[8:9], 2
	;; [unrolled: 1-line block ×6, first 2 shown]
	s_add_nc_u64 s[50:51], s[28:29], s[38:39]
	s_lshl_b64 s[52:53], s[26:27], 2
	v_lshlrev_b64_e32 v[20:21], 2, v[10:11]
	s_lshl_b64 s[14:15], s[14:15], 2
	s_lshl_b64 s[18:19], s[18:19], 2
	s_branch .LBB231_3
.LBB231_2:                              ;   in Loop: Header=BB231_3 Depth=1
	s_add_co_i32 s10, s10, 0x10000
	s_delay_alu instid0(SALU_CYCLE_1)
	s_cmp_lt_u32 s10, s23
	s_cbranch_scc0 .LBB231_94
.LBB231_3:                              ; =>This Loop Header: Depth=1
                                        ;     Child Loop BB231_11 Depth 2
                                        ;     Child Loop BB231_17 Depth 2
	;; [unrolled: 1-line block ×3, first 2 shown]
                                        ;       Child Loop BB231_54 Depth 3
                                        ;       Child Loop BB231_57 Depth 3
                                        ;     Child Loop BB231_73 Depth 2
                                        ;       Child Loop BB231_86 Depth 3
                                        ;       Child Loop BB231_89 Depth 3
	s_mov_b32 s11, s25
	s_and_not1_b32 vcc_lo, exec_lo, s58
	s_mov_b32 s6, -1
	s_cbranch_vccz .LBB231_13
; %bb.4:                                ;   in Loop: Header=BB231_3 Depth=1
	v_mov_b64_e32 v[6:7], 0
	s_wait_dscnt 0x0
	v_mov_b64_e32 v[0:1], 0
	s_and_not1_b32 vcc_lo, exec_lo, s6
	s_cbranch_vccz .LBB231_14
.LBB231_5:                              ;   in Loop: Header=BB231_3 Depth=1
	s_and_not1_b32 vcc_lo, exec_lo, s33
	s_cbranch_vccnz .LBB231_7
.LBB231_6:                              ;   in Loop: Header=BB231_3 Depth=1
	s_wait_xcnt 0x0
	s_lshl_b64 s[6:7], s[10:11], 3
	s_delay_alu instid0(SALU_CYCLE_1)
	s_add_nc_u64 s[6:7], s[16:17], s[6:7]
	global_load_b64 v[4:5], v2, s[6:7]
	s_wait_loadcnt 0x0
	v_add_nc_u64_e32 v[6:7], s[18:19], v[4:5]
.LBB231_7:                              ;   in Loop: Header=BB231_3 Depth=1
	s_wait_xcnt 0x0
	s_mul_u64 s[6:7], s[36:37], s[10:11]
	s_and_not1_b32 vcc_lo, exec_lo, s58
	s_lshl_b64 s[6:7], s[6:7], 2
	s_delay_alu instid0(SALU_CYCLE_1)
	s_add_nc_u64 s[54:55], s[28:29], s[6:7]
	s_mov_b32 s6, -1
	s_cbranch_vccnz .LBB231_19
; %bb.8:                                ;   in Loop: Header=BB231_3 Depth=1
	s_and_saveexec_b32 s8, s59
	s_cbranch_execz .LBB231_18
; %bb.9:                                ;   in Loop: Header=BB231_3 Depth=1
	s_and_not1_b32 vcc_lo, exec_lo, s64
	s_cbranch_vccnz .LBB231_15
; %bb.10:                               ;   in Loop: Header=BB231_3 Depth=1
	s_add_nc_u64 s[6:7], s[54:55], s[38:39]
	s_mov_b32 s9, s20
.LBB231_11:                             ;   Parent Loop BB231_3 Depth=1
                                        ; =>  This Inner Loop Header: Depth=2
	s_delay_alu instid0(SALU_CYCLE_1)
	s_add_co_i32 s9, s9, -2
	global_store_b64 v2, v[22:23], s[6:7]
	s_wait_xcnt 0x0
	s_add_nc_u64 s[6:7], s[6:7], 8
	s_mov_b32 s24, s20
	s_cmp_lg_u32 s9, 0
	s_mov_b32 s56, s65
	s_cbranch_scc1 .LBB231_11
; %bb.12:                               ;   in Loop: Header=BB231_3 Depth=1
	s_and_b32 vcc_lo, exec_lo, s56
	s_cbranch_vccnz .LBB231_16
	s_branch .LBB231_18
.LBB231_13:                             ;   in Loop: Header=BB231_3 Depth=1
	v_mov_b64_e32 v[6:7], 0
	s_wait_dscnt 0x0
	v_mov_b64_e32 v[0:1], 0
	s_cbranch_execnz .LBB231_5
.LBB231_14:                             ;   in Loop: Header=BB231_3 Depth=1
	s_lshl_b64 s[6:7], s[10:11], 3
	s_delay_alu instid0(SALU_CYCLE_1)
	s_add_nc_u64 s[6:7], s[12:13], s[6:7]
	global_load_b64 v[0:1], v2, s[6:7]
	s_wait_loadcnt 0x0
	v_add_nc_u64_e32 v[0:1], s[14:15], v[0:1]
	s_and_not1_b32 vcc_lo, exec_lo, s33
	s_cbranch_vccz .LBB231_6
	s_branch .LBB231_7
.LBB231_15:                             ;   in Loop: Header=BB231_3 Depth=1
	s_mov_b32 s24, 0
	s_cbranch_execz .LBB231_18
.LBB231_16:                             ;   in Loop: Header=BB231_3 Depth=1
	s_mul_u64 s[6:7], s[40:41], s[10:11]
	s_lshl_b64 s[56:57], s[24:25], 2
	s_sub_co_i32 s9, s21, s24
	s_add_nc_u64 s[6:7], s[6:7], s[56:57]
	s_delay_alu instid0(SALU_CYCLE_1) | instskip(NEXT) | instid1(SALU_CYCLE_1)
	s_mul_u64 s[6:7], s[30:31], s[6:7]
	s_add_nc_u64 s[6:7], s[50:51], s[6:7]
.LBB231_17:                             ;   Parent Loop BB231_3 Depth=1
                                        ; =>  This Inner Loop Header: Depth=2
	s_add_co_i32 s9, s9, -1
	global_store_b32 v2, v2, s[6:7]
	s_cmp_eq_u32 s9, 0
	s_wait_xcnt 0x0
	s_add_nc_u64 s[6:7], s[6:7], s[42:43]
	s_cbranch_scc0 .LBB231_17
.LBB231_18:                             ;   in Loop: Header=BB231_3 Depth=1
	s_or_b32 exec_lo, exec_lo, s8
	s_mov_b32 s6, 0
.LBB231_19:                             ;   in Loop: Header=BB231_3 Depth=1
	s_delay_alu instid0(SALU_CYCLE_1)
	s_and_not1_b32 vcc_lo, exec_lo, s6
	s_cbranch_vccnz .LBB231_2
; %bb.20:                               ;   in Loop: Header=BB231_3 Depth=1
	v_add_nc_u64_e32 v[34:35], v[6:7], v[20:21]
	v_lshl_add_u64 v[24:25], v[8:9], 2, v[0:1]
	v_lshl_add_u64 v[26:27], v[10:11], 2, v[6:7]
	;; [unrolled: 1-line block ×5, first 2 shown]
	v_cmp_gt_u32_e64 s8, 24, v46
	v_cmp_gt_u32_e64 s6, 28, v46
	;; [unrolled: 1-line block ×3, first 2 shown]
	v_cmp_ne_u32_e64 s7, 31, v46
	s_and_not1_b32 vcc_lo, exec_lo, s62
	s_add_nc_u64 s[54:55], s[54:55], s[38:39]
	s_cbranch_vccnz .LBB231_69
; %bb.21:                               ;   in Loop: Header=BB231_3 Depth=1
	v_cndmask_b32_e64 v3, 0, 8, s8
	v_cndmask_b32_e64 v4, 0, 4, s6
	v_cndmask_b32_e64 v36, 0, 2, s9
	v_add_co_ci_u32_e64 v37, null, 0, v46, s7
	s_delay_alu instid0(VALU_DEP_4) | instskip(NEXT) | instid1(VALU_DEP_4)
	v_add_lshl_u32 v50, v3, v46, 2
	v_add_lshl_u32 v51, v4, v46, 2
	v_dual_mov_b32 v3, v2 :: v_dual_mov_b32 v4, v2
	s_delay_alu instid0(VALU_DEP_4) | instskip(SKIP_3) | instid1(VALU_DEP_4)
	v_dual_mov_b32 v5, v2 :: v_dual_lshlrev_b32 v53, 2, v37
	v_add_lshl_u32 v52, v36, v46, 2
	v_add_nc_u64_e32 v[36:37], v[6:7], v[20:21]
	v_mov_b64_e32 v[38:39], v[24:25]
	v_mov_b64_e32 v[6:7], v[4:5]
	;; [unrolled: 1-line block ×3, first 2 shown]
	s_mov_b32 s24, 0
	s_branch .LBB231_23
.LBB231_22:                             ;   in Loop: Header=BB231_23 Depth=2
	s_wait_xcnt 0x0
	s_or_b32 exec_lo, exec_lo, s6
	v_add_nc_u64_e32 v[38:39], s[46:47], v[38:39]
	s_add_co_i32 s24, s24, 4
	s_delay_alu instid0(SALU_CYCLE_1)
	s_cmp_ge_i32 s24, s60
	s_cbranch_scc1 .LBB231_70
.LBB231_23:                             ;   Parent Loop BB231_3 Depth=1
                                        ; =>  This Loop Header: Depth=2
                                        ;       Child Loop BB231_54 Depth 3
                                        ;       Child Loop BB231_57 Depth 3
                                        ; implicit-def: $vgpr41
                                        ; implicit-def: $vgpr43
	s_and_saveexec_b32 s6, s4
	s_delay_alu instid0(SALU_CYCLE_1)
	s_xor_b32 s6, exec_lo, s6
	s_cbranch_execnz .LBB231_50
; %bb.24:                               ;   in Loop: Header=BB231_23 Depth=2
	s_and_not1_saveexec_b32 s9, s6
	s_cbranch_execnz .LBB231_51
.LBB231_25:                             ;   in Loop: Header=BB231_23 Depth=2
	s_or_b32 exec_lo, exec_lo, s9
	s_and_saveexec_b32 s6, s1
.LBB231_26:                             ;   in Loop: Header=BB231_23 Depth=2
	ds_store_b32 v47, v2
.LBB231_27:                             ;   in Loop: Header=BB231_23 Depth=2
	s_or_b32 exec_lo, exec_lo, s6
	ds_bpermute_b32 v3, v49, v42
	s_wait_storecnt_dscnt 0x0
	s_barrier_signal -1
	s_barrier_wait -1
	v_add_f32_e32 v3, v42, v3
	ds_bpermute_b32 v42, v50, v3
	s_wait_dscnt 0x0
	v_add_f32_e32 v3, v3, v42
	ds_bpermute_b32 v42, v51, v3
	s_wait_dscnt 0x0
	;; [unrolled: 3-line block ×3, first 2 shown]
	v_add_f32_e32 v3, v3, v42
	ds_bpermute_b32 v42, v53, v3
	s_and_saveexec_b32 s6, s3
	s_cbranch_execz .LBB231_29
; %bb.28:                               ;   in Loop: Header=BB231_23 Depth=2
	s_wait_dscnt 0x0
	v_add_f32_e32 v3, v3, v42
	ds_store_b32 v48, v3
.LBB231_29:                             ;   in Loop: Header=BB231_23 Depth=2
	s_or_b32 exec_lo, exec_lo, s6
	v_mov_b32_e32 v3, 0
	s_wait_dscnt 0x0
	s_barrier_signal -1
	s_barrier_wait -1
	s_and_saveexec_b32 s6, s2
	s_cbranch_execnz .LBB231_58
; %bb.30:                               ;   in Loop: Header=BB231_23 Depth=2
	s_or_b32 exec_lo, exec_lo, s6
	s_and_saveexec_b32 s6, s1
	s_cbranch_execnz .LBB231_59
.LBB231_31:                             ;   in Loop: Header=BB231_23 Depth=2
	s_or_b32 exec_lo, exec_lo, s6
	s_and_saveexec_b32 s6, s1
.LBB231_32:                             ;   in Loop: Header=BB231_23 Depth=2
	ds_store_b32 v47, v2
.LBB231_33:                             ;   in Loop: Header=BB231_23 Depth=2
	s_or_b32 exec_lo, exec_lo, s6
	ds_bpermute_b32 v42, v49, v43
	s_wait_dscnt 0x0
	s_barrier_signal -1
	s_barrier_wait -1
	v_add_f32_e32 v42, v43, v42
	ds_bpermute_b32 v43, v50, v42
	s_wait_dscnt 0x0
	v_add_f32_e32 v42, v42, v43
	ds_bpermute_b32 v43, v51, v42
	s_wait_dscnt 0x0
	;; [unrolled: 3-line block ×3, first 2 shown]
	v_add_f32_e32 v42, v42, v43
	ds_bpermute_b32 v43, v53, v42
	s_and_saveexec_b32 s6, s3
	s_cbranch_execz .LBB231_35
; %bb.34:                               ;   in Loop: Header=BB231_23 Depth=2
	s_wait_dscnt 0x0
	v_add_f32_e32 v42, v42, v43
	ds_store_b32 v48, v42
.LBB231_35:                             ;   in Loop: Header=BB231_23 Depth=2
	s_or_b32 exec_lo, exec_lo, s6
	v_mov_b32_e32 v42, 0
	s_wait_dscnt 0x0
	s_barrier_signal -1
	s_barrier_wait -1
	s_and_saveexec_b32 s6, s2
	s_cbranch_execnz .LBB231_60
; %bb.36:                               ;   in Loop: Header=BB231_23 Depth=2
	s_or_b32 exec_lo, exec_lo, s6
	s_and_saveexec_b32 s6, s1
	s_cbranch_execnz .LBB231_61
.LBB231_37:                             ;   in Loop: Header=BB231_23 Depth=2
	s_or_b32 exec_lo, exec_lo, s6
	s_and_saveexec_b32 s6, s1
.LBB231_38:                             ;   in Loop: Header=BB231_23 Depth=2
	ds_store_b32 v47, v2
.LBB231_39:                             ;   in Loop: Header=BB231_23 Depth=2
	s_or_b32 exec_lo, exec_lo, s6
	ds_bpermute_b32 v43, v49, v40
	s_wait_dscnt 0x0
	s_barrier_signal -1
	s_barrier_wait -1
	v_add_f32_e32 v40, v40, v43
	ds_bpermute_b32 v43, v50, v40
	s_wait_dscnt 0x0
	v_add_f32_e32 v40, v40, v43
	ds_bpermute_b32 v43, v51, v40
	s_wait_dscnt 0x0
	;; [unrolled: 3-line block ×3, first 2 shown]
	v_add_f32_e32 v40, v40, v43
	ds_bpermute_b32 v43, v53, v40
	s_and_saveexec_b32 s6, s3
	s_cbranch_execz .LBB231_41
; %bb.40:                               ;   in Loop: Header=BB231_23 Depth=2
	s_wait_dscnt 0x0
	v_add_f32_e32 v40, v40, v43
	ds_store_b32 v48, v40
.LBB231_41:                             ;   in Loop: Header=BB231_23 Depth=2
	s_or_b32 exec_lo, exec_lo, s6
	v_mov_b32_e32 v40, 0
	s_wait_dscnt 0x0
	s_barrier_signal -1
	s_barrier_wait -1
	s_and_saveexec_b32 s6, s2
	s_cbranch_execnz .LBB231_62
; %bb.42:                               ;   in Loop: Header=BB231_23 Depth=2
	s_or_b32 exec_lo, exec_lo, s6
	s_and_saveexec_b32 s6, s1
	s_cbranch_execnz .LBB231_63
.LBB231_43:                             ;   in Loop: Header=BB231_23 Depth=2
	s_or_b32 exec_lo, exec_lo, s6
	s_and_saveexec_b32 s6, s1
.LBB231_44:                             ;   in Loop: Header=BB231_23 Depth=2
	ds_store_b32 v47, v2
.LBB231_45:                             ;   in Loop: Header=BB231_23 Depth=2
	s_or_b32 exec_lo, exec_lo, s6
	ds_bpermute_b32 v43, v49, v41
	s_wait_dscnt 0x0
	s_barrier_signal -1
	s_barrier_wait -1
	v_add_f32_e32 v41, v41, v43
	ds_bpermute_b32 v43, v50, v41
	s_wait_dscnt 0x0
	v_add_f32_e32 v41, v41, v43
	ds_bpermute_b32 v43, v51, v41
	s_wait_dscnt 0x0
	;; [unrolled: 3-line block ×3, first 2 shown]
	v_add_f32_e32 v41, v41, v43
	ds_bpermute_b32 v43, v53, v41
	s_and_saveexec_b32 s6, s3
	s_cbranch_execz .LBB231_47
; %bb.46:                               ;   in Loop: Header=BB231_23 Depth=2
	s_wait_dscnt 0x0
	v_add_f32_e32 v41, v41, v43
	ds_store_b32 v48, v41
.LBB231_47:                             ;   in Loop: Header=BB231_23 Depth=2
	s_or_b32 exec_lo, exec_lo, s6
	v_mov_b32_e32 v41, 0
	s_wait_dscnt 0x0
	s_barrier_signal -1
	s_barrier_wait -1
	s_and_saveexec_b32 s6, s2
	s_cbranch_execnz .LBB231_64
; %bb.48:                               ;   in Loop: Header=BB231_23 Depth=2
	s_or_b32 exec_lo, exec_lo, s6
	s_and_saveexec_b32 s6, s1
	s_cbranch_execnz .LBB231_65
.LBB231_49:                             ;   in Loop: Header=BB231_23 Depth=2
	s_or_b32 exec_lo, exec_lo, s6
	s_and_saveexec_b32 s6, s0
	s_cbranch_execz .LBB231_22
	s_branch .LBB231_66
.LBB231_50:                             ;   in Loop: Header=BB231_23 Depth=2
	s_or_b32 s56, s24, 3
	s_mov_b32 s57, s25
	s_mul_u64 s[8:9], s[24:25], s[26:27]
	s_or_b32 s66, s24, 2
	s_mul_u64 s[56:57], s[56:57], s[26:27]
	s_mov_b32 s67, s25
	v_lshl_add_u64 v[44:45], s[8:9], 2, v[24:25]
	s_or_b32 s8, s24, 1
	s_mov_b32 s9, s25
	s_wait_dscnt 0x0
	v_lshl_add_u64 v[40:41], s[56:57], 2, v[24:25]
	s_mul_u64 s[56:57], s[66:67], s[26:27]
	s_mul_u64 s[8:9], s[8:9], s[26:27]
	s_clause 0x2
	flat_load_b32 v4, v[26:27]
	flat_load_b32 v5, v[28:29]
	;; [unrolled: 1-line block ×3, first 2 shown]
	v_lshl_add_u64 v[58:59], s[56:57], 2, v[24:25]
	v_lshl_add_u64 v[62:63], s[8:9], 2, v[24:25]
	s_clause 0x3
	flat_load_b128 v[40:43], v[40:41]
	flat_load_b128 v[54:57], v[44:45]
	;; [unrolled: 1-line block ×4, first 2 shown]
	flat_load_b32 v6, v[30:31]
	s_wait_loadcnt_dscnt 0x505
	s_wait_xcnt 0x3
	v_dual_mov_b32 v44, v5 :: v_dual_mov_b32 v66, v7
	s_wait_loadcnt_dscnt 0x404
	v_pk_mul_f32 v[40:41], v[4:5], v[40:41]
	s_wait_loadcnt_dscnt 0x303
	v_dual_mov_b32 v68, v54 :: v_dual_mov_b32 v54, v56
	s_wait_loadcnt_dscnt 0x202
	s_wait_xcnt 0x2
	v_dual_mul_f32 v58, v4, v58 :: v_dual_mul_f32 v70, v5, v59
	s_wait_loadcnt_dscnt 0x101
	v_dual_mov_b32 v59, v40 :: v_dual_mov_b32 v69, v62
	s_wait_xcnt 0x1
	v_dual_mov_b32 v62, v55 :: v_dual_mov_b32 v71, v41
	s_wait_loadcnt_dscnt 0x0
	v_pk_mul_f32 v[42:43], v[6:7], v[42:43]
	v_pk_add_f32 v[40:41], v[58:59], 0 op_sel_hi:[1,0]
	v_pk_fma_f32 v[58:59], v[4:5], v[68:69], 0 op_sel_hi:[0,1,0]
	v_dual_mul_f32 v68, v6, v60 :: v_dual_mov_b32 v55, v64
	s_delay_alu instid0(VALU_DEP_4) | instskip(NEXT) | instid1(VALU_DEP_4)
	v_dual_mov_b32 v69, v42 :: v_dual_mov_b32 v64, v57
	v_pk_add_f32 v[40:41], v[40:41], v[70:71]
	s_delay_alu instid0(VALU_DEP_4) | instskip(SKIP_1) | instid1(VALU_DEP_3)
	v_pk_fma_f32 v[44:45], v[44:45], v[62:63], v[58:59] op_sel_hi:[0,1,1]
	v_mul_f32_e32 v42, v7, v61
	v_pk_add_f32 v[40:41], v[40:41], v[68:69]
	s_delay_alu instid0(VALU_DEP_3) | instskip(NEXT) | instid1(VALU_DEP_2)
	v_pk_fma_f32 v[44:45], v[6:7], v[54:55], v[44:45] op_sel_hi:[0,1,1]
	v_pk_add_f32 v[40:41], v[40:41], v[42:43]
	s_delay_alu instid0(VALU_DEP_2)
	v_pk_fma_f32 v[42:43], v[66:67], v[64:65], v[44:45] op_sel_hi:[0,1,1]
	s_wait_xcnt 0x0
	s_and_not1_saveexec_b32 s9, s6
	s_cbranch_execz .LBB231_25
.LBB231_51:                             ;   in Loop: Header=BB231_23 Depth=2
	s_wait_dscnt 0x0
	v_dual_mov_b32 v41, 0 :: v_dual_mov_b32 v40, 0
	v_dual_mov_b32 v43, 0 :: v_dual_mov_b32 v42, 0
	s_and_saveexec_b32 s11, s5
	s_cbranch_execz .LBB231_68
; %bb.52:                               ;   in Loop: Header=BB231_23 Depth=2
	s_and_not1_b32 vcc_lo, exec_lo, s63
	s_cbranch_vccnz .LBB231_55
; %bb.53:                               ;   in Loop: Header=BB231_23 Depth=2
	v_mov_b64_e32 v[40:41], v[36:37]
	s_mov_b64 s[56:57], 0
.LBB231_54:                             ;   Parent Loop BB231_3 Depth=1
                                        ;     Parent Loop BB231_23 Depth=2
                                        ; =>    This Inner Loop Header: Depth=3
	flat_load_b32 v3, v[40:41]
	s_cmp_eq_u32 s56, 3
	s_wait_xcnt 0x0
	v_add_nc_u64_e32 v[40:41], s[44:45], v[40:41]
	s_cselect_b32 vcc_lo, -1, 0
	s_cmp_eq_u32 s56, 2
	s_cselect_b32 s6, -1, 0
	s_cmp_eq_u32 s56, 1
	s_cselect_b32 s7, -1, 0
	s_cmp_eq_u32 s56, 0
	s_add_nc_u64 s[56:57], s[56:57], 1
	s_cselect_b32 s8, -1, 0
	s_cmp_eq_u32 s61, s56
	s_wait_loadcnt_dscnt 0x0
	v_dual_cndmask_b32 v7, v7, v3, vcc_lo :: v_dual_cndmask_b32 v6, v6, v3, s6
	v_dual_cndmask_b32 v5, v5, v3, s7 :: v_dual_cndmask_b32 v4, v4, v3, s8
	s_cbranch_scc0 .LBB231_54
.LBB231_55:                             ;   in Loop: Header=BB231_23 Depth=2
	s_and_not1_b32 vcc_lo, exec_lo, s63
	s_cbranch_vccnz .LBB231_67
; %bb.56:                               ;   in Loop: Header=BB231_23 Depth=2
	v_mov_b32_e32 v42, 0
	v_mov_b64_e32 v[44:45], v[38:39]
	s_mov_b64 s[6:7], 0
	s_delay_alu instid0(VALU_DEP_2)
	v_dual_mov_b32 v43, v42 :: v_dual_mov_b32 v40, v42
	v_mov_b32_e32 v41, v42
.LBB231_57:                             ;   Parent Loop BB231_3 Depth=1
                                        ;     Parent Loop BB231_23 Depth=2
                                        ; =>    This Inner Loop Header: Depth=3
	s_delay_alu instid0(VALU_DEP_3)
	v_add_nc_u64_e32 v[54:55], s[48:49], v[44:45]
	v_add_nc_u64_e32 v[56:57], s[34:35], v[44:45]
	s_wait_xcnt 0x0
	v_add_nc_u64_e32 v[58:59], s[52:53], v[44:45]
	s_cmp_eq_u32 s6, 1
	s_clause 0x3
	flat_load_b32 v60, v[44:45]
	flat_load_b32 v54, v[54:55]
	;; [unrolled: 1-line block ×4, first 2 shown]
	s_cselect_b32 vcc_lo, -1, 0
	s_cmp_eq_u32 s6, 2
	v_cndmask_b32_e32 v3, v4, v5, vcc_lo
	s_cselect_b32 vcc_lo, -1, 0
	s_cmp_eq_u32 s6, 3
	v_add_nc_u64_e32 v[44:45], 4, v[44:45]
	s_add_nc_u64 s[6:7], s[6:7], 1
	v_cndmask_b32_e32 v3, v3, v6, vcc_lo
	s_cselect_b32 vcc_lo, -1, 0
	s_cmp_lg_u32 s61, s6
	s_wait_xcnt 0x1
	s_delay_alu instid0(VALU_DEP_1) | instskip(SKIP_1) | instid1(VALU_DEP_1)
	v_cndmask_b32_e32 v56, v3, v7, vcc_lo
	s_wait_loadcnt_dscnt 0x101
	v_pk_fma_f32 v[40:41], v[56:57], v[54:55], v[40:41] op_sel_hi:[0,1,1]
	s_wait_loadcnt_dscnt 0x0
	v_pk_fma_f32 v[42:43], v[56:57], v[60:61], v[42:43] op_sel_hi:[0,1,1]
	s_cbranch_scc1 .LBB231_57
	s_branch .LBB231_68
.LBB231_58:                             ;   in Loop: Header=BB231_23 Depth=2
	ds_load_b32 v3, v47
	s_or_b32 exec_lo, exec_lo, s6
	s_and_saveexec_b32 s6, s1
	s_cbranch_execz .LBB231_31
.LBB231_59:                             ;   in Loop: Header=BB231_23 Depth=2
	s_wait_dscnt 0x0
	ds_bpermute_b32 v42, v51, v3
	s_wait_dscnt 0x0
	v_add_f32_e32 v3, v3, v42
	ds_bpermute_b32 v42, v52, v3
	s_wait_dscnt 0x0
	v_add_f32_e32 v3, v3, v42
	;; [unrolled: 3-line block ×3, first 2 shown]
	s_or_b32 exec_lo, exec_lo, s6
	s_and_saveexec_b32 s6, s1
	s_cbranch_execnz .LBB231_32
	s_branch .LBB231_33
.LBB231_60:                             ;   in Loop: Header=BB231_23 Depth=2
	ds_load_b32 v42, v47
	s_or_b32 exec_lo, exec_lo, s6
	s_and_saveexec_b32 s6, s1
	s_cbranch_execz .LBB231_37
.LBB231_61:                             ;   in Loop: Header=BB231_23 Depth=2
	s_wait_dscnt 0x0
	ds_bpermute_b32 v43, v51, v42
	s_wait_dscnt 0x0
	v_add_f32_e32 v42, v42, v43
	ds_bpermute_b32 v43, v52, v42
	s_wait_dscnt 0x0
	v_add_f32_e32 v42, v42, v43
	;; [unrolled: 3-line block ×3, first 2 shown]
	s_or_b32 exec_lo, exec_lo, s6
	s_and_saveexec_b32 s6, s1
	s_cbranch_execnz .LBB231_38
	s_branch .LBB231_39
.LBB231_62:                             ;   in Loop: Header=BB231_23 Depth=2
	ds_load_b32 v40, v47
	s_or_b32 exec_lo, exec_lo, s6
	s_and_saveexec_b32 s6, s1
	s_cbranch_execz .LBB231_43
.LBB231_63:                             ;   in Loop: Header=BB231_23 Depth=2
	s_wait_dscnt 0x0
	ds_bpermute_b32 v43, v51, v40
	s_wait_dscnt 0x0
	v_add_f32_e32 v40, v40, v43
	ds_bpermute_b32 v43, v52, v40
	s_wait_dscnt 0x0
	v_add_f32_e32 v40, v40, v43
	;; [unrolled: 3-line block ×3, first 2 shown]
	s_or_b32 exec_lo, exec_lo, s6
	s_and_saveexec_b32 s6, s1
	s_cbranch_execnz .LBB231_44
	s_branch .LBB231_45
.LBB231_64:                             ;   in Loop: Header=BB231_23 Depth=2
	ds_load_b32 v41, v47
	s_or_b32 exec_lo, exec_lo, s6
	s_and_saveexec_b32 s6, s1
	s_cbranch_execz .LBB231_49
.LBB231_65:                             ;   in Loop: Header=BB231_23 Depth=2
	s_wait_dscnt 0x0
	ds_bpermute_b32 v43, v51, v41
	s_wait_dscnt 0x0
	v_add_f32_e32 v41, v41, v43
	ds_bpermute_b32 v43, v52, v41
	s_wait_dscnt 0x0
	v_add_f32_e32 v41, v41, v43
	;; [unrolled: 3-line block ×3, first 2 shown]
	s_or_b32 exec_lo, exec_lo, s6
	s_and_saveexec_b32 s6, s0
	s_cbranch_execz .LBB231_22
.LBB231_66:                             ;   in Loop: Header=BB231_23 Depth=2
	s_or_b32 s56, s24, 1
	s_mov_b32 s57, s25
	s_mul_u64 s[8:9], s[24:25], s[30:31]
	v_dual_mul_f32 v3, s22, v3 :: v_dual_mul_f32 v42, s22, v42
	s_mul_u64 s[56:57], s[56:57], s[30:31]
	s_lshl_b64 s[8:9], s[8:9], 2
	s_lshl_b64 s[56:57], s[56:57], 2
	s_add_nc_u64 s[8:9], s[54:55], s[8:9]
	s_add_nc_u64 s[56:57], s[54:55], s[56:57]
	s_clause 0x1
	global_store_b32 v2, v3, s[8:9]
	global_store_b32 v2, v42, s[56:57]
	s_wait_xcnt 0x1
	s_or_b32 s8, s24, 2
	s_mov_b32 s9, s25
	s_wait_xcnt 0x0
	s_or_b32 s56, s24, 3
	s_mov_b32 s57, s25
	s_mul_u64 s[8:9], s[8:9], s[30:31]
	s_wait_dscnt 0x0
	v_dual_mul_f32 v3, s22, v40 :: v_dual_mul_f32 v40, s22, v41
	s_mul_u64 s[56:57], s[56:57], s[30:31]
	s_lshl_b64 s[8:9], s[8:9], 2
	s_lshl_b64 s[56:57], s[56:57], 2
	s_add_nc_u64 s[8:9], s[54:55], s[8:9]
	s_add_nc_u64 s[56:57], s[54:55], s[56:57]
	s_clause 0x1
	global_store_b32 v2, v3, s[8:9]
	global_store_b32 v2, v40, s[56:57]
	s_branch .LBB231_22
.LBB231_67:                             ;   in Loop: Header=BB231_23 Depth=2
	v_mov_b32_e32 v41, 0
	s_delay_alu instid0(VALU_DEP_1)
	v_dual_mov_b32 v40, v41 :: v_dual_mov_b32 v43, v41
	v_mov_b32_e32 v42, v41
.LBB231_68:                             ;   in Loop: Header=BB231_23 Depth=2
	s_wait_xcnt 0x0
	s_or_b32 exec_lo, exec_lo, s11
	s_delay_alu instid0(SALU_CYCLE_1)
	s_or_b32 exec_lo, exec_lo, s9
	s_and_saveexec_b32 s6, s1
	s_cbranch_execnz .LBB231_26
	s_branch .LBB231_27
.LBB231_69:                             ;   in Loop: Header=BB231_3 Depth=1
	v_dual_mov_b32 v3, v2 :: v_dual_mov_b32 v4, v2
	v_mov_b32_e32 v5, v2
	s_mov_b32 s24, 0
	s_delay_alu instid0(VALU_DEP_1) | instskip(NEXT) | instid1(VALU_DEP_3)
	v_mov_b64_e32 v[6:7], v[4:5]
	v_mov_b64_e32 v[4:5], v[2:3]
.LBB231_70:                             ;   in Loop: Header=BB231_3 Depth=1
	s_cmp_ge_i32 s24, s21
	s_cbranch_scc1 .LBB231_2
; %bb.71:                               ;   in Loop: Header=BB231_3 Depth=1
	v_add_nc_u64_e32 v[0:1], v[0:1], v[18:19]
	v_cmp_gt_u32_e32 vcc_lo, 24, v46
	s_delay_alu instid0(VALU_DEP_2) | instskip(SKIP_2) | instid1(VALU_DEP_2)
	v_mad_nc_u64_u32 v[36:37], s52, s24, v[0:1]
	v_cndmask_b32_e64 v0, 0, 8, vcc_lo
	v_cmp_gt_u32_e32 vcc_lo, 28, v46
	v_add_lshl_u32 v1, v0, v46, 2
	v_cndmask_b32_e64 v3, 0, 4, vcc_lo
	v_cmp_gt_u32_e32 vcc_lo, 30, v46
	v_mad_u32 v37, s53, s24, v37
	s_delay_alu instid0(VALU_DEP_3) | instskip(SKIP_2) | instid1(VALU_DEP_2)
	v_add_lshl_u32 v3, v3, v46, 2
	v_cndmask_b32_e64 v38, 0, 2, vcc_lo
	v_cmp_ne_u32_e32 vcc_lo, 31, v46
	v_add_lshl_u32 v40, v38, v46, 2
	v_add_co_ci_u32_e64 v39, null, 0, v46, vcc_lo
	s_wait_dscnt 0x0
	s_delay_alu instid0(VALU_DEP_1)
	v_lshlrev_b32_e32 v41, 2, v39
	s_branch .LBB231_73
.LBB231_72:                             ;   in Loop: Header=BB231_73 Depth=2
	s_wait_xcnt 0x0
	s_or_b32 exec_lo, exec_lo, s6
	v_add_nc_u64_e32 v[36:37], s[52:53], v[36:37]
	s_add_co_i32 s24, s24, 1
	s_delay_alu instid0(SALU_CYCLE_1)
	s_cmp_ge_i32 s24, s21
	s_cbranch_scc1 .LBB231_2
.LBB231_73:                             ;   Parent Loop BB231_3 Depth=1
                                        ; =>  This Loop Header: Depth=2
                                        ;       Child Loop BB231_86 Depth 3
                                        ;       Child Loop BB231_89 Depth 3
	s_wait_dscnt 0x0
	v_mov_b32_e32 v0, s25
	s_and_saveexec_b32 s6, s4
	s_delay_alu instid0(SALU_CYCLE_1)
	s_xor_b32 s6, exec_lo, s6
	s_cbranch_execnz .LBB231_82
; %bb.74:                               ;   in Loop: Header=BB231_73 Depth=2
	s_and_not1_saveexec_b32 s9, s6
	s_cbranch_execnz .LBB231_83
.LBB231_75:                             ;   in Loop: Header=BB231_73 Depth=2
	s_or_b32 exec_lo, exec_lo, s9
	s_and_saveexec_b32 s6, s1
.LBB231_76:                             ;   in Loop: Header=BB231_73 Depth=2
	ds_store_b32 v47, v2
.LBB231_77:                             ;   in Loop: Header=BB231_73 Depth=2
	s_or_b32 exec_lo, exec_lo, s6
	ds_bpermute_b32 v38, v49, v0
	s_wait_storecnt_dscnt 0x0
	s_barrier_signal -1
	s_barrier_wait -1
	v_add_f32_e32 v0, v0, v38
	ds_bpermute_b32 v38, v1, v0
	s_wait_dscnt 0x0
	v_add_f32_e32 v0, v0, v38
	ds_bpermute_b32 v38, v3, v0
	s_wait_dscnt 0x0
	;; [unrolled: 3-line block ×3, first 2 shown]
	v_add_f32_e32 v0, v0, v38
	ds_bpermute_b32 v38, v41, v0
	s_and_saveexec_b32 s6, s3
	s_cbranch_execz .LBB231_79
; %bb.78:                               ;   in Loop: Header=BB231_73 Depth=2
	s_wait_dscnt 0x0
	v_add_f32_e32 v0, v0, v38
	ds_store_b32 v48, v0
.LBB231_79:                             ;   in Loop: Header=BB231_73 Depth=2
	s_or_b32 exec_lo, exec_lo, s6
	v_mov_b32_e32 v0, 0
	s_wait_dscnt 0x0
	s_barrier_signal -1
	s_barrier_wait -1
	s_and_saveexec_b32 s6, s2
	s_cbranch_execnz .LBB231_91
; %bb.80:                               ;   in Loop: Header=BB231_73 Depth=2
	s_or_b32 exec_lo, exec_lo, s6
	s_and_saveexec_b32 s6, s1
	s_cbranch_execnz .LBB231_92
.LBB231_81:                             ;   in Loop: Header=BB231_73 Depth=2
	s_or_b32 exec_lo, exec_lo, s6
	s_and_saveexec_b32 s6, s0
	s_cbranch_execz .LBB231_72
	s_branch .LBB231_93
.LBB231_82:                             ;   in Loop: Header=BB231_73 Depth=2
	s_mul_u64 s[8:9], s[24:25], s[26:27]
	s_delay_alu instid0(SALU_CYCLE_1)
	v_lshl_add_u64 v[4:5], s[8:9], 2, v[24:25]
	flat_load_b128 v[42:45], v[4:5]
	s_clause 0x3
	flat_load_b32 v4, v[26:27]
	flat_load_b32 v5, v[28:29]
	;; [unrolled: 1-line block ×4, first 2 shown]
	s_wait_loadcnt_dscnt 0x202
	v_pk_mul_f32 v[38:39], v[4:5], v[42:43]
	s_delay_alu instid0(VALU_DEP_1) | instskip(NEXT) | instid1(VALU_DEP_1)
	v_add_f32_e32 v0, 0, v38
	v_add_f32_e32 v0, v0, v39
	s_wait_loadcnt_dscnt 0x0
	v_pk_mul_f32 v[38:39], v[6:7], v[44:45]
	s_delay_alu instid0(VALU_DEP_1) | instskip(NEXT) | instid1(VALU_DEP_1)
	v_add_f32_e32 v0, v0, v38
	v_add_f32_e32 v0, v0, v39
	s_wait_xcnt 0x0
	s_and_not1_saveexec_b32 s9, s6
	s_cbranch_execz .LBB231_75
.LBB231_83:                             ;   in Loop: Header=BB231_73 Depth=2
	s_and_saveexec_b32 s11, s5
	s_cbranch_execz .LBB231_90
; %bb.84:                               ;   in Loop: Header=BB231_73 Depth=2
	s_and_not1_b32 vcc_lo, exec_lo, s63
	s_cbranch_vccnz .LBB231_87
; %bb.85:                               ;   in Loop: Header=BB231_73 Depth=2
	v_mov_b64_e32 v[38:39], v[34:35]
	s_mov_b64 s[56:57], 0
.LBB231_86:                             ;   Parent Loop BB231_3 Depth=1
                                        ;     Parent Loop BB231_73 Depth=2
                                        ; =>    This Inner Loop Header: Depth=3
	flat_load_b32 v42, v[38:39]
	s_cmp_eq_u32 s56, 3
	s_wait_xcnt 0x0
	v_add_nc_u64_e32 v[38:39], s[44:45], v[38:39]
	s_cselect_b32 vcc_lo, -1, 0
	s_cmp_eq_u32 s56, 2
	s_cselect_b32 s6, -1, 0
	s_cmp_eq_u32 s56, 1
	s_cselect_b32 s7, -1, 0
	s_cmp_eq_u32 s56, 0
	s_add_nc_u64 s[56:57], s[56:57], 1
	s_cselect_b32 s8, -1, 0
	s_cmp_eq_u32 s61, s56
	s_wait_loadcnt_dscnt 0x0
	v_dual_cndmask_b32 v7, v7, v42, vcc_lo :: v_dual_cndmask_b32 v6, v6, v42, s6
	v_dual_cndmask_b32 v5, v5, v42, s7 :: v_dual_cndmask_b32 v4, v4, v42, s8
	s_cbranch_scc0 .LBB231_86
.LBB231_87:                             ;   in Loop: Header=BB231_73 Depth=2
	s_and_not1_b32 vcc_lo, exec_lo, s63
	s_cbranch_vccnz .LBB231_90
; %bb.88:                               ;   in Loop: Header=BB231_73 Depth=2
	v_mov_b64_e32 v[38:39], v[36:37]
	s_mov_b64 s[6:7], 0
.LBB231_89:                             ;   Parent Loop BB231_3 Depth=1
                                        ;     Parent Loop BB231_73 Depth=2
                                        ; =>    This Inner Loop Header: Depth=3
	flat_load_b32 v42, v[38:39]
	s_cmp_eq_u32 s6, 1
	s_wait_xcnt 0x0
	v_add_nc_u64_e32 v[38:39], 4, v[38:39]
	s_cselect_b32 vcc_lo, -1, 0
	s_cmp_eq_u32 s6, 2
	v_cndmask_b32_e32 v43, v4, v5, vcc_lo
	s_cselect_b32 vcc_lo, -1, 0
	s_cmp_eq_u32 s6, 3
	s_add_nc_u64 s[6:7], s[6:7], 1
	s_delay_alu instid0(VALU_DEP_1) | instskip(SKIP_2) | instid1(VALU_DEP_1)
	v_cndmask_b32_e32 v43, v43, v6, vcc_lo
	s_cselect_b32 vcc_lo, -1, 0
	s_cmp_lg_u32 s61, s6
	v_cndmask_b32_e32 v43, v43, v7, vcc_lo
	s_wait_loadcnt_dscnt 0x0
	s_delay_alu instid0(VALU_DEP_1)
	v_fmac_f32_e32 v0, v43, v42
	s_cbranch_scc1 .LBB231_89
.LBB231_90:                             ;   in Loop: Header=BB231_73 Depth=2
	s_or_b32 exec_lo, exec_lo, s11
	s_delay_alu instid0(SALU_CYCLE_1)
	s_or_b32 exec_lo, exec_lo, s9
	s_and_saveexec_b32 s6, s1
	s_cbranch_execnz .LBB231_76
	s_branch .LBB231_77
.LBB231_91:                             ;   in Loop: Header=BB231_73 Depth=2
	ds_load_b32 v0, v47
	s_or_b32 exec_lo, exec_lo, s6
	s_and_saveexec_b32 s6, s1
	s_cbranch_execz .LBB231_81
.LBB231_92:                             ;   in Loop: Header=BB231_73 Depth=2
	s_wait_dscnt 0x0
	ds_bpermute_b32 v38, v3, v0
	s_wait_dscnt 0x0
	v_add_f32_e32 v0, v0, v38
	ds_bpermute_b32 v38, v40, v0
	s_wait_dscnt 0x0
	v_add_f32_e32 v0, v0, v38
	ds_bpermute_b32 v38, v41, v0
	s_wait_dscnt 0x0
	v_add_f32_e32 v0, v0, v38
	s_or_b32 exec_lo, exec_lo, s6
	s_and_saveexec_b32 s6, s0
	s_cbranch_execz .LBB231_72
.LBB231_93:                             ;   in Loop: Header=BB231_73 Depth=2
	s_mul_u64 s[8:9], s[24:25], s[30:31]
	s_wait_dscnt 0x0
	v_mul_f32_e32 v0, s22, v0
	s_lshl_b64 s[8:9], s[8:9], 2
	s_delay_alu instid0(SALU_CYCLE_1)
	s_add_nc_u64 s[8:9], s[54:55], s[8:9]
	global_store_b32 v2, v0, s[8:9]
	s_branch .LBB231_72
.LBB231_94:
	s_sendmsg sendmsg(MSG_DEALLOC_VGPRS)
	s_endpgm
	.section	.rodata,"a",@progbits
	.p2align	6, 0x0
	.amdhsa_kernel _ZL23rocblas_gemvt_sn_kernelILb1ELi256ELi4ElPKfffEviiT4_lPKT3_lilS5_lilPT5_i
		.amdhsa_group_segment_fixed_size 128
		.amdhsa_private_segment_fixed_size 0
		.amdhsa_kernarg_size 360
		.amdhsa_user_sgpr_count 2
		.amdhsa_user_sgpr_dispatch_ptr 0
		.amdhsa_user_sgpr_queue_ptr 0
		.amdhsa_user_sgpr_kernarg_segment_ptr 1
		.amdhsa_user_sgpr_dispatch_id 0
		.amdhsa_user_sgpr_kernarg_preload_length 0
		.amdhsa_user_sgpr_kernarg_preload_offset 0
		.amdhsa_user_sgpr_private_segment_size 0
		.amdhsa_wavefront_size32 1
		.amdhsa_uses_dynamic_stack 0
		.amdhsa_enable_private_segment 0
		.amdhsa_system_sgpr_workgroup_id_x 1
		.amdhsa_system_sgpr_workgroup_id_y 0
		.amdhsa_system_sgpr_workgroup_id_z 1
		.amdhsa_system_sgpr_workgroup_info 0
		.amdhsa_system_vgpr_workitem_id 0
		.amdhsa_next_free_vgpr 72
		.amdhsa_next_free_sgpr 68
		.amdhsa_named_barrier_count 0
		.amdhsa_reserve_vcc 1
		.amdhsa_float_round_mode_32 0
		.amdhsa_float_round_mode_16_64 0
		.amdhsa_float_denorm_mode_32 3
		.amdhsa_float_denorm_mode_16_64 3
		.amdhsa_fp16_overflow 0
		.amdhsa_memory_ordered 1
		.amdhsa_forward_progress 1
		.amdhsa_inst_pref_size 32
		.amdhsa_round_robin_scheduling 0
		.amdhsa_exception_fp_ieee_invalid_op 0
		.amdhsa_exception_fp_denorm_src 0
		.amdhsa_exception_fp_ieee_div_zero 0
		.amdhsa_exception_fp_ieee_overflow 0
		.amdhsa_exception_fp_ieee_underflow 0
		.amdhsa_exception_fp_ieee_inexact 0
		.amdhsa_exception_int_div_zero 0
	.end_amdhsa_kernel
	.section	.text._ZL23rocblas_gemvt_sn_kernelILb1ELi256ELi4ElPKfffEviiT4_lPKT3_lilS5_lilPT5_i,"axG",@progbits,_ZL23rocblas_gemvt_sn_kernelILb1ELi256ELi4ElPKfffEviiT4_lPKT3_lilS5_lilPT5_i,comdat
.Lfunc_end231:
	.size	_ZL23rocblas_gemvt_sn_kernelILb1ELi256ELi4ElPKfffEviiT4_lPKT3_lilS5_lilPT5_i, .Lfunc_end231-_ZL23rocblas_gemvt_sn_kernelILb1ELi256ELi4ElPKfffEviiT4_lPKT3_lilS5_lilPT5_i
                                        ; -- End function
	.set _ZL23rocblas_gemvt_sn_kernelILb1ELi256ELi4ElPKfffEviiT4_lPKT3_lilS5_lilPT5_i.num_vgpr, 72
	.set _ZL23rocblas_gemvt_sn_kernelILb1ELi256ELi4ElPKfffEviiT4_lPKT3_lilS5_lilPT5_i.num_agpr, 0
	.set _ZL23rocblas_gemvt_sn_kernelILb1ELi256ELi4ElPKfffEviiT4_lPKT3_lilS5_lilPT5_i.numbered_sgpr, 68
	.set _ZL23rocblas_gemvt_sn_kernelILb1ELi256ELi4ElPKfffEviiT4_lPKT3_lilS5_lilPT5_i.num_named_barrier, 0
	.set _ZL23rocblas_gemvt_sn_kernelILb1ELi256ELi4ElPKfffEviiT4_lPKT3_lilS5_lilPT5_i.private_seg_size, 0
	.set _ZL23rocblas_gemvt_sn_kernelILb1ELi256ELi4ElPKfffEviiT4_lPKT3_lilS5_lilPT5_i.uses_vcc, 1
	.set _ZL23rocblas_gemvt_sn_kernelILb1ELi256ELi4ElPKfffEviiT4_lPKT3_lilS5_lilPT5_i.uses_flat_scratch, 1
	.set _ZL23rocblas_gemvt_sn_kernelILb1ELi256ELi4ElPKfffEviiT4_lPKT3_lilS5_lilPT5_i.has_dyn_sized_stack, 0
	.set _ZL23rocblas_gemvt_sn_kernelILb1ELi256ELi4ElPKfffEviiT4_lPKT3_lilS5_lilPT5_i.has_recursion, 0
	.set _ZL23rocblas_gemvt_sn_kernelILb1ELi256ELi4ElPKfffEviiT4_lPKT3_lilS5_lilPT5_i.has_indirect_call, 0
	.section	.AMDGPU.csdata,"",@progbits
; Kernel info:
; codeLenInByte = 4016
; TotalNumSgprs: 70
; NumVgprs: 72
; ScratchSize: 0
; MemoryBound: 0
; FloatMode: 240
; IeeeMode: 1
; LDSByteSize: 128 bytes/workgroup (compile time only)
; SGPRBlocks: 0
; VGPRBlocks: 4
; NumSGPRsForWavesPerEU: 70
; NumVGPRsForWavesPerEU: 72
; NamedBarCnt: 0
; Occupancy: 12
; WaveLimiterHint : 0
; COMPUTE_PGM_RSRC2:SCRATCH_EN: 0
; COMPUTE_PGM_RSRC2:USER_SGPR: 2
; COMPUTE_PGM_RSRC2:TRAP_HANDLER: 0
; COMPUTE_PGM_RSRC2:TGID_X_EN: 1
; COMPUTE_PGM_RSRC2:TGID_Y_EN: 0
; COMPUTE_PGM_RSRC2:TGID_Z_EN: 1
; COMPUTE_PGM_RSRC2:TIDIG_COMP_CNT: 0
	.section	.text._ZL36rocblas_gemvt_double_buffered_kernelILb1ELi128ELi8ELi8EPKfS1_KPfEviiT4_lPKT3_lilS7_lilPT5_lili,"axG",@progbits,_ZL36rocblas_gemvt_double_buffered_kernelILb1ELi128ELi8ELi8EPKfS1_KPfEviiT4_lPKT3_lilS7_lilPT5_lili,comdat
	.globl	_ZL36rocblas_gemvt_double_buffered_kernelILb1ELi128ELi8ELi8EPKfS1_KPfEviiT4_lPKT3_lilS7_lilPT5_lili ; -- Begin function _ZL36rocblas_gemvt_double_buffered_kernelILb1ELi128ELi8ELi8EPKfS1_KPfEviiT4_lPKT3_lilS7_lilPT5_lili
	.p2align	8
	.type	_ZL36rocblas_gemvt_double_buffered_kernelILb1ELi128ELi8ELi8EPKfS1_KPfEviiT4_lPKT3_lilS7_lilPT5_lili,@function
_ZL36rocblas_gemvt_double_buffered_kernelILb1ELi128ELi8ELi8EPKfS1_KPfEviiT4_lPKT3_lilS7_lilPT5_lili: ; @_ZL36rocblas_gemvt_double_buffered_kernelILb1ELi128ELi8ELi8EPKfS1_KPfEviiT4_lPKT3_lilS7_lilPT5_lili
; %bb.0:
	s_load_b32 s33, s[0:1], 0x78
	s_bfe_u32 s2, ttmp6, 0x40014
	s_lshr_b32 s3, ttmp7, 16
	s_add_co_i32 s2, s2, 1
	s_bfe_u32 s5, ttmp6, 0x40008
	s_mul_i32 s2, s3, s2
	s_getreg_b32 s4, hwreg(HW_REG_IB_STS2, 6, 4)
	s_add_co_i32 s5, s5, s2
	s_cmp_eq_u32 s4, 0
	s_cselect_b32 s2, s3, s5
	s_mov_b32 s3, 0
	s_wait_kmcnt 0x0
	s_cmp_ge_u32 s2, s33
	s_cbranch_scc1 .LBB232_15
; %bb.1:
	s_clause 0x5
	s_load_b32 s5, s[0:1], 0x0
	s_load_b32 s20, s[0:1], 0x28
	s_load_b128 s[12:15], s[0:1], 0x38
	s_load_b32 s22, s[0:1], 0x48
	s_load_b128 s[16:19], s[0:1], 0x58
	s_load_b32 s30, s[0:1], 0x68
	s_bfe_u32 s7, ttmp6, 0x4000c
	v_and_b32_e32 v8, 0x3ff, v0
	s_add_co_i32 s7, s7, 1
	s_and_b32 s6, ttmp6, 15
	s_mul_i32 s7, ttmp9, s7
	s_bfe_u32 s8, ttmp6, 0x40010
	s_add_co_i32 s26, s6, s7
	v_dual_mov_b32 v3, 0 :: v_dual_add_nc_u32 v10, 1, v8
	s_and_b32 s25, ttmp7, 0xffff
	s_add_co_i32 s8, s8, 1
	s_bfe_u32 s9, ttmp6, 0x40004
	s_mul_i32 s8, s25, s8
	v_bfe_u32 v6, v0, 10, 10
	s_wait_kmcnt 0x0
	s_ashr_i32 s6, s5, 31
	s_add_co_i32 s27, s9, s8
	s_lshr_b32 s6, s6, 25
	s_ashr_i32 s21, s20, 31
	s_add_co_i32 s5, s5, s6
	s_ashr_i32 s23, s22, 31
	s_ashr_i32 s31, s30, 31
	s_ashr_i32 s24, s5, 7
	v_dual_lshlrev_b32 v26, 8, v8 :: v_dual_bitop2_b32 v10, 63, v10 bitop3:0x40
	s_cmp_eq_u32 s4, 0
	v_lshl_add_u32 v1, v6, 7, v8
	s_cselect_b32 s26, ttmp9, s26
	s_load_b256 s[4:11], s[0:1], 0x8
	s_cselect_b32 s40, s25, s27
	s_lshl_b32 s38, s26, 7
	s_add_nc_u64 s[26:27], s[0:1], 0x80
	s_wait_xcnt 0x0
	v_cmp_eq_u32_e64 s0, 0, v6
	v_lshl_or_b32 v6, v10, 2, v26
	v_dual_lshrrev_b32 v7, 3, v1 :: v_dual_bitop2_b32 v2, 63, v0 bitop3:0x40
	v_add_nc_u32_e32 v10, 5, v8
	s_ashr_i32 s39, s38, 31
	scratch_store_b32 off, v6, off          ; 4-byte Folded Spill
	s_wait_xcnt 0x0
	v_add_nc_u32_e32 v6, 2, v8
	v_and_b32_e32 v9, 0x7ff8, v7
	v_lshl_or_b32 v25, v7, 8, 0x700
	v_dual_add_nc_u32 v7, 3, v8 :: v_dual_add_nc_u32 v11, 6, v8
	s_delay_alu instid0(VALU_DEP_4) | instskip(NEXT) | instid1(VALU_DEP_4)
	v_and_b32_e32 v6, 63, v6
	v_mad_nc_i64_i32 v[4:5], s20, v9, v[2:3]
	v_dual_lshlrev_b32 v2, 2, v2 :: v_dual_lshlrev_b32 v24, 8, v9
	s_delay_alu instid0(VALU_DEP_4) | instskip(NEXT) | instid1(VALU_DEP_4)
	v_dual_add_nc_u32 v9, 4, v8 :: v_dual_bitop2_b32 v7, 63, v7 bitop3:0x40
	v_lshl_or_b32 v6, v6, 2, v26
	v_and_b32_e32 v10, 63, v10
	v_and_b32_e32 v11, 63, v11
	s_delay_alu instid0(VALU_DEP_4)
	v_and_b32_e32 v9, 63, v9
	s_wait_kmcnt 0x0
	s_lshl_b64 s[10:11], s[10:11], 2
	scratch_store_b32 off, v6, off offset:4 ; 4-byte Folded Spill
	s_wait_xcnt 0x0
	v_lshl_or_b32 v6, v7, 2, v26
	v_add_nc_u32_e32 v7, 8, v8
	v_bitop3_b32 v0, v0, 32, 63 bitop3:0x6c
	v_or_b32_e32 v81, v26, v2
	s_mul_u64 s[34:35], s[20:21], s[38:39]
	scratch_store_b32 off, v6, off offset:8 ; 4-byte Folded Spill
	s_wait_xcnt 0x0
	v_lshl_or_b32 v6, v9, 2, v26
	v_dual_add_nc_u32 v9, 9, v8 :: v_dual_bitop2_b32 v7, 63, v7 bitop3:0x40
	v_lshl_or_b32 v104, v0, 2, v26
	v_add_nc_u32_e32 v0, 36, v8
	scratch_store_b32 off, v6, off offset:12 ; 4-byte Folded Spill
	s_wait_xcnt 0x0
	v_lshl_or_b32 v6, v10, 2, v26
	v_dual_add_nc_u32 v10, 10, v8 :: v_dual_bitop2_b32 v9, 63, v9 bitop3:0x40
	s_mul_u64 s[36:37], s[30:31], s[38:39]
	s_lshl_b64 s[28:29], s[22:23], 9
	scratch_store_b32 off, v6, off offset:16 ; 4-byte Folded Spill
	s_wait_xcnt 0x0
	v_lshl_or_b32 v6, v11, 2, v26
	v_and_b32_e32 v10, 63, v10
	s_mov_b32 s25, s3
	s_lshl_b64 s[14:15], s[14:15], 2
	s_lshl_b64 s[34:35], s[34:35], 2
	scratch_store_b32 off, v6, off offset:20 ; 4-byte Folded Spill
	s_wait_xcnt 0x0
	v_dual_add_nc_u32 v6, 7, v8 :: v_dual_add_nc_u32 v11, 11, v8
	s_lshl_b64 s[18:19], s[18:19], 2
	s_lshl_b64 s[36:37], s[36:37], 2
	s_delay_alu instid0(VALU_DEP_1) | instskip(NEXT) | instid1(VALU_DEP_2)
	v_dual_lshrrev_b32 v1, 1, v1 :: v_dual_bitop2_b32 v6, 63, v6 bitop3:0x40
	v_dual_add_nc_u32 v12, 25, v8 :: v_dual_bitop2_b32 v11, 63, v11 bitop3:0x40
	v_dual_add_nc_u32 v16, 27, v8 :: v_dual_add_nc_u32 v14, 26, v8
	s_delay_alu instid0(VALU_DEP_3) | instskip(SKIP_1) | instid1(VALU_DEP_3)
	v_lshl_or_b32 v6, v6, 2, v26
	v_dual_add_nc_u32 v30, 28, v8 :: v_dual_add_nc_u32 v83, v2, v25
	v_dual_add_nc_u32 v82, v2, v24 :: v_dual_bitop2_b32 v27, 63, v14 bitop3:0x40
	scratch_store_b32 off, v6, off offset:24 ; 4-byte Folded Spill
	s_wait_xcnt 0x0
	v_lshl_or_b32 v6, v7, 2, v26
	v_add_nc_u32_e32 v7, 13, v8
	v_lshl_or_b32 v98, v27, 2, v26
	v_and_b32_e32 v27, 63, v30
	scratch_store_b32 off, v6, off offset:28 ; 4-byte Folded Spill
	s_wait_xcnt 0x0
	v_lshl_or_b32 v6, v9, 2, v26
	v_dual_add_nc_u32 v9, 14, v8 :: v_dual_bitop2_b32 v7, 63, v7 bitop3:0x40
	v_lshl_or_b32 v100, v27, 2, v26
	v_add_nc_u32_e32 v27, 31, v8
	scratch_store_b32 off, v6, off offset:32 ; 4-byte Folded Spill
	s_wait_xcnt 0x0
	v_lshl_or_b32 v6, v10, 2, v26
	v_dual_add_nc_u32 v10, 15, v8 :: v_dual_bitop2_b32 v9, 63, v9 bitop3:0x40
	v_add_nc_u32_e32 v30, 62, v8
	scratch_store_b32 off, v6, off offset:36 ; 4-byte Folded Spill
	s_wait_xcnt 0x0
	v_lshl_or_b32 v6, v11, 2, v26
	v_and_b32_e32 v10, 63, v10
	scratch_store_b32 off, v6, off offset:40 ; 4-byte Folded Spill
	s_wait_xcnt 0x0
	v_dual_add_nc_u32 v6, 12, v8 :: v_dual_add_nc_u32 v11, 16, v8
	s_delay_alu instid0(VALU_DEP_1) | instskip(NEXT) | instid1(VALU_DEP_2)
	v_and_b32_e32 v6, 63, v6
	v_and_b32_e32 v11, 63, v11
	s_delay_alu instid0(VALU_DEP_2)
	v_lshl_or_b32 v6, v6, 2, v26
	scratch_store_b32 off, v6, off offset:44 ; 4-byte Folded Spill
	s_wait_xcnt 0x0
	v_lshl_or_b32 v6, v7, 2, v26
	v_add_nc_u32_e32 v7, 18, v8
	scratch_store_b32 off, v6, off offset:48 ; 4-byte Folded Spill
	s_wait_xcnt 0x0
	v_lshl_or_b32 v6, v9, 2, v26
	v_dual_add_nc_u32 v9, 19, v8 :: v_dual_bitop2_b32 v7, 63, v7 bitop3:0x40
	scratch_store_b32 off, v6, off offset:52 ; 4-byte Folded Spill
	s_wait_xcnt 0x0
	v_lshl_or_b32 v6, v10, 2, v26
	v_dual_add_nc_u32 v10, 20, v8 :: v_dual_bitop2_b32 v9, 63, v9 bitop3:0x40
	scratch_store_b32 off, v6, off offset:56 ; 4-byte Folded Spill
	s_wait_xcnt 0x0
	v_lshl_or_b32 v6, v11, 2, v26
	v_and_b32_e32 v10, 63, v10
	scratch_store_b32 off, v6, off offset:60 ; 4-byte Folded Spill
	s_wait_xcnt 0x0
	v_dual_add_nc_u32 v6, 17, v8 :: v_dual_add_nc_u32 v11, 21, v8
	s_delay_alu instid0(VALU_DEP_1) | instskip(NEXT) | instid1(VALU_DEP_2)
	v_and_b32_e32 v6, 63, v6
	v_and_b32_e32 v11, 63, v11
	s_delay_alu instid0(VALU_DEP_2) | instskip(NEXT) | instid1(VALU_DEP_2)
	v_lshl_or_b32 v6, v6, 2, v26
	v_lshl_or_b32 v93, v11, 2, v26
	v_add_nc_u32_e32 v11, 24, v8
	scratch_store_b32 off, v6, off offset:64 ; 4-byte Folded Spill
	s_wait_xcnt 0x0
	v_lshl_or_b32 v6, v7, 2, v26
	v_mov_b32_e32 v7, v3
	scratch_store_b32 off, v6, off offset:68 ; 4-byte Folded Spill
	s_wait_xcnt 0x0
	v_lshl_or_b32 v6, v9, 2, v26
	v_add_nc_u32_e32 v9, 22, v8
	scratch_store_b32 off, v6, off offset:72 ; 4-byte Folded Spill
	s_wait_xcnt 0x0
	v_lshl_or_b32 v6, v10, 2, v26
	v_add_nc_u32_e32 v10, 23, v8
	scratch_store_b32 off, v6, off offset:76 ; 4-byte Folded Spill
	s_wait_xcnt 0x0
	v_and_b32_e32 v6, 0x1ffe0, v1
	v_and_b32_e32 v1, 63, v9
	;; [unrolled: 1-line block ×3, first 2 shown]
	s_delay_alu instid0(VALU_DEP_3) | instskip(NEXT) | instid1(VALU_DEP_3)
	v_lshl_add_u64 v[20:21], s[38:39], 2, v[6:7]
	v_lshl_or_b32 v94, v1, 2, v26
	s_delay_alu instid0(VALU_DEP_3) | instskip(NEXT) | instid1(VALU_DEP_3)
	v_lshl_or_b32 v95, v9, 2, v26
	v_mul_lo_u32 v9, v21, s20
	s_delay_alu instid0(VALU_DEP_4)
	v_or_b32_e32 v29, 20, v20
	v_and_b32_e32 v28, 63, v16
	v_and_b32_e32 v10, 63, v11
	v_mad_nc_u64_u32 v[6:7], v20, s20, s[10:11]
	v_and_b32_e32 v11, 63, v12
	v_mad_nc_u64_u32 v[18:19], v29, s20, s[10:11]
	v_or_b32_e32 v23, 16, v20
	v_lshl_or_b32 v96, v10, 2, v26
	v_or_b32_e32 v31, 24, v20
	v_dual_add_nc_u32 v7, v9, v7 :: v_dual_bitop2_b32 v32, 28, v20 bitop3:0x54
	v_lshl_or_b32 v97, v11, 2, v26
	v_add_nc_u32_e32 v19, v9, v19
	v_mad_nc_u64_u32 v[16:17], v23, s20, s[10:11]
	v_or_b32_e32 v22, 12, v20
	v_mad_u32 v7, v20, s21, v7
	s_delay_alu instid0(VALU_DEP_3) | instskip(NEXT) | instid1(VALU_DEP_3)
	v_add_nc_u32_e32 v17, v9, v17
	v_mad_nc_u64_u32 v[14:15], v22, s20, s[10:11]
	v_or_b32_e32 v21, 8, v20
	s_delay_alu instid0(VALU_DEP_3) | instskip(NEXT) | instid1(VALU_DEP_2)
	v_mad_u32 v17, v23, s21, v17
	v_mad_nc_u64_u32 v[12:13], v21, s20, s[10:11]
	s_delay_alu instid0(VALU_DEP_1) | instskip(NEXT) | instid1(VALU_DEP_1)
	v_dual_add_nc_u32 v13, v9, v13 :: v_dual_bitop2_b32 v1, 4, v20 bitop3:0x54
	v_mad_nc_u64_u32 v[10:11], v1, s20, s[10:11]
	s_delay_alu instid0(VALU_DEP_1) | instskip(NEXT) | instid1(VALU_DEP_1)
	v_add_nc_u32_e32 v11, v9, v11
	v_mad_u32 v11, v1, s21, v11
	v_add_nc_u32_e32 v1, v9, v15
	v_mad_u32 v13, v21, s21, v13
	v_mad_nc_u64_u32 v[20:21], v31, s20, s[10:11]
	s_delay_alu instid0(VALU_DEP_3) | instskip(SKIP_2) | instid1(VALU_DEP_1)
	v_mad_u32 v15, v22, s21, v1
	v_mad_nc_u64_u32 v[22:23], v32, s20, s[10:11]
	v_add_nc_u32_e32 v1, 29, v8
	v_and_b32_e32 v1, 63, v1
	v_add_nc_u32_e32 v21, v9, v21
	v_lshl_or_b32 v99, v28, 2, v26
	v_add_nc_u32_e32 v28, 30, v8
	s_delay_alu instid0(VALU_DEP_4) | instskip(SKIP_2) | instid1(VALU_DEP_4)
	v_lshl_or_b32 v101, v1, 2, v26
	v_add_nc_u32_e32 v1, v9, v23
	v_mad_u32 v19, v29, s21, v19
	v_and_b32_e32 v9, 63, v28
	v_add_nc_u32_e32 v28, 33, v8
	s_delay_alu instid0(VALU_DEP_4) | instskip(SKIP_1) | instid1(VALU_DEP_4)
	v_mad_u32 v23, v32, s21, v1
	v_add_nc_u32_e32 v1, 34, v8
	v_lshl_or_b32 v102, v9, 2, v26
	v_and_b32_e32 v9, 63, v27
	v_and_b32_e32 v27, 63, v28
	s_delay_alu instid0(VALU_DEP_4) | instskip(NEXT) | instid1(VALU_DEP_3)
	v_dual_add_nc_u32 v28, 35, v8 :: v_dual_bitop2_b32 v1, 63, v1 bitop3:0x40
	v_lshl_or_b32 v103, v9, 2, v26
	v_add_nc_u32_e32 v9, 38, v8
	s_delay_alu instid0(VALU_DEP_4) | instskip(NEXT) | instid1(VALU_DEP_4)
	v_lshl_or_b32 v105, v27, 2, v26
	v_lshl_or_b32 v106, v1, 2, v26
	v_dual_add_nc_u32 v1, 37, v8 :: v_dual_add_nc_u32 v27, 39, v8
	v_and_b32_e32 v0, 63, v0
	v_and_b32_e32 v9, 63, v9
	;; [unrolled: 1-line block ×3, first 2 shown]
	s_delay_alu instid0(VALU_DEP_4)
	v_and_b32_e32 v1, 63, v1
	v_and_b32_e32 v27, 63, v27
	v_lshl_or_b32 v108, v0, 2, v26
	v_add_nc_u32_e32 v0, 40, v8
	v_lshl_or_b32 v107, v28, 2, v26
	v_lshl_or_b32 v109, v1, 2, v26
	v_add_nc_u32_e32 v1, 41, v8
	v_lshl_or_b32 v110, v9, 2, v26
	v_add_nc_u32_e32 v9, 42, v8
	v_lshl_or_b32 v111, v27, 2, v26
	v_dual_add_nc_u32 v27, 43, v8 :: v_dual_add_nc_u32 v28, 44, v8
	v_and_b32_e32 v0, 63, v0
	v_and_b32_e32 v1, 63, v1
	;; [unrolled: 1-line block ×3, first 2 shown]
	s_delay_alu instid0(VALU_DEP_4)
	v_and_b32_e32 v27, 63, v27
	v_and_b32_e32 v28, 63, v28
	v_lshl_or_b32 v112, v0, 2, v26
	v_add_nc_u32_e32 v0, 45, v8
	v_lshl_or_b32 v113, v1, 2, v26
	v_add_nc_u32_e32 v1, 46, v8
	;; [unrolled: 2-line block ×4, first 2 shown]
	v_and_b32_e32 v0, 63, v0
	v_and_b32_e32 v1, 63, v1
	;; [unrolled: 1-line block ×3, first 2 shown]
	v_lshl_or_b32 v116, v28, 2, v26
	v_dual_add_nc_u32 v28, 49, v8 :: v_dual_bitop2_b32 v27, 63, v27 bitop3:0x40
	v_lshl_or_b32 v117, v0, 2, v26
	v_add_nc_u32_e32 v0, 50, v8
	v_lshl_or_b32 v118, v1, 2, v26
	v_add_nc_u32_e32 v1, 51, v8
	;; [unrolled: 2-line block ×3, first 2 shown]
	v_and_b32_e32 v28, 63, v28
	v_lshl_or_b32 v120, v27, 2, v26
	v_add_nc_u32_e32 v27, 53, v8
	v_and_b32_e32 v0, 63, v0
	v_and_b32_e32 v1, 63, v1
	;; [unrolled: 1-line block ×3, first 2 shown]
	v_lshl_or_b32 v121, v28, 2, v26
	v_dual_add_nc_u32 v28, 54, v8 :: v_dual_bitop2_b32 v27, 63, v27 bitop3:0x40
	v_lshl_or_b32 v122, v0, 2, v26
	v_add_nc_u32_e32 v0, 55, v8
	v_lshl_or_b32 v123, v1, 2, v26
	v_add_nc_u32_e32 v1, 56, v8
	;; [unrolled: 2-line block ×3, first 2 shown]
	v_and_b32_e32 v0, 63, v0
	v_and_b32_e32 v28, 63, v28
	v_and_b32_e32 v1, 63, v1
	v_lshl_or_b32 v125, v27, 2, v26
	v_dual_mov_b32 v9, v3 :: v_dual_bitop2_b32 v29, 63, v9 bitop3:0x40
	v_lshl_or_b32 v127, v0, 2, v26
	s_delay_alu instid0(VALU_DEP_4) | instskip(SKIP_4) | instid1(VALU_DEP_4)
	v_lshl_or_b32 v71, v1, 2, v26
	v_add_nc_u32_e32 v27, 58, v8
	v_mad_u32 v21, v31, s21, v21
	v_mul_u64_e32 v[0:1], s[30:31], v[8:9]
	v_lshl_or_b32 v126, v28, 2, v26
	v_dual_add_nc_u32 v28, 59, v8 :: v_dual_bitop2_b32 v27, 63, v27 bitop3:0x40
	v_lshl_or_b32 v74, v29, 2, v26
	v_dual_add_nc_u32 v9, 60, v8 :: v_dual_add_nc_u32 v29, 61, v8
	v_add_nc_u32_e32 v8, -1, v8
	s_delay_alu instid0(VALU_DEP_4) | instskip(SKIP_1) | instid1(VALU_DEP_4)
	v_and_b32_e32 v28, 63, v28
	v_lshl_or_b32 v75, v27, 2, v26
	v_and_b32_e32 v9, 63, v9
	v_and_b32_e32 v27, 63, v29
	;; [unrolled: 1-line block ×4, first 2 shown]
	v_lshl_or_b32 v76, v28, 2, v26
	v_lshl_or_b32 v77, v9, 2, v26
	;; [unrolled: 1-line block ×4, first 2 shown]
	v_add_nc_u64_e32 v[8:9], 0x200, v[10:11]
	v_add_nc_u64_e32 v[10:11], 0x200, v[12:13]
	;; [unrolled: 1-line block ×7, first 2 shown]
	v_lshl_or_b32 v79, v29, 2, v26
	s_lshl_b64 s[30:31], s[20:21], 2
	s_branch .LBB232_4
.LBB232_2:                              ;   in Loop: Header=BB232_4 Depth=1
	s_wait_xcnt 0x0
	s_or_b32 exec_lo, exec_lo, s1
.LBB232_3:                              ;   in Loop: Header=BB232_4 Depth=1
	s_add_co_i32 s2, s2, 0x10000
	s_delay_alu instid0(SALU_CYCLE_1)
	s_cmp_lt_u32 s2, s33
	s_cbranch_scc0 .LBB232_15
.LBB232_4:                              ; =>This Loop Header: Depth=1
                                        ;     Child Loop BB232_8 Depth 2
	s_wait_xcnt 0x0
	s_mul_u64 s[38:39], s[6:7], s[2:3]
	s_delay_alu instid0(SALU_CYCLE_1) | instskip(NEXT) | instid1(SALU_CYCLE_1)
	s_lshl_b64 s[38:39], s[38:39], 2
	s_add_nc_u64 s[38:39], s[4:5], s[38:39]
	global_load_b32 v84, v3, s[38:39]
	s_wait_loadcnt 0x0
	v_cmp_eq_f32_e32 vcc_lo, 0, v84
	s_cbranch_vccnz .LBB232_3
; %bb.5:                                ;   in Loop: Header=BB232_4 Depth=1
	s_load_b32 s1, s[26:27], 0x4
	s_wait_kmcnt 0x0
	s_cvt_f32_u32 s38, s1
	s_sub_co_i32 s39, 0, s1
	s_delay_alu instid0(SALU_CYCLE_2) | instskip(SKIP_1) | instid1(TRANS32_DEP_1)
	v_rcp_iflag_f32_e32 v22, s38
	v_nop
	v_readfirstlane_b32 s38, v22
	s_mul_f32 s38, s38, 0x4f7ffffe
	s_delay_alu instid0(SALU_CYCLE_3) | instskip(NEXT) | instid1(SALU_CYCLE_3)
	s_cvt_u32_f32 s38, s38
	s_mul_i32 s39, s39, s38
	s_delay_alu instid0(SALU_CYCLE_1) | instskip(NEXT) | instid1(SALU_CYCLE_1)
	s_mul_hi_u32 s39, s38, s39
	s_add_co_i32 s38, s38, s39
	s_mov_b32 s39, s3
	s_delay_alu instid0(SALU_CYCLE_1) | instskip(NEXT) | instid1(SALU_CYCLE_1)
	s_mul_u64 s[38:39], s[24:25], s[38:39]
	s_mul_i32 s38, s39, s1
	s_add_co_i32 s41, s39, 1
	s_sub_co_i32 s38, s24, s38
	s_delay_alu instid0(SALU_CYCLE_1)
	s_sub_co_i32 s42, s38, s1
	s_cmp_ge_u32 s38, s1
	s_cselect_b32 s39, s41, s39
	s_cselect_b32 s38, s42, s38
	s_add_co_i32 s41, s39, 1
	s_cmp_ge_u32 s38, s1
	s_cselect_b32 s41, s41, s39
	s_delay_alu instid0(SALU_CYCLE_1) | instskip(NEXT) | instid1(SALU_CYCLE_1)
	s_mul_i32 s1, s41, s1
	s_sub_co_i32 s42, s24, s1
	s_delay_alu instid0(SALU_CYCLE_1) | instskip(SKIP_1) | instid1(SALU_CYCLE_1)
	s_cmp_lt_u32 s40, s42
	s_cselect_b32 s1, -1, 0
	s_cmp_lg_u32 s1, 0
	s_add_co_ci_u32 s1, s41, 0
	s_delay_alu instid0(SALU_CYCLE_1)
	s_cmp_eq_u32 s1, 0
	s_cbranch_scc1 .LBB232_3
; %bb.6:                                ;   in Loop: Header=BB232_4 Depth=1
	s_lshl_b64 s[38:39], s[2:3], 3
	s_cmp_lt_i32 s1, 1
	s_add_nc_u64 s[44:45], s[16:17], s[38:39]
	global_load_b64 v[22:23], v3, s[44:45]
	s_cbranch_scc1 .LBB232_12
; %bb.7:                                ;   in Loop: Header=BB232_4 Depth=1
	s_wait_xcnt 0x0
	s_add_nc_u64 s[44:45], s[8:9], s[38:39]
	v_cvt_f64_i32_e32 v[28:29], s40
	global_load_b64 v[26:27], v3, s[44:45]
	v_cvt_f64_u32_e32 v[24:25], s42
	s_mul_i32 s41, s41, s40
	s_add_nc_u64 s[38:39], s[12:13], s[38:39]
	v_cvt_f64_u32_e32 v[30:31], s41
	global_load_b64 v[44:45], v3, s[38:39]
	s_wait_xcnt 0x0
	s_add_co_i32 s38, s1, -1
	s_mov_b32 s39, 0
	v_mov_b32_e32 v58, 0
	s_delay_alu instid0(VALU_DEP_1) | instskip(SKIP_3) | instid1(VALU_DEP_1)
	v_dual_mov_b32 v60, v58 :: v_dual_mov_b32 v61, v58
	v_dual_mov_b32 v56, v58 :: v_dual_mov_b32 v57, v58
	;; [unrolled: 1-line block ×3, first 2 shown]
	v_dual_max_num_f64 v[28:29], v[28:29], v[28:29] :: v_dual_mov_b32 v59, v58
	v_min_num_f64_e32 v[24:25], v[28:29], v[24:25]
	s_delay_alu instid0(VALU_DEP_1) | instskip(NEXT) | instid1(VALU_DEP_1)
	v_add_f64_e32 v[24:25], v[24:25], v[30:31]
	v_cvt_i32_f64_e32 v24, v[24:25]
	s_delay_alu instid0(VALU_DEP_1) | instskip(NEXT) | instid1(VALU_DEP_1)
	v_lshlrev_b32_e32 v24, 7, v24
	v_ashrrev_i32_e32 v25, 31, v24
	s_delay_alu instid0(VALU_DEP_1) | instskip(SKIP_4) | instid1(VALU_DEP_2)
	v_lshlrev_b64_e32 v[42:43], 2, v[24:25]
	s_wait_loadcnt 0x1
	v_add_nc_u64_e32 v[28:29], s[10:11], v[26:27]
	s_wait_loadcnt 0x0
	v_add_nc_u64_e32 v[44:45], s[14:15], v[44:45]
	v_add_nc_u64_e32 v[24:25], s[34:35], v[28:29]
	s_delay_alu instid0(VALU_DEP_1) | instskip(NEXT) | instid1(VALU_DEP_1)
	v_add_nc_u64_e32 v[24:25], v[24:25], v[42:43]
	v_lshl_add_u64 v[24:25], v[4:5], 2, v[24:25]
	s_delay_alu instid0(VALU_DEP_1) | instskip(NEXT) | instid1(VALU_DEP_1)
	v_lshl_add_u64 v[28:29], s[20:21], 2, v[24:25]
	v_add_nc_u64_e32 v[30:31], s[30:31], v[28:29]
	s_delay_alu instid0(VALU_DEP_1) | instskip(NEXT) | instid1(VALU_DEP_1)
	v_add_nc_u64_e32 v[32:33], s[30:31], v[30:31]
	v_add_nc_u64_e32 v[34:35], s[30:31], v[32:33]
	s_delay_alu instid0(VALU_DEP_1) | instskip(NEXT) | instid1(VALU_DEP_1)
	v_add_nc_u64_e32 v[36:37], s[30:31], v[34:35]
	v_add_nc_u64_e32 v[38:39], s[30:31], v[36:37]
	s_delay_alu instid0(VALU_DEP_1)
	v_add_nc_u64_e32 v[40:41], s[30:31], v[38:39]
	s_clause 0x6
	flat_load_b32 v54, v[24:25]
	flat_load_b32 v55, v[28:29]
	;; [unrolled: 1-line block ×8, first 2 shown]
	s_wait_xcnt 0x6
	v_add_nc_u64_e32 v[28:29], v[26:27], v[8:9]
	s_wait_xcnt 0x5
	v_add_nc_u64_e32 v[30:31], v[26:27], v[10:11]
	;; [unrolled: 2-line block ×7, first 2 shown]
	v_add_nc_u64_e32 v[24:25], v[26:27], v[6:7]
	v_add_nc_u64_e32 v[26:27], v[28:29], v[42:43]
	;; [unrolled: 1-line block ×8, first 2 shown]
	v_or_b32_e32 v40, 0x100, v2
	v_add_nc_u64_e32 v[24:25], v[24:25], v[42:43]
	s_delay_alu instid0(VALU_DEP_2) | instskip(SKIP_1) | instid1(VALU_DEP_2)
	v_dual_mov_b32 v41, v43 :: v_dual_bitop2_b32 v40, v40, v42 bitop3:0x54
	v_or_b32_e32 v42, v2, v42
	v_mul_u64_e32 v[40:41], s[22:23], v[40:41]
	s_delay_alu instid0(VALU_DEP_2)
	v_mul_u64_e32 v[42:43], s[22:23], v[42:43]
.LBB232_8:                              ;   Parent Loop BB232_4 Depth=1
                                        ; =>  This Inner Loop Header: Depth=2
	s_wait_xcnt 0x0
	v_add_nc_u64_e32 v[72:73], v[24:25], v[2:3]
	s_wait_loadcnt_dscnt 0x303
	v_dual_mov_b32 v85, v54 :: v_dual_mov_b32 v89, v50
	s_wait_loadcnt_dscnt 0x101
	v_dual_mov_b32 v90, v51 :: v_dual_mov_b32 v91, v48
	s_wait_loadcnt_dscnt 0x0
	v_mov_b32_e32 v92, v49
	s_cmp_lg_u32 s38, s39
	v_add_nc_u64_e32 v[64:65], 0x100, v[72:73]
	flat_load_b32 v62, v[72:73] offset:256
	v_mov_b32_e32 v88, v53
	v_add_nc_u64_e32 v[64:65], s[30:31], v[64:65]
	s_delay_alu instid0(VALU_DEP_1)
	v_add_nc_u64_e32 v[66:67], s[30:31], v[64:65]
	s_clause 0x1
	flat_load_b32 v63, v[64:65]
	flat_load_b32 v64, v[66:67]
	s_wait_xcnt 0x0
	v_add_nc_u64_e32 v[66:67], s[30:31], v[66:67]
	s_delay_alu instid0(VALU_DEP_1)
	v_add_nc_u64_e32 v[68:69], s[30:31], v[66:67]
	s_clause 0x1
	flat_load_b32 v65, v[66:67]
	flat_load_b32 v66, v[68:69]
	s_wait_xcnt 0x0
	;; [unrolled: 7-line block ×3, first 2 shown]
	v_add_nc_u64_e32 v[86:87], s[30:31], v[86:87]
	flat_load_b32 v69, v[86:87]
	s_wait_xcnt 0x0
	v_add_nc_u64_e32 v[86:87], v[44:45], v[42:43]
	flat_load_b32 v70, v[86:87]
	s_wait_xcnt 0x0
	v_dual_mov_b32 v86, v55 :: v_dual_mov_b32 v87, v52
	s_cbranch_scc0 .LBB232_10
; %bb.9:                                ;   in Loop: Header=BB232_8 Depth=2
	flat_load_b32 v85, v[72:73] offset:512
	s_wait_xcnt 0x0
	v_add_nc_u64_e32 v[72:73], v[26:27], v[2:3]
	flat_load_b32 v86, v[72:73]
	s_wait_xcnt 0x0
	v_add_nc_u64_e32 v[72:73], v[28:29], v[2:3]
	flat_load_b32 v87, v[72:73]
	;; [unrolled: 3-line block ×7, first 2 shown]
.LBB232_10:                             ;   in Loop: Header=BB232_8 Depth=2
	s_wait_xcnt 0x0
	v_add_nc_u64_e32 v[72:73], v[44:45], v[40:41]
	s_wait_loadcnt_dscnt 0x0
	v_pk_fma_f32 v[54:55], v[54:55], v[70:71], v[58:59] op_sel_hi:[1,0,1]
	v_pk_fma_f32 v[52:53], v[52:53], v[70:71], v[60:61] op_sel_hi:[1,0,1]
	;; [unrolled: 1-line block ×4, first 2 shown]
	v_add_nc_u64_e32 v[24:25], 0x200, v[24:25]
	v_add_nc_u64_e32 v[26:27], 0x200, v[26:27]
	flat_load_b32 v72, v[72:73]
	v_add_nc_u64_e32 v[28:29], 0x200, v[28:29]
	v_add_nc_u64_e32 v[30:31], 0x200, v[30:31]
	;; [unrolled: 1-line block ×7, first 2 shown]
	s_add_co_i32 s39, s39, 1
	s_delay_alu instid0(SALU_CYCLE_1)
	s_cmp_ge_i32 s39, s1
	s_wait_loadcnt_dscnt 0x0
	v_pk_fma_f32 v[46:47], v[68:69], v[72:73], v[46:47] op_sel_hi:[1,0,1]
	v_pk_fma_f32 v[56:57], v[66:67], v[72:73], v[50:51] op_sel_hi:[1,0,1]
	;; [unrolled: 1-line block ×4, first 2 shown]
	s_cbranch_scc1 .LBB232_13
; %bb.11:                               ;   in Loop: Header=BB232_8 Depth=2
	v_dual_mov_b32 v54, v85 :: v_dual_mov_b32 v55, v86
	v_dual_mov_b32 v52, v87 :: v_dual_mov_b32 v53, v88
	;; [unrolled: 1-line block ×4, first 2 shown]
	s_branch .LBB232_8
.LBB232_12:                             ;   in Loop: Header=BB232_4 Depth=1
	v_mov_b32_e32 v47, 0
	s_delay_alu instid0(VALU_DEP_1)
	v_dual_mov_b32 v46, v47 :: v_dual_mov_b32 v57, v47
	v_dual_mov_b32 v56, v47 :: v_dual_mov_b32 v61, v47
	;; [unrolled: 1-line block ×3, first 2 shown]
	v_mov_b32_e32 v58, v47
.LBB232_13:                             ;   in Loop: Header=BB232_4 Depth=1
	ds_store_2addr_stride64_b32 v82, v58, v59 offset1:1
	ds_store_2addr_stride64_b32 v82, v60, v61 offset0:2 offset1:3
	ds_store_2addr_stride64_b32 v82, v56, v57 offset0:4 offset1:5
	ds_store_b32 v82, v46 offset:1536
	ds_store_b32 v83, v47
	s_wait_storecnt 0x0
	s_wait_loadcnt_dscnt 0x0
	s_barrier_signal -1
	s_barrier_wait -1
	s_wait_xcnt 0x0
	s_and_saveexec_b32 s1, s0
	s_cbranch_execz .LBB232_2
; %bb.14:                               ;   in Loop: Header=BB232_4 Depth=1
	s_clause 0x7
	scratch_load_b32 v25, off, off
	scratch_load_b32 v26, off, off offset:4
	scratch_load_b32 v27, off, off offset:8
	;; [unrolled: 1-line block ×7, first 2 shown]
	ds_load_b32 v24, v81
	v_add_nc_u64_e32 v[22:23], s[18:19], v[22:23]
	s_delay_alu instid0(VALU_DEP_1) | instskip(NEXT) | instid1(VALU_DEP_1)
	v_add_nc_u64_e32 v[22:23], s[36:37], v[22:23]
	v_lshl_add_u64 v[22:23], v[0:1], 2, v[22:23]
	s_wait_loadcnt 0x7
	ds_load_b32 v25, v25
	s_wait_loadcnt 0x6
	ds_load_b32 v26, v26
	;; [unrolled: 2-line block ×7, first 2 shown]
	s_wait_dscnt 0x7
	v_add_f32_e32 v24, 0, v24
	s_wait_loadcnt 0x0
	ds_load_b32 v32, v32
	s_wait_dscnt 0x7
	v_add_f32_e32 v24, v24, v25
	scratch_load_b32 v25, off, off offset:28 ; 4-byte Folded Reload
	s_wait_dscnt 0x6
	v_add_f32_e32 v24, v24, v26
	scratch_load_b32 v26, off, off offset:32 ; 4-byte Folded Reload
	;; [unrolled: 3-line block ×7, first 2 shown]
	s_wait_loadcnt 0x6
	ds_load_b32 v25, v25
	s_wait_loadcnt 0x5
	ds_load_b32 v26, v26
	;; [unrolled: 2-line block ×7, first 2 shown]
	s_wait_dscnt 0x6
	v_add_f32_e32 v24, v24, v25
	scratch_load_b32 v25, off, off offset:60 ; 4-byte Folded Reload
	s_wait_dscnt 0x5
	v_add_f32_e32 v24, v24, v26
	scratch_load_b32 v26, off, off offset:64 ; 4-byte Folded Reload
	;; [unrolled: 3-line block ×5, first 2 shown]
	s_wait_loadcnt 0x4
	ds_load_b32 v25, v25
	s_wait_loadcnt 0x3
	ds_load_b32 v26, v26
	;; [unrolled: 2-line block ×4, first 2 shown]
	s_wait_dscnt 0x5
	v_add_f32_e32 v24, v24, v30
	s_wait_dscnt 0x4
	s_delay_alu instid0(VALU_DEP_1) | instskip(NEXT) | instid1(VALU_DEP_1)
	v_add_f32_e32 v24, v24, v31
	v_add_f32_e32 v24, v24, v32
	s_wait_loadcnt 0x0
	ds_load_b32 v29, v29
	ds_load_b32 v30, v93
	ds_load_b32 v31, v94
	ds_load_b32 v32, v95
	s_wait_dscnt 0x7
	v_add_f32_e32 v24, v24, v25
	ds_load_b32 v25, v96
	s_wait_dscnt 0x7
	v_add_f32_e32 v24, v24, v26
	ds_load_b32 v26, v97
	s_wait_dscnt 0x7
	v_add_f32_e32 v24, v24, v27
	ds_load_b32 v27, v98
	s_wait_dscnt 0x7
	v_add_f32_e32 v24, v24, v28
	s_wait_dscnt 0x6
	s_delay_alu instid0(VALU_DEP_1) | instskip(SKIP_1) | instid1(VALU_DEP_1)
	v_add_f32_e32 v24, v24, v29
	s_wait_dscnt 0x5
	v_add_f32_e32 v24, v24, v30
	s_wait_dscnt 0x4
	s_delay_alu instid0(VALU_DEP_1) | instskip(SKIP_1) | instid1(VALU_DEP_1)
	v_add_f32_e32 v24, v24, v31
	s_wait_dscnt 0x3
	v_add_f32_e32 v24, v24, v32
	ds_load_b32 v28, v99
	ds_load_b32 v29, v100
	ds_load_b32 v30, v101
	ds_load_b32 v31, v102
	ds_load_b32 v32, v103
	s_wait_dscnt 0x7
	v_add_f32_e32 v24, v24, v25
	ds_load_b32 v25, v104
	s_wait_dscnt 0x7
	v_add_f32_e32 v24, v24, v26
	ds_load_b32 v26, v105
	s_wait_dscnt 0x7
	v_add_f32_e32 v24, v24, v27
	ds_load_b32 v27, v106
	s_wait_dscnt 0x7
	v_add_f32_e32 v24, v24, v28
	s_wait_dscnt 0x6
	s_delay_alu instid0(VALU_DEP_1) | instskip(SKIP_1) | instid1(VALU_DEP_1)
	v_add_f32_e32 v24, v24, v29
	s_wait_dscnt 0x5
	v_add_f32_e32 v24, v24, v30
	s_wait_dscnt 0x4
	s_delay_alu instid0(VALU_DEP_1) | instskip(SKIP_1) | instid1(VALU_DEP_1)
	v_add_f32_e32 v24, v24, v31
	s_wait_dscnt 0x3
	v_add_f32_e32 v24, v24, v32
	ds_load_b32 v28, v107
	;; [unrolled: 26-line block ×5, first 2 shown]
	ds_load_b32 v29, v77
	ds_load_b32 v30, v78
	;; [unrolled: 1-line block ×4, first 2 shown]
	s_wait_dscnt 0x7
	v_add_f32_e32 v24, v24, v25
	s_wait_dscnt 0x6
	s_delay_alu instid0(VALU_DEP_1) | instskip(SKIP_1) | instid1(VALU_DEP_1)
	v_add_f32_e32 v24, v24, v26
	s_wait_dscnt 0x5
	v_add_f32_e32 v24, v24, v27
	s_wait_dscnt 0x4
	s_delay_alu instid0(VALU_DEP_1) | instskip(SKIP_1) | instid1(VALU_DEP_1)
	v_add_f32_e32 v24, v24, v28
	;; [unrolled: 5-line block ×3, first 2 shown]
	s_wait_dscnt 0x1
	v_add_f32_e32 v24, v24, v31
	s_wait_dscnt 0x0
	s_delay_alu instid0(VALU_DEP_1) | instskip(NEXT) | instid1(VALU_DEP_1)
	v_add_f32_e32 v24, v24, v32
	v_mul_f32_e32 v24, v84, v24
	flat_atomic_add_f32 v[22:23], v24 scope:SCOPE_DEV
	s_branch .LBB232_2
.LBB232_15:
	s_sendmsg sendmsg(MSG_DEALLOC_VGPRS)
	s_endpgm
	.section	.rodata,"a",@progbits
	.p2align	6, 0x0
	.amdhsa_kernel _ZL36rocblas_gemvt_double_buffered_kernelILb1ELi128ELi8ELi8EPKfS1_KPfEviiT4_lPKT3_lilS7_lilPT5_lili
		.amdhsa_group_segment_fixed_size 32768
		.amdhsa_private_segment_fixed_size 84
		.amdhsa_kernarg_size 384
		.amdhsa_user_sgpr_count 2
		.amdhsa_user_sgpr_dispatch_ptr 0
		.amdhsa_user_sgpr_queue_ptr 0
		.amdhsa_user_sgpr_kernarg_segment_ptr 1
		.amdhsa_user_sgpr_dispatch_id 0
		.amdhsa_user_sgpr_kernarg_preload_length 0
		.amdhsa_user_sgpr_kernarg_preload_offset 0
		.amdhsa_user_sgpr_private_segment_size 0
		.amdhsa_wavefront_size32 1
		.amdhsa_uses_dynamic_stack 0
		.amdhsa_enable_private_segment 1
		.amdhsa_system_sgpr_workgroup_id_x 1
		.amdhsa_system_sgpr_workgroup_id_y 1
		.amdhsa_system_sgpr_workgroup_id_z 1
		.amdhsa_system_sgpr_workgroup_info 0
		.amdhsa_system_vgpr_workitem_id 1
		.amdhsa_next_free_vgpr 128
		.amdhsa_next_free_sgpr 46
		.amdhsa_named_barrier_count 0
		.amdhsa_reserve_vcc 1
		.amdhsa_float_round_mode_32 0
		.amdhsa_float_round_mode_16_64 0
		.amdhsa_float_denorm_mode_32 3
		.amdhsa_float_denorm_mode_16_64 3
		.amdhsa_fp16_overflow 0
		.amdhsa_memory_ordered 1
		.amdhsa_forward_progress 1
		.amdhsa_inst_pref_size 41
		.amdhsa_round_robin_scheduling 0
		.amdhsa_exception_fp_ieee_invalid_op 0
		.amdhsa_exception_fp_denorm_src 0
		.amdhsa_exception_fp_ieee_div_zero 0
		.amdhsa_exception_fp_ieee_overflow 0
		.amdhsa_exception_fp_ieee_underflow 0
		.amdhsa_exception_fp_ieee_inexact 0
		.amdhsa_exception_int_div_zero 0
	.end_amdhsa_kernel
	.section	.text._ZL36rocblas_gemvt_double_buffered_kernelILb1ELi128ELi8ELi8EPKfS1_KPfEviiT4_lPKT3_lilS7_lilPT5_lili,"axG",@progbits,_ZL36rocblas_gemvt_double_buffered_kernelILb1ELi128ELi8ELi8EPKfS1_KPfEviiT4_lPKT3_lilS7_lilPT5_lili,comdat
.Lfunc_end232:
	.size	_ZL36rocblas_gemvt_double_buffered_kernelILb1ELi128ELi8ELi8EPKfS1_KPfEviiT4_lPKT3_lilS7_lilPT5_lili, .Lfunc_end232-_ZL36rocblas_gemvt_double_buffered_kernelILb1ELi128ELi8ELi8EPKfS1_KPfEviiT4_lPKT3_lilS7_lilPT5_lili
                                        ; -- End function
	.set _ZL36rocblas_gemvt_double_buffered_kernelILb1ELi128ELi8ELi8EPKfS1_KPfEviiT4_lPKT3_lilS7_lilPT5_lili.num_vgpr, 128
	.set _ZL36rocblas_gemvt_double_buffered_kernelILb1ELi128ELi8ELi8EPKfS1_KPfEviiT4_lPKT3_lilS7_lilPT5_lili.num_agpr, 0
	.set _ZL36rocblas_gemvt_double_buffered_kernelILb1ELi128ELi8ELi8EPKfS1_KPfEviiT4_lPKT3_lilS7_lilPT5_lili.numbered_sgpr, 46
	.set _ZL36rocblas_gemvt_double_buffered_kernelILb1ELi128ELi8ELi8EPKfS1_KPfEviiT4_lPKT3_lilS7_lilPT5_lili.num_named_barrier, 0
	.set _ZL36rocblas_gemvt_double_buffered_kernelILb1ELi128ELi8ELi8EPKfS1_KPfEviiT4_lPKT3_lilS7_lilPT5_lili.private_seg_size, 84
	.set _ZL36rocblas_gemvt_double_buffered_kernelILb1ELi128ELi8ELi8EPKfS1_KPfEviiT4_lPKT3_lilS7_lilPT5_lili.uses_vcc, 1
	.set _ZL36rocblas_gemvt_double_buffered_kernelILb1ELi128ELi8ELi8EPKfS1_KPfEviiT4_lPKT3_lilS7_lilPT5_lili.uses_flat_scratch, 1
	.set _ZL36rocblas_gemvt_double_buffered_kernelILb1ELi128ELi8ELi8EPKfS1_KPfEviiT4_lPKT3_lilS7_lilPT5_lili.has_dyn_sized_stack, 0
	.set _ZL36rocblas_gemvt_double_buffered_kernelILb1ELi128ELi8ELi8EPKfS1_KPfEviiT4_lPKT3_lilS7_lilPT5_lili.has_recursion, 0
	.set _ZL36rocblas_gemvt_double_buffered_kernelILb1ELi128ELi8ELi8EPKfS1_KPfEviiT4_lPKT3_lilS7_lilPT5_lili.has_indirect_call, 0
	.section	.AMDGPU.csdata,"",@progbits
; Kernel info:
; codeLenInByte = 5128
; TotalNumSgprs: 48
; NumVgprs: 128
; ScratchSize: 84
; MemoryBound: 0
; FloatMode: 240
; IeeeMode: 1
; LDSByteSize: 32768 bytes/workgroup (compile time only)
; SGPRBlocks: 0
; VGPRBlocks: 7
; NumSGPRsForWavesPerEU: 48
; NumVGPRsForWavesPerEU: 128
; NamedBarCnt: 0
; Occupancy: 8
; WaveLimiterHint : 1
; COMPUTE_PGM_RSRC2:SCRATCH_EN: 1
; COMPUTE_PGM_RSRC2:USER_SGPR: 2
; COMPUTE_PGM_RSRC2:TRAP_HANDLER: 0
; COMPUTE_PGM_RSRC2:TGID_X_EN: 1
; COMPUTE_PGM_RSRC2:TGID_Y_EN: 1
; COMPUTE_PGM_RSRC2:TGID_Z_EN: 1
; COMPUTE_PGM_RSRC2:TIDIG_COMP_CNT: 1
	.section	.text._ZL36rocblas_gemvt_double_buffered_kernelILb1ELi128ELi8ELi8EPKffKPfEviiT4_lPKT3_lilS7_lilPT5_lili,"axG",@progbits,_ZL36rocblas_gemvt_double_buffered_kernelILb1ELi128ELi8ELi8EPKffKPfEviiT4_lPKT3_lilS7_lilPT5_lili,comdat
	.globl	_ZL36rocblas_gemvt_double_buffered_kernelILb1ELi128ELi8ELi8EPKffKPfEviiT4_lPKT3_lilS7_lilPT5_lili ; -- Begin function _ZL36rocblas_gemvt_double_buffered_kernelILb1ELi128ELi8ELi8EPKffKPfEviiT4_lPKT3_lilS7_lilPT5_lili
	.p2align	8
	.type	_ZL36rocblas_gemvt_double_buffered_kernelILb1ELi128ELi8ELi8EPKffKPfEviiT4_lPKT3_lilS7_lilPT5_lili,@function
_ZL36rocblas_gemvt_double_buffered_kernelILb1ELi128ELi8ELi8EPKffKPfEviiT4_lPKT3_lilS7_lilPT5_lili: ; @_ZL36rocblas_gemvt_double_buffered_kernelILb1ELi128ELi8ELi8EPKffKPfEviiT4_lPKT3_lilS7_lilPT5_lili
; %bb.0:
	s_load_b32 s33, s[0:1], 0x78
	s_bfe_u32 s2, ttmp6, 0x40014
	s_lshr_b32 s4, ttmp7, 16
	s_add_co_i32 s2, s2, 1
	s_bfe_u32 s5, ttmp6, 0x40008
	s_mul_i32 s2, s4, s2
	s_getreg_b32 s3, hwreg(HW_REG_IB_STS2, 6, 4)
	s_add_co_i32 s5, s5, s2
	s_cmp_eq_u32 s3, 0
	s_mov_b32 s17, 0
	s_cselect_b32 s2, s4, s5
	s_wait_kmcnt 0x0
	s_cmp_ge_u32 s2, s33
	s_cbranch_scc1 .LBB233_15
; %bb.1:
	s_clause 0x5
	s_load_b32 s18, s[0:1], 0x28
	s_load_b32 s20, s[0:1], 0x48
	;; [unrolled: 1-line block ×4, first 2 shown]
	s_load_b128 s[4:7], s[0:1], 0x18
	s_load_b32 s16, s[0:1], 0x0
	v_and_b32_e32 v8, 0x3ff, v0
	v_mov_b32_e32 v3, 0
	v_bfe_u32 v6, v0, 10, 10
	s_clause 0x1
	s_load_b128 s[8:11], s[0:1], 0x38
	s_load_b128 s[12:15], s[0:1], 0x58
	v_and_b32_e32 v2, 63, v0
	v_dual_add_nc_u32 v10, 1, v8 :: v_dual_lshlrev_b32 v26, 8, v8
	v_lshl_add_u32 v1, v6, 7, v8
	v_bitop3_b32 v0, v0, 32, 63 bitop3:0x6c
	s_delay_alu instid0(VALU_DEP_3) | instskip(NEXT) | instid1(VALU_DEP_3)
	v_dual_add_nc_u32 v12, 25, v8 :: v_dual_bitop2_b32 v10, 63, v10 bitop3:0x40
	v_dual_add_nc_u32 v16, 27, v8 :: v_dual_lshrrev_b32 v7, 3, v1
	v_lshrrev_b32_e32 v1, 1, v1
	s_wait_kmcnt 0x0
	s_ashr_i32 s19, s18, 31
	s_ashr_i32 s21, s20, 31
	;; [unrolled: 1-line block ×3, first 2 shown]
	s_cmp_neq_f32 s38, 0
	v_and_b32_e32 v9, 0x7ff8, v7
	v_lshl_or_b32 v25, v7, 8, 0x700
	v_add_nc_u32_e32 v7, 3, v8
	s_cselect_b32 s39, -1, 0
	s_ashr_i32 s22, s16, 31
	s_bfe_u32 s24, ttmp6, 0x4000c
	s_bfe_u32 s26, ttmp6, 0x40010
	s_and_b32 s25, ttmp7, 0xffff
	s_lshr_b32 s22, s22, 25
	s_add_co_i32 s24, s24, 1
	s_add_co_i32 s26, s26, 1
	s_and_b32 s23, ttmp6, 15
	s_bfe_u32 s27, ttmp6, 0x40004
	s_add_co_i32 s16, s16, s22
	s_mul_i32 s24, ttmp9, s24
	s_mul_i32 s26, s25, s26
	s_ashr_i32 s22, s16, 7
	s_add_co_i32 s23, s23, s24
	s_add_co_i32 s27, s27, s26
	s_cmp_eq_u32 s3, 0
	v_mad_nc_i64_i32 v[4:5], s18, v9, v[2:3]
	s_cselect_b32 s40, s25, s27
	s_add_nc_u64 s[24:25], s[0:1], 0x80
	v_cmp_eq_u32_e64 s0, 0, v6
	v_lshl_or_b32 v6, v10, 2, v26
	v_dual_lshlrev_b32 v2, 2, v2 :: v_dual_lshlrev_b32 v24, 8, v9
	v_dual_add_nc_u32 v9, 4, v8 :: v_dual_add_nc_u32 v10, 5, v8
	scratch_store_b32 off, v6, off          ; 4-byte Folded Spill
	s_wait_xcnt 0x0
	v_dual_add_nc_u32 v6, 2, v8 :: v_dual_add_nc_u32 v11, 6, v8
	v_and_b32_e32 v7, 63, v7
	v_and_b32_e32 v9, 63, v9
	;; [unrolled: 1-line block ×3, first 2 shown]
	s_delay_alu instid0(VALU_DEP_4)
	v_and_b32_e32 v6, 63, v6
	v_and_b32_e32 v11, 63, v11
	s_cselect_b32 s3, ttmp9, s23
	s_lshl_b64 s[6:7], s[6:7], 2
	s_lshl_b32 s36, s3, 7
	v_lshl_or_b32 v6, v6, 2, v26
	s_ashr_i32 s37, s36, 31
	v_add_nc_u32_e32 v14, 26, v8
	v_lshl_or_b32 v104, v0, 2, v26
	v_add_nc_u32_e32 v0, 36, v8
	scratch_store_b32 off, v6, off offset:4 ; 4-byte Folded Spill
	s_wait_xcnt 0x0
	v_lshl_or_b32 v6, v7, 2, v26
	v_dual_add_nc_u32 v7, 8, v8 :: v_dual_bitop2_b32 v81, v26, v2 bitop3:0x54
	s_mul_u64 s[30:31], s[18:19], s[36:37]
	s_mul_u64 s[34:35], s[28:29], s[36:37]
	scratch_store_b32 off, v6, off offset:8 ; 4-byte Folded Spill
	s_wait_xcnt 0x0
	v_lshl_or_b32 v6, v9, 2, v26
	v_dual_add_nc_u32 v9, 9, v8 :: v_dual_bitop2_b32 v7, 63, v7 bitop3:0x40
	s_lshl_b64 s[26:27], s[20:21], 9
	s_mov_b32 s23, s17
	scratch_store_b32 off, v6, off offset:12 ; 4-byte Folded Spill
	s_wait_xcnt 0x0
	v_lshl_or_b32 v6, v10, 2, v26
	v_dual_add_nc_u32 v10, 10, v8 :: v_dual_bitop2_b32 v9, 63, v9 bitop3:0x40
	s_lshl_b64 s[10:11], s[10:11], 2
	s_lshl_b64 s[30:31], s[30:31], 2
	scratch_store_b32 off, v6, off offset:16 ; 4-byte Folded Spill
	s_wait_xcnt 0x0
	v_lshl_or_b32 v6, v11, 2, v26
	v_and_b32_e32 v10, 63, v10
	s_lshl_b64 s[14:15], s[14:15], 2
	s_lshl_b64 s[34:35], s[34:35], 2
	v_dual_add_nc_u32 v30, 28, v8 :: v_dual_bitop2_b32 v27, 63, v14 bitop3:0x40
	scratch_store_b32 off, v6, off offset:20 ; 4-byte Folded Spill
	s_wait_xcnt 0x0
	v_dual_add_nc_u32 v6, 7, v8 :: v_dual_add_nc_u32 v11, 11, v8
	v_add_nc_u32_e32 v83, v2, v25
	v_lshl_or_b32 v98, v27, 2, v26
	v_and_b32_e32 v27, 63, v30
	s_delay_alu instid0(VALU_DEP_4) | instskip(SKIP_2) | instid1(VALU_DEP_4)
	v_and_b32_e32 v6, 63, v6
	v_dual_add_nc_u32 v30, 62, v8 :: v_dual_bitop2_b32 v11, 63, v11 bitop3:0x40
	v_add_nc_u32_e32 v82, v2, v24
	v_lshl_or_b32 v100, v27, 2, v26
	s_delay_alu instid0(VALU_DEP_4)
	v_lshl_or_b32 v6, v6, 2, v26
	v_add_nc_u32_e32 v27, 31, v8
	scratch_store_b32 off, v6, off offset:24 ; 4-byte Folded Spill
	s_wait_xcnt 0x0
	v_lshl_or_b32 v6, v7, 2, v26
	v_add_nc_u32_e32 v7, 13, v8
	scratch_store_b32 off, v6, off offset:28 ; 4-byte Folded Spill
	s_wait_xcnt 0x0
	v_lshl_or_b32 v6, v9, 2, v26
	v_dual_add_nc_u32 v9, 14, v8 :: v_dual_bitop2_b32 v7, 63, v7 bitop3:0x40
	scratch_store_b32 off, v6, off offset:32 ; 4-byte Folded Spill
	s_wait_xcnt 0x0
	v_lshl_or_b32 v6, v10, 2, v26
	v_dual_add_nc_u32 v10, 15, v8 :: v_dual_bitop2_b32 v9, 63, v9 bitop3:0x40
	scratch_store_b32 off, v6, off offset:36 ; 4-byte Folded Spill
	s_wait_xcnt 0x0
	v_lshl_or_b32 v6, v11, 2, v26
	v_and_b32_e32 v10, 63, v10
	scratch_store_b32 off, v6, off offset:40 ; 4-byte Folded Spill
	s_wait_xcnt 0x0
	v_dual_add_nc_u32 v6, 12, v8 :: v_dual_add_nc_u32 v11, 16, v8
	s_delay_alu instid0(VALU_DEP_1) | instskip(NEXT) | instid1(VALU_DEP_2)
	v_and_b32_e32 v6, 63, v6
	v_and_b32_e32 v11, 63, v11
	s_delay_alu instid0(VALU_DEP_2)
	v_lshl_or_b32 v6, v6, 2, v26
	scratch_store_b32 off, v6, off offset:44 ; 4-byte Folded Spill
	s_wait_xcnt 0x0
	v_lshl_or_b32 v6, v7, 2, v26
	v_add_nc_u32_e32 v7, 18, v8
	scratch_store_b32 off, v6, off offset:48 ; 4-byte Folded Spill
	s_wait_xcnt 0x0
	v_lshl_or_b32 v6, v9, 2, v26
	v_dual_add_nc_u32 v9, 19, v8 :: v_dual_bitop2_b32 v7, 63, v7 bitop3:0x40
	scratch_store_b32 off, v6, off offset:52 ; 4-byte Folded Spill
	s_wait_xcnt 0x0
	v_lshl_or_b32 v6, v10, 2, v26
	v_dual_add_nc_u32 v10, 20, v8 :: v_dual_bitop2_b32 v9, 63, v9 bitop3:0x40
	scratch_store_b32 off, v6, off offset:56 ; 4-byte Folded Spill
	s_wait_xcnt 0x0
	v_lshl_or_b32 v6, v11, 2, v26
	v_and_b32_e32 v10, 63, v10
	scratch_store_b32 off, v6, off offset:60 ; 4-byte Folded Spill
	s_wait_xcnt 0x0
	v_dual_add_nc_u32 v6, 17, v8 :: v_dual_add_nc_u32 v11, 21, v8
	v_lshl_or_b32 v92, v10, 2, v26
	s_delay_alu instid0(VALU_DEP_2) | instskip(NEXT) | instid1(VALU_DEP_3)
	v_dual_add_nc_u32 v10, 23, v8 :: v_dual_bitop2_b32 v6, 63, v6 bitop3:0x40
	v_and_b32_e32 v11, 63, v11
	s_delay_alu instid0(VALU_DEP_2) | instskip(NEXT) | instid1(VALU_DEP_2)
	v_lshl_or_b32 v6, v6, 2, v26
	v_lshl_or_b32 v93, v11, 2, v26
	v_add_nc_u32_e32 v11, 24, v8
	scratch_store_b32 off, v6, off offset:64 ; 4-byte Folded Spill
	s_wait_xcnt 0x0
	v_lshl_or_b32 v6, v7, 2, v26
	v_mov_b32_e32 v7, v3
	scratch_store_b32 off, v6, off offset:68 ; 4-byte Folded Spill
	s_wait_xcnt 0x0
	v_lshl_or_b32 v6, v9, 2, v26
	v_add_nc_u32_e32 v9, 22, v8
	scratch_store_b32 off, v6, off offset:72 ; 4-byte Folded Spill
	s_wait_xcnt 0x0
	v_and_b32_e32 v6, 0x1ffe0, v1
	v_and_b32_e32 v1, 63, v9
	;; [unrolled: 1-line block ×3, first 2 shown]
	s_delay_alu instid0(VALU_DEP_3) | instskip(NEXT) | instid1(VALU_DEP_3)
	v_lshl_add_u64 v[20:21], s[36:37], 2, v[6:7]
	v_lshl_or_b32 v94, v1, 2, v26
	s_delay_alu instid0(VALU_DEP_3) | instskip(NEXT) | instid1(VALU_DEP_3)
	v_lshl_or_b32 v95, v9, 2, v26
	v_mul_lo_u32 v9, v21, s18
	s_delay_alu instid0(VALU_DEP_4)
	v_or_b32_e32 v29, 20, v20
	v_and_b32_e32 v28, 63, v16
	v_and_b32_e32 v10, 63, v11
	v_mad_nc_u64_u32 v[6:7], v20, s18, s[6:7]
	v_and_b32_e32 v11, 63, v12
	v_mad_nc_u64_u32 v[18:19], v29, s18, s[6:7]
	v_or_b32_e32 v23, 16, v20
	v_lshl_or_b32 v96, v10, 2, v26
	v_or_b32_e32 v31, 24, v20
	v_dual_add_nc_u32 v7, v9, v7 :: v_dual_bitop2_b32 v32, 28, v20 bitop3:0x54
	v_lshl_or_b32 v97, v11, 2, v26
	v_add_nc_u32_e32 v19, v9, v19
	v_mad_nc_u64_u32 v[16:17], v23, s18, s[6:7]
	v_or_b32_e32 v22, 12, v20
	v_mad_u32 v7, v20, s19, v7
	s_delay_alu instid0(VALU_DEP_3) | instskip(NEXT) | instid1(VALU_DEP_3)
	v_add_nc_u32_e32 v17, v9, v17
	v_mad_nc_u64_u32 v[14:15], v22, s18, s[6:7]
	v_or_b32_e32 v21, 8, v20
	s_delay_alu instid0(VALU_DEP_3) | instskip(NEXT) | instid1(VALU_DEP_2)
	v_mad_u32 v17, v23, s19, v17
	v_mad_nc_u64_u32 v[12:13], v21, s18, s[6:7]
	s_delay_alu instid0(VALU_DEP_1) | instskip(NEXT) | instid1(VALU_DEP_1)
	v_dual_add_nc_u32 v13, v9, v13 :: v_dual_bitop2_b32 v1, 4, v20 bitop3:0x54
	v_mad_nc_u64_u32 v[10:11], v1, s18, s[6:7]
	s_delay_alu instid0(VALU_DEP_1) | instskip(NEXT) | instid1(VALU_DEP_1)
	v_add_nc_u32_e32 v11, v9, v11
	v_mad_u32 v11, v1, s19, v11
	v_add_nc_u32_e32 v1, v9, v15
	v_mad_u32 v13, v21, s19, v13
	v_mad_nc_u64_u32 v[20:21], v31, s18, s[6:7]
	s_delay_alu instid0(VALU_DEP_3) | instskip(SKIP_2) | instid1(VALU_DEP_1)
	v_mad_u32 v15, v22, s19, v1
	v_mad_nc_u64_u32 v[22:23], v32, s18, s[6:7]
	v_add_nc_u32_e32 v1, 29, v8
	v_and_b32_e32 v1, 63, v1
	v_add_nc_u32_e32 v21, v9, v21
	v_lshl_or_b32 v99, v28, 2, v26
	v_add_nc_u32_e32 v28, 30, v8
	s_delay_alu instid0(VALU_DEP_4) | instskip(SKIP_2) | instid1(VALU_DEP_4)
	v_lshl_or_b32 v101, v1, 2, v26
	v_add_nc_u32_e32 v1, v9, v23
	v_mad_u32 v19, v29, s19, v19
	v_and_b32_e32 v9, 63, v28
	v_add_nc_u32_e32 v28, 33, v8
	s_delay_alu instid0(VALU_DEP_4) | instskip(SKIP_1) | instid1(VALU_DEP_4)
	v_mad_u32 v23, v32, s19, v1
	v_add_nc_u32_e32 v1, 34, v8
	v_lshl_or_b32 v102, v9, 2, v26
	v_and_b32_e32 v9, 63, v27
	v_and_b32_e32 v27, 63, v28
	s_delay_alu instid0(VALU_DEP_4) | instskip(NEXT) | instid1(VALU_DEP_3)
	v_dual_add_nc_u32 v28, 35, v8 :: v_dual_bitop2_b32 v1, 63, v1 bitop3:0x40
	v_lshl_or_b32 v103, v9, 2, v26
	v_add_nc_u32_e32 v9, 38, v8
	s_delay_alu instid0(VALU_DEP_4) | instskip(NEXT) | instid1(VALU_DEP_4)
	v_lshl_or_b32 v105, v27, 2, v26
	v_lshl_or_b32 v106, v1, 2, v26
	v_dual_add_nc_u32 v1, 37, v8 :: v_dual_add_nc_u32 v27, 39, v8
	v_and_b32_e32 v0, 63, v0
	v_and_b32_e32 v9, 63, v9
	;; [unrolled: 1-line block ×3, first 2 shown]
	s_delay_alu instid0(VALU_DEP_4)
	v_and_b32_e32 v1, 63, v1
	v_and_b32_e32 v27, 63, v27
	v_lshl_or_b32 v108, v0, 2, v26
	v_add_nc_u32_e32 v0, 40, v8
	v_lshl_or_b32 v107, v28, 2, v26
	v_lshl_or_b32 v109, v1, 2, v26
	v_add_nc_u32_e32 v1, 41, v8
	v_lshl_or_b32 v110, v9, 2, v26
	v_add_nc_u32_e32 v9, 42, v8
	v_lshl_or_b32 v111, v27, 2, v26
	v_dual_add_nc_u32 v27, 43, v8 :: v_dual_add_nc_u32 v28, 44, v8
	v_and_b32_e32 v0, 63, v0
	v_and_b32_e32 v1, 63, v1
	;; [unrolled: 1-line block ×3, first 2 shown]
	s_delay_alu instid0(VALU_DEP_4)
	v_and_b32_e32 v27, 63, v27
	v_and_b32_e32 v28, 63, v28
	v_lshl_or_b32 v112, v0, 2, v26
	v_add_nc_u32_e32 v0, 45, v8
	v_lshl_or_b32 v113, v1, 2, v26
	v_add_nc_u32_e32 v1, 46, v8
	;; [unrolled: 2-line block ×4, first 2 shown]
	v_and_b32_e32 v0, 63, v0
	v_and_b32_e32 v1, 63, v1
	;; [unrolled: 1-line block ×3, first 2 shown]
	v_lshl_or_b32 v116, v28, 2, v26
	v_dual_add_nc_u32 v28, 49, v8 :: v_dual_bitop2_b32 v27, 63, v27 bitop3:0x40
	v_lshl_or_b32 v117, v0, 2, v26
	v_add_nc_u32_e32 v0, 50, v8
	v_lshl_or_b32 v118, v1, 2, v26
	v_add_nc_u32_e32 v1, 51, v8
	;; [unrolled: 2-line block ×3, first 2 shown]
	v_and_b32_e32 v28, 63, v28
	v_lshl_or_b32 v120, v27, 2, v26
	v_add_nc_u32_e32 v27, 53, v8
	v_and_b32_e32 v0, 63, v0
	v_and_b32_e32 v1, 63, v1
	;; [unrolled: 1-line block ×3, first 2 shown]
	v_lshl_or_b32 v121, v28, 2, v26
	v_dual_add_nc_u32 v28, 54, v8 :: v_dual_bitop2_b32 v27, 63, v27 bitop3:0x40
	v_lshl_or_b32 v122, v0, 2, v26
	v_add_nc_u32_e32 v0, 55, v8
	v_lshl_or_b32 v123, v1, 2, v26
	v_add_nc_u32_e32 v1, 56, v8
	;; [unrolled: 2-line block ×3, first 2 shown]
	v_and_b32_e32 v0, 63, v0
	v_and_b32_e32 v28, 63, v28
	;; [unrolled: 1-line block ×3, first 2 shown]
	v_lshl_or_b32 v125, v27, 2, v26
	v_dual_mov_b32 v9, v3 :: v_dual_bitop2_b32 v29, 63, v9 bitop3:0x40
	v_lshl_or_b32 v127, v0, 2, v26
	s_delay_alu instid0(VALU_DEP_4) | instskip(SKIP_4) | instid1(VALU_DEP_4)
	v_lshl_or_b32 v71, v1, 2, v26
	v_add_nc_u32_e32 v27, 58, v8
	v_mad_u32 v21, v31, s19, v21
	v_mul_u64_e32 v[0:1], s[28:29], v[8:9]
	v_lshl_or_b32 v126, v28, 2, v26
	v_dual_add_nc_u32 v28, 59, v8 :: v_dual_bitop2_b32 v27, 63, v27 bitop3:0x40
	v_lshl_or_b32 v74, v29, 2, v26
	v_dual_add_nc_u32 v9, 60, v8 :: v_dual_add_nc_u32 v29, 61, v8
	v_add_nc_u32_e32 v8, -1, v8
	s_delay_alu instid0(VALU_DEP_4) | instskip(SKIP_1) | instid1(VALU_DEP_4)
	v_and_b32_e32 v28, 63, v28
	v_lshl_or_b32 v75, v27, 2, v26
	v_and_b32_e32 v9, 63, v9
	v_and_b32_e32 v27, 63, v29
	;; [unrolled: 1-line block ×4, first 2 shown]
	v_lshl_or_b32 v76, v28, 2, v26
	v_lshl_or_b32 v77, v9, 2, v26
	;; [unrolled: 1-line block ×4, first 2 shown]
	v_add_nc_u64_e32 v[8:9], 0x200, v[10:11]
	v_add_nc_u64_e32 v[10:11], 0x200, v[12:13]
	;; [unrolled: 1-line block ×7, first 2 shown]
	v_lshl_or_b32 v79, v29, 2, v26
	s_lshl_b64 s[28:29], s[18:19], 2
	s_branch .LBB233_4
.LBB233_2:                              ;   in Loop: Header=BB233_4 Depth=1
	s_wait_xcnt 0x0
	s_or_b32 exec_lo, exec_lo, s1
.LBB233_3:                              ;   in Loop: Header=BB233_4 Depth=1
	s_add_co_i32 s2, s2, 0x10000
	s_delay_alu instid0(SALU_CYCLE_1)
	s_cmp_lt_u32 s2, s33
	s_cbranch_scc0 .LBB233_15
.LBB233_4:                              ; =>This Loop Header: Depth=1
                                        ;     Child Loop BB233_8 Depth 2
	s_and_not1_b32 vcc_lo, exec_lo, s39
	s_cbranch_vccnz .LBB233_3
; %bb.5:                                ;   in Loop: Header=BB233_4 Depth=1
	s_load_b32 s1, s[24:25], 0x4
	s_wait_kmcnt 0x0
	s_cvt_f32_u32 s3, s1
	s_sub_co_i32 s16, 0, s1
	s_delay_alu instid0(SALU_CYCLE_2) | instskip(SKIP_1) | instid1(TRANS32_DEP_1)
	v_rcp_iflag_f32_e32 v22, s3
	v_nop
	v_readfirstlane_b32 s3, v22
	s_mul_f32 s3, s3, 0x4f7ffffe
	s_delay_alu instid0(SALU_CYCLE_3) | instskip(NEXT) | instid1(SALU_CYCLE_3)
	s_cvt_u32_f32 s3, s3
	s_mul_i32 s16, s16, s3
	s_delay_alu instid0(SALU_CYCLE_1) | instskip(NEXT) | instid1(SALU_CYCLE_1)
	s_mul_hi_u32 s16, s3, s16
	s_add_co_i32 s16, s3, s16
	s_delay_alu instid0(SALU_CYCLE_1) | instskip(NEXT) | instid1(SALU_CYCLE_1)
	s_mul_u64 s[36:37], s[22:23], s[16:17]
	s_mul_i32 s3, s37, s1
	s_add_co_i32 s16, s37, 1
	s_sub_co_i32 s3, s22, s3
	s_delay_alu instid0(SALU_CYCLE_1)
	s_sub_co_i32 s36, s3, s1
	s_cmp_ge_u32 s3, s1
	s_cselect_b32 s16, s16, s37
	s_cselect_b32 s3, s36, s3
	s_add_co_i32 s36, s16, 1
	s_cmp_ge_u32 s3, s1
	s_cselect_b32 s16, s36, s16
	s_delay_alu instid0(SALU_CYCLE_1) | instskip(NEXT) | instid1(SALU_CYCLE_1)
	s_mul_i32 s1, s16, s1
	s_sub_co_i32 s36, s22, s1
	s_delay_alu instid0(SALU_CYCLE_1) | instskip(SKIP_1) | instid1(SALU_CYCLE_1)
	s_cmp_lt_u32 s40, s36
	s_cselect_b32 s1, -1, 0
	s_cmp_lg_u32 s1, 0
	s_add_co_ci_u32 s1, s16, 0
	s_delay_alu instid0(SALU_CYCLE_1)
	s_cmp_eq_u32 s1, 0
	s_cbranch_scc1 .LBB233_3
; %bb.6:                                ;   in Loop: Header=BB233_4 Depth=1
	v_mov_b32_e32 v22, s2
	s_cmp_lt_i32 s1, 1
	global_load_b64 v[22:23], v22, s[12:13] scale_offset
	s_cbranch_scc1 .LBB233_12
; %bb.7:                                ;   in Loop: Header=BB233_4 Depth=1
	s_mov_b32 s3, s17
	v_cvt_f64_i32_e32 v[28:29], s40
	s_lshl_b64 s[42:43], s[2:3], 3
	v_cvt_f64_u32_e32 v[24:25], s36
	s_add_nc_u64 s[44:45], s[4:5], s[42:43]
	s_mul_i32 s16, s16, s40
	global_load_b64 v[26:27], v3, s[44:45]
	v_cvt_f64_u32_e32 v[30:31], s16
	s_add_nc_u64 s[36:37], s[8:9], s[42:43]
	s_add_co_i32 s3, s1, -1
	global_load_b64 v[44:45], v3, s[36:37]
	s_mov_b32 s16, 0
	v_mov_b32_e32 v58, 0
	s_delay_alu instid0(VALU_DEP_1) | instskip(SKIP_3) | instid1(VALU_DEP_1)
	v_dual_mov_b32 v60, v58 :: v_dual_mov_b32 v61, v58
	v_dual_mov_b32 v56, v58 :: v_dual_mov_b32 v57, v58
	;; [unrolled: 1-line block ×3, first 2 shown]
	v_dual_max_num_f64 v[28:29], v[28:29], v[28:29] :: v_dual_mov_b32 v59, v58
	v_min_num_f64_e32 v[24:25], v[28:29], v[24:25]
	s_delay_alu instid0(VALU_DEP_1) | instskip(NEXT) | instid1(VALU_DEP_1)
	v_add_f64_e32 v[24:25], v[24:25], v[30:31]
	v_cvt_i32_f64_e32 v24, v[24:25]
	s_delay_alu instid0(VALU_DEP_1) | instskip(NEXT) | instid1(VALU_DEP_1)
	v_lshlrev_b32_e32 v24, 7, v24
	v_ashrrev_i32_e32 v25, 31, v24
	s_delay_alu instid0(VALU_DEP_1) | instskip(SKIP_4) | instid1(VALU_DEP_2)
	v_lshlrev_b64_e32 v[42:43], 2, v[24:25]
	s_wait_loadcnt 0x1
	v_add_nc_u64_e32 v[28:29], s[6:7], v[26:27]
	s_wait_loadcnt 0x0
	v_add_nc_u64_e32 v[44:45], s[10:11], v[44:45]
	v_add_nc_u64_e32 v[24:25], s[30:31], v[28:29]
	s_delay_alu instid0(VALU_DEP_1) | instskip(NEXT) | instid1(VALU_DEP_1)
	v_add_nc_u64_e32 v[24:25], v[24:25], v[42:43]
	v_lshl_add_u64 v[24:25], v[4:5], 2, v[24:25]
	s_delay_alu instid0(VALU_DEP_1) | instskip(NEXT) | instid1(VALU_DEP_1)
	v_lshl_add_u64 v[28:29], s[18:19], 2, v[24:25]
	v_add_nc_u64_e32 v[30:31], s[28:29], v[28:29]
	s_delay_alu instid0(VALU_DEP_1) | instskip(NEXT) | instid1(VALU_DEP_1)
	v_add_nc_u64_e32 v[32:33], s[28:29], v[30:31]
	v_add_nc_u64_e32 v[34:35], s[28:29], v[32:33]
	s_delay_alu instid0(VALU_DEP_1) | instskip(NEXT) | instid1(VALU_DEP_1)
	v_add_nc_u64_e32 v[36:37], s[28:29], v[34:35]
	v_add_nc_u64_e32 v[38:39], s[28:29], v[36:37]
	s_delay_alu instid0(VALU_DEP_1)
	v_add_nc_u64_e32 v[40:41], s[28:29], v[38:39]
	s_clause 0x6
	flat_load_b32 v54, v[24:25]
	flat_load_b32 v55, v[28:29]
	;; [unrolled: 1-line block ×8, first 2 shown]
	s_wait_xcnt 0x6
	v_add_nc_u64_e32 v[28:29], v[26:27], v[8:9]
	s_wait_xcnt 0x5
	v_add_nc_u64_e32 v[30:31], v[26:27], v[10:11]
	;; [unrolled: 2-line block ×7, first 2 shown]
	v_add_nc_u64_e32 v[24:25], v[26:27], v[6:7]
	v_add_nc_u64_e32 v[26:27], v[28:29], v[42:43]
	;; [unrolled: 1-line block ×8, first 2 shown]
	v_or_b32_e32 v40, 0x100, v2
	v_add_nc_u64_e32 v[24:25], v[24:25], v[42:43]
	s_delay_alu instid0(VALU_DEP_2) | instskip(SKIP_1) | instid1(VALU_DEP_2)
	v_dual_mov_b32 v41, v43 :: v_dual_bitop2_b32 v40, v40, v42 bitop3:0x54
	v_or_b32_e32 v42, v2, v42
	v_mul_u64_e32 v[40:41], s[20:21], v[40:41]
	s_delay_alu instid0(VALU_DEP_2)
	v_mul_u64_e32 v[42:43], s[20:21], v[42:43]
.LBB233_8:                              ;   Parent Loop BB233_4 Depth=1
                                        ; =>  This Inner Loop Header: Depth=2
	s_wait_xcnt 0x0
	v_add_nc_u64_e32 v[72:73], v[24:25], v[2:3]
	s_wait_loadcnt_dscnt 0x404
	v_dual_mov_b32 v86, v52 :: v_dual_mov_b32 v87, v53
	s_wait_loadcnt_dscnt 0x202
	v_dual_mov_b32 v88, v50 :: v_dual_mov_b32 v89, v51
	;; [unrolled: 2-line block ×3, first 2 shown]
	v_add_nc_u64_e32 v[64:65], 0x100, v[72:73]
	flat_load_b32 v62, v[72:73] offset:256
	s_cmp_lg_u32 s3, s16
	v_add_nc_u64_e32 v[64:65], s[28:29], v[64:65]
	s_delay_alu instid0(VALU_DEP_1)
	v_add_nc_u64_e32 v[66:67], s[28:29], v[64:65]
	s_clause 0x1
	flat_load_b32 v63, v[64:65]
	flat_load_b32 v64, v[66:67]
	s_wait_xcnt 0x0
	v_add_nc_u64_e32 v[66:67], s[28:29], v[66:67]
	s_delay_alu instid0(VALU_DEP_1)
	v_add_nc_u64_e32 v[68:69], s[28:29], v[66:67]
	s_clause 0x1
	flat_load_b32 v65, v[66:67]
	flat_load_b32 v66, v[68:69]
	s_wait_xcnt 0x0
	;; [unrolled: 7-line block ×3, first 2 shown]
	v_add_nc_u64_e32 v[84:85], s[28:29], v[84:85]
	flat_load_b32 v69, v[84:85]
	s_wait_xcnt 0x0
	v_add_nc_u64_e32 v[84:85], v[44:45], v[42:43]
	flat_load_b32 v70, v[84:85]
	s_wait_xcnt 0x0
	v_dual_mov_b32 v84, v54 :: v_dual_mov_b32 v85, v55
	s_cbranch_scc0 .LBB233_10
; %bb.9:                                ;   in Loop: Header=BB233_8 Depth=2
	flat_load_b32 v84, v[72:73] offset:512
	s_wait_xcnt 0x0
	v_add_nc_u64_e32 v[72:73], v[26:27], v[2:3]
	flat_load_b32 v85, v[72:73]
	s_wait_xcnt 0x0
	v_add_nc_u64_e32 v[72:73], v[28:29], v[2:3]
	flat_load_b32 v86, v[72:73]
	s_wait_xcnt 0x0
	v_add_nc_u64_e32 v[72:73], v[30:31], v[2:3]
	flat_load_b32 v87, v[72:73]
	s_wait_xcnt 0x0
	v_add_nc_u64_e32 v[72:73], v[32:33], v[2:3]
	flat_load_b32 v88, v[72:73]
	s_wait_xcnt 0x0
	v_add_nc_u64_e32 v[72:73], v[34:35], v[2:3]
	flat_load_b32 v89, v[72:73]
	s_wait_xcnt 0x0
	v_add_nc_u64_e32 v[72:73], v[36:37], v[2:3]
	flat_load_b32 v90, v[72:73]
	s_wait_xcnt 0x0
	v_add_nc_u64_e32 v[72:73], v[38:39], v[2:3]
	flat_load_b32 v91, v[72:73]
.LBB233_10:                             ;   in Loop: Header=BB233_8 Depth=2
	s_wait_xcnt 0x0
	v_add_nc_u64_e32 v[72:73], v[44:45], v[40:41]
	s_wait_loadcnt_dscnt 0x0
	v_pk_fma_f32 v[54:55], v[54:55], v[70:71], v[58:59] op_sel_hi:[1,0,1]
	v_pk_fma_f32 v[52:53], v[52:53], v[70:71], v[60:61] op_sel_hi:[1,0,1]
	;; [unrolled: 1-line block ×4, first 2 shown]
	v_add_nc_u64_e32 v[24:25], 0x200, v[24:25]
	v_add_nc_u64_e32 v[26:27], 0x200, v[26:27]
	flat_load_b32 v72, v[72:73]
	v_add_nc_u64_e32 v[28:29], 0x200, v[28:29]
	v_add_nc_u64_e32 v[30:31], 0x200, v[30:31]
	;; [unrolled: 1-line block ×7, first 2 shown]
	s_add_co_i32 s16, s16, 1
	s_delay_alu instid0(SALU_CYCLE_1)
	s_cmp_ge_i32 s16, s1
	s_wait_loadcnt_dscnt 0x0
	v_pk_fma_f32 v[46:47], v[68:69], v[72:73], v[46:47] op_sel_hi:[1,0,1]
	v_pk_fma_f32 v[56:57], v[66:67], v[72:73], v[50:51] op_sel_hi:[1,0,1]
	;; [unrolled: 1-line block ×4, first 2 shown]
	s_cbranch_scc1 .LBB233_13
; %bb.11:                               ;   in Loop: Header=BB233_8 Depth=2
	v_dual_mov_b32 v54, v84 :: v_dual_mov_b32 v55, v85
	v_dual_mov_b32 v52, v86 :: v_dual_mov_b32 v53, v87
	;; [unrolled: 1-line block ×4, first 2 shown]
	s_branch .LBB233_8
.LBB233_12:                             ;   in Loop: Header=BB233_4 Depth=1
	v_mov_b32_e32 v47, 0
	s_delay_alu instid0(VALU_DEP_1)
	v_dual_mov_b32 v46, v47 :: v_dual_mov_b32 v57, v47
	v_dual_mov_b32 v56, v47 :: v_dual_mov_b32 v61, v47
	;; [unrolled: 1-line block ×3, first 2 shown]
	v_mov_b32_e32 v58, v47
.LBB233_13:                             ;   in Loop: Header=BB233_4 Depth=1
	ds_store_2addr_stride64_b32 v82, v58, v59 offset1:1
	ds_store_2addr_stride64_b32 v82, v60, v61 offset0:2 offset1:3
	ds_store_2addr_stride64_b32 v82, v56, v57 offset0:4 offset1:5
	ds_store_b32 v82, v46 offset:1536
	ds_store_b32 v83, v47
	s_wait_storecnt 0x0
	s_wait_loadcnt_dscnt 0x0
	s_barrier_signal -1
	s_barrier_wait -1
	s_wait_xcnt 0x0
	s_and_saveexec_b32 s1, s0
	s_cbranch_execz .LBB233_2
; %bb.14:                               ;   in Loop: Header=BB233_4 Depth=1
	s_clause 0x7
	scratch_load_b32 v25, off, off
	scratch_load_b32 v26, off, off offset:4
	scratch_load_b32 v27, off, off offset:8
	;; [unrolled: 1-line block ×7, first 2 shown]
	ds_load_b32 v24, v81
	v_add_nc_u64_e32 v[22:23], s[14:15], v[22:23]
	s_delay_alu instid0(VALU_DEP_1) | instskip(NEXT) | instid1(VALU_DEP_1)
	v_add_nc_u64_e32 v[22:23], s[34:35], v[22:23]
	v_lshl_add_u64 v[22:23], v[0:1], 2, v[22:23]
	s_wait_loadcnt 0x7
	ds_load_b32 v25, v25
	s_wait_loadcnt 0x6
	ds_load_b32 v26, v26
	;; [unrolled: 2-line block ×7, first 2 shown]
	s_wait_dscnt 0x7
	v_add_f32_e32 v24, 0, v24
	s_wait_loadcnt 0x0
	ds_load_b32 v32, v32
	s_wait_dscnt 0x7
	v_add_f32_e32 v24, v24, v25
	scratch_load_b32 v25, off, off offset:28 ; 4-byte Folded Reload
	s_wait_dscnt 0x6
	v_add_f32_e32 v24, v24, v26
	scratch_load_b32 v26, off, off offset:32 ; 4-byte Folded Reload
	;; [unrolled: 3-line block ×7, first 2 shown]
	s_wait_loadcnt 0x6
	ds_load_b32 v25, v25
	s_wait_loadcnt 0x5
	ds_load_b32 v26, v26
	;; [unrolled: 2-line block ×6, first 2 shown]
	s_wait_dscnt 0x5
	v_add_f32_e32 v24, v24, v25
	scratch_load_b32 v25, off, off offset:60 ; 4-byte Folded Reload
	s_wait_loadcnt 0x1
	ds_load_b32 v31, v31
	s_wait_dscnt 0x5
	v_add_f32_e32 v24, v24, v26
	scratch_load_b32 v26, off, off offset:64 ; 4-byte Folded Reload
	s_wait_dscnt 0x4
	v_add_f32_e32 v24, v24, v27
	scratch_load_b32 v27, off, off offset:68 ; 4-byte Folded Reload
	;; [unrolled: 3-line block ×3, first 2 shown]
	s_wait_loadcnt 0x3
	ds_load_b32 v25, v25
	s_wait_loadcnt 0x2
	ds_load_b32 v26, v26
	;; [unrolled: 2-line block ×3, first 2 shown]
	s_wait_dscnt 0x5
	v_add_f32_e32 v24, v24, v29
	s_wait_dscnt 0x4
	s_delay_alu instid0(VALU_DEP_1) | instskip(SKIP_1) | instid1(VALU_DEP_1)
	v_add_f32_e32 v24, v24, v30
	s_wait_dscnt 0x3
	v_add_f32_e32 v24, v24, v31
	s_delay_alu instid0(VALU_DEP_1)
	v_add_f32_e32 v24, v24, v32
	s_wait_loadcnt 0x0
	ds_load_b32 v28, v28
	ds_load_b32 v29, v92
	ds_load_b32 v30, v93
	ds_load_b32 v31, v94
	ds_load_b32 v32, v95
	s_wait_dscnt 0x7
	v_add_f32_e32 v24, v24, v25
	ds_load_b32 v25, v96
	s_wait_dscnt 0x7
	v_add_f32_e32 v24, v24, v26
	ds_load_b32 v26, v97
	s_wait_dscnt 0x7
	v_add_f32_e32 v24, v24, v27
	ds_load_b32 v27, v98
	s_wait_dscnt 0x7
	v_add_f32_e32 v24, v24, v28
	s_wait_dscnt 0x6
	s_delay_alu instid0(VALU_DEP_1) | instskip(SKIP_1) | instid1(VALU_DEP_1)
	v_add_f32_e32 v24, v24, v29
	s_wait_dscnt 0x5
	v_add_f32_e32 v24, v24, v30
	s_wait_dscnt 0x4
	s_delay_alu instid0(VALU_DEP_1) | instskip(SKIP_1) | instid1(VALU_DEP_1)
	v_add_f32_e32 v24, v24, v31
	s_wait_dscnt 0x3
	v_add_f32_e32 v24, v24, v32
	ds_load_b32 v28, v99
	ds_load_b32 v29, v100
	ds_load_b32 v30, v101
	ds_load_b32 v31, v102
	ds_load_b32 v32, v103
	s_wait_dscnt 0x7
	v_add_f32_e32 v24, v24, v25
	ds_load_b32 v25, v104
	s_wait_dscnt 0x7
	v_add_f32_e32 v24, v24, v26
	ds_load_b32 v26, v105
	s_wait_dscnt 0x7
	v_add_f32_e32 v24, v24, v27
	ds_load_b32 v27, v106
	s_wait_dscnt 0x7
	v_add_f32_e32 v24, v24, v28
	s_wait_dscnt 0x6
	s_delay_alu instid0(VALU_DEP_1) | instskip(SKIP_1) | instid1(VALU_DEP_1)
	v_add_f32_e32 v24, v24, v29
	s_wait_dscnt 0x5
	v_add_f32_e32 v24, v24, v30
	s_wait_dscnt 0x4
	s_delay_alu instid0(VALU_DEP_1) | instskip(SKIP_1) | instid1(VALU_DEP_1)
	v_add_f32_e32 v24, v24, v31
	s_wait_dscnt 0x3
	v_add_f32_e32 v24, v24, v32
	;; [unrolled: 26-line block ×5, first 2 shown]
	ds_load_b32 v28, v76
	ds_load_b32 v29, v77
	;; [unrolled: 1-line block ×5, first 2 shown]
	s_wait_dscnt 0x7
	v_add_f32_e32 v24, v24, v25
	s_wait_dscnt 0x6
	s_delay_alu instid0(VALU_DEP_1) | instskip(SKIP_1) | instid1(VALU_DEP_1)
	v_add_f32_e32 v24, v24, v26
	s_wait_dscnt 0x5
	v_add_f32_e32 v24, v24, v27
	s_wait_dscnt 0x4
	s_delay_alu instid0(VALU_DEP_1) | instskip(SKIP_1) | instid1(VALU_DEP_1)
	v_add_f32_e32 v24, v24, v28
	s_wait_dscnt 0x3
	v_add_f32_e32 v24, v24, v29
	s_wait_dscnt 0x2
	s_delay_alu instid0(VALU_DEP_1) | instskip(SKIP_1) | instid1(VALU_DEP_1)
	v_add_f32_e32 v24, v24, v30
	s_wait_dscnt 0x1
	v_add_f32_e32 v24, v24, v31
	s_wait_dscnt 0x0
	s_delay_alu instid0(VALU_DEP_1) | instskip(NEXT) | instid1(VALU_DEP_1)
	v_add_f32_e32 v24, v24, v32
	v_mul_f32_e32 v24, s38, v24
	flat_atomic_add_f32 v[22:23], v24 scope:SCOPE_DEV
	s_branch .LBB233_2
.LBB233_15:
	s_sendmsg sendmsg(MSG_DEALLOC_VGPRS)
	s_endpgm
	.section	.rodata,"a",@progbits
	.p2align	6, 0x0
	.amdhsa_kernel _ZL36rocblas_gemvt_double_buffered_kernelILb1ELi128ELi8ELi8EPKffKPfEviiT4_lPKT3_lilS7_lilPT5_lili
		.amdhsa_group_segment_fixed_size 32768
		.amdhsa_private_segment_fixed_size 80
		.amdhsa_kernarg_size 384
		.amdhsa_user_sgpr_count 2
		.amdhsa_user_sgpr_dispatch_ptr 0
		.amdhsa_user_sgpr_queue_ptr 0
		.amdhsa_user_sgpr_kernarg_segment_ptr 1
		.amdhsa_user_sgpr_dispatch_id 0
		.amdhsa_user_sgpr_kernarg_preload_length 0
		.amdhsa_user_sgpr_kernarg_preload_offset 0
		.amdhsa_user_sgpr_private_segment_size 0
		.amdhsa_wavefront_size32 1
		.amdhsa_uses_dynamic_stack 0
		.amdhsa_enable_private_segment 1
		.amdhsa_system_sgpr_workgroup_id_x 1
		.amdhsa_system_sgpr_workgroup_id_y 1
		.amdhsa_system_sgpr_workgroup_id_z 1
		.amdhsa_system_sgpr_workgroup_info 0
		.amdhsa_system_vgpr_workitem_id 1
		.amdhsa_next_free_vgpr 128
		.amdhsa_next_free_sgpr 46
		.amdhsa_named_barrier_count 0
		.amdhsa_reserve_vcc 1
		.amdhsa_float_round_mode_32 0
		.amdhsa_float_round_mode_16_64 0
		.amdhsa_float_denorm_mode_32 3
		.amdhsa_float_denorm_mode_16_64 3
		.amdhsa_fp16_overflow 0
		.amdhsa_memory_ordered 1
		.amdhsa_forward_progress 1
		.amdhsa_inst_pref_size 40
		.amdhsa_round_robin_scheduling 0
		.amdhsa_exception_fp_ieee_invalid_op 0
		.amdhsa_exception_fp_denorm_src 0
		.amdhsa_exception_fp_ieee_div_zero 0
		.amdhsa_exception_fp_ieee_overflow 0
		.amdhsa_exception_fp_ieee_underflow 0
		.amdhsa_exception_fp_ieee_inexact 0
		.amdhsa_exception_int_div_zero 0
	.end_amdhsa_kernel
	.section	.text._ZL36rocblas_gemvt_double_buffered_kernelILb1ELi128ELi8ELi8EPKffKPfEviiT4_lPKT3_lilS7_lilPT5_lili,"axG",@progbits,_ZL36rocblas_gemvt_double_buffered_kernelILb1ELi128ELi8ELi8EPKffKPfEviiT4_lPKT3_lilS7_lilPT5_lili,comdat
.Lfunc_end233:
	.size	_ZL36rocblas_gemvt_double_buffered_kernelILb1ELi128ELi8ELi8EPKffKPfEviiT4_lPKT3_lilS7_lilPT5_lili, .Lfunc_end233-_ZL36rocblas_gemvt_double_buffered_kernelILb1ELi128ELi8ELi8EPKffKPfEviiT4_lPKT3_lilS7_lilPT5_lili
                                        ; -- End function
	.set _ZL36rocblas_gemvt_double_buffered_kernelILb1ELi128ELi8ELi8EPKffKPfEviiT4_lPKT3_lilS7_lilPT5_lili.num_vgpr, 128
	.set _ZL36rocblas_gemvt_double_buffered_kernelILb1ELi128ELi8ELi8EPKffKPfEviiT4_lPKT3_lilS7_lilPT5_lili.num_agpr, 0
	.set _ZL36rocblas_gemvt_double_buffered_kernelILb1ELi128ELi8ELi8EPKffKPfEviiT4_lPKT3_lilS7_lilPT5_lili.numbered_sgpr, 46
	.set _ZL36rocblas_gemvt_double_buffered_kernelILb1ELi128ELi8ELi8EPKffKPfEviiT4_lPKT3_lilS7_lilPT5_lili.num_named_barrier, 0
	.set _ZL36rocblas_gemvt_double_buffered_kernelILb1ELi128ELi8ELi8EPKffKPfEviiT4_lPKT3_lilS7_lilPT5_lili.private_seg_size, 80
	.set _ZL36rocblas_gemvt_double_buffered_kernelILb1ELi128ELi8ELi8EPKffKPfEviiT4_lPKT3_lilS7_lilPT5_lili.uses_vcc, 1
	.set _ZL36rocblas_gemvt_double_buffered_kernelILb1ELi128ELi8ELi8EPKffKPfEviiT4_lPKT3_lilS7_lilPT5_lili.uses_flat_scratch, 1
	.set _ZL36rocblas_gemvt_double_buffered_kernelILb1ELi128ELi8ELi8EPKffKPfEviiT4_lPKT3_lilS7_lilPT5_lili.has_dyn_sized_stack, 0
	.set _ZL36rocblas_gemvt_double_buffered_kernelILb1ELi128ELi8ELi8EPKffKPfEviiT4_lPKT3_lilS7_lilPT5_lili.has_recursion, 0
	.set _ZL36rocblas_gemvt_double_buffered_kernelILb1ELi128ELi8ELi8EPKffKPfEviiT4_lPKT3_lilS7_lilPT5_lili.has_indirect_call, 0
	.section	.AMDGPU.csdata,"",@progbits
; Kernel info:
; codeLenInByte = 5060
; TotalNumSgprs: 48
; NumVgprs: 128
; ScratchSize: 80
; MemoryBound: 0
; FloatMode: 240
; IeeeMode: 1
; LDSByteSize: 32768 bytes/workgroup (compile time only)
; SGPRBlocks: 0
; VGPRBlocks: 7
; NumSGPRsForWavesPerEU: 48
; NumVGPRsForWavesPerEU: 128
; NamedBarCnt: 0
; Occupancy: 8
; WaveLimiterHint : 1
; COMPUTE_PGM_RSRC2:SCRATCH_EN: 1
; COMPUTE_PGM_RSRC2:USER_SGPR: 2
; COMPUTE_PGM_RSRC2:TRAP_HANDLER: 0
; COMPUTE_PGM_RSRC2:TGID_X_EN: 1
; COMPUTE_PGM_RSRC2:TGID_Y_EN: 1
; COMPUTE_PGM_RSRC2:TGID_Z_EN: 1
; COMPUTE_PGM_RSRC2:TIDIG_COMP_CNT: 1
	.section	.text._ZL20rocblas_gemvt_kernelILb1ELi256EPKfS1_KPfEviiT2_lPKT1_lilS7_lilS4_lPT3_lili,"axG",@progbits,_ZL20rocblas_gemvt_kernelILb1ELi256EPKfS1_KPfEviiT2_lPKT1_lilS7_lilS4_lPT3_lili,comdat
	.globl	_ZL20rocblas_gemvt_kernelILb1ELi256EPKfS1_KPfEviiT2_lPKT1_lilS7_lilS4_lPT3_lili ; -- Begin function _ZL20rocblas_gemvt_kernelILb1ELi256EPKfS1_KPfEviiT2_lPKT1_lilS7_lilS4_lPT3_lili
	.p2align	8
	.type	_ZL20rocblas_gemvt_kernelILb1ELi256EPKfS1_KPfEviiT2_lPKT1_lilS7_lilS4_lPT3_lili,@function
_ZL20rocblas_gemvt_kernelILb1ELi256EPKfS1_KPfEviiT2_lPKT1_lilS7_lilS4_lPT3_lili: ; @_ZL20rocblas_gemvt_kernelILb1ELi256EPKfS1_KPfEviiT2_lPKT1_lilS7_lilS4_lPT3_lili
; %bb.0:
	s_load_b32 s11, s[0:1], 0x88
	s_bfe_u32 s2, ttmp6, 0x40014
	s_lshr_b32 s3, ttmp7, 16
	s_add_co_i32 s2, s2, 1
	s_bfe_u32 s5, ttmp6, 0x40008
	s_mul_i32 s4, s3, s2
	s_getreg_b32 s2, hwreg(HW_REG_IB_STS2, 6, 4)
	s_add_co_i32 s5, s5, s4
	s_cmp_eq_u32 s2, 0
	s_mov_b32 s35, 0
	s_cselect_b32 s34, s3, s5
	s_wait_kmcnt 0x0
	s_cmp_ge_u32 s34, s11
	s_cbranch_scc1 .LBB234_45
; %bb.1:
	s_clause 0x3
	s_load_b32 s4, s[0:1], 0x28
	s_load_b32 s40, s[0:1], 0x48
	;; [unrolled: 1-line block ×4, first 2 shown]
	s_bfe_u32 s3, ttmp6, 0x4000c
	s_and_b32 s5, ttmp6, 15
	s_add_co_i32 s3, s3, 1
	s_load_b128 s[28:31], s[0:1], 0x38
	s_mul_i32 s3, ttmp9, s3
	s_clause 0x1
	s_load_b256 s[12:19], s[0:1], 0x8
	s_load_b256 s[20:27], s[0:1], 0x58
	s_add_co_i32 s3, s5, s3
	s_wait_xcnt 0x0
	v_cmp_eq_u32_e64 s0, 0, v0
	v_lshlrev_b32_e32 v16, 2, v0
	s_wait_kmcnt 0x0
	s_ashr_i32 s5, s4, 31
	s_ashr_i32 s41, s40, 31
	;; [unrolled: 1-line block ×3, first 2 shown]
	s_cmp_eq_u32 s2, 0
	v_cmp_gt_i32_e32 vcc_lo, s8, v0
	s_cselect_b32 s2, ttmp9, s3
	s_ashr_i32 s3, s8, 31
	s_delay_alu instid0(SALU_CYCLE_1) | instskip(SKIP_2) | instid1(SALU_CYCLE_1)
	s_lshr_b32 s3, s3, 24
	v_cndmask_b32_e32 v8, 0, v0, vcc_lo
	s_add_co_i32 s3, s8, s3
	s_and_b32 s36, s3, 0xffffff00
	s_delay_alu instid0(SALU_CYCLE_1) | instskip(SKIP_3) | instid1(VALU_DEP_1)
	v_dual_mov_b32 v1, 0 :: v_dual_bitop2_b32 v4, s36, v0 bitop3:0x54
	s_ashr_i32 s3, s2, 31
	s_cmp_gt_i32 s8, 0xff
	s_mul_u64 s[42:43], s[6:7], s[2:3]
	v_mul_u64_e32 v[6:7], s[40:41], v[0:1]
	v_ashrrev_i32_e32 v5, 31, v4
	v_cmp_gt_i32_e64 s1, s8, v4
	s_mul_u64 s[38:39], s[4:5], s[2:3]
	v_cmp_gt_u32_e64 s2, 0x80, v0
	v_cmp_gt_u32_e64 s3, 64, v0
	v_mul_u64_e32 v[2:3], s[40:41], v[4:5]
	v_cmp_gt_u32_e64 s4, 32, v0
	v_cmp_gt_u32_e64 s5, 16, v0
	;; [unrolled: 1-line block ×5, first 2 shown]
	v_lshlrev_b32_e32 v0, 2, v8
	s_cselect_b32 s33, -1, 0
	s_ashr_i32 s37, s36, 31
	s_lshl_b64 s[40:41], s[40:41], 10
	s_lshl_b64 s[18:19], s[18:19], 2
	;; [unrolled: 1-line block ×5, first 2 shown]
	v_lshlrev_b64_e32 v[4:5], 2, v[6:7]
	s_branch .LBB234_4
.LBB234_2:                              ;   in Loop: Header=BB234_4 Depth=1
	s_wait_xcnt 0x0
	s_or_b32 exec_lo, exec_lo, s10
.LBB234_3:                              ;   in Loop: Header=BB234_4 Depth=1
	s_add_co_i32 s34, s34, 0x10000
	s_delay_alu instid0(SALU_CYCLE_1)
	s_cmp_lt_u32 s34, s11
	s_cbranch_scc0 .LBB234_45
.LBB234_4:                              ; =>This Loop Header: Depth=1
                                        ;     Child Loop BB234_19 Depth 2
	s_mul_u64 s[44:45], s[14:15], s[34:35]
	s_wait_xcnt 0x0
	s_mul_u64 s[46:47], s[22:23], s[34:35]
	s_lshl_b64 s[44:45], s[44:45], 2
	s_lshl_b64 s[46:47], s[46:47], 2
	s_add_nc_u64 s[44:45], s[12:13], s[44:45]
	s_add_nc_u64 s[46:47], s[20:21], s[46:47]
	s_clause 0x1
	global_load_b32 v17, v1, s[44:45]
	global_load_b32 v6, v1, s[46:47]
	s_wait_loadcnt 0x1
	v_cmp_eq_f32_e64 s9, 0, v17
	s_wait_loadcnt 0x0
	v_cmp_eq_f32_e32 vcc_lo, 1.0, v6
	s_wait_xcnt 0x1
	v_readfirstlane_b32 s44, v6
	s_and_b32 s10, s9, vcc_lo
	s_delay_alu instid0(SALU_CYCLE_1)
	s_and_b32 vcc_lo, exec_lo, s10
	s_cbranch_vccnz .LBB234_3
; %bb.5:                                ;   in Loop: Header=BB234_4 Depth=1
	v_mov_b64_e32 v[8:9], 0
	v_mov_b64_e32 v[10:11], 0
	v_cmp_neq_f32_e64 s10, 0, v17
	s_and_b32 vcc_lo, exec_lo, s9
	s_cbranch_vccnz .LBB234_7
; %bb.6:                                ;   in Loop: Header=BB234_4 Depth=1
	s_wait_xcnt 0x0
	s_lshl_b64 s[46:47], s[34:35], 3
	s_delay_alu instid0(SALU_CYCLE_1)
	s_add_nc_u64 s[46:47], s[16:17], s[46:47]
	global_load_b64 v[6:7], v1, s[46:47]
	s_wait_loadcnt 0x0
	v_add_nc_u64_e32 v[10:11], s[18:19], v[6:7]
.LBB234_7:                              ;   in Loop: Header=BB234_4 Depth=1
	s_and_not1_b32 vcc_lo, exec_lo, s10
	s_cbranch_vccnz .LBB234_9
; %bb.8:                                ;   in Loop: Header=BB234_4 Depth=1
	s_wait_xcnt 0x0
	s_lshl_b64 s[46:47], s[34:35], 3
	s_delay_alu instid0(SALU_CYCLE_1)
	s_add_nc_u64 s[46:47], s[28:29], s[46:47]
	global_load_b64 v[6:7], v1, s[46:47]
	s_wait_loadcnt 0x0
	v_add_nc_u64_e32 v[8:9], s[30:31], v[6:7]
.LBB234_9:                              ;   in Loop: Header=BB234_4 Depth=1
	s_wait_xcnt 0x0
	s_lshl_b64 s[46:47], s[34:35], 3
	s_and_not1_b32 vcc_lo, exec_lo, s9
	s_add_nc_u64 s[46:47], s[24:25], s[46:47]
	global_load_b64 v[6:7], v1, s[46:47]
	s_wait_loadcnt 0x0
	v_add_nc_u64_e32 v[6:7], s[26:27], v[6:7]
	s_cbranch_vccnz .LBB234_13
; %bb.10:                               ;   in Loop: Header=BB234_4 Depth=1
	s_mov_b32 s10, 0
	s_mov_b32 s9, 0
                                        ; implicit-def: $vgpr12
	s_wait_xcnt 0x0
	s_and_saveexec_b32 s45, s0
	s_cbranch_execz .LBB234_14
; %bb.11:                               ;   in Loop: Header=BB234_4 Depth=1
	s_cmp_eq_f32 s44, 0
	s_cbranch_scc1 .LBB234_15
; %bb.12:                               ;   in Loop: Header=BB234_4 Depth=1
	v_add_nc_u64_e32 v[12:13], s[42:43], v[6:7]
	flat_load_b32 v12, v[12:13]
	s_wait_loadcnt_dscnt 0x0
	s_wait_xcnt 0x0
	v_mul_f32_e32 v12, s44, v12
	s_branch .LBB234_16
.LBB234_13:                             ;   in Loop: Header=BB234_4 Depth=1
	s_mov_b32 s9, 0
                                        ; implicit-def: $vgpr12
	s_cbranch_execnz .LBB234_17
	s_branch .LBB234_43
.LBB234_14:                             ;   in Loop: Header=BB234_4 Depth=1
	s_or_b32 exec_lo, exec_lo, s45
	s_delay_alu instid0(SALU_CYCLE_1)
	s_and_b32 vcc_lo, exec_lo, s10
	s_cbranch_vccnz .LBB234_17
	s_branch .LBB234_43
.LBB234_15:                             ;   in Loop: Header=BB234_4 Depth=1
	v_mov_b32_e32 v12, 0
.LBB234_16:                             ;   in Loop: Header=BB234_4 Depth=1
	s_mov_b32 s9, exec_lo
	s_or_b32 exec_lo, exec_lo, s45
	s_delay_alu instid0(SALU_CYCLE_1)
	s_and_b32 vcc_lo, exec_lo, s10
	s_cbranch_vccz .LBB234_43
.LBB234_17:                             ;   in Loop: Header=BB234_4 Depth=1
	v_add_nc_u64_e32 v[10:11], v[10:11], v[0:1]
	v_mov_b32_e32 v18, 0
	s_and_not1_b32 vcc_lo, exec_lo, s33
	s_delay_alu instid0(VALU_DEP_2)
	v_lshl_add_u64 v[10:11], s[38:39], 2, v[10:11]
	s_cbranch_vccnz .LBB234_20
; %bb.18:                               ;   in Loop: Header=BB234_4 Depth=1
	v_add_nc_u64_e32 v[12:13], v[8:9], v[4:5]
	s_delay_alu instid0(VALU_DEP_2)
	v_mov_b64_e32 v[14:15], v[10:11]
	v_mov_b32_e32 v18, 0
	s_mov_b32 s10, 0
.LBB234_19:                             ;   Parent Loop BB234_4 Depth=1
                                        ; =>  This Inner Loop Header: Depth=2
	flat_load_b32 v19, v[14:15]
	flat_load_b32 v20, v[12:13]
	s_wait_xcnt 0x0
	v_add_nc_u64_e32 v[12:13], s[40:41], v[12:13]
	v_add_nc_u64_e32 v[14:15], 0x400, v[14:15]
	s_addk_co_i32 s10, 0x100
	s_delay_alu instid0(SALU_CYCLE_1)
	s_cmp_ge_i32 s10, s36
	s_wait_loadcnt_dscnt 0x0
	v_fmac_f32_e32 v18, v19, v20
	s_cbranch_scc0 .LBB234_19
.LBB234_20:                             ;   in Loop: Header=BB234_4 Depth=1
	s_wait_xcnt 0x0
	s_and_saveexec_b32 s10, s1
	s_cbranch_execz .LBB234_22
; %bb.21:                               ;   in Loop: Header=BB234_4 Depth=1
	v_lshl_add_u64 v[10:11], s[36:37], 2, v[10:11]
	v_lshl_add_u64 v[8:9], v[2:3], 2, v[8:9]
	flat_load_b32 v12, v[10:11]
	flat_load_b32 v13, v[8:9]
	s_wait_loadcnt_dscnt 0x0
	v_fmac_f32_e32 v18, v12, v13
.LBB234_22:                             ;   in Loop: Header=BB234_4 Depth=1
	s_wait_xcnt 0x0
	s_or_b32 exec_lo, exec_lo, s10
	ds_store_b32 v16, v18
	s_wait_dscnt 0x0
	s_barrier_signal -1
	s_barrier_wait -1
	s_and_saveexec_b32 s10, s2
	s_cbranch_execz .LBB234_24
; %bb.23:                               ;   in Loop: Header=BB234_4 Depth=1
	ds_load_2addr_stride64_b32 v[8:9], v16 offset1:2
	s_wait_dscnt 0x0
	v_add_f32_e32 v8, v9, v8
	ds_store_b32 v16, v8
.LBB234_24:                             ;   in Loop: Header=BB234_4 Depth=1
	s_or_b32 exec_lo, exec_lo, s10
	s_wait_dscnt 0x0
	s_barrier_signal -1
	s_barrier_wait -1
	s_and_saveexec_b32 s10, s3
	s_cbranch_execz .LBB234_26
; %bb.25:                               ;   in Loop: Header=BB234_4 Depth=1
	ds_load_2addr_stride64_b32 v[8:9], v16 offset1:1
	s_wait_dscnt 0x0
	v_add_f32_e32 v8, v9, v8
	ds_store_b32 v16, v8
.LBB234_26:                             ;   in Loop: Header=BB234_4 Depth=1
	s_or_b32 exec_lo, exec_lo, s10
	s_wait_dscnt 0x0
	s_barrier_signal -1
	s_barrier_wait -1
	s_and_saveexec_b32 s10, s4
	s_cbranch_execz .LBB234_28
; %bb.27:                               ;   in Loop: Header=BB234_4 Depth=1
	ds_load_2addr_b32 v[8:9], v16 offset1:32
	s_wait_dscnt 0x0
	v_add_f32_e32 v8, v9, v8
	ds_store_b32 v16, v8
.LBB234_28:                             ;   in Loop: Header=BB234_4 Depth=1
	s_or_b32 exec_lo, exec_lo, s10
	s_wait_dscnt 0x0
	s_barrier_signal -1
	s_barrier_wait -1
	s_and_saveexec_b32 s10, s5
	s_cbranch_execz .LBB234_30
; %bb.29:                               ;   in Loop: Header=BB234_4 Depth=1
	ds_load_2addr_b32 v[8:9], v16 offset1:16
	s_wait_dscnt 0x0
	v_add_f32_e32 v8, v9, v8
	ds_store_b32 v16, v8
.LBB234_30:                             ;   in Loop: Header=BB234_4 Depth=1
	;; [unrolled: 12-line block ×5, first 2 shown]
	s_or_b32 exec_lo, exec_lo, s10
	s_wait_dscnt 0x0
	s_barrier_signal -1
	s_barrier_wait -1
	s_and_saveexec_b32 s10, s0
	s_cbranch_execz .LBB234_38
; %bb.37:                               ;   in Loop: Header=BB234_4 Depth=1
	ds_load_b64 v[8:9], v1
	s_wait_dscnt 0x0
	v_add_f32_e32 v8, v9, v8
	ds_store_b32 v1, v8
.LBB234_38:                             ;   in Loop: Header=BB234_4 Depth=1
	s_or_b32 exec_lo, exec_lo, s10
	s_wait_dscnt 0x0
	s_barrier_signal -1
	s_barrier_wait -1
                                        ; implicit-def: $vgpr12
	s_and_saveexec_b32 s10, s0
	s_cbranch_execz .LBB234_42
; %bb.39:                               ;   in Loop: Header=BB234_4 Depth=1
	ds_load_b32 v8, v1
	s_cmp_eq_f32 s44, 0
	s_wait_dscnt 0x0
	v_mul_f32_e32 v12, v17, v8
	s_cbranch_scc1 .LBB234_41
; %bb.40:                               ;   in Loop: Header=BB234_4 Depth=1
	v_add_nc_u64_e32 v[8:9], s[42:43], v[6:7]
	flat_load_b32 v8, v[8:9]
	s_wait_loadcnt_dscnt 0x0
	v_fmac_f32_e32 v12, s44, v8
.LBB234_41:                             ;   in Loop: Header=BB234_4 Depth=1
	s_or_b32 s9, s9, exec_lo
.LBB234_42:                             ;   in Loop: Header=BB234_4 Depth=1
	s_wait_xcnt 0x0
	s_or_b32 exec_lo, exec_lo, s10
.LBB234_43:                             ;   in Loop: Header=BB234_4 Depth=1
	s_wait_xcnt 0x0
	s_and_saveexec_b32 s10, s9
	s_cbranch_execz .LBB234_2
; %bb.44:                               ;   in Loop: Header=BB234_4 Depth=1
	v_add_nc_u64_e32 v[6:7], s[42:43], v[6:7]
	flat_store_b32 v[6:7], v12
	s_branch .LBB234_2
.LBB234_45:
	s_endpgm
	.section	.rodata,"a",@progbits
	.p2align	6, 0x0
	.amdhsa_kernel _ZL20rocblas_gemvt_kernelILb1ELi256EPKfS1_KPfEviiT2_lPKT1_lilS7_lilS4_lPT3_lili
		.amdhsa_group_segment_fixed_size 1024
		.amdhsa_private_segment_fixed_size 0
		.amdhsa_kernarg_size 140
		.amdhsa_user_sgpr_count 2
		.amdhsa_user_sgpr_dispatch_ptr 0
		.amdhsa_user_sgpr_queue_ptr 0
		.amdhsa_user_sgpr_kernarg_segment_ptr 1
		.amdhsa_user_sgpr_dispatch_id 0
		.amdhsa_user_sgpr_kernarg_preload_length 0
		.amdhsa_user_sgpr_kernarg_preload_offset 0
		.amdhsa_user_sgpr_private_segment_size 0
		.amdhsa_wavefront_size32 1
		.amdhsa_uses_dynamic_stack 0
		.amdhsa_enable_private_segment 0
		.amdhsa_system_sgpr_workgroup_id_x 1
		.amdhsa_system_sgpr_workgroup_id_y 0
		.amdhsa_system_sgpr_workgroup_id_z 1
		.amdhsa_system_sgpr_workgroup_info 0
		.amdhsa_system_vgpr_workitem_id 0
		.amdhsa_next_free_vgpr 21
		.amdhsa_next_free_sgpr 48
		.amdhsa_named_barrier_count 0
		.amdhsa_reserve_vcc 1
		.amdhsa_float_round_mode_32 0
		.amdhsa_float_round_mode_16_64 0
		.amdhsa_float_denorm_mode_32 3
		.amdhsa_float_denorm_mode_16_64 3
		.amdhsa_fp16_overflow 0
		.amdhsa_memory_ordered 1
		.amdhsa_forward_progress 1
		.amdhsa_inst_pref_size 12
		.amdhsa_round_robin_scheduling 0
		.amdhsa_exception_fp_ieee_invalid_op 0
		.amdhsa_exception_fp_denorm_src 0
		.amdhsa_exception_fp_ieee_div_zero 0
		.amdhsa_exception_fp_ieee_overflow 0
		.amdhsa_exception_fp_ieee_underflow 0
		.amdhsa_exception_fp_ieee_inexact 0
		.amdhsa_exception_int_div_zero 0
	.end_amdhsa_kernel
	.section	.text._ZL20rocblas_gemvt_kernelILb1ELi256EPKfS1_KPfEviiT2_lPKT1_lilS7_lilS4_lPT3_lili,"axG",@progbits,_ZL20rocblas_gemvt_kernelILb1ELi256EPKfS1_KPfEviiT2_lPKT1_lilS7_lilS4_lPT3_lili,comdat
.Lfunc_end234:
	.size	_ZL20rocblas_gemvt_kernelILb1ELi256EPKfS1_KPfEviiT2_lPKT1_lilS7_lilS4_lPT3_lili, .Lfunc_end234-_ZL20rocblas_gemvt_kernelILb1ELi256EPKfS1_KPfEviiT2_lPKT1_lilS7_lilS4_lPT3_lili
                                        ; -- End function
	.set _ZL20rocblas_gemvt_kernelILb1ELi256EPKfS1_KPfEviiT2_lPKT1_lilS7_lilS4_lPT3_lili.num_vgpr, 21
	.set _ZL20rocblas_gemvt_kernelILb1ELi256EPKfS1_KPfEviiT2_lPKT1_lilS7_lilS4_lPT3_lili.num_agpr, 0
	.set _ZL20rocblas_gemvt_kernelILb1ELi256EPKfS1_KPfEviiT2_lPKT1_lilS7_lilS4_lPT3_lili.numbered_sgpr, 48
	.set _ZL20rocblas_gemvt_kernelILb1ELi256EPKfS1_KPfEviiT2_lPKT1_lilS7_lilS4_lPT3_lili.num_named_barrier, 0
	.set _ZL20rocblas_gemvt_kernelILb1ELi256EPKfS1_KPfEviiT2_lPKT1_lilS7_lilS4_lPT3_lili.private_seg_size, 0
	.set _ZL20rocblas_gemvt_kernelILb1ELi256EPKfS1_KPfEviiT2_lPKT1_lilS7_lilS4_lPT3_lili.uses_vcc, 1
	.set _ZL20rocblas_gemvt_kernelILb1ELi256EPKfS1_KPfEviiT2_lPKT1_lilS7_lilS4_lPT3_lili.uses_flat_scratch, 0
	.set _ZL20rocblas_gemvt_kernelILb1ELi256EPKfS1_KPfEviiT2_lPKT1_lilS7_lilS4_lPT3_lili.has_dyn_sized_stack, 0
	.set _ZL20rocblas_gemvt_kernelILb1ELi256EPKfS1_KPfEviiT2_lPKT1_lilS7_lilS4_lPT3_lili.has_recursion, 0
	.set _ZL20rocblas_gemvt_kernelILb1ELi256EPKfS1_KPfEviiT2_lPKT1_lilS7_lilS4_lPT3_lili.has_indirect_call, 0
	.section	.AMDGPU.csdata,"",@progbits
; Kernel info:
; codeLenInByte = 1460
; TotalNumSgprs: 50
; NumVgprs: 21
; ScratchSize: 0
; MemoryBound: 0
; FloatMode: 240
; IeeeMode: 1
; LDSByteSize: 1024 bytes/workgroup (compile time only)
; SGPRBlocks: 0
; VGPRBlocks: 1
; NumSGPRsForWavesPerEU: 50
; NumVGPRsForWavesPerEU: 21
; NamedBarCnt: 0
; Occupancy: 16
; WaveLimiterHint : 1
; COMPUTE_PGM_RSRC2:SCRATCH_EN: 0
; COMPUTE_PGM_RSRC2:USER_SGPR: 2
; COMPUTE_PGM_RSRC2:TRAP_HANDLER: 0
; COMPUTE_PGM_RSRC2:TGID_X_EN: 1
; COMPUTE_PGM_RSRC2:TGID_Y_EN: 0
; COMPUTE_PGM_RSRC2:TGID_Z_EN: 1
; COMPUTE_PGM_RSRC2:TIDIG_COMP_CNT: 0
	.section	.text._ZL20rocblas_gemvt_kernelILb1ELi256EPKffKPfEviiT2_lPKT1_lilS7_lilS4_lPT3_lili,"axG",@progbits,_ZL20rocblas_gemvt_kernelILb1ELi256EPKffKPfEviiT2_lPKT1_lilS7_lilS4_lPT3_lili,comdat
	.globl	_ZL20rocblas_gemvt_kernelILb1ELi256EPKffKPfEviiT2_lPKT1_lilS7_lilS4_lPT3_lili ; -- Begin function _ZL20rocblas_gemvt_kernelILb1ELi256EPKffKPfEviiT2_lPKT1_lilS7_lilS4_lPT3_lili
	.p2align	8
	.type	_ZL20rocblas_gemvt_kernelILb1ELi256EPKffKPfEviiT2_lPKT1_lilS7_lilS4_lPT3_lili,@function
_ZL20rocblas_gemvt_kernelILb1ELi256EPKffKPfEviiT2_lPKT1_lilS7_lilS4_lPT3_lili: ; @_ZL20rocblas_gemvt_kernelILb1ELi256EPKffKPfEviiT2_lPKT1_lilS7_lilS4_lPT3_lili
; %bb.0:
	s_load_b32 s9, s[0:1], 0x88
	s_bfe_u32 s2, ttmp6, 0x40014
	s_lshr_b32 s3, ttmp7, 16
	s_add_co_i32 s2, s2, 1
	s_bfe_u32 s5, ttmp6, 0x40008
	s_mul_i32 s2, s3, s2
	s_getreg_b32 s4, hwreg(HW_REG_IB_STS2, 6, 4)
	s_add_co_i32 s5, s5, s2
	s_cmp_eq_u32 s4, 0
	s_mov_b32 s11, 0
	s_cselect_b32 s10, s3, s5
	s_wait_kmcnt 0x0
	s_cmp_ge_u32 s10, s9
	s_cbranch_scc1 .LBB235_47
; %bb.1:
	s_clause 0x7
	s_load_b32 s2, s[0:1], 0x28
	s_load_b32 s28, s[0:1], 0x48
	;; [unrolled: 1-line block ×5, first 2 shown]
	s_load_b128 s[12:15], s[0:1], 0x18
	s_load_b32 s8, s[0:1], 0x0
	s_load_b128 s[20:23], s[0:1], 0x68
	v_lshlrev_b32_e32 v17, 2, v0
	s_wait_kmcnt 0x0
	s_ashr_i32 s3, s2, 31
	s_ashr_i32 s29, s28, 31
	;; [unrolled: 1-line block ×3, first 2 shown]
	s_cmp_eq_f32 s33, 0
	s_cselect_b32 s35, -1, 0
	s_cmp_neq_f32 s34, 1.0
	s_cselect_b32 s5, -1, 0
	s_cmp_neq_f32 s33, 0
	s_cselect_b32 s16, -1, 0
	s_delay_alu instid0(SALU_CYCLE_1)
	s_or_b32 s36, s16, s5
	s_cmp_neq_f32 s34, 0
	v_cndmask_b32_e64 v16, 0, 1, s16
	s_cselect_b32 s37, -1, 0
	s_bfe_u32 s5, ttmp6, 0x4000c
	s_and_b32 s16, ttmp6, 15
	s_add_co_i32 s5, s5, 1
	s_delay_alu instid0(SALU_CYCLE_1) | instskip(NEXT) | instid1(SALU_CYCLE_1)
	s_mul_i32 s5, ttmp9, s5
	s_add_co_i32 s16, s16, s5
	s_cmp_eq_u32 s4, 0
	s_cselect_b32 s4, ttmp9, s16
	s_load_b128 s[16:19], s[0:1], 0x38
	s_ashr_i32 s5, s8, 31
	v_cmp_gt_i32_e32 vcc_lo, s8, v0
	s_lshr_b32 s5, s5, 24
	s_wait_xcnt 0x0
	v_cmp_eq_u32_e64 s0, 0, v0
	s_add_co_i32 s5, s8, s5
	s_delay_alu instid0(SALU_CYCLE_1) | instskip(NEXT) | instid1(SALU_CYCLE_1)
	s_and_b32 s24, s5, 0xffffff00
	v_dual_mov_b32 v1, 0 :: v_dual_bitop2_b32 v6, s24, v0 bitop3:0x54
	v_cndmask_b32_e32 v8, 0, v0, vcc_lo
	s_ashr_i32 s5, s4, 31
	s_cmp_gt_i32 s8, 0xff
	s_delay_alu instid0(VALU_DEP_2)
	v_mul_u64_e32 v[4:5], s[28:29], v[0:1]
	v_ashrrev_i32_e32 v7, 31, v6
	s_mul_u64 s[30:31], s[6:7], s[4:5]
	s_mul_u64 s[26:27], s[2:3], s[4:5]
	v_cmp_gt_i32_e64 s1, s8, v6
	v_cmp_gt_u32_e64 s2, 0x80, v0
	v_mul_u64_e32 v[2:3], s[28:29], v[6:7]
	v_cmp_gt_u32_e64 s3, 64, v0
	v_cmp_gt_u32_e64 s4, 32, v0
	;; [unrolled: 1-line block ×6, first 2 shown]
	v_lshlrev_b32_e32 v0, 2, v8
	s_cselect_b32 s38, -1, 0
	s_ashr_i32 s25, s24, 31
	s_lshl_b64 s[28:29], s[28:29], 10
	s_lshl_b64 s[14:15], s[14:15], 2
	s_wait_kmcnt 0x0
	s_lshl_b64 s[18:19], s[18:19], 2
	s_lshl_b64 s[22:23], s[22:23], 2
	s_lshl_b64 s[30:31], s[30:31], 2
	v_lshlrev_b64_e32 v[4:5], 2, v[4:5]
	s_branch .LBB235_4
.LBB235_2:                              ;   in Loop: Header=BB235_4 Depth=1
	s_wait_xcnt 0x0
	s_or_b32 exec_lo, exec_lo, s40
.LBB235_3:                              ;   in Loop: Header=BB235_4 Depth=1
	s_add_co_i32 s10, s10, 0x10000
	s_delay_alu instid0(SALU_CYCLE_1)
	s_cmp_lt_u32 s10, s9
	s_cbranch_scc0 .LBB235_47
.LBB235_4:                              ; =>This Loop Header: Depth=1
                                        ;     Child Loop BB235_21 Depth 2
	s_and_not1_b32 vcc_lo, exec_lo, s36
	s_cbranch_vccnz .LBB235_3
; %bb.5:                                ;   in Loop: Header=BB235_4 Depth=1
	s_and_not1_b32 vcc_lo, exec_lo, s35
	s_cbranch_vccnz .LBB235_7
; %bb.6:                                ;   in Loop: Header=BB235_4 Depth=1
	v_mov_b64_e32 v[8:9], 0
	v_mov_b64_e32 v[10:11], 0
	s_cbranch_execz .LBB235_8
	s_branch .LBB235_9
.LBB235_7:                              ;   in Loop: Header=BB235_4 Depth=1
	v_mov_b64_e32 v[8:9], 0
	v_mov_b64_e32 v[10:11], 0
.LBB235_8:                              ;   in Loop: Header=BB235_4 Depth=1
	s_lshl_b64 s[40:41], s[10:11], 3
	s_delay_alu instid0(SALU_CYCLE_1)
	s_add_nc_u64 s[40:41], s[12:13], s[40:41]
	global_load_b64 v[6:7], v1, s[40:41]
	s_wait_loadcnt 0x0
	v_add_nc_u64_e32 v[10:11], s[14:15], v[6:7]
.LBB235_9:                              ;   in Loop: Header=BB235_4 Depth=1
	v_cmp_ne_u32_e32 vcc_lo, 1, v16
	s_cbranch_vccnz .LBB235_11
; %bb.10:                               ;   in Loop: Header=BB235_4 Depth=1
	s_wait_xcnt 0x0
	s_lshl_b64 s[40:41], s[10:11], 3
	s_delay_alu instid0(SALU_CYCLE_1)
	s_add_nc_u64 s[40:41], s[16:17], s[40:41]
	global_load_b64 v[6:7], v1, s[40:41]
	s_wait_loadcnt 0x0
	v_add_nc_u64_e32 v[8:9], s[18:19], v[6:7]
.LBB235_11:                             ;   in Loop: Header=BB235_4 Depth=1
	s_wait_xcnt 0x0
	s_lshl_b64 s[40:41], s[10:11], 3
	s_and_not1_b32 vcc_lo, exec_lo, s35
	s_add_nc_u64 s[40:41], s[20:21], s[40:41]
	global_load_b64 v[6:7], v1, s[40:41]
	s_wait_loadcnt 0x0
	v_add_nc_u64_e32 v[6:7], s[22:23], v[6:7]
	s_cbranch_vccnz .LBB235_15
; %bb.12:                               ;   in Loop: Header=BB235_4 Depth=1
	s_wait_xcnt 0x0
	s_mov_b32 s40, 0
	s_mov_b32 s39, 0
                                        ; implicit-def: $vgpr12
	s_and_saveexec_b32 s41, s0
	s_cbranch_execz .LBB235_16
; %bb.13:                               ;   in Loop: Header=BB235_4 Depth=1
	s_and_not1_b32 vcc_lo, exec_lo, s37
	s_cbranch_vccnz .LBB235_17
; %bb.14:                               ;   in Loop: Header=BB235_4 Depth=1
	v_add_nc_u64_e32 v[12:13], s[30:31], v[6:7]
	flat_load_b32 v12, v[12:13]
	s_wait_loadcnt_dscnt 0x0
	s_wait_xcnt 0x0
	v_mul_f32_e32 v12, s34, v12
	s_branch .LBB235_18
.LBB235_15:                             ;   in Loop: Header=BB235_4 Depth=1
	s_wait_xcnt 0x0
	s_mov_b32 s39, 0
                                        ; implicit-def: $vgpr12
	s_cbranch_execnz .LBB235_19
	s_branch .LBB235_45
.LBB235_16:                             ;   in Loop: Header=BB235_4 Depth=1
	s_or_b32 exec_lo, exec_lo, s41
	s_delay_alu instid0(SALU_CYCLE_1)
	s_and_b32 vcc_lo, exec_lo, s40
	s_cbranch_vccnz .LBB235_19
	s_branch .LBB235_45
.LBB235_17:                             ;   in Loop: Header=BB235_4 Depth=1
	v_mov_b32_e32 v12, 0
.LBB235_18:                             ;   in Loop: Header=BB235_4 Depth=1
	s_mov_b32 s39, exec_lo
	s_or_b32 exec_lo, exec_lo, s41
	s_delay_alu instid0(SALU_CYCLE_1)
	s_and_b32 vcc_lo, exec_lo, s40
	s_cbranch_vccz .LBB235_45
.LBB235_19:                             ;   in Loop: Header=BB235_4 Depth=1
	v_add_nc_u64_e32 v[10:11], v[10:11], v[0:1]
	v_mov_b32_e32 v18, 0
	s_and_not1_b32 vcc_lo, exec_lo, s38
	s_delay_alu instid0(VALU_DEP_2)
	v_lshl_add_u64 v[10:11], s[26:27], 2, v[10:11]
	s_cbranch_vccnz .LBB235_22
; %bb.20:                               ;   in Loop: Header=BB235_4 Depth=1
	v_add_nc_u64_e32 v[12:13], v[8:9], v[4:5]
	s_delay_alu instid0(VALU_DEP_2)
	v_mov_b64_e32 v[14:15], v[10:11]
	v_mov_b32_e32 v18, 0
	s_mov_b32 s40, 0
.LBB235_21:                             ;   Parent Loop BB235_4 Depth=1
                                        ; =>  This Inner Loop Header: Depth=2
	flat_load_b32 v19, v[14:15]
	flat_load_b32 v20, v[12:13]
	s_wait_xcnt 0x0
	v_add_nc_u64_e32 v[12:13], s[28:29], v[12:13]
	v_add_nc_u64_e32 v[14:15], 0x400, v[14:15]
	s_addk_co_i32 s40, 0x100
	s_delay_alu instid0(SALU_CYCLE_1)
	s_cmp_ge_i32 s40, s24
	s_wait_loadcnt_dscnt 0x0
	v_fmac_f32_e32 v18, v19, v20
	s_cbranch_scc0 .LBB235_21
.LBB235_22:                             ;   in Loop: Header=BB235_4 Depth=1
	s_and_saveexec_b32 s40, s1
	s_cbranch_execz .LBB235_24
; %bb.23:                               ;   in Loop: Header=BB235_4 Depth=1
	s_delay_alu instid0(VALU_DEP_1)
	v_lshl_add_u64 v[10:11], s[24:25], 2, v[10:11]
	v_lshl_add_u64 v[8:9], v[2:3], 2, v[8:9]
	flat_load_b32 v12, v[10:11]
	flat_load_b32 v13, v[8:9]
	s_wait_loadcnt_dscnt 0x0
	v_fmac_f32_e32 v18, v12, v13
.LBB235_24:                             ;   in Loop: Header=BB235_4 Depth=1
	s_wait_xcnt 0x0
	s_or_b32 exec_lo, exec_lo, s40
	ds_store_b32 v17, v18
	s_wait_dscnt 0x0
	s_barrier_signal -1
	s_barrier_wait -1
	s_and_saveexec_b32 s40, s2
	s_cbranch_execz .LBB235_26
; %bb.25:                               ;   in Loop: Header=BB235_4 Depth=1
	ds_load_2addr_stride64_b32 v[8:9], v17 offset1:2
	s_wait_dscnt 0x0
	v_add_f32_e32 v8, v9, v8
	ds_store_b32 v17, v8
.LBB235_26:                             ;   in Loop: Header=BB235_4 Depth=1
	s_or_b32 exec_lo, exec_lo, s40
	s_wait_dscnt 0x0
	s_barrier_signal -1
	s_barrier_wait -1
	s_and_saveexec_b32 s40, s3
	s_cbranch_execz .LBB235_28
; %bb.27:                               ;   in Loop: Header=BB235_4 Depth=1
	ds_load_2addr_stride64_b32 v[8:9], v17 offset1:1
	s_wait_dscnt 0x0
	v_add_f32_e32 v8, v9, v8
	ds_store_b32 v17, v8
.LBB235_28:                             ;   in Loop: Header=BB235_4 Depth=1
	s_or_b32 exec_lo, exec_lo, s40
	s_wait_dscnt 0x0
	s_barrier_signal -1
	s_barrier_wait -1
	s_and_saveexec_b32 s40, s4
	s_cbranch_execz .LBB235_30
; %bb.29:                               ;   in Loop: Header=BB235_4 Depth=1
	ds_load_2addr_b32 v[8:9], v17 offset1:32
	s_wait_dscnt 0x0
	v_add_f32_e32 v8, v9, v8
	ds_store_b32 v17, v8
.LBB235_30:                             ;   in Loop: Header=BB235_4 Depth=1
	s_or_b32 exec_lo, exec_lo, s40
	s_wait_dscnt 0x0
	s_barrier_signal -1
	s_barrier_wait -1
	s_and_saveexec_b32 s40, s5
	s_cbranch_execz .LBB235_32
; %bb.31:                               ;   in Loop: Header=BB235_4 Depth=1
	ds_load_2addr_b32 v[8:9], v17 offset1:16
	s_wait_dscnt 0x0
	v_add_f32_e32 v8, v9, v8
	ds_store_b32 v17, v8
.LBB235_32:                             ;   in Loop: Header=BB235_4 Depth=1
	;; [unrolled: 12-line block ×5, first 2 shown]
	s_or_b32 exec_lo, exec_lo, s40
	s_wait_dscnt 0x0
	s_barrier_signal -1
	s_barrier_wait -1
	s_and_saveexec_b32 s40, s0
	s_cbranch_execz .LBB235_40
; %bb.39:                               ;   in Loop: Header=BB235_4 Depth=1
	ds_load_b64 v[8:9], v1
	s_wait_dscnt 0x0
	v_add_f32_e32 v8, v9, v8
	ds_store_b32 v1, v8
.LBB235_40:                             ;   in Loop: Header=BB235_4 Depth=1
	s_or_b32 exec_lo, exec_lo, s40
	s_wait_dscnt 0x0
	s_barrier_signal -1
	s_barrier_wait -1
                                        ; implicit-def: $vgpr12
	s_and_saveexec_b32 s40, s0
	s_cbranch_execz .LBB235_44
; %bb.41:                               ;   in Loop: Header=BB235_4 Depth=1
	ds_load_b32 v8, v1
	s_and_not1_b32 vcc_lo, exec_lo, s37
	s_wait_dscnt 0x0
	v_mul_f32_e32 v12, s33, v8
	s_cbranch_vccnz .LBB235_43
; %bb.42:                               ;   in Loop: Header=BB235_4 Depth=1
	v_add_nc_u64_e32 v[8:9], s[30:31], v[6:7]
	flat_load_b32 v8, v[8:9]
	s_wait_loadcnt_dscnt 0x0
	v_fmac_f32_e32 v12, s34, v8
.LBB235_43:                             ;   in Loop: Header=BB235_4 Depth=1
	s_or_b32 s39, s39, exec_lo
.LBB235_44:                             ;   in Loop: Header=BB235_4 Depth=1
	s_wait_xcnt 0x0
	s_or_b32 exec_lo, exec_lo, s40
.LBB235_45:                             ;   in Loop: Header=BB235_4 Depth=1
	s_and_saveexec_b32 s40, s39
	s_cbranch_execz .LBB235_2
; %bb.46:                               ;   in Loop: Header=BB235_4 Depth=1
	v_add_nc_u64_e32 v[6:7], s[30:31], v[6:7]
	flat_store_b32 v[6:7], v12
	s_branch .LBB235_2
.LBB235_47:
	s_endpgm
	.section	.rodata,"a",@progbits
	.p2align	6, 0x0
	.amdhsa_kernel _ZL20rocblas_gemvt_kernelILb1ELi256EPKffKPfEviiT2_lPKT1_lilS7_lilS4_lPT3_lili
		.amdhsa_group_segment_fixed_size 1024
		.amdhsa_private_segment_fixed_size 0
		.amdhsa_kernarg_size 140
		.amdhsa_user_sgpr_count 2
		.amdhsa_user_sgpr_dispatch_ptr 0
		.amdhsa_user_sgpr_queue_ptr 0
		.amdhsa_user_sgpr_kernarg_segment_ptr 1
		.amdhsa_user_sgpr_dispatch_id 0
		.amdhsa_user_sgpr_kernarg_preload_length 0
		.amdhsa_user_sgpr_kernarg_preload_offset 0
		.amdhsa_user_sgpr_private_segment_size 0
		.amdhsa_wavefront_size32 1
		.amdhsa_uses_dynamic_stack 0
		.amdhsa_enable_private_segment 0
		.amdhsa_system_sgpr_workgroup_id_x 1
		.amdhsa_system_sgpr_workgroup_id_y 0
		.amdhsa_system_sgpr_workgroup_id_z 1
		.amdhsa_system_sgpr_workgroup_info 0
		.amdhsa_system_vgpr_workitem_id 0
		.amdhsa_next_free_vgpr 21
		.amdhsa_next_free_sgpr 42
		.amdhsa_named_barrier_count 0
		.amdhsa_reserve_vcc 1
		.amdhsa_float_round_mode_32 0
		.amdhsa_float_round_mode_16_64 0
		.amdhsa_float_denorm_mode_32 3
		.amdhsa_float_denorm_mode_16_64 3
		.amdhsa_fp16_overflow 0
		.amdhsa_memory_ordered 1
		.amdhsa_forward_progress 1
		.amdhsa_inst_pref_size 12
		.amdhsa_round_robin_scheduling 0
		.amdhsa_exception_fp_ieee_invalid_op 0
		.amdhsa_exception_fp_denorm_src 0
		.amdhsa_exception_fp_ieee_div_zero 0
		.amdhsa_exception_fp_ieee_overflow 0
		.amdhsa_exception_fp_ieee_underflow 0
		.amdhsa_exception_fp_ieee_inexact 0
		.amdhsa_exception_int_div_zero 0
	.end_amdhsa_kernel
	.section	.text._ZL20rocblas_gemvt_kernelILb1ELi256EPKffKPfEviiT2_lPKT1_lilS7_lilS4_lPT3_lili,"axG",@progbits,_ZL20rocblas_gemvt_kernelILb1ELi256EPKffKPfEviiT2_lPKT1_lilS7_lilS4_lPT3_lili,comdat
.Lfunc_end235:
	.size	_ZL20rocblas_gemvt_kernelILb1ELi256EPKffKPfEviiT2_lPKT1_lilS7_lilS4_lPT3_lili, .Lfunc_end235-_ZL20rocblas_gemvt_kernelILb1ELi256EPKffKPfEviiT2_lPKT1_lilS7_lilS4_lPT3_lili
                                        ; -- End function
	.set _ZL20rocblas_gemvt_kernelILb1ELi256EPKffKPfEviiT2_lPKT1_lilS7_lilS4_lPT3_lili.num_vgpr, 21
	.set _ZL20rocblas_gemvt_kernelILb1ELi256EPKffKPfEviiT2_lPKT1_lilS7_lilS4_lPT3_lili.num_agpr, 0
	.set _ZL20rocblas_gemvt_kernelILb1ELi256EPKffKPfEviiT2_lPKT1_lilS7_lilS4_lPT3_lili.numbered_sgpr, 42
	.set _ZL20rocblas_gemvt_kernelILb1ELi256EPKffKPfEviiT2_lPKT1_lilS7_lilS4_lPT3_lili.num_named_barrier, 0
	.set _ZL20rocblas_gemvt_kernelILb1ELi256EPKffKPfEviiT2_lPKT1_lilS7_lilS4_lPT3_lili.private_seg_size, 0
	.set _ZL20rocblas_gemvt_kernelILb1ELi256EPKffKPfEviiT2_lPKT1_lilS7_lilS4_lPT3_lili.uses_vcc, 1
	.set _ZL20rocblas_gemvt_kernelILb1ELi256EPKffKPfEviiT2_lPKT1_lilS7_lilS4_lPT3_lili.uses_flat_scratch, 0
	.set _ZL20rocblas_gemvt_kernelILb1ELi256EPKffKPfEviiT2_lPKT1_lilS7_lilS4_lPT3_lili.has_dyn_sized_stack, 0
	.set _ZL20rocblas_gemvt_kernelILb1ELi256EPKffKPfEviiT2_lPKT1_lilS7_lilS4_lPT3_lili.has_recursion, 0
	.set _ZL20rocblas_gemvt_kernelILb1ELi256EPKffKPfEviiT2_lPKT1_lilS7_lilS4_lPT3_lili.has_indirect_call, 0
	.section	.AMDGPU.csdata,"",@progbits
; Kernel info:
; codeLenInByte = 1440
; TotalNumSgprs: 44
; NumVgprs: 21
; ScratchSize: 0
; MemoryBound: 0
; FloatMode: 240
; IeeeMode: 1
; LDSByteSize: 1024 bytes/workgroup (compile time only)
; SGPRBlocks: 0
; VGPRBlocks: 1
; NumSGPRsForWavesPerEU: 44
; NumVGPRsForWavesPerEU: 21
; NamedBarCnt: 0
; Occupancy: 16
; WaveLimiterHint : 1
; COMPUTE_PGM_RSRC2:SCRATCH_EN: 0
; COMPUTE_PGM_RSRC2:USER_SGPR: 2
; COMPUTE_PGM_RSRC2:TRAP_HANDLER: 0
; COMPUTE_PGM_RSRC2:TGID_X_EN: 1
; COMPUTE_PGM_RSRC2:TGID_Y_EN: 0
; COMPUTE_PGM_RSRC2:TGID_Z_EN: 1
; COMPUTE_PGM_RSRC2:TIDIG_COMP_CNT: 0
	.section	.text._ZL32rocblas_gemvt_warp_reduce_kernelILb1ELi1024EiPKfS1_KPfEviiT3_lPKT2_lT1_lS7_lS8_lS4_lPT4_lS8_li,"axG",@progbits,_ZL32rocblas_gemvt_warp_reduce_kernelILb1ELi1024EiPKfS1_KPfEviiT3_lPKT2_lT1_lS7_lS8_lS4_lPT4_lS8_li,comdat
	.globl	_ZL32rocblas_gemvt_warp_reduce_kernelILb1ELi1024EiPKfS1_KPfEviiT3_lPKT2_lT1_lS7_lS8_lS4_lPT4_lS8_li ; -- Begin function _ZL32rocblas_gemvt_warp_reduce_kernelILb1ELi1024EiPKfS1_KPfEviiT3_lPKT2_lT1_lS7_lS8_lS4_lPT4_lS8_li
	.p2align	8
	.type	_ZL32rocblas_gemvt_warp_reduce_kernelILb1ELi1024EiPKfS1_KPfEviiT3_lPKT2_lT1_lS7_lS8_lS4_lPT4_lS8_li,@function
_ZL32rocblas_gemvt_warp_reduce_kernelILb1ELi1024EiPKfS1_KPfEviiT3_lPKT2_lT1_lS7_lS8_lS4_lPT4_lS8_li: ; @_ZL32rocblas_gemvt_warp_reduce_kernelILb1ELi1024EiPKfS1_KPfEviiT3_lPKT2_lT1_lS7_lS8_lS4_lPT4_lS8_li
; %bb.0:
	s_load_b32 s7, s[0:1], 0x88
	s_bfe_u32 s2, ttmp6, 0x40014
	s_lshr_b32 s3, ttmp7, 16
	s_add_co_i32 s2, s2, 1
	s_bfe_u32 s5, ttmp6, 0x40008
	s_mul_i32 s4, s3, s2
	s_getreg_b32 s2, hwreg(HW_REG_IB_STS2, 6, 4)
	s_add_co_i32 s5, s5, s4
	s_cmp_eq_u32 s2, 0
	s_mov_b32 s29, 0
	s_cselect_b32 s28, s3, s5
	s_wait_kmcnt 0x0
	s_cmp_ge_u32 s28, s7
	s_cbranch_scc1 .LBB236_38
; %bb.1:
	s_clause 0x6
	s_load_b32 s4, s[0:1], 0x0
	s_load_b256 s[8:15], s[0:1], 0x8
	s_load_b32 s3, s[0:1], 0x28
	s_load_b128 s[24:27], s[0:1], 0x38
	s_load_b32 s5, s[0:1], 0x48
	s_load_b256 s[16:23], s[0:1], 0x58
	s_load_b32 s6, s[0:1], 0x78
	s_wait_xcnt 0x0
	s_bfe_u32 s1, ttmp6, 0x4000c
	s_and_b32 s30, ttmp6, 15
	s_add_co_i32 s1, s1, 1
	v_dual_mov_b32 v3, 0 :: v_dual_bitop2_b32 v2, 31, v0 bitop3:0x40
	s_mul_i32 s1, ttmp9, s1
	v_lshrrev_b32_e32 v4, 3, v0
	s_add_co_i32 s30, s30, s1
	s_cmp_eq_u32 s2, 0
	v_lshlrev_b32_e32 v14, 2, v2
	s_cselect_b32 s31, ttmp9, s30
	v_and_b32_e32 v15, 0x7c, v4
	v_mbcnt_lo_u32_b32 v1, -1, 0
	s_wait_kmcnt 0x0
	s_ashr_i32 s2, s4, 31
	v_cmp_gt_i32_e32 vcc_lo, s4, v0
	s_lshr_b32 s2, s2, 22
	v_cmp_eq_u32_e64 s0, 0, v0
	s_add_co_i32 s2, s4, s2
	v_mul_lo_u32 v16, v0, s5
	s_and_b32 s30, s2, 0xfffffc00
	v_cmp_eq_u32_e64 s2, 0, v2
	v_dual_cndmask_b32 v2, 0, v0, vcc_lo :: v_dual_bitop2_b32 v5, s30, v0 bitop3:0x54
	s_mul_i32 s36, s6, s31
	v_cmp_gt_u32_e64 s1, 32, v0
	s_mul_i32 s34, s3, s31
	v_mul_lo_u32 v4, s5, v5
	v_lshlrev_b32_e32 v2, 2, v2
	v_cmp_gt_i32_e64 s3, s30, v0
	v_cmp_gt_i32_e64 s4, s4, v5
	v_lshl_or_b32 v17, v1, 2, 64
	s_ashr_i32 s37, s36, 31
	s_lshl_b32 s33, s5, 10
	s_lshl_b64 s[14:15], s[14:15], 2
	s_ashr_i32 s35, s34, 31
	s_ashr_i32 s31, s30, 31
	s_lshl_b64 s[26:27], s[26:27], 2
	v_ashrrev_i32_e32 v5, 31, v4
	s_lshl_b64 s[22:23], s[22:23], 2
	s_lshl_b64 s[36:37], s[36:37], 2
	s_branch .LBB236_4
.LBB236_2:                              ;   in Loop: Header=BB236_4 Depth=1
	s_wait_xcnt 0x0
	s_or_b32 exec_lo, exec_lo, s6
.LBB236_3:                              ;   in Loop: Header=BB236_4 Depth=1
	s_add_co_i32 s28, s28, 0x10000
	s_delay_alu instid0(SALU_CYCLE_1)
	s_cmp_lt_u32 s28, s7
	s_cbranch_scc0 .LBB236_38
.LBB236_4:                              ; =>This Loop Header: Depth=1
                                        ;     Child Loop BB236_27 Depth 2
	s_mul_u64 s[38:39], s[10:11], s[28:29]
	s_wait_xcnt 0x0
	s_mul_u64 s[40:41], s[18:19], s[28:29]
	s_lshl_b64 s[38:39], s[38:39], 2
	s_lshl_b64 s[40:41], s[40:41], 2
	s_add_nc_u64 s[38:39], s[8:9], s[38:39]
	s_add_nc_u64 s[40:41], s[16:17], s[40:41]
	s_clause 0x1
	global_load_b32 v18, v3, s[38:39]
	global_load_b32 v6, v3, s[40:41]
	s_wait_loadcnt 0x1
	v_cmp_eq_f32_e64 s5, 0, v18
	s_wait_loadcnt 0x0
	v_cmp_eq_f32_e32 vcc_lo, 1.0, v6
	s_wait_xcnt 0x1
	v_readfirstlane_b32 s38, v6
	s_and_b32 s6, s5, vcc_lo
	s_delay_alu instid0(SALU_CYCLE_1)
	s_and_b32 vcc_lo, exec_lo, s6
	s_cbranch_vccnz .LBB236_3
; %bb.5:                                ;   in Loop: Header=BB236_4 Depth=1
	v_mov_b64_e32 v[8:9], 0
	v_mov_b64_e32 v[10:11], 0
	v_cmp_neq_f32_e64 s6, 0, v18
	s_and_b32 vcc_lo, exec_lo, s5
	s_cbranch_vccnz .LBB236_7
; %bb.6:                                ;   in Loop: Header=BB236_4 Depth=1
	s_wait_xcnt 0x0
	s_lshl_b64 s[40:41], s[28:29], 3
	s_delay_alu instid0(SALU_CYCLE_1)
	s_add_nc_u64 s[40:41], s[12:13], s[40:41]
	global_load_b64 v[6:7], v3, s[40:41]
	s_wait_loadcnt 0x0
	v_add_nc_u64_e32 v[10:11], s[14:15], v[6:7]
.LBB236_7:                              ;   in Loop: Header=BB236_4 Depth=1
	s_and_not1_b32 vcc_lo, exec_lo, s6
	s_cbranch_vccnz .LBB236_9
; %bb.8:                                ;   in Loop: Header=BB236_4 Depth=1
	s_wait_xcnt 0x0
	s_lshl_b64 s[40:41], s[28:29], 3
	s_delay_alu instid0(SALU_CYCLE_1)
	s_add_nc_u64 s[40:41], s[24:25], s[40:41]
	global_load_b64 v[6:7], v3, s[40:41]
	s_wait_loadcnt 0x0
	v_add_nc_u64_e32 v[8:9], s[26:27], v[6:7]
.LBB236_9:                              ;   in Loop: Header=BB236_4 Depth=1
	s_wait_xcnt 0x0
	s_lshl_b64 s[40:41], s[28:29], 3
	s_and_not1_b32 vcc_lo, exec_lo, s5
	s_add_nc_u64 s[40:41], s[20:21], s[40:41]
	global_load_b64 v[6:7], v3, s[40:41]
	s_wait_loadcnt 0x0
	v_add_nc_u64_e32 v[6:7], s[22:23], v[6:7]
	s_cbranch_vccnz .LBB236_13
; %bb.10:                               ;   in Loop: Header=BB236_4 Depth=1
	s_mov_b32 s6, 0
	s_mov_b32 s5, 0
                                        ; implicit-def: $vgpr12
	s_wait_xcnt 0x0
	s_and_saveexec_b32 s39, s0
	s_cbranch_execz .LBB236_14
; %bb.11:                               ;   in Loop: Header=BB236_4 Depth=1
	s_cmp_eq_f32 s38, 0
	s_cbranch_scc1 .LBB236_15
; %bb.12:                               ;   in Loop: Header=BB236_4 Depth=1
	s_wait_dscnt 0x0
	v_add_nc_u64_e32 v[12:13], s[36:37], v[6:7]
	flat_load_b32 v12, v[12:13]
	s_wait_loadcnt_dscnt 0x0
	s_wait_xcnt 0x0
	v_mul_f32_e32 v12, s38, v12
	s_branch .LBB236_16
.LBB236_13:                             ;   in Loop: Header=BB236_4 Depth=1
	s_mov_b32 s5, 0
                                        ; implicit-def: $vgpr12
	s_cbranch_execnz .LBB236_17
	s_branch .LBB236_36
.LBB236_14:                             ;   in Loop: Header=BB236_4 Depth=1
	s_or_b32 exec_lo, exec_lo, s39
	s_delay_alu instid0(SALU_CYCLE_1)
	s_and_b32 vcc_lo, exec_lo, s6
	s_cbranch_vccnz .LBB236_17
	s_branch .LBB236_36
.LBB236_15:                             ;   in Loop: Header=BB236_4 Depth=1
	v_mov_b32_e32 v12, 0
.LBB236_16:                             ;   in Loop: Header=BB236_4 Depth=1
	s_mov_b32 s5, exec_lo
	s_or_b32 exec_lo, exec_lo, s39
	s_delay_alu instid0(SALU_CYCLE_1)
	s_and_b32 vcc_lo, exec_lo, s6
	s_cbranch_vccz .LBB236_36
.LBB236_17:                             ;   in Loop: Header=BB236_4 Depth=1
	v_add_nc_u64_e32 v[10:11], v[10:11], v[2:3]
	v_mov_b32_e32 v19, 0
	s_delay_alu instid0(VALU_DEP_2)
	v_lshl_add_u64 v[10:11], s[34:35], 2, v[10:11]
	s_wait_xcnt 0x0
	s_and_saveexec_b32 s6, s3
	s_cbranch_execnz .LBB236_26
; %bb.18:                               ;   in Loop: Header=BB236_4 Depth=1
	s_or_b32 exec_lo, exec_lo, s6
	s_and_saveexec_b32 s6, s4
	s_cbranch_execnz .LBB236_29
.LBB236_19:                             ;   in Loop: Header=BB236_4 Depth=1
	s_or_b32 exec_lo, exec_lo, s6
	s_and_saveexec_b32 s6, s1
.LBB236_20:                             ;   in Loop: Header=BB236_4 Depth=1
	ds_store_b32 v14, v3
.LBB236_21:                             ;   in Loop: Header=BB236_4 Depth=1
	s_or_b32 exec_lo, exec_lo, s6
	ds_bpermute_b32 v9, v17, v19
	v_cmp_gt_u32_e32 vcc_lo, 24, v1
	s_wait_dscnt 0x0
	s_barrier_signal -1
	s_barrier_wait -1
	v_cndmask_b32_e64 v8, 0, 8, vcc_lo
	v_cmp_gt_u32_e32 vcc_lo, 28, v1
	s_delay_alu instid0(VALU_DEP_2)
	v_add_lshl_u32 v8, v8, v1, 2
	v_add_f32_e32 v10, v19, v9
	v_cndmask_b32_e64 v9, 0, 4, vcc_lo
	v_cmp_gt_u32_e32 vcc_lo, 30, v1
	ds_bpermute_b32 v11, v8, v10
	v_add_lshl_u32 v9, v9, v1, 2
	s_wait_dscnt 0x0
	v_add_f32_e32 v11, v10, v11
	v_cndmask_b32_e64 v10, 0, 2, vcc_lo
	v_cmp_ne_u32_e32 vcc_lo, 31, v1
	ds_bpermute_b32 v12, v9, v11
	v_add_lshl_u32 v10, v10, v1, 2
	v_add_co_ci_u32_e64 v13, null, 0, v1, vcc_lo
	s_wait_dscnt 0x0
	v_add_f32_e32 v11, v11, v12
	ds_bpermute_b32 v12, v10, v11
	s_wait_dscnt 0x0
	v_dual_add_f32 v12, v11, v12 :: v_dual_lshlrev_b32 v11, 2, v13
	ds_bpermute_b32 v13, v11, v12
	s_and_saveexec_b32 s6, s2
	s_cbranch_execz .LBB236_23
; %bb.22:                               ;   in Loop: Header=BB236_4 Depth=1
	s_wait_dscnt 0x0
	v_add_f32_e32 v12, v12, v13
	ds_store_b32 v15, v12
.LBB236_23:                             ;   in Loop: Header=BB236_4 Depth=1
	s_or_b32 exec_lo, exec_lo, s6
	s_wait_dscnt 0x0
	v_mov_b32_e32 v13, 0
	s_barrier_signal -1
	s_barrier_wait -1
	s_and_saveexec_b32 s6, s1
	s_cbranch_execnz .LBB236_30
; %bb.24:                               ;   in Loop: Header=BB236_4 Depth=1
	s_or_b32 exec_lo, exec_lo, s6
	s_and_saveexec_b32 s6, s1
	s_cbranch_execnz .LBB236_31
.LBB236_25:                             ;   in Loop: Header=BB236_4 Depth=1
	s_or_b32 exec_lo, exec_lo, s6
                                        ; implicit-def: $vgpr12
	s_and_saveexec_b32 s6, s0
	s_cbranch_execnz .LBB236_32
	s_branch .LBB236_35
.LBB236_26:                             ;   in Loop: Header=BB236_4 Depth=1
	s_wait_dscnt 0x0
	v_mov_b64_e32 v[12:13], v[10:11]
	v_dual_mov_b32 v19, 0 :: v_dual_mov_b32 v20, v0
	v_mov_b32_e32 v21, v16
	s_mov_b32 s39, 0
.LBB236_27:                             ;   Parent Loop BB236_4 Depth=1
                                        ; =>  This Inner Loop Header: Depth=2
	v_readfirstlane_b32 s40, v8
	v_readfirstlane_b32 s41, v9
	flat_load_b32 v22, v[12:13]
	flat_load_b32 v23, v21, s[40:41] scale_offset
	v_add_nc_u32_e32 v20, 0x400, v20
	s_wait_xcnt 0x1
	v_add_nc_u64_e32 v[12:13], 0x1000, v[12:13]
	s_wait_loadcnt_dscnt 0x0
	s_wait_xcnt 0x0
	v_dual_add_nc_u32 v21, s33, v21 :: v_dual_fmac_f32 v19, v22, v23
	v_cmp_le_i32_e32 vcc_lo, s30, v20
	s_or_b32 s39, vcc_lo, s39
	s_delay_alu instid0(SALU_CYCLE_1)
	s_and_not1_b32 exec_lo, exec_lo, s39
	s_cbranch_execnz .LBB236_27
; %bb.28:                               ;   in Loop: Header=BB236_4 Depth=1
	s_or_b32 exec_lo, exec_lo, s39
	s_delay_alu instid0(SALU_CYCLE_1)
	s_or_b32 exec_lo, exec_lo, s6
	s_and_saveexec_b32 s6, s4
	s_cbranch_execz .LBB236_19
.LBB236_29:                             ;   in Loop: Header=BB236_4 Depth=1
	v_lshl_add_u64 v[10:11], s[30:31], 2, v[10:11]
	v_lshl_add_u64 v[8:9], v[4:5], 2, v[8:9]
	flat_load_b32 v12, v[10:11]
	s_wait_dscnt 0x1
	flat_load_b32 v13, v[8:9]
	s_wait_loadcnt_dscnt 0x0
	v_fmac_f32_e32 v19, v12, v13
	s_wait_xcnt 0x0
	s_or_b32 exec_lo, exec_lo, s6
	s_and_saveexec_b32 s6, s1
	s_cbranch_execnz .LBB236_20
	s_branch .LBB236_21
.LBB236_30:                             ;   in Loop: Header=BB236_4 Depth=1
	ds_load_b32 v13, v14
	s_or_b32 exec_lo, exec_lo, s6
	s_and_saveexec_b32 s6, s1
	s_cbranch_execz .LBB236_25
.LBB236_31:                             ;   in Loop: Header=BB236_4 Depth=1
	s_wait_dscnt 0x0
	ds_bpermute_b32 v12, v17, v13
	s_wait_dscnt 0x0
	v_add_f32_e32 v12, v13, v12
	ds_bpermute_b32 v8, v8, v12
	s_wait_dscnt 0x0
	v_add_f32_e32 v8, v12, v8
	;; [unrolled: 3-line block ×5, first 2 shown]
	s_or_b32 exec_lo, exec_lo, s6
                                        ; implicit-def: $vgpr12
	s_and_saveexec_b32 s6, s0
	s_cbranch_execz .LBB236_35
.LBB236_32:                             ;   in Loop: Header=BB236_4 Depth=1
	s_wait_dscnt 0x0
	v_mul_f32_e32 v12, v18, v13
	s_cmp_eq_f32 s38, 0
	s_cbranch_scc1 .LBB236_34
; %bb.33:                               ;   in Loop: Header=BB236_4 Depth=1
	v_add_nc_u64_e32 v[8:9], s[36:37], v[6:7]
	flat_load_b32 v8, v[8:9]
	s_wait_loadcnt_dscnt 0x0
	v_fmac_f32_e32 v12, s38, v8
.LBB236_34:                             ;   in Loop: Header=BB236_4 Depth=1
	s_or_b32 s5, s5, exec_lo
.LBB236_35:                             ;   in Loop: Header=BB236_4 Depth=1
	s_wait_xcnt 0x0
	s_or_b32 exec_lo, exec_lo, s6
.LBB236_36:                             ;   in Loop: Header=BB236_4 Depth=1
	s_wait_xcnt 0x0
	s_and_saveexec_b32 s6, s5
	s_cbranch_execz .LBB236_2
; %bb.37:                               ;   in Loop: Header=BB236_4 Depth=1
	v_add_nc_u64_e32 v[6:7], s[36:37], v[6:7]
	flat_store_b32 v[6:7], v12
	s_branch .LBB236_2
.LBB236_38:
	s_endpgm
	.section	.rodata,"a",@progbits
	.p2align	6, 0x0
	.amdhsa_kernel _ZL32rocblas_gemvt_warp_reduce_kernelILb1ELi1024EiPKfS1_KPfEviiT3_lPKT2_lT1_lS7_lS8_lS4_lPT4_lS8_li
		.amdhsa_group_segment_fixed_size 128
		.amdhsa_private_segment_fixed_size 0
		.amdhsa_kernarg_size 140
		.amdhsa_user_sgpr_count 2
		.amdhsa_user_sgpr_dispatch_ptr 0
		.amdhsa_user_sgpr_queue_ptr 0
		.amdhsa_user_sgpr_kernarg_segment_ptr 1
		.amdhsa_user_sgpr_dispatch_id 0
		.amdhsa_user_sgpr_kernarg_preload_length 0
		.amdhsa_user_sgpr_kernarg_preload_offset 0
		.amdhsa_user_sgpr_private_segment_size 0
		.amdhsa_wavefront_size32 1
		.amdhsa_uses_dynamic_stack 0
		.amdhsa_enable_private_segment 0
		.amdhsa_system_sgpr_workgroup_id_x 1
		.amdhsa_system_sgpr_workgroup_id_y 0
		.amdhsa_system_sgpr_workgroup_id_z 1
		.amdhsa_system_sgpr_workgroup_info 0
		.amdhsa_system_vgpr_workitem_id 0
		.amdhsa_next_free_vgpr 24
		.amdhsa_next_free_sgpr 42
		.amdhsa_named_barrier_count 0
		.amdhsa_reserve_vcc 1
		.amdhsa_float_round_mode_32 0
		.amdhsa_float_round_mode_16_64 0
		.amdhsa_float_denorm_mode_32 3
		.amdhsa_float_denorm_mode_16_64 3
		.amdhsa_fp16_overflow 0
		.amdhsa_memory_ordered 1
		.amdhsa_forward_progress 1
		.amdhsa_inst_pref_size 12
		.amdhsa_round_robin_scheduling 0
		.amdhsa_exception_fp_ieee_invalid_op 0
		.amdhsa_exception_fp_denorm_src 0
		.amdhsa_exception_fp_ieee_div_zero 0
		.amdhsa_exception_fp_ieee_overflow 0
		.amdhsa_exception_fp_ieee_underflow 0
		.amdhsa_exception_fp_ieee_inexact 0
		.amdhsa_exception_int_div_zero 0
	.end_amdhsa_kernel
	.section	.text._ZL32rocblas_gemvt_warp_reduce_kernelILb1ELi1024EiPKfS1_KPfEviiT3_lPKT2_lT1_lS7_lS8_lS4_lPT4_lS8_li,"axG",@progbits,_ZL32rocblas_gemvt_warp_reduce_kernelILb1ELi1024EiPKfS1_KPfEviiT3_lPKT2_lT1_lS7_lS8_lS4_lPT4_lS8_li,comdat
.Lfunc_end236:
	.size	_ZL32rocblas_gemvt_warp_reduce_kernelILb1ELi1024EiPKfS1_KPfEviiT3_lPKT2_lT1_lS7_lS8_lS4_lPT4_lS8_li, .Lfunc_end236-_ZL32rocblas_gemvt_warp_reduce_kernelILb1ELi1024EiPKfS1_KPfEviiT3_lPKT2_lT1_lS7_lS8_lS4_lPT4_lS8_li
                                        ; -- End function
	.set _ZL32rocblas_gemvt_warp_reduce_kernelILb1ELi1024EiPKfS1_KPfEviiT3_lPKT2_lT1_lS7_lS8_lS4_lPT4_lS8_li.num_vgpr, 24
	.set _ZL32rocblas_gemvt_warp_reduce_kernelILb1ELi1024EiPKfS1_KPfEviiT3_lPKT2_lT1_lS7_lS8_lS4_lPT4_lS8_li.num_agpr, 0
	.set _ZL32rocblas_gemvt_warp_reduce_kernelILb1ELi1024EiPKfS1_KPfEviiT3_lPKT2_lT1_lS7_lS8_lS4_lPT4_lS8_li.numbered_sgpr, 42
	.set _ZL32rocblas_gemvt_warp_reduce_kernelILb1ELi1024EiPKfS1_KPfEviiT3_lPKT2_lT1_lS7_lS8_lS4_lPT4_lS8_li.num_named_barrier, 0
	.set _ZL32rocblas_gemvt_warp_reduce_kernelILb1ELi1024EiPKfS1_KPfEviiT3_lPKT2_lT1_lS7_lS8_lS4_lPT4_lS8_li.private_seg_size, 0
	.set _ZL32rocblas_gemvt_warp_reduce_kernelILb1ELi1024EiPKfS1_KPfEviiT3_lPKT2_lT1_lS7_lS8_lS4_lPT4_lS8_li.uses_vcc, 1
	.set _ZL32rocblas_gemvt_warp_reduce_kernelILb1ELi1024EiPKfS1_KPfEviiT3_lPKT2_lT1_lS7_lS8_lS4_lPT4_lS8_li.uses_flat_scratch, 0
	.set _ZL32rocblas_gemvt_warp_reduce_kernelILb1ELi1024EiPKfS1_KPfEviiT3_lPKT2_lT1_lS7_lS8_lS4_lPT4_lS8_li.has_dyn_sized_stack, 0
	.set _ZL32rocblas_gemvt_warp_reduce_kernelILb1ELi1024EiPKfS1_KPfEviiT3_lPKT2_lT1_lS7_lS8_lS4_lPT4_lS8_li.has_recursion, 0
	.set _ZL32rocblas_gemvt_warp_reduce_kernelILb1ELi1024EiPKfS1_KPfEviiT3_lPKT2_lT1_lS7_lS8_lS4_lPT4_lS8_li.has_indirect_call, 0
	.section	.AMDGPU.csdata,"",@progbits
; Kernel info:
; codeLenInByte = 1464
; TotalNumSgprs: 44
; NumVgprs: 24
; ScratchSize: 0
; MemoryBound: 0
; FloatMode: 240
; IeeeMode: 1
; LDSByteSize: 128 bytes/workgroup (compile time only)
; SGPRBlocks: 0
; VGPRBlocks: 1
; NumSGPRsForWavesPerEU: 44
; NumVGPRsForWavesPerEU: 24
; NamedBarCnt: 0
; Occupancy: 16
; WaveLimiterHint : 1
; COMPUTE_PGM_RSRC2:SCRATCH_EN: 0
; COMPUTE_PGM_RSRC2:USER_SGPR: 2
; COMPUTE_PGM_RSRC2:TRAP_HANDLER: 0
; COMPUTE_PGM_RSRC2:TGID_X_EN: 1
; COMPUTE_PGM_RSRC2:TGID_Y_EN: 0
; COMPUTE_PGM_RSRC2:TGID_Z_EN: 1
; COMPUTE_PGM_RSRC2:TIDIG_COMP_CNT: 0
	.section	.text._ZL32rocblas_gemvt_warp_reduce_kernelILb1ELi1024ElPKfS1_KPfEviiT3_lPKT2_lT1_lS7_lS8_lS4_lPT4_lS8_li,"axG",@progbits,_ZL32rocblas_gemvt_warp_reduce_kernelILb1ELi1024ElPKfS1_KPfEviiT3_lPKT2_lT1_lS7_lS8_lS4_lPT4_lS8_li,comdat
	.globl	_ZL32rocblas_gemvt_warp_reduce_kernelILb1ELi1024ElPKfS1_KPfEviiT3_lPKT2_lT1_lS7_lS8_lS4_lPT4_lS8_li ; -- Begin function _ZL32rocblas_gemvt_warp_reduce_kernelILb1ELi1024ElPKfS1_KPfEviiT3_lPKT2_lT1_lS7_lS8_lS4_lPT4_lS8_li
	.p2align	8
	.type	_ZL32rocblas_gemvt_warp_reduce_kernelILb1ELi1024ElPKfS1_KPfEviiT3_lPKT2_lT1_lS7_lS8_lS4_lPT4_lS8_li,@function
_ZL32rocblas_gemvt_warp_reduce_kernelILb1ELi1024ElPKfS1_KPfEviiT3_lPKT2_lT1_lS7_lS8_lS4_lPT4_lS8_li: ; @_ZL32rocblas_gemvt_warp_reduce_kernelILb1ELi1024ElPKfS1_KPfEviiT3_lPKT2_lT1_lS7_lS8_lS4_lPT4_lS8_li
; %bb.0:
	s_load_b32 s7, s[0:1], 0x88
	s_bfe_u32 s2, ttmp6, 0x40014
	s_lshr_b32 s3, ttmp7, 16
	s_add_co_i32 s2, s2, 1
	s_bfe_u32 s5, ttmp6, 0x40008
	s_mul_i32 s4, s3, s2
	s_getreg_b32 s2, hwreg(HW_REG_IB_STS2, 6, 4)
	s_add_co_i32 s5, s5, s4
	s_cmp_eq_u32 s2, 0
	s_mov_b32 s29, 0
	s_cselect_b32 s28, s3, s5
	s_wait_kmcnt 0x0
	s_cmp_ge_u32 s28, s7
	s_cbranch_scc1 .LBB237_38
; %bb.1:
	s_clause 0x1
	s_load_b32 s6, s[0:1], 0x0
	s_load_b64 s[36:37], s[0:1], 0x48
	s_bfe_u32 s3, ttmp6, 0x4000c
	s_and_b32 s4, ttmp6, 15
	s_add_co_i32 s3, s3, 1
	s_clause 0x2
	s_load_b256 s[8:15], s[0:1], 0x8
	s_load_b128 s[24:27], s[0:1], 0x38
	s_load_b256 s[16:23], s[0:1], 0x58
	s_mul_i32 s3, ttmp9, s3
	v_mbcnt_lo_u32_b32 v19, -1, 0
	s_add_co_i32 s4, s4, s3
	s_cmp_eq_u32 s2, 0
	s_load_b64 s[34:35], s[0:1], 0x28
	s_cselect_b32 s2, ttmp9, s4
	s_load_b64 s[4:5], s[0:1], 0x78
	s_wait_xcnt 0x0
	v_cmp_eq_u32_e64 s0, 0, v0
	v_lshl_or_b32 v20, v19, 2, 64
	s_wait_kmcnt 0x0
	s_ashr_i32 s3, s6, 31
	v_cmp_gt_i32_e32 vcc_lo, s6, v0
	s_lshr_b32 s3, s3, 22
	s_lshl_b64 s[14:15], s[14:15], 2
	s_add_co_i32 s3, s6, s3
	s_lshl_b64 s[26:27], s[26:27], 2
	s_and_b32 s30, s3, 0xfffffc00
	s_delay_alu instid0(SALU_CYCLE_1) | instskip(SKIP_3) | instid1(VALU_DEP_2)
	v_dual_mov_b32 v3, 0 :: v_dual_bitop2_b32 v6, s30, v0 bitop3:0x54
	s_ashr_i32 s3, s2, 31
	v_cndmask_b32_e32 v2, 0, v0, vcc_lo
	s_mul_u64 s[34:35], s[34:35], s[2:3]
	v_dual_mov_b32 v1, v3 :: v_dual_ashrrev_i32 v7, 31, v6
	s_mul_u64 s[38:39], s[4:5], s[2:3]
	v_cmp_gt_i32_e64 s2, s6, v6
	v_cmp_gt_i32_e64 s1, s30, v0
	s_delay_alu instid0(VALU_DEP_3)
	v_mul_u64_e32 v[8:9], s[36:37], v[0:1]
	v_mul_u64_e32 v[4:5], s[36:37], v[6:7]
	v_dual_lshrrev_b32 v6, 3, v0 :: v_dual_bitop2_b32 v7, 31, v0 bitop3:0x40
	v_cmp_gt_u32_e64 s3, 32, v0
	v_lshlrev_b32_e32 v2, 2, v2
	s_ashr_i32 s31, s30, 31
	v_lshlrev_b32_e32 v1, 2, v7
	v_cmp_eq_u32_e64 s4, 0, v7
	v_and_b32_e32 v18, 0x7c, v6
	s_lshl_b64 s[36:37], s[36:37], 12
	s_lshl_b64 s[22:23], s[22:23], 2
	;; [unrolled: 1-line block ×3, first 2 shown]
	v_lshlrev_b64_e32 v[6:7], 2, v[8:9]
	s_branch .LBB237_4
.LBB237_2:                              ;   in Loop: Header=BB237_4 Depth=1
	s_wait_xcnt 0x0
	s_or_b32 exec_lo, exec_lo, s6
.LBB237_3:                              ;   in Loop: Header=BB237_4 Depth=1
	s_add_co_i32 s28, s28, 0x10000
	s_delay_alu instid0(SALU_CYCLE_1)
	s_cmp_lt_u32 s28, s7
	s_cbranch_scc0 .LBB237_38
.LBB237_4:                              ; =>This Loop Header: Depth=1
                                        ;     Child Loop BB237_27 Depth 2
	s_wait_xcnt 0x1
	s_mul_u64 s[40:41], s[10:11], s[28:29]
	s_wait_xcnt 0x0
	s_mul_u64 s[42:43], s[18:19], s[28:29]
	s_lshl_b64 s[40:41], s[40:41], 2
	s_lshl_b64 s[42:43], s[42:43], 2
	s_add_nc_u64 s[40:41], s[8:9], s[40:41]
	s_add_nc_u64 s[42:43], s[16:17], s[42:43]
	s_clause 0x1
	global_load_b32 v21, v3, s[40:41]
	global_load_b32 v8, v3, s[42:43]
	s_wait_loadcnt 0x1
	v_cmp_eq_f32_e64 s5, 0, v21
	s_wait_loadcnt 0x0
	v_cmp_eq_f32_e32 vcc_lo, 1.0, v8
	v_readfirstlane_b32 s33, v8
	s_and_b32 s6, s5, vcc_lo
	s_delay_alu instid0(SALU_CYCLE_1)
	s_and_b32 vcc_lo, exec_lo, s6
	s_cbranch_vccnz .LBB237_3
; %bb.5:                                ;   in Loop: Header=BB237_4 Depth=1
	v_mov_b64_e32 v[10:11], 0
	v_mov_b64_e32 v[12:13], 0
	v_cmp_neq_f32_e64 s6, 0, v21
	s_and_b32 vcc_lo, exec_lo, s5
	s_cbranch_vccnz .LBB237_7
; %bb.6:                                ;   in Loop: Header=BB237_4 Depth=1
	s_wait_xcnt 0x1
	s_lshl_b64 s[40:41], s[28:29], 3
	s_delay_alu instid0(SALU_CYCLE_1)
	s_add_nc_u64 s[40:41], s[12:13], s[40:41]
	global_load_b64 v[8:9], v3, s[40:41]
	s_wait_loadcnt 0x0
	v_add_nc_u64_e32 v[12:13], s[14:15], v[8:9]
.LBB237_7:                              ;   in Loop: Header=BB237_4 Depth=1
	s_and_not1_b32 vcc_lo, exec_lo, s6
	s_cbranch_vccnz .LBB237_9
; %bb.8:                                ;   in Loop: Header=BB237_4 Depth=1
	s_wait_xcnt 0x0
	s_lshl_b64 s[40:41], s[28:29], 3
	s_delay_alu instid0(SALU_CYCLE_1)
	s_add_nc_u64 s[40:41], s[24:25], s[40:41]
	global_load_b64 v[8:9], v3, s[40:41]
	s_wait_loadcnt 0x0
	v_add_nc_u64_e32 v[10:11], s[26:27], v[8:9]
.LBB237_9:                              ;   in Loop: Header=BB237_4 Depth=1
	s_wait_xcnt 0x0
	s_lshl_b64 s[40:41], s[28:29], 3
	s_and_not1_b32 vcc_lo, exec_lo, s5
	s_add_nc_u64 s[40:41], s[20:21], s[40:41]
	global_load_b64 v[8:9], v3, s[40:41]
	s_wait_loadcnt 0x0
	v_add_nc_u64_e32 v[8:9], s[22:23], v[8:9]
	s_cbranch_vccnz .LBB237_13
; %bb.10:                               ;   in Loop: Header=BB237_4 Depth=1
	s_mov_b32 s6, 0
	s_mov_b32 s5, 0
                                        ; implicit-def: $vgpr14
	s_wait_xcnt 0x0
	s_and_saveexec_b32 s40, s0
	s_cbranch_execz .LBB237_14
; %bb.11:                               ;   in Loop: Header=BB237_4 Depth=1
	s_cmp_eq_f32 s33, 0
	s_cbranch_scc1 .LBB237_15
; %bb.12:                               ;   in Loop: Header=BB237_4 Depth=1
	s_wait_dscnt 0x0
	v_add_nc_u64_e32 v[14:15], s[38:39], v[8:9]
	flat_load_b32 v14, v[14:15]
	s_wait_loadcnt_dscnt 0x0
	s_wait_xcnt 0x0
	v_mul_f32_e32 v14, s33, v14
	s_branch .LBB237_16
.LBB237_13:                             ;   in Loop: Header=BB237_4 Depth=1
	s_mov_b32 s5, 0
                                        ; implicit-def: $vgpr14
	s_cbranch_execnz .LBB237_17
	s_branch .LBB237_36
.LBB237_14:                             ;   in Loop: Header=BB237_4 Depth=1
	s_or_b32 exec_lo, exec_lo, s40
	s_delay_alu instid0(SALU_CYCLE_1)
	s_and_b32 vcc_lo, exec_lo, s6
	s_cbranch_vccnz .LBB237_17
	s_branch .LBB237_36
.LBB237_15:                             ;   in Loop: Header=BB237_4 Depth=1
	v_mov_b32_e32 v14, 0
.LBB237_16:                             ;   in Loop: Header=BB237_4 Depth=1
	s_mov_b32 s5, exec_lo
	s_or_b32 exec_lo, exec_lo, s40
	s_delay_alu instid0(SALU_CYCLE_1)
	s_and_b32 vcc_lo, exec_lo, s6
	s_cbranch_vccz .LBB237_36
.LBB237_17:                             ;   in Loop: Header=BB237_4 Depth=1
	v_add_nc_u64_e32 v[12:13], v[12:13], v[2:3]
	v_mov_b32_e32 v22, 0
	s_delay_alu instid0(VALU_DEP_2)
	v_lshl_add_u64 v[12:13], s[34:35], 2, v[12:13]
	s_wait_xcnt 0x0
	s_and_saveexec_b32 s6, s1
	s_cbranch_execnz .LBB237_26
; %bb.18:                               ;   in Loop: Header=BB237_4 Depth=1
	s_or_b32 exec_lo, exec_lo, s6
	s_and_saveexec_b32 s6, s2
	s_cbranch_execnz .LBB237_29
.LBB237_19:                             ;   in Loop: Header=BB237_4 Depth=1
	s_or_b32 exec_lo, exec_lo, s6
	s_and_saveexec_b32 s6, s3
.LBB237_20:                             ;   in Loop: Header=BB237_4 Depth=1
	ds_store_b32 v1, v3
.LBB237_21:                             ;   in Loop: Header=BB237_4 Depth=1
	s_or_b32 exec_lo, exec_lo, s6
	ds_bpermute_b32 v11, v20, v22
	v_cmp_gt_u32_e32 vcc_lo, 24, v19
	s_wait_dscnt 0x0
	s_barrier_signal -1
	s_barrier_wait -1
	v_cndmask_b32_e64 v10, 0, 8, vcc_lo
	v_cmp_gt_u32_e32 vcc_lo, 28, v19
	s_delay_alu instid0(VALU_DEP_2)
	v_add_lshl_u32 v10, v10, v19, 2
	v_add_f32_e32 v12, v22, v11
	v_cndmask_b32_e64 v11, 0, 4, vcc_lo
	v_cmp_gt_u32_e32 vcc_lo, 30, v19
	ds_bpermute_b32 v13, v10, v12
	v_add_lshl_u32 v11, v11, v19, 2
	s_wait_dscnt 0x0
	v_add_f32_e32 v13, v12, v13
	v_cndmask_b32_e64 v12, 0, 2, vcc_lo
	v_cmp_ne_u32_e32 vcc_lo, 31, v19
	ds_bpermute_b32 v14, v11, v13
	v_add_lshl_u32 v12, v12, v19, 2
	v_add_co_ci_u32_e64 v15, null, 0, v19, vcc_lo
	s_wait_dscnt 0x0
	v_add_f32_e32 v13, v13, v14
	ds_bpermute_b32 v14, v12, v13
	s_wait_dscnt 0x0
	v_dual_add_f32 v14, v13, v14 :: v_dual_lshlrev_b32 v13, 2, v15
	ds_bpermute_b32 v15, v13, v14
	s_and_saveexec_b32 s6, s4
	s_cbranch_execz .LBB237_23
; %bb.22:                               ;   in Loop: Header=BB237_4 Depth=1
	s_wait_dscnt 0x0
	v_add_f32_e32 v14, v14, v15
	ds_store_b32 v18, v14
.LBB237_23:                             ;   in Loop: Header=BB237_4 Depth=1
	s_or_b32 exec_lo, exec_lo, s6
	s_wait_dscnt 0x0
	v_mov_b32_e32 v15, 0
	s_barrier_signal -1
	s_barrier_wait -1
	s_and_saveexec_b32 s6, s3
	s_cbranch_execnz .LBB237_30
; %bb.24:                               ;   in Loop: Header=BB237_4 Depth=1
	s_or_b32 exec_lo, exec_lo, s6
	s_and_saveexec_b32 s6, s3
	s_cbranch_execnz .LBB237_31
.LBB237_25:                             ;   in Loop: Header=BB237_4 Depth=1
	s_or_b32 exec_lo, exec_lo, s6
                                        ; implicit-def: $vgpr14
	s_and_saveexec_b32 s6, s0
	s_cbranch_execnz .LBB237_32
	s_branch .LBB237_35
.LBB237_26:                             ;   in Loop: Header=BB237_4 Depth=1
	s_wait_dscnt 0x0
	v_add_nc_u64_e32 v[14:15], v[10:11], v[6:7]
	v_mov_b64_e32 v[16:17], v[12:13]
	v_dual_mov_b32 v22, 0 :: v_dual_mov_b32 v23, v0
	s_mov_b32 s40, 0
.LBB237_27:                             ;   Parent Loop BB237_4 Depth=1
                                        ; =>  This Inner Loop Header: Depth=2
	flat_load_b32 v24, v[16:17]
	flat_load_b32 v25, v[14:15]
	v_add_nc_u32_e32 v23, 0x400, v23
	s_wait_xcnt 0x1
	v_add_nc_u64_e32 v[16:17], 0x1000, v[16:17]
	s_wait_xcnt 0x0
	v_add_nc_u64_e32 v[14:15], s[36:37], v[14:15]
	s_wait_loadcnt_dscnt 0x0
	v_fmac_f32_e32 v22, v24, v25
	v_cmp_le_i32_e32 vcc_lo, s30, v23
	s_or_b32 s40, vcc_lo, s40
	s_delay_alu instid0(SALU_CYCLE_1)
	s_and_not1_b32 exec_lo, exec_lo, s40
	s_cbranch_execnz .LBB237_27
; %bb.28:                               ;   in Loop: Header=BB237_4 Depth=1
	s_or_b32 exec_lo, exec_lo, s40
	s_delay_alu instid0(SALU_CYCLE_1)
	s_or_b32 exec_lo, exec_lo, s6
	s_and_saveexec_b32 s6, s2
	s_cbranch_execz .LBB237_19
.LBB237_29:                             ;   in Loop: Header=BB237_4 Depth=1
	v_lshl_add_u64 v[12:13], s[30:31], 2, v[12:13]
	v_lshl_add_u64 v[10:11], v[4:5], 2, v[10:11]
	flat_load_b32 v14, v[12:13]
	s_wait_dscnt 0x1
	flat_load_b32 v15, v[10:11]
	s_wait_loadcnt_dscnt 0x0
	v_fmac_f32_e32 v22, v14, v15
	s_wait_xcnt 0x0
	s_or_b32 exec_lo, exec_lo, s6
	s_and_saveexec_b32 s6, s3
	s_cbranch_execnz .LBB237_20
	s_branch .LBB237_21
.LBB237_30:                             ;   in Loop: Header=BB237_4 Depth=1
	ds_load_b32 v15, v1
	s_or_b32 exec_lo, exec_lo, s6
	s_and_saveexec_b32 s6, s3
	s_cbranch_execz .LBB237_25
.LBB237_31:                             ;   in Loop: Header=BB237_4 Depth=1
	s_wait_dscnt 0x0
	ds_bpermute_b32 v14, v20, v15
	s_wait_dscnt 0x0
	v_add_f32_e32 v14, v15, v14
	ds_bpermute_b32 v10, v10, v14
	s_wait_dscnt 0x0
	v_add_f32_e32 v10, v14, v10
	;; [unrolled: 3-line block ×5, first 2 shown]
	s_or_b32 exec_lo, exec_lo, s6
                                        ; implicit-def: $vgpr14
	s_and_saveexec_b32 s6, s0
	s_cbranch_execz .LBB237_35
.LBB237_32:                             ;   in Loop: Header=BB237_4 Depth=1
	s_wait_dscnt 0x0
	v_mul_f32_e32 v14, v21, v15
	s_cmp_eq_f32 s33, 0
	s_cbranch_scc1 .LBB237_34
; %bb.33:                               ;   in Loop: Header=BB237_4 Depth=1
	v_add_nc_u64_e32 v[10:11], s[38:39], v[8:9]
	flat_load_b32 v10, v[10:11]
	s_wait_loadcnt_dscnt 0x0
	v_fmac_f32_e32 v14, s33, v10
.LBB237_34:                             ;   in Loop: Header=BB237_4 Depth=1
	s_or_b32 s5, s5, exec_lo
.LBB237_35:                             ;   in Loop: Header=BB237_4 Depth=1
	s_wait_xcnt 0x0
	s_or_b32 exec_lo, exec_lo, s6
.LBB237_36:                             ;   in Loop: Header=BB237_4 Depth=1
	s_wait_xcnt 0x0
	s_and_saveexec_b32 s6, s5
	s_cbranch_execz .LBB237_2
; %bb.37:                               ;   in Loop: Header=BB237_4 Depth=1
	v_add_nc_u64_e32 v[8:9], s[38:39], v[8:9]
	flat_store_b32 v[8:9], v14
	s_branch .LBB237_2
.LBB237_38:
	s_endpgm
	.section	.rodata,"a",@progbits
	.p2align	6, 0x0
	.amdhsa_kernel _ZL32rocblas_gemvt_warp_reduce_kernelILb1ELi1024ElPKfS1_KPfEviiT3_lPKT2_lT1_lS7_lS8_lS4_lPT4_lS8_li
		.amdhsa_group_segment_fixed_size 128
		.amdhsa_private_segment_fixed_size 0
		.amdhsa_kernarg_size 140
		.amdhsa_user_sgpr_count 2
		.amdhsa_user_sgpr_dispatch_ptr 0
		.amdhsa_user_sgpr_queue_ptr 0
		.amdhsa_user_sgpr_kernarg_segment_ptr 1
		.amdhsa_user_sgpr_dispatch_id 0
		.amdhsa_user_sgpr_kernarg_preload_length 0
		.amdhsa_user_sgpr_kernarg_preload_offset 0
		.amdhsa_user_sgpr_private_segment_size 0
		.amdhsa_wavefront_size32 1
		.amdhsa_uses_dynamic_stack 0
		.amdhsa_enable_private_segment 0
		.amdhsa_system_sgpr_workgroup_id_x 1
		.amdhsa_system_sgpr_workgroup_id_y 0
		.amdhsa_system_sgpr_workgroup_id_z 1
		.amdhsa_system_sgpr_workgroup_info 0
		.amdhsa_system_vgpr_workitem_id 0
		.amdhsa_next_free_vgpr 26
		.amdhsa_next_free_sgpr 44
		.amdhsa_named_barrier_count 0
		.amdhsa_reserve_vcc 1
		.amdhsa_float_round_mode_32 0
		.amdhsa_float_round_mode_16_64 0
		.amdhsa_float_denorm_mode_32 3
		.amdhsa_float_denorm_mode_16_64 3
		.amdhsa_fp16_overflow 0
		.amdhsa_memory_ordered 1
		.amdhsa_forward_progress 1
		.amdhsa_inst_pref_size 12
		.amdhsa_round_robin_scheduling 0
		.amdhsa_exception_fp_ieee_invalid_op 0
		.amdhsa_exception_fp_denorm_src 0
		.amdhsa_exception_fp_ieee_div_zero 0
		.amdhsa_exception_fp_ieee_overflow 0
		.amdhsa_exception_fp_ieee_underflow 0
		.amdhsa_exception_fp_ieee_inexact 0
		.amdhsa_exception_int_div_zero 0
	.end_amdhsa_kernel
	.section	.text._ZL32rocblas_gemvt_warp_reduce_kernelILb1ELi1024ElPKfS1_KPfEviiT3_lPKT2_lT1_lS7_lS8_lS4_lPT4_lS8_li,"axG",@progbits,_ZL32rocblas_gemvt_warp_reduce_kernelILb1ELi1024ElPKfS1_KPfEviiT3_lPKT2_lT1_lS7_lS8_lS4_lPT4_lS8_li,comdat
.Lfunc_end237:
	.size	_ZL32rocblas_gemvt_warp_reduce_kernelILb1ELi1024ElPKfS1_KPfEviiT3_lPKT2_lT1_lS7_lS8_lS4_lPT4_lS8_li, .Lfunc_end237-_ZL32rocblas_gemvt_warp_reduce_kernelILb1ELi1024ElPKfS1_KPfEviiT3_lPKT2_lT1_lS7_lS8_lS4_lPT4_lS8_li
                                        ; -- End function
	.set _ZL32rocblas_gemvt_warp_reduce_kernelILb1ELi1024ElPKfS1_KPfEviiT3_lPKT2_lT1_lS7_lS8_lS4_lPT4_lS8_li.num_vgpr, 26
	.set _ZL32rocblas_gemvt_warp_reduce_kernelILb1ELi1024ElPKfS1_KPfEviiT3_lPKT2_lT1_lS7_lS8_lS4_lPT4_lS8_li.num_agpr, 0
	.set _ZL32rocblas_gemvt_warp_reduce_kernelILb1ELi1024ElPKfS1_KPfEviiT3_lPKT2_lT1_lS7_lS8_lS4_lPT4_lS8_li.numbered_sgpr, 44
	.set _ZL32rocblas_gemvt_warp_reduce_kernelILb1ELi1024ElPKfS1_KPfEviiT3_lPKT2_lT1_lS7_lS8_lS4_lPT4_lS8_li.num_named_barrier, 0
	.set _ZL32rocblas_gemvt_warp_reduce_kernelILb1ELi1024ElPKfS1_KPfEviiT3_lPKT2_lT1_lS7_lS8_lS4_lPT4_lS8_li.private_seg_size, 0
	.set _ZL32rocblas_gemvt_warp_reduce_kernelILb1ELi1024ElPKfS1_KPfEviiT3_lPKT2_lT1_lS7_lS8_lS4_lPT4_lS8_li.uses_vcc, 1
	.set _ZL32rocblas_gemvt_warp_reduce_kernelILb1ELi1024ElPKfS1_KPfEviiT3_lPKT2_lT1_lS7_lS8_lS4_lPT4_lS8_li.uses_flat_scratch, 0
	.set _ZL32rocblas_gemvt_warp_reduce_kernelILb1ELi1024ElPKfS1_KPfEviiT3_lPKT2_lT1_lS7_lS8_lS4_lPT4_lS8_li.has_dyn_sized_stack, 0
	.set _ZL32rocblas_gemvt_warp_reduce_kernelILb1ELi1024ElPKfS1_KPfEviiT3_lPKT2_lT1_lS7_lS8_lS4_lPT4_lS8_li.has_recursion, 0
	.set _ZL32rocblas_gemvt_warp_reduce_kernelILb1ELi1024ElPKfS1_KPfEviiT3_lPKT2_lT1_lS7_lS8_lS4_lPT4_lS8_li.has_indirect_call, 0
	.section	.AMDGPU.csdata,"",@progbits
; Kernel info:
; codeLenInByte = 1464
; TotalNumSgprs: 46
; NumVgprs: 26
; ScratchSize: 0
; MemoryBound: 0
; FloatMode: 240
; IeeeMode: 1
; LDSByteSize: 128 bytes/workgroup (compile time only)
; SGPRBlocks: 0
; VGPRBlocks: 1
; NumSGPRsForWavesPerEU: 46
; NumVGPRsForWavesPerEU: 26
; NamedBarCnt: 0
; Occupancy: 16
; WaveLimiterHint : 1
; COMPUTE_PGM_RSRC2:SCRATCH_EN: 0
; COMPUTE_PGM_RSRC2:USER_SGPR: 2
; COMPUTE_PGM_RSRC2:TRAP_HANDLER: 0
; COMPUTE_PGM_RSRC2:TGID_X_EN: 1
; COMPUTE_PGM_RSRC2:TGID_Y_EN: 0
; COMPUTE_PGM_RSRC2:TGID_Z_EN: 1
; COMPUTE_PGM_RSRC2:TIDIG_COMP_CNT: 0
	.section	.text._ZL32rocblas_gemvt_warp_reduce_kernelILb1ELi1024EiPKffKPfEviiT3_lPKT2_lT1_lS7_lS8_lS4_lPT4_lS8_li,"axG",@progbits,_ZL32rocblas_gemvt_warp_reduce_kernelILb1ELi1024EiPKffKPfEviiT3_lPKT2_lT1_lS7_lS8_lS4_lPT4_lS8_li,comdat
	.globl	_ZL32rocblas_gemvt_warp_reduce_kernelILb1ELi1024EiPKffKPfEviiT3_lPKT2_lT1_lS7_lS8_lS4_lPT4_lS8_li ; -- Begin function _ZL32rocblas_gemvt_warp_reduce_kernelILb1ELi1024EiPKffKPfEviiT3_lPKT2_lT1_lS7_lS8_lS4_lPT4_lS8_li
	.p2align	8
	.type	_ZL32rocblas_gemvt_warp_reduce_kernelILb1ELi1024EiPKffKPfEviiT3_lPKT2_lT1_lS7_lS8_lS4_lPT4_lS8_li,@function
_ZL32rocblas_gemvt_warp_reduce_kernelILb1ELi1024EiPKffKPfEviiT3_lPKT2_lT1_lS7_lS8_lS4_lPT4_lS8_li: ; @_ZL32rocblas_gemvt_warp_reduce_kernelILb1ELi1024EiPKffKPfEviiT3_lPKT2_lT1_lS7_lS8_lS4_lPT4_lS8_li
; %bb.0:
	s_load_b32 s5, s[0:1], 0x88
	s_bfe_u32 s2, ttmp6, 0x40014
	s_lshr_b32 s3, ttmp7, 16
	s_add_co_i32 s2, s2, 1
	s_bfe_u32 s6, ttmp6, 0x40008
	s_mul_i32 s4, s3, s2
	s_getreg_b32 s2, hwreg(HW_REG_IB_STS2, 6, 4)
	s_add_co_i32 s6, s6, s4
	s_cmp_eq_u32 s2, 0
	s_mov_b32 s7, 0
	s_cselect_b32 s6, s3, s6
	s_wait_kmcnt 0x0
	s_cmp_ge_u32 s6, s5
	s_cbranch_scc1 .LBB238_40
; %bb.1:
	s_clause 0x8
	s_load_b32 s26, s[0:1], 0x8
	s_load_b32 s27, s[0:1], 0x58
	s_load_b128 s[8:11], s[0:1], 0x18
	s_load_b32 s3, s[0:1], 0x28
	s_load_b32 s4, s[0:1], 0x0
	s_load_b128 s[12:15], s[0:1], 0x38
	s_load_b32 s21, s[0:1], 0x48
	s_load_b128 s[16:19], s[0:1], 0x68
	s_load_b32 s22, s[0:1], 0x78
	v_dual_mov_b32 v3, 0 :: v_dual_bitop2_b32 v2, 31, v0 bitop3:0x40
	v_lshrrev_b32_e32 v4, 3, v0
	v_mbcnt_lo_u32_b32 v14, -1, 0
	s_wait_xcnt 0x0
	v_cmp_gt_u32_e64 s1, 32, v0
	v_lshlrev_b32_e32 v15, 2, v2
	v_and_b32_e32 v16, 0x7c, v4
	v_lshl_or_b32 v18, v14, 2, 64
	s_wait_kmcnt 0x0
	s_cmp_eq_f32 s26, 0
	v_mul_lo_u32 v17, v0, s21
	s_cselect_b32 s28, -1, 0
	s_cmp_neq_f32 s27, 1.0
	v_cmp_gt_i32_e32 vcc_lo, s4, v0
	s_cselect_b32 s20, -1, 0
	s_cmp_neq_f32 s26, 0
	s_cselect_b32 s0, -1, 0
	s_delay_alu instid0(SALU_CYCLE_1)
	s_or_b32 s29, s0, s20
	s_cmp_neq_f32 s27, 0
	v_cndmask_b32_e64 v1, 0, 1, s0
	v_cmp_eq_u32_e64 s0, 0, v0
	s_cselect_b32 s30, -1, 0
	s_bfe_u32 s20, ttmp6, 0x4000c
	s_and_b32 s23, ttmp6, 15
	s_add_co_i32 s20, s20, 1
	s_delay_alu instid0(SALU_CYCLE_1) | instskip(NEXT) | instid1(SALU_CYCLE_1)
	s_mul_i32 s20, ttmp9, s20
	s_add_co_i32 s23, s23, s20
	s_cmp_eq_u32 s2, 0
	s_cselect_b32 s23, ttmp9, s23
	s_ashr_i32 s2, s4, 31
	s_mul_i32 s24, s22, s23
	s_lshr_b32 s20, s2, 22
	v_cmp_eq_u32_e64 s2, 0, v2
	s_add_co_i32 s20, s4, s20
	s_mul_i32 s22, s3, s23
	s_and_b32 s20, s20, 0xfffffc00
	s_delay_alu instid0(SALU_CYCLE_1)
	v_dual_cndmask_b32 v2, 0, v0, vcc_lo :: v_dual_bitop2_b32 v5, s20, v0 bitop3:0x54
	v_cmp_gt_i32_e64 s3, s20, v0
	s_ashr_i32 s25, s24, 31
	s_lshl_b32 s31, s21, 10
	s_lshl_b64 s[10:11], s[10:11], 2
	v_mul_lo_u32 v4, s21, v5
	v_lshlrev_b32_e32 v2, 2, v2
	v_cmp_gt_i32_e64 s4, s4, v5
	s_ashr_i32 s23, s22, 31
	s_ashr_i32 s21, s20, 31
	s_lshl_b64 s[14:15], s[14:15], 2
	s_lshl_b64 s[18:19], s[18:19], 2
	s_lshl_b64 s[24:25], s[24:25], 2
	v_ashrrev_i32_e32 v5, 31, v4
	s_branch .LBB238_4
.LBB238_2:                              ;   in Loop: Header=BB238_4 Depth=1
	s_wait_xcnt 0x0
	s_or_b32 exec_lo, exec_lo, s34
.LBB238_3:                              ;   in Loop: Header=BB238_4 Depth=1
	s_add_co_i32 s6, s6, 0x10000
	s_delay_alu instid0(SALU_CYCLE_1)
	s_cmp_lt_u32 s6, s5
	s_cbranch_scc0 .LBB238_40
.LBB238_4:                              ; =>This Loop Header: Depth=1
                                        ;     Child Loop BB238_29 Depth 2
	s_and_not1_b32 vcc_lo, exec_lo, s29
	s_cbranch_vccnz .LBB238_3
; %bb.5:                                ;   in Loop: Header=BB238_4 Depth=1
	s_and_not1_b32 vcc_lo, exec_lo, s28
	s_cbranch_vccnz .LBB238_7
; %bb.6:                                ;   in Loop: Header=BB238_4 Depth=1
	v_mov_b64_e32 v[8:9], 0
	v_mov_b64_e32 v[10:11], 0
	s_cbranch_execz .LBB238_8
	s_branch .LBB238_9
.LBB238_7:                              ;   in Loop: Header=BB238_4 Depth=1
	v_mov_b64_e32 v[8:9], 0
	v_mov_b64_e32 v[10:11], 0
.LBB238_8:                              ;   in Loop: Header=BB238_4 Depth=1
	s_lshl_b64 s[34:35], s[6:7], 3
	s_delay_alu instid0(SALU_CYCLE_1)
	s_add_nc_u64 s[34:35], s[8:9], s[34:35]
	global_load_b64 v[6:7], v3, s[34:35]
	s_wait_loadcnt 0x0
	v_add_nc_u64_e32 v[10:11], s[10:11], v[6:7]
.LBB238_9:                              ;   in Loop: Header=BB238_4 Depth=1
	v_cmp_ne_u32_e32 vcc_lo, 1, v1
	s_cbranch_vccnz .LBB238_11
; %bb.10:                               ;   in Loop: Header=BB238_4 Depth=1
	s_wait_xcnt 0x0
	s_lshl_b64 s[34:35], s[6:7], 3
	s_delay_alu instid0(SALU_CYCLE_1)
	s_add_nc_u64 s[34:35], s[12:13], s[34:35]
	global_load_b64 v[6:7], v3, s[34:35]
	s_wait_loadcnt 0x0
	v_add_nc_u64_e32 v[8:9], s[14:15], v[6:7]
.LBB238_11:                             ;   in Loop: Header=BB238_4 Depth=1
	s_wait_xcnt 0x0
	s_lshl_b64 s[34:35], s[6:7], 3
	s_and_not1_b32 vcc_lo, exec_lo, s28
	s_add_nc_u64 s[34:35], s[16:17], s[34:35]
	global_load_b64 v[6:7], v3, s[34:35]
	s_wait_loadcnt 0x0
	v_add_nc_u64_e32 v[6:7], s[18:19], v[6:7]
	s_cbranch_vccnz .LBB238_15
; %bb.12:                               ;   in Loop: Header=BB238_4 Depth=1
	s_wait_xcnt 0x0
	s_mov_b32 s34, 0
	s_mov_b32 s33, 0
                                        ; implicit-def: $vgpr12
	s_and_saveexec_b32 s35, s0
	s_cbranch_execz .LBB238_16
; %bb.13:                               ;   in Loop: Header=BB238_4 Depth=1
	s_and_not1_b32 vcc_lo, exec_lo, s30
	s_cbranch_vccnz .LBB238_17
; %bb.14:                               ;   in Loop: Header=BB238_4 Depth=1
	s_wait_dscnt 0x0
	v_add_nc_u64_e32 v[12:13], s[24:25], v[6:7]
	flat_load_b32 v12, v[12:13]
	s_wait_loadcnt_dscnt 0x0
	s_wait_xcnt 0x0
	v_mul_f32_e32 v12, s27, v12
	s_branch .LBB238_18
.LBB238_15:                             ;   in Loop: Header=BB238_4 Depth=1
	s_wait_xcnt 0x0
	s_mov_b32 s33, 0
                                        ; implicit-def: $vgpr12
	s_cbranch_execnz .LBB238_19
	s_branch .LBB238_38
.LBB238_16:                             ;   in Loop: Header=BB238_4 Depth=1
	s_or_b32 exec_lo, exec_lo, s35
	s_delay_alu instid0(SALU_CYCLE_1)
	s_and_b32 vcc_lo, exec_lo, s34
	s_cbranch_vccnz .LBB238_19
	s_branch .LBB238_38
.LBB238_17:                             ;   in Loop: Header=BB238_4 Depth=1
	v_mov_b32_e32 v12, 0
.LBB238_18:                             ;   in Loop: Header=BB238_4 Depth=1
	s_mov_b32 s33, exec_lo
	s_or_b32 exec_lo, exec_lo, s35
	s_delay_alu instid0(SALU_CYCLE_1)
	s_and_b32 vcc_lo, exec_lo, s34
	s_cbranch_vccz .LBB238_38
.LBB238_19:                             ;   in Loop: Header=BB238_4 Depth=1
	v_add_nc_u64_e32 v[10:11], v[10:11], v[2:3]
	v_mov_b32_e32 v19, 0
	s_delay_alu instid0(VALU_DEP_2)
	v_lshl_add_u64 v[10:11], s[22:23], 2, v[10:11]
	s_and_saveexec_b32 s34, s3
	s_cbranch_execnz .LBB238_28
; %bb.20:                               ;   in Loop: Header=BB238_4 Depth=1
	s_or_b32 exec_lo, exec_lo, s34
	s_and_saveexec_b32 s34, s4
	s_cbranch_execnz .LBB238_31
.LBB238_21:                             ;   in Loop: Header=BB238_4 Depth=1
	s_or_b32 exec_lo, exec_lo, s34
	s_and_saveexec_b32 s34, s1
.LBB238_22:                             ;   in Loop: Header=BB238_4 Depth=1
	ds_store_b32 v15, v3
.LBB238_23:                             ;   in Loop: Header=BB238_4 Depth=1
	s_or_b32 exec_lo, exec_lo, s34
	ds_bpermute_b32 v9, v18, v19
	v_cmp_gt_u32_e32 vcc_lo, 24, v14
	s_wait_dscnt 0x0
	s_barrier_signal -1
	s_barrier_wait -1
	v_cndmask_b32_e64 v8, 0, 8, vcc_lo
	v_cmp_gt_u32_e32 vcc_lo, 28, v14
	s_delay_alu instid0(VALU_DEP_2)
	v_add_lshl_u32 v8, v8, v14, 2
	v_add_f32_e32 v10, v19, v9
	v_cndmask_b32_e64 v9, 0, 4, vcc_lo
	v_cmp_gt_u32_e32 vcc_lo, 30, v14
	ds_bpermute_b32 v11, v8, v10
	v_add_lshl_u32 v9, v9, v14, 2
	s_wait_dscnt 0x0
	v_add_f32_e32 v11, v10, v11
	v_cndmask_b32_e64 v10, 0, 2, vcc_lo
	v_cmp_ne_u32_e32 vcc_lo, 31, v14
	ds_bpermute_b32 v12, v9, v11
	v_add_lshl_u32 v10, v10, v14, 2
	v_add_co_ci_u32_e64 v13, null, 0, v14, vcc_lo
	s_wait_dscnt 0x0
	v_add_f32_e32 v11, v11, v12
	ds_bpermute_b32 v12, v10, v11
	s_wait_dscnt 0x0
	v_dual_add_f32 v12, v11, v12 :: v_dual_lshlrev_b32 v11, 2, v13
	ds_bpermute_b32 v13, v11, v12
	s_and_saveexec_b32 s34, s2
	s_cbranch_execz .LBB238_25
; %bb.24:                               ;   in Loop: Header=BB238_4 Depth=1
	s_wait_dscnt 0x0
	v_add_f32_e32 v12, v12, v13
	ds_store_b32 v16, v12
.LBB238_25:                             ;   in Loop: Header=BB238_4 Depth=1
	s_or_b32 exec_lo, exec_lo, s34
	s_wait_dscnt 0x0
	v_mov_b32_e32 v13, 0
	s_barrier_signal -1
	s_barrier_wait -1
	s_and_saveexec_b32 s34, s1
	s_cbranch_execnz .LBB238_32
; %bb.26:                               ;   in Loop: Header=BB238_4 Depth=1
	s_or_b32 exec_lo, exec_lo, s34
	s_and_saveexec_b32 s34, s1
	s_cbranch_execnz .LBB238_33
.LBB238_27:                             ;   in Loop: Header=BB238_4 Depth=1
	s_or_b32 exec_lo, exec_lo, s34
                                        ; implicit-def: $vgpr12
	s_and_saveexec_b32 s34, s0
	s_cbranch_execnz .LBB238_34
	s_branch .LBB238_37
.LBB238_28:                             ;   in Loop: Header=BB238_4 Depth=1
	s_wait_dscnt 0x0
	s_delay_alu instid0(VALU_DEP_1)
	v_mov_b64_e32 v[12:13], v[10:11]
	v_dual_mov_b32 v19, 0 :: v_dual_mov_b32 v20, v0
	v_mov_b32_e32 v21, v17
	s_mov_b32 s35, 0
.LBB238_29:                             ;   Parent Loop BB238_4 Depth=1
                                        ; =>  This Inner Loop Header: Depth=2
	v_readfirstlane_b32 s36, v8
	v_readfirstlane_b32 s37, v9
	flat_load_b32 v22, v[12:13]
	flat_load_b32 v23, v21, s[36:37] scale_offset
	v_add_nc_u32_e32 v20, 0x400, v20
	s_wait_xcnt 0x1
	v_add_nc_u64_e32 v[12:13], 0x1000, v[12:13]
	s_wait_loadcnt_dscnt 0x0
	s_wait_xcnt 0x0
	v_dual_add_nc_u32 v21, s31, v21 :: v_dual_fmac_f32 v19, v22, v23
	v_cmp_le_i32_e32 vcc_lo, s20, v20
	s_or_b32 s35, vcc_lo, s35
	s_delay_alu instid0(SALU_CYCLE_1)
	s_and_not1_b32 exec_lo, exec_lo, s35
	s_cbranch_execnz .LBB238_29
; %bb.30:                               ;   in Loop: Header=BB238_4 Depth=1
	s_or_b32 exec_lo, exec_lo, s35
	s_delay_alu instid0(SALU_CYCLE_1)
	s_or_b32 exec_lo, exec_lo, s34
	s_and_saveexec_b32 s34, s4
	s_cbranch_execz .LBB238_21
.LBB238_31:                             ;   in Loop: Header=BB238_4 Depth=1
	v_lshl_add_u64 v[10:11], s[20:21], 2, v[10:11]
	v_lshl_add_u64 v[8:9], v[4:5], 2, v[8:9]
	flat_load_b32 v12, v[10:11]
	s_wait_dscnt 0x1
	flat_load_b32 v13, v[8:9]
	s_wait_loadcnt_dscnt 0x0
	v_fmac_f32_e32 v19, v12, v13
	s_wait_xcnt 0x0
	s_or_b32 exec_lo, exec_lo, s34
	s_and_saveexec_b32 s34, s1
	s_cbranch_execnz .LBB238_22
	s_branch .LBB238_23
.LBB238_32:                             ;   in Loop: Header=BB238_4 Depth=1
	ds_load_b32 v13, v15
	s_or_b32 exec_lo, exec_lo, s34
	s_and_saveexec_b32 s34, s1
	s_cbranch_execz .LBB238_27
.LBB238_33:                             ;   in Loop: Header=BB238_4 Depth=1
	s_wait_dscnt 0x0
	ds_bpermute_b32 v12, v18, v13
	s_wait_dscnt 0x0
	v_add_f32_e32 v12, v13, v12
	ds_bpermute_b32 v8, v8, v12
	s_wait_dscnt 0x0
	v_add_f32_e32 v8, v12, v8
	;; [unrolled: 3-line block ×5, first 2 shown]
	s_or_b32 exec_lo, exec_lo, s34
                                        ; implicit-def: $vgpr12
	s_and_saveexec_b32 s34, s0
	s_cbranch_execz .LBB238_37
.LBB238_34:                             ;   in Loop: Header=BB238_4 Depth=1
	s_wait_dscnt 0x0
	v_mul_f32_e32 v12, s26, v13
	s_and_not1_b32 vcc_lo, exec_lo, s30
	s_cbranch_vccnz .LBB238_36
; %bb.35:                               ;   in Loop: Header=BB238_4 Depth=1
	v_add_nc_u64_e32 v[8:9], s[24:25], v[6:7]
	flat_load_b32 v8, v[8:9]
	s_wait_loadcnt_dscnt 0x0
	v_fmac_f32_e32 v12, s27, v8
.LBB238_36:                             ;   in Loop: Header=BB238_4 Depth=1
	s_or_b32 s33, s33, exec_lo
.LBB238_37:                             ;   in Loop: Header=BB238_4 Depth=1
	s_wait_xcnt 0x0
	s_or_b32 exec_lo, exec_lo, s34
.LBB238_38:                             ;   in Loop: Header=BB238_4 Depth=1
	s_and_saveexec_b32 s34, s33
	s_cbranch_execz .LBB238_2
; %bb.39:                               ;   in Loop: Header=BB238_4 Depth=1
	v_add_nc_u64_e32 v[6:7], s[24:25], v[6:7]
	flat_store_b32 v[6:7], v12
	s_branch .LBB238_2
.LBB238_40:
	s_endpgm
	.section	.rodata,"a",@progbits
	.p2align	6, 0x0
	.amdhsa_kernel _ZL32rocblas_gemvt_warp_reduce_kernelILb1ELi1024EiPKffKPfEviiT3_lPKT2_lT1_lS7_lS8_lS4_lPT4_lS8_li
		.amdhsa_group_segment_fixed_size 128
		.amdhsa_private_segment_fixed_size 0
		.amdhsa_kernarg_size 140
		.amdhsa_user_sgpr_count 2
		.amdhsa_user_sgpr_dispatch_ptr 0
		.amdhsa_user_sgpr_queue_ptr 0
		.amdhsa_user_sgpr_kernarg_segment_ptr 1
		.amdhsa_user_sgpr_dispatch_id 0
		.amdhsa_user_sgpr_kernarg_preload_length 0
		.amdhsa_user_sgpr_kernarg_preload_offset 0
		.amdhsa_user_sgpr_private_segment_size 0
		.amdhsa_wavefront_size32 1
		.amdhsa_uses_dynamic_stack 0
		.amdhsa_enable_private_segment 0
		.amdhsa_system_sgpr_workgroup_id_x 1
		.amdhsa_system_sgpr_workgroup_id_y 0
		.amdhsa_system_sgpr_workgroup_id_z 1
		.amdhsa_system_sgpr_workgroup_info 0
		.amdhsa_system_vgpr_workitem_id 0
		.amdhsa_next_free_vgpr 24
		.amdhsa_next_free_sgpr 38
		.amdhsa_named_barrier_count 0
		.amdhsa_reserve_vcc 1
		.amdhsa_float_round_mode_32 0
		.amdhsa_float_round_mode_16_64 0
		.amdhsa_float_denorm_mode_32 3
		.amdhsa_float_denorm_mode_16_64 3
		.amdhsa_fp16_overflow 0
		.amdhsa_memory_ordered 1
		.amdhsa_forward_progress 1
		.amdhsa_inst_pref_size 12
		.amdhsa_round_robin_scheduling 0
		.amdhsa_exception_fp_ieee_invalid_op 0
		.amdhsa_exception_fp_denorm_src 0
		.amdhsa_exception_fp_ieee_div_zero 0
		.amdhsa_exception_fp_ieee_overflow 0
		.amdhsa_exception_fp_ieee_underflow 0
		.amdhsa_exception_fp_ieee_inexact 0
		.amdhsa_exception_int_div_zero 0
	.end_amdhsa_kernel
	.section	.text._ZL32rocblas_gemvt_warp_reduce_kernelILb1ELi1024EiPKffKPfEviiT3_lPKT2_lT1_lS7_lS8_lS4_lPT4_lS8_li,"axG",@progbits,_ZL32rocblas_gemvt_warp_reduce_kernelILb1ELi1024EiPKffKPfEviiT3_lPKT2_lT1_lS7_lS8_lS4_lPT4_lS8_li,comdat
.Lfunc_end238:
	.size	_ZL32rocblas_gemvt_warp_reduce_kernelILb1ELi1024EiPKffKPfEviiT3_lPKT2_lT1_lS7_lS8_lS4_lPT4_lS8_li, .Lfunc_end238-_ZL32rocblas_gemvt_warp_reduce_kernelILb1ELi1024EiPKffKPfEviiT3_lPKT2_lT1_lS7_lS8_lS4_lPT4_lS8_li
                                        ; -- End function
	.set _ZL32rocblas_gemvt_warp_reduce_kernelILb1ELi1024EiPKffKPfEviiT3_lPKT2_lT1_lS7_lS8_lS4_lPT4_lS8_li.num_vgpr, 24
	.set _ZL32rocblas_gemvt_warp_reduce_kernelILb1ELi1024EiPKffKPfEviiT3_lPKT2_lT1_lS7_lS8_lS4_lPT4_lS8_li.num_agpr, 0
	.set _ZL32rocblas_gemvt_warp_reduce_kernelILb1ELi1024EiPKffKPfEviiT3_lPKT2_lT1_lS7_lS8_lS4_lPT4_lS8_li.numbered_sgpr, 38
	.set _ZL32rocblas_gemvt_warp_reduce_kernelILb1ELi1024EiPKffKPfEviiT3_lPKT2_lT1_lS7_lS8_lS4_lPT4_lS8_li.num_named_barrier, 0
	.set _ZL32rocblas_gemvt_warp_reduce_kernelILb1ELi1024EiPKffKPfEviiT3_lPKT2_lT1_lS7_lS8_lS4_lPT4_lS8_li.private_seg_size, 0
	.set _ZL32rocblas_gemvt_warp_reduce_kernelILb1ELi1024EiPKffKPfEviiT3_lPKT2_lT1_lS7_lS8_lS4_lPT4_lS8_li.uses_vcc, 1
	.set _ZL32rocblas_gemvt_warp_reduce_kernelILb1ELi1024EiPKffKPfEviiT3_lPKT2_lT1_lS7_lS8_lS4_lPT4_lS8_li.uses_flat_scratch, 0
	.set _ZL32rocblas_gemvt_warp_reduce_kernelILb1ELi1024EiPKffKPfEviiT3_lPKT2_lT1_lS7_lS8_lS4_lPT4_lS8_li.has_dyn_sized_stack, 0
	.set _ZL32rocblas_gemvt_warp_reduce_kernelILb1ELi1024EiPKffKPfEviiT3_lPKT2_lT1_lS7_lS8_lS4_lPT4_lS8_li.has_recursion, 0
	.set _ZL32rocblas_gemvt_warp_reduce_kernelILb1ELi1024EiPKffKPfEviiT3_lPKT2_lT1_lS7_lS8_lS4_lPT4_lS8_li.has_indirect_call, 0
	.section	.AMDGPU.csdata,"",@progbits
; Kernel info:
; codeLenInByte = 1448
; TotalNumSgprs: 40
; NumVgprs: 24
; ScratchSize: 0
; MemoryBound: 0
; FloatMode: 240
; IeeeMode: 1
; LDSByteSize: 128 bytes/workgroup (compile time only)
; SGPRBlocks: 0
; VGPRBlocks: 1
; NumSGPRsForWavesPerEU: 40
; NumVGPRsForWavesPerEU: 24
; NamedBarCnt: 0
; Occupancy: 16
; WaveLimiterHint : 1
; COMPUTE_PGM_RSRC2:SCRATCH_EN: 0
; COMPUTE_PGM_RSRC2:USER_SGPR: 2
; COMPUTE_PGM_RSRC2:TRAP_HANDLER: 0
; COMPUTE_PGM_RSRC2:TGID_X_EN: 1
; COMPUTE_PGM_RSRC2:TGID_Y_EN: 0
; COMPUTE_PGM_RSRC2:TGID_Z_EN: 1
; COMPUTE_PGM_RSRC2:TIDIG_COMP_CNT: 0
	.section	.text._ZL32rocblas_gemvt_warp_reduce_kernelILb1ELi1024ElPKffKPfEviiT3_lPKT2_lT1_lS7_lS8_lS4_lPT4_lS8_li,"axG",@progbits,_ZL32rocblas_gemvt_warp_reduce_kernelILb1ELi1024ElPKffKPfEviiT3_lPKT2_lT1_lS7_lS8_lS4_lPT4_lS8_li,comdat
	.globl	_ZL32rocblas_gemvt_warp_reduce_kernelILb1ELi1024ElPKffKPfEviiT3_lPKT2_lT1_lS7_lS8_lS4_lPT4_lS8_li ; -- Begin function _ZL32rocblas_gemvt_warp_reduce_kernelILb1ELi1024ElPKffKPfEviiT3_lPKT2_lT1_lS7_lS8_lS4_lPT4_lS8_li
	.p2align	8
	.type	_ZL32rocblas_gemvt_warp_reduce_kernelILb1ELi1024ElPKffKPfEviiT3_lPKT2_lT1_lS7_lS8_lS4_lPT4_lS8_li,@function
_ZL32rocblas_gemvt_warp_reduce_kernelILb1ELi1024ElPKffKPfEviiT3_lPKT2_lT1_lS7_lS8_lS4_lPT4_lS8_li: ; @_ZL32rocblas_gemvt_warp_reduce_kernelILb1ELi1024ElPKffKPfEviiT3_lPKT2_lT1_lS7_lS8_lS4_lPT4_lS8_li
; %bb.0:
	s_load_b32 s5, s[0:1], 0x88
	s_bfe_u32 s2, ttmp6, 0x40014
	s_lshr_b32 s3, ttmp7, 16
	s_add_co_i32 s2, s2, 1
	s_bfe_u32 s6, ttmp6, 0x40008
	s_mul_i32 s4, s3, s2
	s_getreg_b32 s2, hwreg(HW_REG_IB_STS2, 6, 4)
	s_add_co_i32 s6, s6, s4
	s_cmp_eq_u32 s2, 0
	s_mov_b32 s7, 0
	s_cselect_b32 s6, s3, s6
	s_wait_kmcnt 0x0
	s_cmp_ge_u32 s6, s5
	s_cbranch_scc1 .LBB239_40
; %bb.1:
	s_clause 0x7
	s_load_b32 s28, s[0:1], 0x8
	s_load_b32 s29, s[0:1], 0x58
	s_load_b128 s[8:11], s[0:1], 0x18
	s_load_b64 s[22:23], s[0:1], 0x28
	s_load_b32 s4, s[0:1], 0x0
	s_load_b128 s[12:15], s[0:1], 0x68
	s_load_b64 s[24:25], s[0:1], 0x48
	s_load_b64 s[26:27], s[0:1], 0x78
	v_mbcnt_lo_u32_b32 v20, -1, 0
	s_delay_alu instid0(VALU_DEP_1)
	v_lshl_or_b32 v21, v20, 2, 64
	s_wait_kmcnt 0x0
	s_cmp_eq_f32 s28, 0
	s_cselect_b32 s30, -1, 0
	s_cmp_neq_f32 s29, 1.0
	s_cselect_b32 s3, -1, 0
	s_cmp_neq_f32 s28, 0
	s_cselect_b32 s16, -1, 0
	s_delay_alu instid0(SALU_CYCLE_1)
	s_or_b32 s31, s16, s3
	s_cmp_neq_f32 s29, 0
	v_cndmask_b32_e64 v18, 0, 1, s16
	s_cselect_b32 s33, -1, 0
	s_bfe_u32 s3, ttmp6, 0x4000c
	s_and_b32 s16, ttmp6, 15
	s_add_co_i32 s3, s3, 1
	s_delay_alu instid0(SALU_CYCLE_1) | instskip(NEXT) | instid1(SALU_CYCLE_1)
	s_mul_i32 s3, ttmp9, s3
	s_add_co_i32 s16, s16, s3
	s_cmp_eq_u32 s2, 0
	s_cselect_b32 s2, ttmp9, s16
	s_load_b128 s[16:19], s[0:1], 0x38
	s_ashr_i32 s3, s4, 31
	v_cmp_gt_i32_e32 vcc_lo, s4, v0
	s_lshr_b32 s3, s3, 22
	s_wait_xcnt 0x0
	v_cmp_eq_u32_e64 s0, 0, v0
	s_add_co_i32 s3, s4, s3
	s_lshl_b64 s[10:11], s[10:11], 2
	s_and_b32 s20, s3, 0xfffffc00
	s_delay_alu instid0(SALU_CYCLE_1) | instskip(SKIP_3) | instid1(VALU_DEP_2)
	v_dual_mov_b32 v3, 0 :: v_dual_bitop2_b32 v8, s20, v0 bitop3:0x54
	s_ashr_i32 s3, s2, 31
	v_cndmask_b32_e32 v2, 0, v0, vcc_lo
	s_mul_u64 s[26:27], s[26:27], s[2:3]
	v_dual_mov_b32 v1, v3 :: v_dual_ashrrev_i32 v9, 31, v8
	s_mul_u64 s[22:23], s[22:23], s[2:3]
	v_cmp_gt_i32_e64 s2, s4, v8
	v_cmp_gt_i32_e64 s1, s20, v0
	s_delay_alu instid0(VALU_DEP_3)
	v_mul_u64_e32 v[6:7], s[24:25], v[0:1]
	v_mul_u64_e32 v[4:5], s[24:25], v[8:9]
	v_dual_lshrrev_b32 v8, 3, v0 :: v_dual_bitop2_b32 v9, 31, v0 bitop3:0x40
	v_cmp_gt_u32_e64 s3, 32, v0
	v_lshlrev_b32_e32 v2, 2, v2
	s_ashr_i32 s21, s20, 31
	v_lshlrev_b32_e32 v1, 2, v9
	v_cmp_eq_u32_e64 s4, 0, v9
	v_and_b32_e32 v19, 0x7c, v8
	s_lshl_b64 s[24:25], s[24:25], 12
	s_wait_kmcnt 0x0
	s_lshl_b64 s[18:19], s[18:19], 2
	s_lshl_b64 s[14:15], s[14:15], 2
	s_lshl_b64 s[26:27], s[26:27], 2
	v_lshlrev_b64_e32 v[6:7], 2, v[6:7]
	s_branch .LBB239_4
.LBB239_2:                              ;   in Loop: Header=BB239_4 Depth=1
	s_wait_xcnt 0x0
	s_or_b32 exec_lo, exec_lo, s35
.LBB239_3:                              ;   in Loop: Header=BB239_4 Depth=1
	s_add_co_i32 s6, s6, 0x10000
	s_delay_alu instid0(SALU_CYCLE_1)
	s_cmp_lt_u32 s6, s5
	s_cbranch_scc0 .LBB239_40
.LBB239_4:                              ; =>This Loop Header: Depth=1
                                        ;     Child Loop BB239_29 Depth 2
	s_and_not1_b32 vcc_lo, exec_lo, s31
	s_cbranch_vccnz .LBB239_3
; %bb.5:                                ;   in Loop: Header=BB239_4 Depth=1
	s_and_not1_b32 vcc_lo, exec_lo, s30
	s_cbranch_vccnz .LBB239_7
; %bb.6:                                ;   in Loop: Header=BB239_4 Depth=1
	v_mov_b64_e32 v[10:11], 0
	v_mov_b64_e32 v[12:13], 0
	s_cbranch_execz .LBB239_8
	s_branch .LBB239_9
.LBB239_7:                              ;   in Loop: Header=BB239_4 Depth=1
	v_mov_b64_e32 v[10:11], 0
	v_mov_b64_e32 v[12:13], 0
.LBB239_8:                              ;   in Loop: Header=BB239_4 Depth=1
	s_lshl_b64 s[34:35], s[6:7], 3
	s_delay_alu instid0(SALU_CYCLE_1)
	s_add_nc_u64 s[34:35], s[8:9], s[34:35]
	global_load_b64 v[8:9], v3, s[34:35]
	s_wait_loadcnt 0x0
	v_add_nc_u64_e32 v[12:13], s[10:11], v[8:9]
.LBB239_9:                              ;   in Loop: Header=BB239_4 Depth=1
	v_cmp_ne_u32_e32 vcc_lo, 1, v18
	s_cbranch_vccnz .LBB239_11
; %bb.10:                               ;   in Loop: Header=BB239_4 Depth=1
	s_wait_xcnt 0x0
	s_lshl_b64 s[34:35], s[6:7], 3
	s_delay_alu instid0(SALU_CYCLE_1)
	s_add_nc_u64 s[34:35], s[16:17], s[34:35]
	global_load_b64 v[8:9], v3, s[34:35]
	s_wait_loadcnt 0x0
	v_add_nc_u64_e32 v[10:11], s[18:19], v[8:9]
.LBB239_11:                             ;   in Loop: Header=BB239_4 Depth=1
	s_wait_xcnt 0x0
	s_lshl_b64 s[34:35], s[6:7], 3
	s_and_not1_b32 vcc_lo, exec_lo, s30
	s_add_nc_u64 s[34:35], s[12:13], s[34:35]
	global_load_b64 v[8:9], v3, s[34:35]
	s_wait_loadcnt 0x0
	v_add_nc_u64_e32 v[8:9], s[14:15], v[8:9]
	s_cbranch_vccnz .LBB239_15
; %bb.12:                               ;   in Loop: Header=BB239_4 Depth=1
	s_wait_xcnt 0x0
	s_mov_b32 s35, 0
	s_mov_b32 s34, 0
                                        ; implicit-def: $vgpr14
	s_and_saveexec_b32 s36, s0
	s_cbranch_execz .LBB239_16
; %bb.13:                               ;   in Loop: Header=BB239_4 Depth=1
	s_and_not1_b32 vcc_lo, exec_lo, s33
	s_cbranch_vccnz .LBB239_17
; %bb.14:                               ;   in Loop: Header=BB239_4 Depth=1
	s_wait_dscnt 0x0
	v_add_nc_u64_e32 v[14:15], s[26:27], v[8:9]
	flat_load_b32 v14, v[14:15]
	s_wait_loadcnt_dscnt 0x0
	s_wait_xcnt 0x0
	v_mul_f32_e32 v14, s29, v14
	s_branch .LBB239_18
.LBB239_15:                             ;   in Loop: Header=BB239_4 Depth=1
	s_wait_xcnt 0x0
	s_mov_b32 s34, 0
                                        ; implicit-def: $vgpr14
	s_cbranch_execnz .LBB239_19
	s_branch .LBB239_38
.LBB239_16:                             ;   in Loop: Header=BB239_4 Depth=1
	s_or_b32 exec_lo, exec_lo, s36
	s_delay_alu instid0(SALU_CYCLE_1)
	s_and_b32 vcc_lo, exec_lo, s35
	s_cbranch_vccnz .LBB239_19
	s_branch .LBB239_38
.LBB239_17:                             ;   in Loop: Header=BB239_4 Depth=1
	v_mov_b32_e32 v14, 0
.LBB239_18:                             ;   in Loop: Header=BB239_4 Depth=1
	s_mov_b32 s34, exec_lo
	s_or_b32 exec_lo, exec_lo, s36
	s_delay_alu instid0(SALU_CYCLE_1)
	s_and_b32 vcc_lo, exec_lo, s35
	s_cbranch_vccz .LBB239_38
.LBB239_19:                             ;   in Loop: Header=BB239_4 Depth=1
	v_add_nc_u64_e32 v[12:13], v[12:13], v[2:3]
	v_mov_b32_e32 v22, 0
	s_delay_alu instid0(VALU_DEP_2)
	v_lshl_add_u64 v[12:13], s[22:23], 2, v[12:13]
	s_and_saveexec_b32 s35, s1
	s_cbranch_execnz .LBB239_28
; %bb.20:                               ;   in Loop: Header=BB239_4 Depth=1
	s_or_b32 exec_lo, exec_lo, s35
	s_and_saveexec_b32 s35, s2
	s_cbranch_execnz .LBB239_31
.LBB239_21:                             ;   in Loop: Header=BB239_4 Depth=1
	s_or_b32 exec_lo, exec_lo, s35
	s_and_saveexec_b32 s35, s3
.LBB239_22:                             ;   in Loop: Header=BB239_4 Depth=1
	ds_store_b32 v1, v3
.LBB239_23:                             ;   in Loop: Header=BB239_4 Depth=1
	s_or_b32 exec_lo, exec_lo, s35
	ds_bpermute_b32 v11, v21, v22
	v_cmp_gt_u32_e32 vcc_lo, 24, v20
	s_wait_dscnt 0x0
	s_barrier_signal -1
	s_barrier_wait -1
	v_cndmask_b32_e64 v10, 0, 8, vcc_lo
	v_cmp_gt_u32_e32 vcc_lo, 28, v20
	s_delay_alu instid0(VALU_DEP_2)
	v_add_lshl_u32 v10, v10, v20, 2
	v_add_f32_e32 v12, v22, v11
	v_cndmask_b32_e64 v11, 0, 4, vcc_lo
	v_cmp_gt_u32_e32 vcc_lo, 30, v20
	ds_bpermute_b32 v13, v10, v12
	v_add_lshl_u32 v11, v11, v20, 2
	s_wait_dscnt 0x0
	v_add_f32_e32 v13, v12, v13
	v_cndmask_b32_e64 v12, 0, 2, vcc_lo
	v_cmp_ne_u32_e32 vcc_lo, 31, v20
	ds_bpermute_b32 v14, v11, v13
	v_add_lshl_u32 v12, v12, v20, 2
	v_add_co_ci_u32_e64 v15, null, 0, v20, vcc_lo
	s_wait_dscnt 0x0
	v_add_f32_e32 v13, v13, v14
	ds_bpermute_b32 v14, v12, v13
	s_wait_dscnt 0x0
	v_dual_add_f32 v14, v13, v14 :: v_dual_lshlrev_b32 v13, 2, v15
	ds_bpermute_b32 v15, v13, v14
	s_and_saveexec_b32 s35, s4
	s_cbranch_execz .LBB239_25
; %bb.24:                               ;   in Loop: Header=BB239_4 Depth=1
	s_wait_dscnt 0x0
	v_add_f32_e32 v14, v14, v15
	ds_store_b32 v19, v14
.LBB239_25:                             ;   in Loop: Header=BB239_4 Depth=1
	s_or_b32 exec_lo, exec_lo, s35
	s_wait_dscnt 0x0
	v_mov_b32_e32 v15, 0
	s_barrier_signal -1
	s_barrier_wait -1
	s_and_saveexec_b32 s35, s3
	s_cbranch_execnz .LBB239_32
; %bb.26:                               ;   in Loop: Header=BB239_4 Depth=1
	s_or_b32 exec_lo, exec_lo, s35
	s_and_saveexec_b32 s35, s3
	s_cbranch_execnz .LBB239_33
.LBB239_27:                             ;   in Loop: Header=BB239_4 Depth=1
	s_or_b32 exec_lo, exec_lo, s35
                                        ; implicit-def: $vgpr14
	s_and_saveexec_b32 s35, s0
	s_cbranch_execnz .LBB239_34
	s_branch .LBB239_37
.LBB239_28:                             ;   in Loop: Header=BB239_4 Depth=1
	s_wait_dscnt 0x0
	v_add_nc_u64_e32 v[14:15], v[10:11], v[6:7]
	v_mov_b64_e32 v[16:17], v[12:13]
	v_dual_mov_b32 v22, 0 :: v_dual_mov_b32 v23, v0
	s_mov_b32 s36, 0
.LBB239_29:                             ;   Parent Loop BB239_4 Depth=1
                                        ; =>  This Inner Loop Header: Depth=2
	flat_load_b32 v24, v[16:17]
	flat_load_b32 v25, v[14:15]
	v_add_nc_u32_e32 v23, 0x400, v23
	s_wait_xcnt 0x1
	v_add_nc_u64_e32 v[16:17], 0x1000, v[16:17]
	s_wait_xcnt 0x0
	v_add_nc_u64_e32 v[14:15], s[24:25], v[14:15]
	s_wait_loadcnt_dscnt 0x0
	v_fmac_f32_e32 v22, v24, v25
	v_cmp_le_i32_e32 vcc_lo, s20, v23
	s_or_b32 s36, vcc_lo, s36
	s_delay_alu instid0(SALU_CYCLE_1)
	s_and_not1_b32 exec_lo, exec_lo, s36
	s_cbranch_execnz .LBB239_29
; %bb.30:                               ;   in Loop: Header=BB239_4 Depth=1
	s_or_b32 exec_lo, exec_lo, s36
	s_delay_alu instid0(SALU_CYCLE_1)
	s_or_b32 exec_lo, exec_lo, s35
	s_and_saveexec_b32 s35, s2
	s_cbranch_execz .LBB239_21
.LBB239_31:                             ;   in Loop: Header=BB239_4 Depth=1
	v_lshl_add_u64 v[12:13], s[20:21], 2, v[12:13]
	v_lshl_add_u64 v[10:11], v[4:5], 2, v[10:11]
	flat_load_b32 v14, v[12:13]
	s_wait_dscnt 0x1
	flat_load_b32 v15, v[10:11]
	s_wait_loadcnt_dscnt 0x0
	v_fmac_f32_e32 v22, v14, v15
	s_wait_xcnt 0x0
	s_or_b32 exec_lo, exec_lo, s35
	s_and_saveexec_b32 s35, s3
	s_cbranch_execnz .LBB239_22
	s_branch .LBB239_23
.LBB239_32:                             ;   in Loop: Header=BB239_4 Depth=1
	ds_load_b32 v15, v1
	s_or_b32 exec_lo, exec_lo, s35
	s_and_saveexec_b32 s35, s3
	s_cbranch_execz .LBB239_27
.LBB239_33:                             ;   in Loop: Header=BB239_4 Depth=1
	s_wait_dscnt 0x0
	ds_bpermute_b32 v14, v21, v15
	s_wait_dscnt 0x0
	v_add_f32_e32 v14, v15, v14
	ds_bpermute_b32 v10, v10, v14
	s_wait_dscnt 0x0
	v_add_f32_e32 v10, v14, v10
	;; [unrolled: 3-line block ×5, first 2 shown]
	s_or_b32 exec_lo, exec_lo, s35
                                        ; implicit-def: $vgpr14
	s_and_saveexec_b32 s35, s0
	s_cbranch_execz .LBB239_37
.LBB239_34:                             ;   in Loop: Header=BB239_4 Depth=1
	s_wait_dscnt 0x0
	v_mul_f32_e32 v14, s28, v15
	s_and_not1_b32 vcc_lo, exec_lo, s33
	s_cbranch_vccnz .LBB239_36
; %bb.35:                               ;   in Loop: Header=BB239_4 Depth=1
	v_add_nc_u64_e32 v[10:11], s[26:27], v[8:9]
	flat_load_b32 v10, v[10:11]
	s_wait_loadcnt_dscnt 0x0
	v_fmac_f32_e32 v14, s29, v10
.LBB239_36:                             ;   in Loop: Header=BB239_4 Depth=1
	s_or_b32 s34, s34, exec_lo
.LBB239_37:                             ;   in Loop: Header=BB239_4 Depth=1
	s_wait_xcnt 0x0
	s_or_b32 exec_lo, exec_lo, s35
.LBB239_38:                             ;   in Loop: Header=BB239_4 Depth=1
	s_and_saveexec_b32 s35, s34
	s_cbranch_execz .LBB239_2
; %bb.39:                               ;   in Loop: Header=BB239_4 Depth=1
	v_add_nc_u64_e32 v[8:9], s[26:27], v[8:9]
	flat_store_b32 v[8:9], v14
	s_branch .LBB239_2
.LBB239_40:
	s_endpgm
	.section	.rodata,"a",@progbits
	.p2align	6, 0x0
	.amdhsa_kernel _ZL32rocblas_gemvt_warp_reduce_kernelILb1ELi1024ElPKffKPfEviiT3_lPKT2_lT1_lS7_lS8_lS4_lPT4_lS8_li
		.amdhsa_group_segment_fixed_size 128
		.amdhsa_private_segment_fixed_size 0
		.amdhsa_kernarg_size 140
		.amdhsa_user_sgpr_count 2
		.amdhsa_user_sgpr_dispatch_ptr 0
		.amdhsa_user_sgpr_queue_ptr 0
		.amdhsa_user_sgpr_kernarg_segment_ptr 1
		.amdhsa_user_sgpr_dispatch_id 0
		.amdhsa_user_sgpr_kernarg_preload_length 0
		.amdhsa_user_sgpr_kernarg_preload_offset 0
		.amdhsa_user_sgpr_private_segment_size 0
		.amdhsa_wavefront_size32 1
		.amdhsa_uses_dynamic_stack 0
		.amdhsa_enable_private_segment 0
		.amdhsa_system_sgpr_workgroup_id_x 1
		.amdhsa_system_sgpr_workgroup_id_y 0
		.amdhsa_system_sgpr_workgroup_id_z 1
		.amdhsa_system_sgpr_workgroup_info 0
		.amdhsa_system_vgpr_workitem_id 0
		.amdhsa_next_free_vgpr 26
		.amdhsa_next_free_sgpr 37
		.amdhsa_named_barrier_count 0
		.amdhsa_reserve_vcc 1
		.amdhsa_float_round_mode_32 0
		.amdhsa_float_round_mode_16_64 0
		.amdhsa_float_denorm_mode_32 3
		.amdhsa_float_denorm_mode_16_64 3
		.amdhsa_fp16_overflow 0
		.amdhsa_memory_ordered 1
		.amdhsa_forward_progress 1
		.amdhsa_inst_pref_size 12
		.amdhsa_round_robin_scheduling 0
		.amdhsa_exception_fp_ieee_invalid_op 0
		.amdhsa_exception_fp_denorm_src 0
		.amdhsa_exception_fp_ieee_div_zero 0
		.amdhsa_exception_fp_ieee_overflow 0
		.amdhsa_exception_fp_ieee_underflow 0
		.amdhsa_exception_fp_ieee_inexact 0
		.amdhsa_exception_int_div_zero 0
	.end_amdhsa_kernel
	.section	.text._ZL32rocblas_gemvt_warp_reduce_kernelILb1ELi1024ElPKffKPfEviiT3_lPKT2_lT1_lS7_lS8_lS4_lPT4_lS8_li,"axG",@progbits,_ZL32rocblas_gemvt_warp_reduce_kernelILb1ELi1024ElPKffKPfEviiT3_lPKT2_lT1_lS7_lS8_lS4_lPT4_lS8_li,comdat
.Lfunc_end239:
	.size	_ZL32rocblas_gemvt_warp_reduce_kernelILb1ELi1024ElPKffKPfEviiT3_lPKT2_lT1_lS7_lS8_lS4_lPT4_lS8_li, .Lfunc_end239-_ZL32rocblas_gemvt_warp_reduce_kernelILb1ELi1024ElPKffKPfEviiT3_lPKT2_lT1_lS7_lS8_lS4_lPT4_lS8_li
                                        ; -- End function
	.set _ZL32rocblas_gemvt_warp_reduce_kernelILb1ELi1024ElPKffKPfEviiT3_lPKT2_lT1_lS7_lS8_lS4_lPT4_lS8_li.num_vgpr, 26
	.set _ZL32rocblas_gemvt_warp_reduce_kernelILb1ELi1024ElPKffKPfEviiT3_lPKT2_lT1_lS7_lS8_lS4_lPT4_lS8_li.num_agpr, 0
	.set _ZL32rocblas_gemvt_warp_reduce_kernelILb1ELi1024ElPKffKPfEviiT3_lPKT2_lT1_lS7_lS8_lS4_lPT4_lS8_li.numbered_sgpr, 37
	.set _ZL32rocblas_gemvt_warp_reduce_kernelILb1ELi1024ElPKffKPfEviiT3_lPKT2_lT1_lS7_lS8_lS4_lPT4_lS8_li.num_named_barrier, 0
	.set _ZL32rocblas_gemvt_warp_reduce_kernelILb1ELi1024ElPKffKPfEviiT3_lPKT2_lT1_lS7_lS8_lS4_lPT4_lS8_li.private_seg_size, 0
	.set _ZL32rocblas_gemvt_warp_reduce_kernelILb1ELi1024ElPKffKPfEviiT3_lPKT2_lT1_lS7_lS8_lS4_lPT4_lS8_li.uses_vcc, 1
	.set _ZL32rocblas_gemvt_warp_reduce_kernelILb1ELi1024ElPKffKPfEviiT3_lPKT2_lT1_lS7_lS8_lS4_lPT4_lS8_li.uses_flat_scratch, 0
	.set _ZL32rocblas_gemvt_warp_reduce_kernelILb1ELi1024ElPKffKPfEviiT3_lPKT2_lT1_lS7_lS8_lS4_lPT4_lS8_li.has_dyn_sized_stack, 0
	.set _ZL32rocblas_gemvt_warp_reduce_kernelILb1ELi1024ElPKffKPfEviiT3_lPKT2_lT1_lS7_lS8_lS4_lPT4_lS8_li.has_recursion, 0
	.set _ZL32rocblas_gemvt_warp_reduce_kernelILb1ELi1024ElPKffKPfEviiT3_lPKT2_lT1_lS7_lS8_lS4_lPT4_lS8_li.has_indirect_call, 0
	.section	.AMDGPU.csdata,"",@progbits
; Kernel info:
; codeLenInByte = 1444
; TotalNumSgprs: 39
; NumVgprs: 26
; ScratchSize: 0
; MemoryBound: 0
; FloatMode: 240
; IeeeMode: 1
; LDSByteSize: 128 bytes/workgroup (compile time only)
; SGPRBlocks: 0
; VGPRBlocks: 1
; NumSGPRsForWavesPerEU: 39
; NumVGPRsForWavesPerEU: 26
; NamedBarCnt: 0
; Occupancy: 16
; WaveLimiterHint : 1
; COMPUTE_PGM_RSRC2:SCRATCH_EN: 0
; COMPUTE_PGM_RSRC2:USER_SGPR: 2
; COMPUTE_PGM_RSRC2:TRAP_HANDLER: 0
; COMPUTE_PGM_RSRC2:TGID_X_EN: 1
; COMPUTE_PGM_RSRC2:TGID_Y_EN: 0
; COMPUTE_PGM_RSRC2:TGID_Z_EN: 1
; COMPUTE_PGM_RSRC2:TIDIG_COMP_CNT: 0
	.section	.text._ZL34rocblas_gemvn_sm_mn_batched_kernelILi32ELi24EPKdS1_KPdEviiT2_lPKT1_lilS7_lilS4_lPT3_lili,"axG",@progbits,_ZL34rocblas_gemvn_sm_mn_batched_kernelILi32ELi24EPKdS1_KPdEviiT2_lPKT1_lilS7_lilS4_lPT3_lili,comdat
	.globl	_ZL34rocblas_gemvn_sm_mn_batched_kernelILi32ELi24EPKdS1_KPdEviiT2_lPKT1_lilS7_lilS4_lPT3_lili ; -- Begin function _ZL34rocblas_gemvn_sm_mn_batched_kernelILi32ELi24EPKdS1_KPdEviiT2_lPKT1_lilS7_lilS4_lPT3_lili
	.p2align	8
	.type	_ZL34rocblas_gemvn_sm_mn_batched_kernelILi32ELi24EPKdS1_KPdEviiT2_lPKT1_lilS7_lilS4_lPT3_lili,@function
_ZL34rocblas_gemvn_sm_mn_batched_kernelILi32ELi24EPKdS1_KPdEviiT2_lPKT1_lilS7_lilS4_lPT3_lili: ; @_ZL34rocblas_gemvn_sm_mn_batched_kernelILi32ELi24EPKdS1_KPdEviiT2_lPKT1_lilS7_lilS4_lPT3_lili
; %bb.0:
	s_endpgm
	.section	.rodata,"a",@progbits
	.p2align	6, 0x0
	.amdhsa_kernel _ZL34rocblas_gemvn_sm_mn_batched_kernelILi32ELi24EPKdS1_KPdEviiT2_lPKT1_lilS7_lilS4_lPT3_lili
		.amdhsa_group_segment_fixed_size 0
		.amdhsa_private_segment_fixed_size 0
		.amdhsa_kernarg_size 140
		.amdhsa_user_sgpr_count 2
		.amdhsa_user_sgpr_dispatch_ptr 0
		.amdhsa_user_sgpr_queue_ptr 0
		.amdhsa_user_sgpr_kernarg_segment_ptr 1
		.amdhsa_user_sgpr_dispatch_id 0
		.amdhsa_user_sgpr_kernarg_preload_length 0
		.amdhsa_user_sgpr_kernarg_preload_offset 0
		.amdhsa_user_sgpr_private_segment_size 0
		.amdhsa_wavefront_size32 1
		.amdhsa_uses_dynamic_stack 0
		.amdhsa_enable_private_segment 0
		.amdhsa_system_sgpr_workgroup_id_x 1
		.amdhsa_system_sgpr_workgroup_id_y 0
		.amdhsa_system_sgpr_workgroup_id_z 0
		.amdhsa_system_sgpr_workgroup_info 0
		.amdhsa_system_vgpr_workitem_id 0
		.amdhsa_next_free_vgpr 1
		.amdhsa_next_free_sgpr 1
		.amdhsa_named_barrier_count 0
		.amdhsa_reserve_vcc 0
		.amdhsa_float_round_mode_32 0
		.amdhsa_float_round_mode_16_64 0
		.amdhsa_float_denorm_mode_32 3
		.amdhsa_float_denorm_mode_16_64 3
		.amdhsa_fp16_overflow 0
		.amdhsa_memory_ordered 1
		.amdhsa_forward_progress 1
		.amdhsa_inst_pref_size 1
		.amdhsa_round_robin_scheduling 0
		.amdhsa_exception_fp_ieee_invalid_op 0
		.amdhsa_exception_fp_denorm_src 0
		.amdhsa_exception_fp_ieee_div_zero 0
		.amdhsa_exception_fp_ieee_overflow 0
		.amdhsa_exception_fp_ieee_underflow 0
		.amdhsa_exception_fp_ieee_inexact 0
		.amdhsa_exception_int_div_zero 0
	.end_amdhsa_kernel
	.section	.text._ZL34rocblas_gemvn_sm_mn_batched_kernelILi32ELi24EPKdS1_KPdEviiT2_lPKT1_lilS7_lilS4_lPT3_lili,"axG",@progbits,_ZL34rocblas_gemvn_sm_mn_batched_kernelILi32ELi24EPKdS1_KPdEviiT2_lPKT1_lilS7_lilS4_lPT3_lili,comdat
.Lfunc_end240:
	.size	_ZL34rocblas_gemvn_sm_mn_batched_kernelILi32ELi24EPKdS1_KPdEviiT2_lPKT1_lilS7_lilS4_lPT3_lili, .Lfunc_end240-_ZL34rocblas_gemvn_sm_mn_batched_kernelILi32ELi24EPKdS1_KPdEviiT2_lPKT1_lilS7_lilS4_lPT3_lili
                                        ; -- End function
	.set _ZL34rocblas_gemvn_sm_mn_batched_kernelILi32ELi24EPKdS1_KPdEviiT2_lPKT1_lilS7_lilS4_lPT3_lili.num_vgpr, 0
	.set _ZL34rocblas_gemvn_sm_mn_batched_kernelILi32ELi24EPKdS1_KPdEviiT2_lPKT1_lilS7_lilS4_lPT3_lili.num_agpr, 0
	.set _ZL34rocblas_gemvn_sm_mn_batched_kernelILi32ELi24EPKdS1_KPdEviiT2_lPKT1_lilS7_lilS4_lPT3_lili.numbered_sgpr, 0
	.set _ZL34rocblas_gemvn_sm_mn_batched_kernelILi32ELi24EPKdS1_KPdEviiT2_lPKT1_lilS7_lilS4_lPT3_lili.num_named_barrier, 0
	.set _ZL34rocblas_gemvn_sm_mn_batched_kernelILi32ELi24EPKdS1_KPdEviiT2_lPKT1_lilS7_lilS4_lPT3_lili.private_seg_size, 0
	.set _ZL34rocblas_gemvn_sm_mn_batched_kernelILi32ELi24EPKdS1_KPdEviiT2_lPKT1_lilS7_lilS4_lPT3_lili.uses_vcc, 0
	.set _ZL34rocblas_gemvn_sm_mn_batched_kernelILi32ELi24EPKdS1_KPdEviiT2_lPKT1_lilS7_lilS4_lPT3_lili.uses_flat_scratch, 0
	.set _ZL34rocblas_gemvn_sm_mn_batched_kernelILi32ELi24EPKdS1_KPdEviiT2_lPKT1_lilS7_lilS4_lPT3_lili.has_dyn_sized_stack, 0
	.set _ZL34rocblas_gemvn_sm_mn_batched_kernelILi32ELi24EPKdS1_KPdEviiT2_lPKT1_lilS7_lilS4_lPT3_lili.has_recursion, 0
	.set _ZL34rocblas_gemvn_sm_mn_batched_kernelILi32ELi24EPKdS1_KPdEviiT2_lPKT1_lilS7_lilS4_lPT3_lili.has_indirect_call, 0
	.section	.AMDGPU.csdata,"",@progbits
; Kernel info:
; codeLenInByte = 4
; TotalNumSgprs: 0
; NumVgprs: 0
; ScratchSize: 0
; MemoryBound: 0
; FloatMode: 240
; IeeeMode: 1
; LDSByteSize: 0 bytes/workgroup (compile time only)
; SGPRBlocks: 0
; VGPRBlocks: 0
; NumSGPRsForWavesPerEU: 1
; NumVGPRsForWavesPerEU: 1
; NamedBarCnt: 0
; Occupancy: 16
; WaveLimiterHint : 0
; COMPUTE_PGM_RSRC2:SCRATCH_EN: 0
; COMPUTE_PGM_RSRC2:USER_SGPR: 2
; COMPUTE_PGM_RSRC2:TRAP_HANDLER: 0
; COMPUTE_PGM_RSRC2:TGID_X_EN: 1
; COMPUTE_PGM_RSRC2:TGID_Y_EN: 0
; COMPUTE_PGM_RSRC2:TGID_Z_EN: 0
; COMPUTE_PGM_RSRC2:TIDIG_COMP_CNT: 0
	.section	.text._ZL34rocblas_gemvn_sm_mn_batched_kernelILi32ELi24EPKddKPdEviiT2_lPKT1_lilS7_lilS4_lPT3_lili,"axG",@progbits,_ZL34rocblas_gemvn_sm_mn_batched_kernelILi32ELi24EPKddKPdEviiT2_lPKT1_lilS7_lilS4_lPT3_lili,comdat
	.globl	_ZL34rocblas_gemvn_sm_mn_batched_kernelILi32ELi24EPKddKPdEviiT2_lPKT1_lilS7_lilS4_lPT3_lili ; -- Begin function _ZL34rocblas_gemvn_sm_mn_batched_kernelILi32ELi24EPKddKPdEviiT2_lPKT1_lilS7_lilS4_lPT3_lili
	.p2align	8
	.type	_ZL34rocblas_gemvn_sm_mn_batched_kernelILi32ELi24EPKddKPdEviiT2_lPKT1_lilS7_lilS4_lPT3_lili,@function
_ZL34rocblas_gemvn_sm_mn_batched_kernelILi32ELi24EPKddKPdEviiT2_lPKT1_lilS7_lilS4_lPT3_lili: ; @_ZL34rocblas_gemvn_sm_mn_batched_kernelILi32ELi24EPKddKPdEviiT2_lPKT1_lilS7_lilS4_lPT3_lili
; %bb.0:
	s_endpgm
	.section	.rodata,"a",@progbits
	.p2align	6, 0x0
	.amdhsa_kernel _ZL34rocblas_gemvn_sm_mn_batched_kernelILi32ELi24EPKddKPdEviiT2_lPKT1_lilS7_lilS4_lPT3_lili
		.amdhsa_group_segment_fixed_size 0
		.amdhsa_private_segment_fixed_size 0
		.amdhsa_kernarg_size 140
		.amdhsa_user_sgpr_count 2
		.amdhsa_user_sgpr_dispatch_ptr 0
		.amdhsa_user_sgpr_queue_ptr 0
		.amdhsa_user_sgpr_kernarg_segment_ptr 1
		.amdhsa_user_sgpr_dispatch_id 0
		.amdhsa_user_sgpr_kernarg_preload_length 0
		.amdhsa_user_sgpr_kernarg_preload_offset 0
		.amdhsa_user_sgpr_private_segment_size 0
		.amdhsa_wavefront_size32 1
		.amdhsa_uses_dynamic_stack 0
		.amdhsa_enable_private_segment 0
		.amdhsa_system_sgpr_workgroup_id_x 1
		.amdhsa_system_sgpr_workgroup_id_y 0
		.amdhsa_system_sgpr_workgroup_id_z 0
		.amdhsa_system_sgpr_workgroup_info 0
		.amdhsa_system_vgpr_workitem_id 0
		.amdhsa_next_free_vgpr 1
		.amdhsa_next_free_sgpr 1
		.amdhsa_named_barrier_count 0
		.amdhsa_reserve_vcc 0
		.amdhsa_float_round_mode_32 0
		.amdhsa_float_round_mode_16_64 0
		.amdhsa_float_denorm_mode_32 3
		.amdhsa_float_denorm_mode_16_64 3
		.amdhsa_fp16_overflow 0
		.amdhsa_memory_ordered 1
		.amdhsa_forward_progress 1
		.amdhsa_inst_pref_size 1
		.amdhsa_round_robin_scheduling 0
		.amdhsa_exception_fp_ieee_invalid_op 0
		.amdhsa_exception_fp_denorm_src 0
		.amdhsa_exception_fp_ieee_div_zero 0
		.amdhsa_exception_fp_ieee_overflow 0
		.amdhsa_exception_fp_ieee_underflow 0
		.amdhsa_exception_fp_ieee_inexact 0
		.amdhsa_exception_int_div_zero 0
	.end_amdhsa_kernel
	.section	.text._ZL34rocblas_gemvn_sm_mn_batched_kernelILi32ELi24EPKddKPdEviiT2_lPKT1_lilS7_lilS4_lPT3_lili,"axG",@progbits,_ZL34rocblas_gemvn_sm_mn_batched_kernelILi32ELi24EPKddKPdEviiT2_lPKT1_lilS7_lilS4_lPT3_lili,comdat
.Lfunc_end241:
	.size	_ZL34rocblas_gemvn_sm_mn_batched_kernelILi32ELi24EPKddKPdEviiT2_lPKT1_lilS7_lilS4_lPT3_lili, .Lfunc_end241-_ZL34rocblas_gemvn_sm_mn_batched_kernelILi32ELi24EPKddKPdEviiT2_lPKT1_lilS7_lilS4_lPT3_lili
                                        ; -- End function
	.set _ZL34rocblas_gemvn_sm_mn_batched_kernelILi32ELi24EPKddKPdEviiT2_lPKT1_lilS7_lilS4_lPT3_lili.num_vgpr, 0
	.set _ZL34rocblas_gemvn_sm_mn_batched_kernelILi32ELi24EPKddKPdEviiT2_lPKT1_lilS7_lilS4_lPT3_lili.num_agpr, 0
	.set _ZL34rocblas_gemvn_sm_mn_batched_kernelILi32ELi24EPKddKPdEviiT2_lPKT1_lilS7_lilS4_lPT3_lili.numbered_sgpr, 0
	.set _ZL34rocblas_gemvn_sm_mn_batched_kernelILi32ELi24EPKddKPdEviiT2_lPKT1_lilS7_lilS4_lPT3_lili.num_named_barrier, 0
	.set _ZL34rocblas_gemvn_sm_mn_batched_kernelILi32ELi24EPKddKPdEviiT2_lPKT1_lilS7_lilS4_lPT3_lili.private_seg_size, 0
	.set _ZL34rocblas_gemvn_sm_mn_batched_kernelILi32ELi24EPKddKPdEviiT2_lPKT1_lilS7_lilS4_lPT3_lili.uses_vcc, 0
	.set _ZL34rocblas_gemvn_sm_mn_batched_kernelILi32ELi24EPKddKPdEviiT2_lPKT1_lilS7_lilS4_lPT3_lili.uses_flat_scratch, 0
	.set _ZL34rocblas_gemvn_sm_mn_batched_kernelILi32ELi24EPKddKPdEviiT2_lPKT1_lilS7_lilS4_lPT3_lili.has_dyn_sized_stack, 0
	.set _ZL34rocblas_gemvn_sm_mn_batched_kernelILi32ELi24EPKddKPdEviiT2_lPKT1_lilS7_lilS4_lPT3_lili.has_recursion, 0
	.set _ZL34rocblas_gemvn_sm_mn_batched_kernelILi32ELi24EPKddKPdEviiT2_lPKT1_lilS7_lilS4_lPT3_lili.has_indirect_call, 0
	.section	.AMDGPU.csdata,"",@progbits
; Kernel info:
; codeLenInByte = 4
; TotalNumSgprs: 0
; NumVgprs: 0
; ScratchSize: 0
; MemoryBound: 0
; FloatMode: 240
; IeeeMode: 1
; LDSByteSize: 0 bytes/workgroup (compile time only)
; SGPRBlocks: 0
; VGPRBlocks: 0
; NumSGPRsForWavesPerEU: 1
; NumVGPRsForWavesPerEU: 1
; NamedBarCnt: 0
; Occupancy: 16
; WaveLimiterHint : 0
; COMPUTE_PGM_RSRC2:SCRATCH_EN: 0
; COMPUTE_PGM_RSRC2:USER_SGPR: 2
; COMPUTE_PGM_RSRC2:TRAP_HANDLER: 0
; COMPUTE_PGM_RSRC2:TGID_X_EN: 1
; COMPUTE_PGM_RSRC2:TGID_Y_EN: 0
; COMPUTE_PGM_RSRC2:TGID_Z_EN: 0
; COMPUTE_PGM_RSRC2:TIDIG_COMP_CNT: 0
	.section	.text._ZL20rocblas_gemvn_kernelILi64ELi4EiPKdS1_KPdEviiT3_lPKT2_lT1_lS7_lS8_lS4_lPT4_lS8_li,"axG",@progbits,_ZL20rocblas_gemvn_kernelILi64ELi4EiPKdS1_KPdEviiT3_lPKT2_lT1_lS7_lS8_lS4_lPT4_lS8_li,comdat
	.globl	_ZL20rocblas_gemvn_kernelILi64ELi4EiPKdS1_KPdEviiT3_lPKT2_lT1_lS7_lS8_lS4_lPT4_lS8_li ; -- Begin function _ZL20rocblas_gemvn_kernelILi64ELi4EiPKdS1_KPdEviiT3_lPKT2_lT1_lS7_lS8_lS4_lPT4_lS8_li
	.p2align	8
	.type	_ZL20rocblas_gemvn_kernelILi64ELi4EiPKdS1_KPdEviiT3_lPKT2_lT1_lS7_lS8_lS4_lPT4_lS8_li,@function
_ZL20rocblas_gemvn_kernelILi64ELi4EiPKdS1_KPdEviiT3_lPKT2_lT1_lS7_lS8_lS4_lPT4_lS8_li: ; @_ZL20rocblas_gemvn_kernelILi64ELi4EiPKdS1_KPdEviiT3_lPKT2_lT1_lS7_lS8_lS4_lPT4_lS8_li
; %bb.0:
	s_clause 0x1
	s_load_b64 s[4:5], s[0:1], 0x9c
	s_load_b32 s33, s[0:1], 0x88
	s_bfe_u32 s2, ttmp6, 0x40014
	s_lshr_b32 s3, ttmp7, 16
	s_add_co_i32 s2, s2, 1
	s_bfe_u32 s6, ttmp6, 0x40008
	s_mul_i32 s7, s3, s2
	s_getreg_b32 s2, hwreg(HW_REG_IB_STS2, 6, 4)
	s_add_co_i32 s6, s6, s7
	s_mov_b32 s11, 0
	s_wait_kmcnt 0x0
	s_lshr_b32 s7, s4, 16
	s_and_b32 s4, s4, 0xffff
	s_and_b32 s5, s5, 0xffff
	s_mul_i32 s4, s7, s4
	s_cmp_eq_u32 s2, 0
	s_mul_i32 s4, s4, s5
	s_cselect_b32 s10, s3, s6
	s_cmp_lg_u32 s4, 0x100
	s_cselect_b32 s3, -1, 0
	s_cmp_ge_u32 s10, s33
	s_cselect_b32 s4, -1, 0
	s_delay_alu instid0(SALU_CYCLE_1) | instskip(NEXT) | instid1(SALU_CYCLE_1)
	s_or_b32 s3, s3, s4
	s_and_b32 vcc_lo, exec_lo, s3
	s_cbranch_vccnz .LBB242_55
; %bb.1:
	s_clause 0x6
	s_load_b32 s4, s[0:1], 0x78
	s_load_b64 s[8:9], s[0:1], 0x0
	s_load_b256 s[12:19], s[0:1], 0x8
	s_load_b32 s34, s[0:1], 0x28
	s_load_b128 s[28:31], s[0:1], 0x38
	s_load_b32 s35, s[0:1], 0x48
	s_load_b256 s[20:27], s[0:1], 0x58
	s_wait_xcnt 0x0
	s_bfe_u32 s0, ttmp6, 0x4000c
	v_and_b32_e32 v6, 0x3ff, v0
	s_add_co_i32 s0, s0, 1
	v_bfe_u32 v7, v0, 10, 10
	s_and_b32 s1, ttmp6, 15
	s_mul_i32 s0, ttmp9, s0
	v_mov_b32_e32 v1, 0
	s_add_co_i32 s1, s1, s0
	v_lshl_add_u32 v5, v7, 6, v6
	v_lshlrev_b32_e32 v64, 2, v7
	s_wait_kmcnt 0x0
	s_ashr_i32 s5, s4, 31
	s_cmp_eq_u32 s2, 0
	s_mov_b32 s2, s8
	s_cselect_b32 s0, ttmp9, s1
	s_ashr_i32 s3, s8, 31
	s_lshl_b32 s36, s0, 8
	s_ashr_i32 s1, s9, 31
	v_dual_add_nc_u32 v0, s36, v5 :: v_dual_bitop2_b32 v65, s36, v6 bitop3:0x54
	v_or_b32_e32 v8, s36, v5
	s_lshr_b32 s0, s1, 28
	v_mul_lo_u32 v11, v7, s34
	s_delay_alu instid0(VALU_DEP_3)
	v_mul_u64_e32 v[2:3], s[4:5], v[0:1]
	v_add_nc_u32_e32 v9, 0x80, v65
	v_add_nc_u32_e32 v4, 64, v65
	v_cmp_gt_i64_e32 vcc_lo, s[2:3], v[0:1]
	v_add_nc_u32_e32 v0, 0xc0, v65
	s_add_co_i32 s0, s9, s0
	v_cmp_gt_i32_e64 s3, s8, v9
	v_lshlrev_b32_e32 v9, 3, v6
	v_cmp_gt_i32_e64 s2, s8, v4
	v_mul_lo_u32 v4, s4, v8
	v_cmp_gt_i32_e64 s4, s8, v0
	s_and_b32 s37, s0, -16
	v_lshl_add_u32 v0, v7, 11, v9
	v_lshl_add_u32 v66, v7, 9, v9
	v_mul_lo_u32 v7, v7, s35
	s_sub_co_i32 s6, s9, s37
	v_or_b32_e32 v9, 2, v64
	s_cmp_gt_i32 s6, 0
	v_cmp_gt_i32_e64 s6, s8, v8
	v_mul_lo_u32 v8, s34, v64
	v_or_b32_e32 v10, 3, v64
	v_mad_u32 v67, s34, v9, v6
	v_mad_u32 v69, s35, v64, s35
	v_mul_lo_u32 v70, s35, v9
	v_cmp_gt_u32_e64 s5, 0x100, v5
	v_lshlrev_b32_e32 v74, 2, v7
	v_mad_u32 v68, s34, v10, v6
	v_mul_lo_u32 v71, s35, v10
	v_cmp_gt_i32_e64 s0, s37, v64
	v_cmp_gt_i32_e64 s1, s8, v65
	v_ashrrev_i32_e32 v5, 31, v4
	v_add3_u32 v72, v8, s34, v6
	v_lshl_add_u32 v73, v11, 2, v6
	s_cselect_b32 s38, -1, 0
	s_and_b32 s39, s5, vcc_lo
	s_lshl_b32 s40, s34, 4
	s_lshl_b32 s41, s35, 4
	s_lshl_b64 s[18:19], s[18:19], 3
	s_lshl_b64 s[30:31], s[30:31], 3
	;; [unrolled: 1-line block ×3, first 2 shown]
	s_branch .LBB242_4
.LBB242_2:                              ;   in Loop: Header=BB242_4 Depth=1
	s_wait_xcnt 0x0
	s_or_b32 exec_lo, exec_lo, s7
.LBB242_3:                              ;   in Loop: Header=BB242_4 Depth=1
	s_add_co_i32 s10, s10, 0x10000
	s_delay_alu instid0(SALU_CYCLE_1)
	s_cmp_lt_u32 s10, s33
	s_cbranch_scc0 .LBB242_55
.LBB242_4:                              ; =>This Loop Header: Depth=1
                                        ;     Child Loop BB242_21 Depth 2
	s_wait_xcnt 0x1
	s_mul_u64 s[42:43], s[14:15], s[10:11]
	s_wait_xcnt 0x0
	s_mul_u64 s[44:45], s[22:23], s[10:11]
	s_lshl_b64 s[42:43], s[42:43], 3
	s_lshl_b64 s[44:45], s[44:45], 3
	s_add_nc_u64 s[42:43], s[12:13], s[42:43]
	s_add_nc_u64 s[44:45], s[20:21], s[44:45]
	s_clause 0x1
	global_load_b64 v[10:11], v1, s[42:43]
	global_load_b64 v[6:7], v1, s[44:45]
	s_wait_loadcnt 0x1
	v_cmp_eq_f64_e64 s7, 0, v[10:11]
	s_wait_loadcnt 0x0
	v_cmp_eq_f64_e32 vcc_lo, 1.0, v[6:7]
	s_and_b32 s8, s7, vcc_lo
	s_delay_alu instid0(SALU_CYCLE_1)
	s_and_b32 vcc_lo, exec_lo, s8
	s_cbranch_vccnz .LBB242_3
; %bb.5:                                ;   in Loop: Header=BB242_4 Depth=1
	v_cmp_neq_f64_e64 s8, 0, v[10:11]
	v_mov_b64_e32 v[22:23], 0
	v_mov_b64_e32 v[20:21], 0
	s_and_b32 vcc_lo, exec_lo, s7
	s_cbranch_vccnz .LBB242_7
; %bb.6:                                ;   in Loop: Header=BB242_4 Depth=1
	s_wait_xcnt 0x1
	s_lshl_b64 s[42:43], s[10:11], 3
	s_delay_alu instid0(SALU_CYCLE_1)
	s_add_nc_u64 s[42:43], s[16:17], s[42:43]
	global_load_b64 v[8:9], v1, s[42:43]
	s_wait_loadcnt 0x0
	v_add_nc_u64_e32 v[20:21], s[18:19], v[8:9]
.LBB242_7:                              ;   in Loop: Header=BB242_4 Depth=1
	s_and_not1_b32 vcc_lo, exec_lo, s8
	s_cbranch_vccnz .LBB242_9
; %bb.8:                                ;   in Loop: Header=BB242_4 Depth=1
	s_wait_xcnt 0x0
	s_lshl_b64 s[42:43], s[10:11], 3
	s_delay_alu instid0(SALU_CYCLE_1)
	s_add_nc_u64 s[42:43], s[28:29], s[42:43]
	global_load_b64 v[8:9], v1, s[42:43]
	s_wait_loadcnt 0x0
	v_add_nc_u64_e32 v[22:23], s[30:31], v[8:9]
.LBB242_9:                              ;   in Loop: Header=BB242_4 Depth=1
	s_wait_xcnt 0x0
	s_lshl_b64 s[42:43], s[10:11], 3
	s_and_not1_b32 vcc_lo, exec_lo, s7
	s_add_nc_u64 s[42:43], s[24:25], s[42:43]
	global_load_b64 v[8:9], v1, s[42:43]
	s_wait_loadcnt 0x0
	v_add_nc_u64_e32 v[8:9], s[26:27], v[8:9]
	s_cbranch_vccnz .LBB242_14
; %bb.10:                               ;   in Loop: Header=BB242_4 Depth=1
	s_mov_b32 s7, 0
	s_mov_b32 s8, 0
                                        ; implicit-def: $vgpr12_vgpr13
	s_wait_xcnt 0x0
	s_and_saveexec_b32 s42, s39
	s_cbranch_execz .LBB242_26
; %bb.11:                               ;   in Loop: Header=BB242_4 Depth=1
	v_cmp_eq_f64_e32 vcc_lo, 0, v[6:7]
	v_mov_b64_e32 v[12:13], 0
	s_cbranch_vccnz .LBB242_13
; %bb.12:                               ;   in Loop: Header=BB242_4 Depth=1
	v_lshl_add_u64 v[12:13], v[2:3], 3, v[8:9]
	flat_load_b64 v[12:13], v[12:13]
	s_wait_loadcnt_dscnt 0x0
	s_wait_xcnt 0x0
	v_mul_f64_e32 v[12:13], v[6:7], v[12:13]
.LBB242_13:                             ;   in Loop: Header=BB242_4 Depth=1
	s_mov_b32 s8, exec_lo
	s_or_b32 exec_lo, exec_lo, s42
	s_delay_alu instid0(SALU_CYCLE_1)
	s_and_b32 vcc_lo, exec_lo, s7
	s_cbranch_vccnz .LBB242_15
	s_branch .LBB242_27
.LBB242_14:                             ;   in Loop: Header=BB242_4 Depth=1
	s_mov_b32 s8, 0
                                        ; implicit-def: $vgpr12_vgpr13
	s_cbranch_execz .LBB242_27
.LBB242_15:                             ;   in Loop: Header=BB242_4 Depth=1
	v_mov_b64_e32 v[12:13], 0
	v_mov_b64_e32 v[14:15], 0
	;; [unrolled: 1-line block ×4, first 2 shown]
	v_mov_b32_e32 v75, v64
	s_wait_xcnt 0x0
	s_and_saveexec_b32 s7, s0
	s_cbranch_execz .LBB242_29
; %bb.16:                               ;   in Loop: Header=BB242_4 Depth=1
	v_mov_b64_e32 v[12:13], 0
	v_mov_b64_e32 v[14:15], 0
	v_mov_b64_e32 v[16:17], 0
	v_mov_b64_e32 v[18:19], 0
	v_dual_mov_b32 v76, v73 :: v_dual_mov_b32 v77, v68
	v_dual_mov_b32 v78, v67 :: v_dual_mov_b32 v79, v72
	v_mov_b32_e32 v75, v64
	s_mov_b32 s42, 0
	s_mov_b32 s43, 0
	s_branch .LBB242_21
.LBB242_17:                             ;   in Loop: Header=BB242_21 Depth=2
	s_wait_xcnt 0x0
	s_or_b32 exec_lo, exec_lo, s47
	s_wait_loadcnt_dscnt 0x303
	v_fmac_f64_e32 v[16:17], v[30:31], v[62:63]
	s_wait_loadcnt_dscnt 0x202
	s_delay_alu instid0(VALU_DEP_1) | instskip(SKIP_1) | instid1(VALU_DEP_1)
	v_fmac_f64_e32 v[16:17], v[28:29], v[58:59]
	s_wait_loadcnt_dscnt 0x101
	v_fmac_f64_e32 v[16:17], v[26:27], v[56:57]
	s_wait_loadcnt_dscnt 0x0
	s_delay_alu instid0(VALU_DEP_1)
	v_fmac_f64_e32 v[16:17], v[24:25], v[54:55]
.LBB242_18:                             ;   in Loop: Header=BB242_21 Depth=2
	s_or_b32 exec_lo, exec_lo, s46
	s_wait_loadcnt_dscnt 0x303
	v_fmac_f64_e32 v[14:15], v[30:31], v[46:47]
	s_wait_loadcnt_dscnt 0x202
	s_delay_alu instid0(VALU_DEP_1) | instskip(SKIP_1) | instid1(VALU_DEP_1)
	v_fmac_f64_e32 v[14:15], v[28:29], v[44:45]
	s_wait_loadcnt_dscnt 0x101
	v_fmac_f64_e32 v[14:15], v[26:27], v[42:43]
	s_wait_loadcnt_dscnt 0x0
	s_delay_alu instid0(VALU_DEP_1)
	v_fmac_f64_e32 v[14:15], v[24:25], v[40:41]
.LBB242_19:                             ;   in Loop: Header=BB242_21 Depth=2
	s_or_b32 exec_lo, exec_lo, s45
	s_wait_loadcnt_dscnt 0x303
	v_fmac_f64_e32 v[12:13], v[30:31], v[38:39]
	s_wait_loadcnt_dscnt 0x202
	s_delay_alu instid0(VALU_DEP_1) | instskip(SKIP_1) | instid1(VALU_DEP_1)
	v_fmac_f64_e32 v[12:13], v[28:29], v[36:37]
	s_wait_loadcnt_dscnt 0x101
	v_fmac_f64_e32 v[12:13], v[26:27], v[34:35]
	s_wait_loadcnt_dscnt 0x0
	s_delay_alu instid0(VALU_DEP_1)
	v_fmac_f64_e32 v[12:13], v[24:25], v[32:33]
.LBB242_20:                             ;   in Loop: Header=BB242_21 Depth=2
	s_or_b32 exec_lo, exec_lo, s44
	v_dual_add_nc_u32 v75, 16, v75 :: v_dual_add_nc_u32 v78, s40, v78
	v_dual_add_nc_u32 v79, s40, v79 :: v_dual_add_nc_u32 v77, s40, v77
	v_add_nc_u32_e32 v76, s40, v76
	s_delay_alu instid0(VALU_DEP_3) | instskip(SKIP_2) | instid1(SALU_CYCLE_1)
	v_cmp_le_i32_e32 vcc_lo, s37, v75
	s_add_co_i32 s43, s43, s41
	s_or_b32 s42, vcc_lo, s42
	s_and_not1_b32 exec_lo, exec_lo, s42
	s_cbranch_execz .LBB242_28
.LBB242_21:                             ;   Parent Loop BB242_4 Depth=1
                                        ; =>  This Inner Loop Header: Depth=2
	s_and_saveexec_b32 s44, s1
	s_cbranch_execz .LBB242_20
; %bb.22:                               ;   in Loop: Header=BB242_21 Depth=2
	v_dual_add_nc_u32 v41, s43, v74 :: v_dual_add_nc_u32 v43, s43, v69
	v_readfirstlane_b32 s46, v22
	v_readfirstlane_b32 s47, v23
	v_dual_add_nc_u32 v45, s43, v70 :: v_dual_add_nc_u32 v47, s43, v71
	v_dual_add_nc_u32 v40, s36, v76 :: v_dual_add_nc_u32 v42, s36, v79
	v_readfirstlane_b32 s48, v20
	v_readfirstlane_b32 s49, v21
	v_dual_add_nc_u32 v46, s36, v78 :: v_dual_add_nc_u32 v44, s36, v77
	s_clause 0x3
	flat_load_b64 v[30:31], v41, s[46:47] scale_offset
	flat_load_b64 v[28:29], v43, s[46:47] scale_offset
	;; [unrolled: 1-line block ×4, first 2 shown]
	s_clause 0x3
	flat_load_b64 v[38:39], v40, s[48:49] scale_offset
	flat_load_b64 v[36:37], v42, s[48:49] scale_offset
	;; [unrolled: 1-line block ×4, first 2 shown]
	s_wait_xcnt 0x0
	s_and_saveexec_b32 s45, s2
	s_cbranch_execz .LBB242_19
; %bb.23:                               ;   in Loop: Header=BB242_21 Depth=2
	v_dual_ashrrev_i32 v41, 31, v40 :: v_dual_ashrrev_i32 v43, 31, v42
	v_dual_ashrrev_i32 v47, 31, v46 :: v_dual_ashrrev_i32 v45, 31, v44
	s_delay_alu instid0(VALU_DEP_2) | instskip(NEXT) | instid1(VALU_DEP_3)
	v_lshl_add_u64 v[52:53], v[40:41], 3, v[20:21]
	v_lshl_add_u64 v[48:49], v[42:43], 3, v[20:21]
	s_delay_alu instid0(VALU_DEP_3) | instskip(NEXT) | instid1(VALU_DEP_4)
	v_lshl_add_u64 v[50:51], v[46:47], 3, v[20:21]
	v_lshl_add_u64 v[60:61], v[44:45], 3, v[20:21]
	s_clause 0x3
	flat_load_b64 v[46:47], v[52:53] offset:512
	flat_load_b64 v[44:45], v[48:49] offset:512
	flat_load_b64 v[42:43], v[50:51] offset:512
	flat_load_b64 v[40:41], v[60:61] offset:512
	s_wait_xcnt 0x0
	s_and_saveexec_b32 s46, s3
	s_cbranch_execz .LBB242_18
; %bb.24:                               ;   in Loop: Header=BB242_21 Depth=2
	s_clause 0x3
	flat_load_b64 v[62:63], v[52:53] offset:1024
	flat_load_b64 v[58:59], v[48:49] offset:1024
	;; [unrolled: 1-line block ×4, first 2 shown]
	s_wait_xcnt 0x0
	s_and_saveexec_b32 s47, s4
	s_cbranch_execz .LBB242_17
; %bb.25:                               ;   in Loop: Header=BB242_21 Depth=2
	s_clause 0x3
	flat_load_b64 v[80:81], v[52:53] offset:1536
	flat_load_b64 v[82:83], v[48:49] offset:1536
	;; [unrolled: 1-line block ×4, first 2 shown]
	s_wait_loadcnt_dscnt 0x303
	v_fmac_f64_e32 v[18:19], v[30:31], v[80:81]
	s_wait_loadcnt_dscnt 0x202
	s_delay_alu instid0(VALU_DEP_1) | instskip(SKIP_1) | instid1(VALU_DEP_1)
	v_fmac_f64_e32 v[18:19], v[28:29], v[82:83]
	s_wait_loadcnt_dscnt 0x101
	v_fmac_f64_e32 v[18:19], v[26:27], v[84:85]
	s_wait_loadcnt_dscnt 0x0
	s_delay_alu instid0(VALU_DEP_1)
	v_fmac_f64_e32 v[18:19], v[24:25], v[86:87]
	s_branch .LBB242_17
.LBB242_26:                             ;   in Loop: Header=BB242_4 Depth=1
	s_or_b32 exec_lo, exec_lo, s42
	s_delay_alu instid0(SALU_CYCLE_1)
	s_and_b32 vcc_lo, exec_lo, s7
	s_cbranch_vccnz .LBB242_15
.LBB242_27:                             ;   in Loop: Header=BB242_4 Depth=1
	v_mov_b64_e32 v[6:7], v[2:3]
	s_wait_xcnt 0x0
	s_and_saveexec_b32 s7, s8
	s_cbranch_execz .LBB242_2
	s_branch .LBB242_54
.LBB242_28:                             ;   in Loop: Header=BB242_4 Depth=1
	s_or_b32 exec_lo, exec_lo, s42
.LBB242_29:                             ;   in Loop: Header=BB242_4 Depth=1
	s_delay_alu instid0(SALU_CYCLE_1) | instskip(NEXT) | instid1(SALU_CYCLE_1)
	s_or_b32 exec_lo, exec_lo, s7
	s_and_not1_b32 vcc_lo, exec_lo, s38
	s_cbranch_vccnz .LBB242_47
; %bb.30:                               ;   in Loop: Header=BB242_4 Depth=1
	v_mov_b64_e32 v[30:31], 0
	v_mov_b64_e32 v[28:29], 0
	;; [unrolled: 1-line block ×4, first 2 shown]
	v_cmp_gt_i32_e32 vcc_lo, s9, v75
	v_or_b32_e32 v32, 1, v75
	s_and_saveexec_b32 s42, vcc_lo
	s_cbranch_execz .LBB242_38
; %bb.31:                               ;   in Loop: Header=BB242_4 Depth=1
	v_mul_lo_u32 v24, v75, s35
	v_readfirstlane_b32 s44, v22
	v_readfirstlane_b32 s45, v23
	v_mov_b64_e32 v[26:27], 0
	v_mov_b64_e32 v[28:29], 0
	;; [unrolled: 1-line block ×3, first 2 shown]
	s_mov_b32 s43, exec_lo
	flat_load_b64 v[24:25], v24, s[44:45] scale_offset
	s_wait_xcnt 0x0
	v_cmpx_gt_i32_e64 s9, v32
	s_cbranch_execz .LBB242_37
; %bb.32:                               ;   in Loop: Header=BB242_4 Depth=1
	v_mul_lo_u32 v26, v32, s35
	v_readfirstlane_b32 s44, v22
	v_readfirstlane_b32 s45, v23
	v_mov_b64_e32 v[28:29], 0
	v_mov_b64_e32 v[30:31], 0
	v_or_b32_e32 v33, 2, v75
	flat_load_b64 v[26:27], v26, s[44:45] scale_offset
	s_wait_xcnt 0x0
	s_mov_b32 s44, exec_lo
	v_cmpx_gt_i32_e64 s9, v33
	s_cbranch_execz .LBB242_36
; %bb.33:                               ;   in Loop: Header=BB242_4 Depth=1
	v_mul_lo_u32 v28, v33, s35
	v_readfirstlane_b32 s46, v22
	v_readfirstlane_b32 s47, v23
	v_mov_b64_e32 v[30:31], 0
	v_or_b32_e32 v33, 3, v75
	s_mov_b32 s45, exec_lo
	flat_load_b64 v[28:29], v28, s[46:47] scale_offset
	s_wait_xcnt 0x0
	v_cmpx_gt_i32_e64 s9, v33
	s_cbranch_execz .LBB242_35
; %bb.34:                               ;   in Loop: Header=BB242_4 Depth=1
	v_mul_lo_u32 v30, v33, s35
	v_readfirstlane_b32 s46, v22
	v_readfirstlane_b32 s47, v23
	flat_load_b64 v[30:31], v30, s[46:47] scale_offset
.LBB242_35:                             ;   in Loop: Header=BB242_4 Depth=1
	s_wait_xcnt 0x0
	s_or_b32 exec_lo, exec_lo, s45
.LBB242_36:                             ;   in Loop: Header=BB242_4 Depth=1
	s_delay_alu instid0(SALU_CYCLE_1)
	s_or_b32 exec_lo, exec_lo, s44
.LBB242_37:                             ;   in Loop: Header=BB242_4 Depth=1
	s_delay_alu instid0(SALU_CYCLE_1)
	s_or_b32 exec_lo, exec_lo, s43
.LBB242_38:                             ;   in Loop: Header=BB242_4 Depth=1
	s_delay_alu instid0(SALU_CYCLE_1)
	s_or_b32 exec_lo, exec_lo, s42
	s_and_saveexec_b32 s7, s1
	s_cbranch_execz .LBB242_46
; %bb.39:                               ;   in Loop: Header=BB242_4 Depth=1
	v_mul_lo_u32 v23, v75, s34
	v_mul_lo_u32 v34, v32, s34
	v_readfirstlane_b32 s42, v20
	v_readfirstlane_b32 s43, v21
	s_delay_alu instid0(VALU_DEP_4) | instskip(SKIP_2) | instid1(VALU_DEP_3)
	v_cndmask_b32_e32 v23, 0, v23, vcc_lo
	v_cmp_gt_i32_e32 vcc_lo, s9, v32
	v_or_b32_e32 v22, 2, v75
	v_dual_add_nc_u32 v40, v23, v65 :: v_dual_bitop2_b32 v33, 3, v75 bitop3:0x54
	v_cndmask_b32_e32 v32, 0, v34, vcc_lo
	s_delay_alu instid0(VALU_DEP_3) | instskip(NEXT) | instid1(VALU_DEP_3)
	v_mul_lo_u32 v35, v22, s34
	v_mul_lo_u32 v36, v33, s34
	v_cmp_gt_i32_e32 vcc_lo, s9, v22
	s_delay_alu instid0(VALU_DEP_3) | instskip(SKIP_1) | instid1(VALU_DEP_2)
	v_dual_add_nc_u32 v42, v32, v65 :: v_dual_cndmask_b32 v22, 0, v35, vcc_lo
	v_cmp_gt_i32_e32 vcc_lo, s9, v33
	v_dual_cndmask_b32 v33, 0, v36 :: v_dual_add_nc_u32 v48, v22, v65
	s_delay_alu instid0(VALU_DEP_1)
	v_add_nc_u32_e32 v38, v33, v65
	s_clause 0x3
	flat_load_b64 v[36:37], v40, s[42:43] scale_offset
	flat_load_b64 v[34:35], v42, s[42:43] scale_offset
	;; [unrolled: 1-line block ×4, first 2 shown]
	s_wait_xcnt 0x0
	s_and_saveexec_b32 s42, s2
	s_cbranch_execz .LBB242_45
; %bb.40:                               ;   in Loop: Header=BB242_4 Depth=1
	v_dual_ashrrev_i32 v41, 31, v40 :: v_dual_ashrrev_i32 v43, 31, v42
	v_dual_ashrrev_i32 v49, 31, v48 :: v_dual_ashrrev_i32 v39, 31, v38
	s_delay_alu instid0(VALU_DEP_2) | instskip(NEXT) | instid1(VALU_DEP_3)
	v_lshl_add_u64 v[46:47], v[40:41], 3, v[20:21]
	v_lshl_add_u64 v[44:45], v[42:43], 3, v[20:21]
	s_delay_alu instid0(VALU_DEP_3) | instskip(NEXT) | instid1(VALU_DEP_4)
	v_lshl_add_u64 v[50:51], v[48:49], 3, v[20:21]
	v_lshl_add_u64 v[54:55], v[38:39], 3, v[20:21]
	s_clause 0x3
	flat_load_b64 v[42:43], v[46:47] offset:512
	flat_load_b64 v[40:41], v[44:45] offset:512
	;; [unrolled: 1-line block ×4, first 2 shown]
	s_wait_xcnt 0x0
	s_and_saveexec_b32 s43, s3
	s_cbranch_execz .LBB242_44
; %bb.41:                               ;   in Loop: Header=BB242_4 Depth=1
	s_clause 0x3
	flat_load_b64 v[58:59], v[46:47] offset:1024
	flat_load_b64 v[56:57], v[44:45] offset:1024
	;; [unrolled: 1-line block ×4, first 2 shown]
	s_wait_xcnt 0x0
	s_and_saveexec_b32 s44, s4
	s_cbranch_execz .LBB242_43
; %bb.42:                               ;   in Loop: Header=BB242_4 Depth=1
	s_clause 0x3
	flat_load_b64 v[60:61], v[46:47] offset:1536
	flat_load_b64 v[62:63], v[44:45] offset:1536
	;; [unrolled: 1-line block ×4, first 2 shown]
	s_wait_loadcnt_dscnt 0x303
	v_fmac_f64_e32 v[18:19], v[24:25], v[60:61]
	s_wait_loadcnt_dscnt 0x202
	s_delay_alu instid0(VALU_DEP_1) | instskip(SKIP_1) | instid1(VALU_DEP_1)
	v_fmac_f64_e32 v[18:19], v[26:27], v[62:63]
	s_wait_loadcnt_dscnt 0x101
	v_fmac_f64_e32 v[18:19], v[28:29], v[76:77]
	s_wait_loadcnt_dscnt 0x0
	s_delay_alu instid0(VALU_DEP_1)
	v_fmac_f64_e32 v[18:19], v[30:31], v[78:79]
.LBB242_43:                             ;   in Loop: Header=BB242_4 Depth=1
	s_wait_xcnt 0x0
	s_or_b32 exec_lo, exec_lo, s44
	s_wait_loadcnt_dscnt 0x303
	v_fmac_f64_e32 v[16:17], v[24:25], v[58:59]
	s_wait_loadcnt_dscnt 0x202
	s_delay_alu instid0(VALU_DEP_1) | instskip(SKIP_1) | instid1(VALU_DEP_1)
	v_fmac_f64_e32 v[16:17], v[26:27], v[56:57]
	s_wait_loadcnt_dscnt 0x101
	v_fmac_f64_e32 v[16:17], v[28:29], v[52:53]
	s_wait_loadcnt_dscnt 0x0
	s_delay_alu instid0(VALU_DEP_1)
	v_fmac_f64_e32 v[16:17], v[30:31], v[48:49]
.LBB242_44:                             ;   in Loop: Header=BB242_4 Depth=1
	s_or_b32 exec_lo, exec_lo, s43
	s_wait_loadcnt_dscnt 0x303
	v_fmac_f64_e32 v[14:15], v[24:25], v[42:43]
	s_wait_loadcnt_dscnt 0x202
	s_delay_alu instid0(VALU_DEP_1) | instskip(SKIP_1) | instid1(VALU_DEP_1)
	v_fmac_f64_e32 v[14:15], v[26:27], v[40:41]
	s_wait_loadcnt_dscnt 0x101
	v_fmac_f64_e32 v[14:15], v[28:29], v[38:39]
	s_wait_loadcnt_dscnt 0x0
	s_delay_alu instid0(VALU_DEP_1)
	v_fmac_f64_e32 v[14:15], v[30:31], v[20:21]
.LBB242_45:                             ;   in Loop: Header=BB242_4 Depth=1
	s_or_b32 exec_lo, exec_lo, s42
	s_wait_loadcnt_dscnt 0x303
	v_fmac_f64_e32 v[12:13], v[24:25], v[36:37]
	s_wait_loadcnt_dscnt 0x202
	s_delay_alu instid0(VALU_DEP_1) | instskip(SKIP_1) | instid1(VALU_DEP_1)
	v_fmac_f64_e32 v[12:13], v[26:27], v[34:35]
	s_wait_loadcnt_dscnt 0x101
	v_fmac_f64_e32 v[12:13], v[28:29], v[32:33]
	s_wait_loadcnt_dscnt 0x0
	s_delay_alu instid0(VALU_DEP_1)
	v_fmac_f64_e32 v[12:13], v[30:31], v[22:23]
.LBB242_46:                             ;   in Loop: Header=BB242_4 Depth=1
	s_or_b32 exec_lo, exec_lo, s7
.LBB242_47:                             ;   in Loop: Header=BB242_4 Depth=1
	ds_store_2addr_stride64_b64 v0, v[12:13], v[14:15] offset1:1
	ds_store_2addr_stride64_b64 v0, v[16:17], v[18:19] offset0:2 offset1:3
	s_wait_loadcnt_dscnt 0x0
	s_barrier_signal -1
	s_barrier_wait -1
                                        ; implicit-def: $vgpr12_vgpr13
	s_and_saveexec_b32 s7, s5
	s_cbranch_execz .LBB242_53
; %bb.48:                               ;   in Loop: Header=BB242_4 Depth=1
	ds_load_2addr_stride64_b64 v[12:15], v66 offset1:4
	s_mov_b32 s43, s8
	s_wait_dscnt 0x0
	v_add_f64_e32 v[16:17], v[12:13], v[14:15]
	ds_load_2addr_stride64_b64 v[12:15], v66 offset0:8 offset1:12
	s_wait_dscnt 0x0
	v_add_f64_e32 v[12:13], v[12:13], v[16:17]
	s_delay_alu instid0(VALU_DEP_1)
	v_add_f64_e32 v[14:15], v[14:15], v[12:13]
                                        ; implicit-def: $vgpr12_vgpr13
	ds_store_b64 v66, v[14:15]
	s_and_saveexec_b32 s42, s6
	s_cbranch_execz .LBB242_52
; %bb.49:                               ;   in Loop: Header=BB242_4 Depth=1
	v_cmp_eq_f64_e32 vcc_lo, 0, v[6:7]
	v_mul_f64_e32 v[12:13], v[10:11], v[14:15]
	s_cbranch_vccnz .LBB242_51
; %bb.50:                               ;   in Loop: Header=BB242_4 Depth=1
	v_lshl_add_u64 v[10:11], v[4:5], 3, v[8:9]
	flat_load_b64 v[10:11], v[10:11]
	s_wait_loadcnt_dscnt 0x0
	v_fmac_f64_e32 v[12:13], v[6:7], v[10:11]
.LBB242_51:                             ;   in Loop: Header=BB242_4 Depth=1
	s_or_b32 s43, s8, exec_lo
.LBB242_52:                             ;   in Loop: Header=BB242_4 Depth=1
	s_wait_xcnt 0x0
	s_or_b32 exec_lo, exec_lo, s42
	s_delay_alu instid0(SALU_CYCLE_1) | instskip(SKIP_1) | instid1(SALU_CYCLE_1)
	s_and_not1_b32 s8, s8, exec_lo
	s_and_b32 s42, s43, exec_lo
	s_or_b32 s8, s8, s42
.LBB242_53:                             ;   in Loop: Header=BB242_4 Depth=1
	s_or_b32 exec_lo, exec_lo, s7
	v_mov_b64_e32 v[6:7], v[4:5]
	s_and_saveexec_b32 s7, s8
	s_cbranch_execz .LBB242_2
.LBB242_54:                             ;   in Loop: Header=BB242_4 Depth=1
	s_delay_alu instid0(VALU_DEP_1)
	v_lshl_add_u64 v[6:7], v[6:7], 3, v[8:9]
	flat_store_b64 v[6:7], v[12:13]
	s_branch .LBB242_2
.LBB242_55:
	s_sendmsg sendmsg(MSG_DEALLOC_VGPRS)
	s_endpgm
	.section	.rodata,"a",@progbits
	.p2align	6, 0x0
	.amdhsa_kernel _ZL20rocblas_gemvn_kernelILi64ELi4EiPKdS1_KPdEviiT3_lPKT2_lT1_lS7_lS8_lS4_lPT4_lS8_li
		.amdhsa_group_segment_fixed_size 8192
		.amdhsa_private_segment_fixed_size 0
		.amdhsa_kernarg_size 400
		.amdhsa_user_sgpr_count 2
		.amdhsa_user_sgpr_dispatch_ptr 0
		.amdhsa_user_sgpr_queue_ptr 0
		.amdhsa_user_sgpr_kernarg_segment_ptr 1
		.amdhsa_user_sgpr_dispatch_id 0
		.amdhsa_user_sgpr_kernarg_preload_length 0
		.amdhsa_user_sgpr_kernarg_preload_offset 0
		.amdhsa_user_sgpr_private_segment_size 0
		.amdhsa_wavefront_size32 1
		.amdhsa_uses_dynamic_stack 0
		.amdhsa_enable_private_segment 0
		.amdhsa_system_sgpr_workgroup_id_x 1
		.amdhsa_system_sgpr_workgroup_id_y 0
		.amdhsa_system_sgpr_workgroup_id_z 1
		.amdhsa_system_sgpr_workgroup_info 0
		.amdhsa_system_vgpr_workitem_id 1
		.amdhsa_next_free_vgpr 88
		.amdhsa_next_free_sgpr 50
		.amdhsa_named_barrier_count 0
		.amdhsa_reserve_vcc 1
		.amdhsa_float_round_mode_32 0
		.amdhsa_float_round_mode_16_64 0
		.amdhsa_float_denorm_mode_32 3
		.amdhsa_float_denorm_mode_16_64 3
		.amdhsa_fp16_overflow 0
		.amdhsa_memory_ordered 1
		.amdhsa_forward_progress 1
		.amdhsa_inst_pref_size 23
		.amdhsa_round_robin_scheduling 0
		.amdhsa_exception_fp_ieee_invalid_op 0
		.amdhsa_exception_fp_denorm_src 0
		.amdhsa_exception_fp_ieee_div_zero 0
		.amdhsa_exception_fp_ieee_overflow 0
		.amdhsa_exception_fp_ieee_underflow 0
		.amdhsa_exception_fp_ieee_inexact 0
		.amdhsa_exception_int_div_zero 0
	.end_amdhsa_kernel
	.section	.text._ZL20rocblas_gemvn_kernelILi64ELi4EiPKdS1_KPdEviiT3_lPKT2_lT1_lS7_lS8_lS4_lPT4_lS8_li,"axG",@progbits,_ZL20rocblas_gemvn_kernelILi64ELi4EiPKdS1_KPdEviiT3_lPKT2_lT1_lS7_lS8_lS4_lPT4_lS8_li,comdat
.Lfunc_end242:
	.size	_ZL20rocblas_gemvn_kernelILi64ELi4EiPKdS1_KPdEviiT3_lPKT2_lT1_lS7_lS8_lS4_lPT4_lS8_li, .Lfunc_end242-_ZL20rocblas_gemvn_kernelILi64ELi4EiPKdS1_KPdEviiT3_lPKT2_lT1_lS7_lS8_lS4_lPT4_lS8_li
                                        ; -- End function
	.set _ZL20rocblas_gemvn_kernelILi64ELi4EiPKdS1_KPdEviiT3_lPKT2_lT1_lS7_lS8_lS4_lPT4_lS8_li.num_vgpr, 88
	.set _ZL20rocblas_gemvn_kernelILi64ELi4EiPKdS1_KPdEviiT3_lPKT2_lT1_lS7_lS8_lS4_lPT4_lS8_li.num_agpr, 0
	.set _ZL20rocblas_gemvn_kernelILi64ELi4EiPKdS1_KPdEviiT3_lPKT2_lT1_lS7_lS8_lS4_lPT4_lS8_li.numbered_sgpr, 50
	.set _ZL20rocblas_gemvn_kernelILi64ELi4EiPKdS1_KPdEviiT3_lPKT2_lT1_lS7_lS8_lS4_lPT4_lS8_li.num_named_barrier, 0
	.set _ZL20rocblas_gemvn_kernelILi64ELi4EiPKdS1_KPdEviiT3_lPKT2_lT1_lS7_lS8_lS4_lPT4_lS8_li.private_seg_size, 0
	.set _ZL20rocblas_gemvn_kernelILi64ELi4EiPKdS1_KPdEviiT3_lPKT2_lT1_lS7_lS8_lS4_lPT4_lS8_li.uses_vcc, 1
	.set _ZL20rocblas_gemvn_kernelILi64ELi4EiPKdS1_KPdEviiT3_lPKT2_lT1_lS7_lS8_lS4_lPT4_lS8_li.uses_flat_scratch, 1
	.set _ZL20rocblas_gemvn_kernelILi64ELi4EiPKdS1_KPdEviiT3_lPKT2_lT1_lS7_lS8_lS4_lPT4_lS8_li.has_dyn_sized_stack, 0
	.set _ZL20rocblas_gemvn_kernelILi64ELi4EiPKdS1_KPdEviiT3_lPKT2_lT1_lS7_lS8_lS4_lPT4_lS8_li.has_recursion, 0
	.set _ZL20rocblas_gemvn_kernelILi64ELi4EiPKdS1_KPdEviiT3_lPKT2_lT1_lS7_lS8_lS4_lPT4_lS8_li.has_indirect_call, 0
	.section	.AMDGPU.csdata,"",@progbits
; Kernel info:
; codeLenInByte = 2836
; TotalNumSgprs: 52
; NumVgprs: 88
; ScratchSize: 0
; MemoryBound: 0
; FloatMode: 240
; IeeeMode: 1
; LDSByteSize: 8192 bytes/workgroup (compile time only)
; SGPRBlocks: 0
; VGPRBlocks: 5
; NumSGPRsForWavesPerEU: 52
; NumVGPRsForWavesPerEU: 88
; NamedBarCnt: 0
; Occupancy: 10
; WaveLimiterHint : 1
; COMPUTE_PGM_RSRC2:SCRATCH_EN: 0
; COMPUTE_PGM_RSRC2:USER_SGPR: 2
; COMPUTE_PGM_RSRC2:TRAP_HANDLER: 0
; COMPUTE_PGM_RSRC2:TGID_X_EN: 1
; COMPUTE_PGM_RSRC2:TGID_Y_EN: 0
; COMPUTE_PGM_RSRC2:TGID_Z_EN: 1
; COMPUTE_PGM_RSRC2:TIDIG_COMP_CNT: 1
	.section	.text._ZL20rocblas_gemvn_kernelILi64ELi4ElPKdS1_KPdEviiT3_lPKT2_lT1_lS7_lS8_lS4_lPT4_lS8_li,"axG",@progbits,_ZL20rocblas_gemvn_kernelILi64ELi4ElPKdS1_KPdEviiT3_lPKT2_lT1_lS7_lS8_lS4_lPT4_lS8_li,comdat
	.globl	_ZL20rocblas_gemvn_kernelILi64ELi4ElPKdS1_KPdEviiT3_lPKT2_lT1_lS7_lS8_lS4_lPT4_lS8_li ; -- Begin function _ZL20rocblas_gemvn_kernelILi64ELi4ElPKdS1_KPdEviiT3_lPKT2_lT1_lS7_lS8_lS4_lPT4_lS8_li
	.p2align	8
	.type	_ZL20rocblas_gemvn_kernelILi64ELi4ElPKdS1_KPdEviiT3_lPKT2_lT1_lS7_lS8_lS4_lPT4_lS8_li,@function
_ZL20rocblas_gemvn_kernelILi64ELi4ElPKdS1_KPdEviiT3_lPKT2_lT1_lS7_lS8_lS4_lPT4_lS8_li: ; @_ZL20rocblas_gemvn_kernelILi64ELi4ElPKdS1_KPdEviiT3_lPKT2_lT1_lS7_lS8_lS4_lPT4_lS8_li
; %bb.0:
	s_clause 0x1
	s_load_b64 s[2:3], s[0:1], 0x9c
	s_load_b32 s33, s[0:1], 0x88
	s_bfe_u32 s4, ttmp6, 0x40014
	s_lshr_b32 s5, ttmp7, 16
	s_add_co_i32 s4, s4, 1
	s_bfe_u32 s6, ttmp6, 0x40008
	s_mul_i32 s7, s5, s4
	s_getreg_b32 s4, hwreg(HW_REG_IB_STS2, 6, 4)
	s_add_co_i32 s6, s6, s7
	s_mov_b32 s11, 0
	s_wait_kmcnt 0x0
	s_lshr_b32 s7, s2, 16
	s_and_b32 s2, s2, 0xffff
	s_and_b32 s3, s3, 0xffff
	s_mul_i32 s2, s7, s2
	s_cmp_eq_u32 s4, 0
	s_mul_i32 s2, s2, s3
	s_cselect_b32 s10, s5, s6
	s_cmp_lg_u32 s2, 0x100
	s_cselect_b32 s2, -1, 0
	s_cmp_ge_u32 s10, s33
	s_cselect_b32 s3, -1, 0
	s_delay_alu instid0(SALU_CYCLE_1) | instskip(NEXT) | instid1(SALU_CYCLE_1)
	s_or_b32 s2, s2, s3
	s_and_b32 vcc_lo, exec_lo, s2
	s_cbranch_vccnz .LBB243_55
; %bb.1:
	s_clause 0x2
	s_load_b64 s[34:35], s[0:1], 0x0
	s_load_b64 s[36:37], s[0:1], 0x28
	;; [unrolled: 1-line block ×3, first 2 shown]
	s_bfe_u32 s5, ttmp6, 0x4000c
	v_and_b32_e32 v28, 0x3ff, v0
	s_add_co_i32 s5, s5, 1
	v_bfe_u32 v6, v0, 10, 10
	s_clause 0x1
	s_load_b64 s[38:39], s[0:1], 0x48
	s_load_b128 s[28:31], s[0:1], 0x38
	s_and_b32 s6, ttmp6, 15
	s_mul_i32 s5, ttmp9, s5
	v_lshl_add_u32 v29, v6, 6, v28
	s_add_co_i32 s6, s6, s5
	s_cmp_eq_u32 s4, 0
	s_load_b256 s[12:19], s[0:1], 0x8
	s_cselect_b32 s4, ttmp9, s6
	s_load_b256 s[20:27], s[0:1], 0x58
	s_lshl_b32 s6, s4, 8
	s_delay_alu instid0(SALU_CYCLE_1)
	v_dual_mov_b32 v1, 0 :: v_dual_add_nc_u32 v0, s6, v29
	v_lshlrev_b32_e32 v92, 2, v6
	s_wait_kmcnt 0x0
	s_ashr_i32 s5, s34, 31
	s_mov_b32 s4, s34
	v_mov_b32_e32 v7, v1
	v_mul_u64_e32 v[2:3], s[2:3], v[0:1]
	v_cmp_gt_i64_e32 vcc_lo, s[4:5], v[0:1]
	v_or_b32_e32 v14, s6, v28
	v_or_b32_e32 v0, 3, v92
	;; [unrolled: 1-line block ×3, first 2 shown]
	v_mul_u64_e32 v[8:9], s[38:39], v[6:7]
	v_mul_u64_e32 v[18:19], s[36:37], v[6:7]
	v_ashrrev_i32_e32 v15, 31, v14
	v_mul_u64_e32 v[10:11], s[36:37], v[0:1]
	v_mul_u64_e32 v[12:13], s[38:39], v[0:1]
	v_or_b32_e32 v0, 2, v92
	v_mad_nc_u64_u32 v[24:25], s38, v92, s[38:39]
	v_mad_nc_u64_u32 v[26:27], s36, v92, s[36:37]
	s_ashr_i32 s4, s35, 31
	v_cmp_gt_u32_e64 s5, 0x100, v29
	v_mul_u64_e32 v[20:21], s[36:37], v[0:1]
	v_mul_u64_e32 v[22:23], s[38:39], v[0:1]
	v_dual_add_nc_u32 v0, 64, v14 :: v_dual_ashrrev_i32 v17, 31, v16
	s_lshr_b32 s4, s4, 28
	v_cmp_gt_i32_e64 s6, s34, v16
	s_add_co_i32 s4, s35, s4
	v_mad_u32 v25, s39, v92, v25
	v_mul_u64_e32 v[4:5], s[2:3], v[16:17]
	v_mad_u32 v27, s37, v92, v27
	v_cmp_gt_i32_e64 s2, s34, v0
	v_lshlrev_b32_e32 v0, 3, v28
	v_add_nc_u32_e32 v7, 0x80, v14
	v_add_nc_u32_e32 v17, 0xc0, v14
	s_and_b32 s44, s4, -16
	v_cmp_gt_i32_e64 s1, s34, v14
	s_sub_co_i32 s4, s35, s44
	v_cmp_gt_i32_e64 s3, s34, v7
	s_cmp_gt_i32 s4, 0
	v_cmp_gt_i32_e64 s4, s34, v17
	v_lshl_add_u32 v93, v6, 11, v0
	v_lshl_add_u32 v94, v6, 9, v0
	v_lshlrev_b64_e32 v[6:7], 5, v[8:9]
	v_lshlrev_b64_e32 v[8:9], 3, v[14:15]
	;; [unrolled: 1-line block ×5, first 2 shown]
	v_cmp_gt_i32_e64 s0, s44, v92
	s_cselect_b32 s45, -1, 0
	s_and_b32 s34, s5, vcc_lo
	s_lshl_b64 s[40:41], s[38:39], 7
	s_lshl_b64 s[42:43], s[36:37], 7
	v_lshlrev_b64_e32 v[16:17], 3, v[20:21]
	v_lshlrev_b64_e32 v[18:19], 3, v[22:23]
	;; [unrolled: 1-line block ×4, first 2 shown]
	s_lshl_b64 s[18:19], s[18:19], 3
	s_lshl_b64 s[30:31], s[30:31], 3
	;; [unrolled: 1-line block ×3, first 2 shown]
	s_branch .LBB243_4
.LBB243_2:                              ;   in Loop: Header=BB243_4 Depth=1
	s_wait_xcnt 0x0
	s_or_b32 exec_lo, exec_lo, s7
.LBB243_3:                              ;   in Loop: Header=BB243_4 Depth=1
	s_add_co_i32 s10, s10, 0x10000
	s_delay_alu instid0(SALU_CYCLE_1)
	s_cmp_lt_u32 s10, s33
	s_cbranch_scc0 .LBB243_55
.LBB243_4:                              ; =>This Loop Header: Depth=1
                                        ;     Child Loop BB243_21 Depth 2
	s_mul_u64 s[8:9], s[14:15], s[10:11]
	s_wait_xcnt 0x0
	s_mul_u64 s[46:47], s[22:23], s[10:11]
	s_lshl_b64 s[8:9], s[8:9], 3
	s_lshl_b64 s[46:47], s[46:47], 3
	s_add_nc_u64 s[8:9], s[12:13], s[8:9]
	s_add_nc_u64 s[46:47], s[20:21], s[46:47]
	s_clause 0x1
	global_load_b64 v[28:29], v1, s[8:9]
	global_load_b64 v[24:25], v1, s[46:47]
	s_wait_loadcnt 0x1
	v_cmp_eq_f64_e64 s7, 0, v[28:29]
	s_wait_loadcnt 0x0
	v_cmp_eq_f64_e32 vcc_lo, 1.0, v[24:25]
	s_wait_xcnt 0x1
	s_and_b32 s8, s7, vcc_lo
	s_delay_alu instid0(SALU_CYCLE_1)
	s_and_b32 vcc_lo, exec_lo, s8
	s_cbranch_vccnz .LBB243_3
; %bb.5:                                ;   in Loop: Header=BB243_4 Depth=1
	v_cmp_neq_f64_e64 s8, 0, v[28:29]
	v_mov_b64_e32 v[40:41], 0
	v_mov_b64_e32 v[38:39], 0
	s_and_b32 vcc_lo, exec_lo, s7
	s_cbranch_vccnz .LBB243_7
; %bb.6:                                ;   in Loop: Header=BB243_4 Depth=1
	s_wait_xcnt 0x0
	s_lshl_b64 s[46:47], s[10:11], 3
	s_delay_alu instid0(SALU_CYCLE_1)
	s_add_nc_u64 s[46:47], s[16:17], s[46:47]
	global_load_b64 v[26:27], v1, s[46:47]
	s_wait_loadcnt 0x0
	v_add_nc_u64_e32 v[38:39], s[18:19], v[26:27]
.LBB243_7:                              ;   in Loop: Header=BB243_4 Depth=1
	s_and_not1_b32 vcc_lo, exec_lo, s8
	s_cbranch_vccnz .LBB243_9
; %bb.8:                                ;   in Loop: Header=BB243_4 Depth=1
	s_lshl_b64 s[8:9], s[10:11], 3
	s_delay_alu instid0(SALU_CYCLE_1)
	s_add_nc_u64 s[8:9], s[28:29], s[8:9]
	global_load_b64 v[26:27], v1, s[8:9]
	s_wait_loadcnt 0x0
	v_add_nc_u64_e32 v[40:41], s[30:31], v[26:27]
.LBB243_9:                              ;   in Loop: Header=BB243_4 Depth=1
	s_wait_xcnt 0x0
	s_lshl_b64 s[8:9], s[10:11], 3
	s_and_not1_b32 vcc_lo, exec_lo, s7
	s_add_nc_u64 s[8:9], s[24:25], s[8:9]
	global_load_b64 v[26:27], v1, s[8:9]
	s_wait_loadcnt 0x0
	v_add_nc_u64_e32 v[26:27], s[26:27], v[26:27]
	s_cbranch_vccnz .LBB243_14
; %bb.10:                               ;   in Loop: Header=BB243_4 Depth=1
	s_mov_b32 s7, 0
	s_mov_b32 s46, 0
                                        ; implicit-def: $vgpr30_vgpr31
	s_wait_xcnt 0x0
	s_and_saveexec_b32 s8, s34
	s_cbranch_execz .LBB243_26
; %bb.11:                               ;   in Loop: Header=BB243_4 Depth=1
	v_cmp_eq_f64_e32 vcc_lo, 0, v[24:25]
	v_mov_b64_e32 v[30:31], 0
	s_cbranch_vccnz .LBB243_13
; %bb.12:                               ;   in Loop: Header=BB243_4 Depth=1
	v_lshl_add_u64 v[30:31], v[2:3], 3, v[26:27]
	flat_load_b64 v[30:31], v[30:31]
	s_wait_loadcnt_dscnt 0x0
	s_wait_xcnt 0x0
	v_mul_f64_e32 v[30:31], v[24:25], v[30:31]
.LBB243_13:                             ;   in Loop: Header=BB243_4 Depth=1
	s_mov_b32 s46, exec_lo
	s_or_b32 exec_lo, exec_lo, s8
	s_delay_alu instid0(SALU_CYCLE_1)
	s_and_b32 vcc_lo, exec_lo, s7
	s_cbranch_vccnz .LBB243_15
	s_branch .LBB243_27
.LBB243_14:                             ;   in Loop: Header=BB243_4 Depth=1
	s_mov_b32 s46, 0
                                        ; implicit-def: $vgpr30_vgpr31
	s_cbranch_execz .LBB243_27
.LBB243_15:                             ;   in Loop: Header=BB243_4 Depth=1
	v_mov_b64_e32 v[30:31], 0
	v_mov_b64_e32 v[32:33], 0
	;; [unrolled: 1-line block ×4, first 2 shown]
	v_mov_b32_e32 v0, v92
	s_wait_xcnt 0x0
	s_and_saveexec_b32 s7, s0
	s_cbranch_execz .LBB243_29
; %bb.16:                               ;   in Loop: Header=BB243_4 Depth=1
	v_add_nc_u64_e32 v[42:43], v[38:39], v[10:11]
	v_add_nc_u64_e32 v[44:45], v[38:39], v[14:15]
	;; [unrolled: 1-line block ×4, first 2 shown]
	v_mov_b64_e32 v[30:31], 0
	v_mov_b64_e32 v[32:33], 0
	;; [unrolled: 1-line block ×5, first 2 shown]
	v_mov_b32_e32 v0, v92
	s_mov_b32 s8, 0
	s_branch .LBB243_21
.LBB243_17:                             ;   in Loop: Header=BB243_21 Depth=2
	s_wait_xcnt 0x0
	s_or_b32 exec_lo, exec_lo, s49
	s_wait_loadcnt_dscnt 0x303
	v_fmac_f64_e32 v[34:35], v[58:59], v[90:91]
	s_wait_loadcnt_dscnt 0x202
	s_delay_alu instid0(VALU_DEP_1) | instskip(SKIP_1) | instid1(VALU_DEP_1)
	v_fmac_f64_e32 v[34:35], v[56:57], v[88:89]
	s_wait_loadcnt_dscnt 0x101
	v_fmac_f64_e32 v[34:35], v[54:55], v[86:87]
	s_wait_loadcnt_dscnt 0x0
	s_delay_alu instid0(VALU_DEP_1)
	v_fmac_f64_e32 v[34:35], v[52:53], v[84:85]
.LBB243_18:                             ;   in Loop: Header=BB243_21 Depth=2
	s_or_b32 exec_lo, exec_lo, s48
	s_wait_loadcnt_dscnt 0x303
	v_fmac_f64_e32 v[32:33], v[58:59], v[76:77]
	s_wait_loadcnt_dscnt 0x202
	s_delay_alu instid0(VALU_DEP_1) | instskip(SKIP_1) | instid1(VALU_DEP_1)
	v_fmac_f64_e32 v[32:33], v[56:57], v[74:75]
	s_wait_loadcnt_dscnt 0x101
	v_fmac_f64_e32 v[32:33], v[54:55], v[72:73]
	s_wait_loadcnt_dscnt 0x0
	s_delay_alu instid0(VALU_DEP_1)
	v_fmac_f64_e32 v[32:33], v[52:53], v[68:69]
.LBB243_19:                             ;   in Loop: Header=BB243_21 Depth=2
	s_or_b32 exec_lo, exec_lo, s47
	s_wait_loadcnt_dscnt 0x303
	v_fmac_f64_e32 v[30:31], v[58:59], v[66:67]
	s_wait_loadcnt_dscnt 0x202
	s_delay_alu instid0(VALU_DEP_1) | instskip(SKIP_1) | instid1(VALU_DEP_1)
	v_fmac_f64_e32 v[30:31], v[56:57], v[64:65]
	s_wait_loadcnt_dscnt 0x101
	v_fmac_f64_e32 v[30:31], v[54:55], v[62:63]
	s_wait_loadcnt_dscnt 0x0
	s_delay_alu instid0(VALU_DEP_1)
	v_fmac_f64_e32 v[30:31], v[52:53], v[60:61]
.LBB243_20:                             ;   in Loop: Header=BB243_21 Depth=2
	s_or_b32 exec_lo, exec_lo, s9
	v_add_nc_u32_e32 v0, 16, v0
	v_add_nc_u64_e32 v[50:51], s[40:41], v[50:51]
	v_add_nc_u64_e32 v[42:43], s[42:43], v[42:43]
	;; [unrolled: 1-line block ×4, first 2 shown]
	v_cmp_le_i32_e32 vcc_lo, s44, v0
	v_add_nc_u64_e32 v[48:49], s[42:43], v[48:49]
	s_or_b32 s8, vcc_lo, s8
	s_delay_alu instid0(SALU_CYCLE_1)
	s_and_not1_b32 exec_lo, exec_lo, s8
	s_cbranch_execz .LBB243_28
.LBB243_21:                             ;   Parent Loop BB243_4 Depth=1
                                        ; =>  This Inner Loop Header: Depth=2
	s_and_saveexec_b32 s9, s1
	s_cbranch_execz .LBB243_20
; %bb.22:                               ;   in Loop: Header=BB243_21 Depth=2
	s_delay_alu instid0(VALU_DEP_2)
	v_add_nc_u64_e32 v[68:69], v[50:51], v[6:7]
	v_add_nc_u64_e32 v[72:73], v[50:51], v[20:21]
	v_add_nc_u64_e32 v[74:75], v[50:51], v[18:19]
	v_add_nc_u64_e32 v[76:77], v[50:51], v[12:13]
	v_add_nc_u64_e32 v[70:71], v[44:45], v[8:9]
	v_add_nc_u64_e32 v[78:79], v[48:49], v[8:9]
	v_add_nc_u64_e32 v[80:81], v[46:47], v[8:9]
	v_add_nc_u64_e32 v[82:83], v[42:43], v[8:9]
	s_clause 0x3
	flat_load_b64 v[58:59], v[68:69]
	flat_load_b64 v[56:57], v[72:73]
	;; [unrolled: 1-line block ×8, first 2 shown]
	s_wait_xcnt 0x0
	s_and_saveexec_b32 s47, s2
	s_cbranch_execz .LBB243_19
; %bb.23:                               ;   in Loop: Header=BB243_21 Depth=2
	flat_load_b64 v[76:77], v[70:71] offset:512
	flat_load_b64 v[74:75], v[78:79] offset:512
	flat_load_b64 v[72:73], v[80:81] offset:512
	flat_load_b64 v[68:69], v[82:83] offset:512
	s_wait_xcnt 0x0
	s_and_saveexec_b32 s48, s3
	s_cbranch_execz .LBB243_18
; %bb.24:                               ;   in Loop: Header=BB243_21 Depth=2
	flat_load_b64 v[90:91], v[70:71] offset:1024
	flat_load_b64 v[88:89], v[78:79] offset:1024
	flat_load_b64 v[86:87], v[80:81] offset:1024
	flat_load_b64 v[84:85], v[82:83] offset:1024
	;; [unrolled: 8-line block ×3, first 2 shown]
	s_wait_loadcnt_dscnt 0x303
	v_fmac_f64_e32 v[36:37], v[58:59], v[96:97]
	s_wait_loadcnt_dscnt 0x202
	s_delay_alu instid0(VALU_DEP_1) | instskip(SKIP_1) | instid1(VALU_DEP_1)
	v_fmac_f64_e32 v[36:37], v[56:57], v[98:99]
	s_wait_loadcnt_dscnt 0x101
	v_fmac_f64_e32 v[36:37], v[54:55], v[100:101]
	s_wait_loadcnt_dscnt 0x0
	s_delay_alu instid0(VALU_DEP_1)
	v_fmac_f64_e32 v[36:37], v[52:53], v[102:103]
	s_branch .LBB243_17
.LBB243_26:                             ;   in Loop: Header=BB243_4 Depth=1
	s_or_b32 exec_lo, exec_lo, s8
	s_delay_alu instid0(SALU_CYCLE_1)
	s_and_b32 vcc_lo, exec_lo, s7
	s_cbranch_vccnz .LBB243_15
.LBB243_27:                             ;   in Loop: Header=BB243_4 Depth=1
	v_mov_b64_e32 v[24:25], v[2:3]
	s_wait_xcnt 0x0
	s_and_saveexec_b32 s7, s46
	s_cbranch_execz .LBB243_2
	s_branch .LBB243_54
.LBB243_28:                             ;   in Loop: Header=BB243_4 Depth=1
	s_or_b32 exec_lo, exec_lo, s8
.LBB243_29:                             ;   in Loop: Header=BB243_4 Depth=1
	s_delay_alu instid0(SALU_CYCLE_1) | instskip(NEXT) | instid1(SALU_CYCLE_1)
	s_or_b32 exec_lo, exec_lo, s7
	s_and_not1_b32 vcc_lo, exec_lo, s45
	s_cbranch_vccnz .LBB243_47
; %bb.30:                               ;   in Loop: Header=BB243_4 Depth=1
	v_mov_b64_e32 v[48:49], 0
	v_mov_b64_e32 v[46:47], 0
	;; [unrolled: 1-line block ×4, first 2 shown]
	v_cmp_gt_i32_e32 vcc_lo, s35, v0
	v_or_b32_e32 v50, 1, v0
	s_and_saveexec_b32 s8, vcc_lo
	s_cbranch_execz .LBB243_38
; %bb.31:                               ;   in Loop: Header=BB243_4 Depth=1
	v_mul_u64_e32 v[42:43], s[38:39], v[0:1]
	v_mov_b64_e32 v[44:45], 0
	v_mov_b64_e32 v[46:47], 0
	;; [unrolled: 1-line block ×3, first 2 shown]
	s_mov_b32 s9, exec_lo
	s_delay_alu instid0(VALU_DEP_4)
	v_lshl_add_u64 v[42:43], v[42:43], 3, v[40:41]
	flat_load_b64 v[42:43], v[42:43]
	s_wait_xcnt 0x0
	v_cmpx_gt_i32_e64 s35, v50
	s_cbranch_execz .LBB243_37
; %bb.32:                               ;   in Loop: Header=BB243_4 Depth=1
	v_dual_mov_b32 v51, v1 :: v_dual_bitop2_b32 v52, 2, v0 bitop3:0x54
	v_mov_b64_e32 v[46:47], 0
	v_mov_b64_e32 v[48:49], 0
	s_mov_b32 s47, exec_lo
	s_delay_alu instid0(VALU_DEP_3) | instskip(NEXT) | instid1(VALU_DEP_1)
	v_mul_u64_e32 v[44:45], s[38:39], v[50:51]
	v_lshl_add_u64 v[44:45], v[44:45], 3, v[40:41]
	flat_load_b64 v[44:45], v[44:45]
	s_wait_xcnt 0x0
	v_cmpx_gt_i32_e64 s35, v52
	s_cbranch_execz .LBB243_36
; %bb.33:                               ;   in Loop: Header=BB243_4 Depth=1
	v_mov_b32_e32 v53, v1
	v_mov_b64_e32 v[48:49], 0
	s_mov_b32 s48, exec_lo
	s_delay_alu instid0(VALU_DEP_2) | instskip(SKIP_1) | instid1(VALU_DEP_2)
	v_mul_u64_e32 v[46:47], s[38:39], v[52:53]
	v_or_b32_e32 v52, 3, v0
	v_lshl_add_u64 v[46:47], v[46:47], 3, v[40:41]
	flat_load_b64 v[46:47], v[46:47]
	s_wait_xcnt 0x0
	v_cmpx_gt_i32_e64 s35, v52
	s_cbranch_execz .LBB243_35
; %bb.34:                               ;   in Loop: Header=BB243_4 Depth=1
	v_mov_b32_e32 v53, v1
	s_delay_alu instid0(VALU_DEP_1) | instskip(NEXT) | instid1(VALU_DEP_1)
	v_mul_u64_e32 v[48:49], s[38:39], v[52:53]
	v_lshl_add_u64 v[40:41], v[48:49], 3, v[40:41]
	flat_load_b64 v[48:49], v[40:41]
.LBB243_35:                             ;   in Loop: Header=BB243_4 Depth=1
	s_wait_xcnt 0x0
	s_or_b32 exec_lo, exec_lo, s48
.LBB243_36:                             ;   in Loop: Header=BB243_4 Depth=1
	s_delay_alu instid0(SALU_CYCLE_1)
	s_or_b32 exec_lo, exec_lo, s47
.LBB243_37:                             ;   in Loop: Header=BB243_4 Depth=1
	s_delay_alu instid0(SALU_CYCLE_1)
	s_or_b32 exec_lo, exec_lo, s9
.LBB243_38:                             ;   in Loop: Header=BB243_4 Depth=1
	s_delay_alu instid0(SALU_CYCLE_1)
	s_or_b32 exec_lo, exec_lo, s8
	s_and_saveexec_b32 s47, s1
	s_cbranch_execz .LBB243_46
; %bb.39:                               ;   in Loop: Header=BB243_4 Depth=1
	v_dual_mov_b32 v51, v1 :: v_dual_bitop2_b32 v40, 2, v0 bitop3:0x54
	v_mov_b32_e32 v41, v1
	v_mul_u64_e32 v[52:53], s[36:37], v[0:1]
	v_or_b32_e32 v0, 3, v0
	s_delay_alu instid0(VALU_DEP_4)
	v_mul_u64_e32 v[54:55], s[36:37], v[50:51]
	v_cmp_gt_i32_e64 s7, s35, v50
	v_mul_u64_e32 v[56:57], s[36:37], v[40:41]
	v_cmp_gt_i32_e64 s8, s35, v40
	;; [unrolled: 2-line block ×3, first 2 shown]
	v_dual_cndmask_b32 v41, 0, v53 :: v_dual_cndmask_b32 v40, 0, v52
	v_dual_cndmask_b32 v51, 0, v55, s7 :: v_dual_cndmask_b32 v50, 0, v54, s7
	v_dual_cndmask_b32 v53, 0, v57, s8 :: v_dual_cndmask_b32 v52, 0, v56, s8
	s_delay_alu instid0(VALU_DEP_4) | instskip(NEXT) | instid1(VALU_DEP_4)
	v_dual_cndmask_b32 v55, 0, v59, s9 :: v_dual_cndmask_b32 v54, 0, v58, s9
	v_lshl_add_u64 v[40:41], v[40:41], 3, v[38:39]
	s_delay_alu instid0(VALU_DEP_4) | instskip(NEXT) | instid1(VALU_DEP_4)
	v_lshl_add_u64 v[50:51], v[50:51], 3, v[38:39]
	v_lshl_add_u64 v[52:53], v[52:53], 3, v[38:39]
	s_delay_alu instid0(VALU_DEP_4) | instskip(NEXT) | instid1(VALU_DEP_4)
	v_lshl_add_u64 v[38:39], v[54:55], 3, v[38:39]
	v_add_nc_u64_e32 v[66:67], v[40:41], v[8:9]
	s_delay_alu instid0(VALU_DEP_4) | instskip(NEXT) | instid1(VALU_DEP_4)
	v_add_nc_u64_e32 v[62:63], v[50:51], v[8:9]
	v_add_nc_u64_e32 v[64:65], v[52:53], v[8:9]
	s_delay_alu instid0(VALU_DEP_4)
	v_add_nc_u64_e32 v[68:69], v[38:39], v[8:9]
	s_clause 0x3
	flat_load_b64 v[52:53], v[66:67]
	flat_load_b64 v[50:51], v[62:63]
	;; [unrolled: 1-line block ×4, first 2 shown]
	s_wait_xcnt 0x0
	s_and_saveexec_b32 s7, s2
	s_cbranch_execz .LBB243_45
; %bb.40:                               ;   in Loop: Header=BB243_4 Depth=1
	s_clause 0x3
	flat_load_b64 v[60:61], v[66:67] offset:512
	flat_load_b64 v[58:59], v[62:63] offset:512
	flat_load_b64 v[56:57], v[64:65] offset:512
	flat_load_b64 v[54:55], v[68:69] offset:512
	s_wait_xcnt 0x0
	s_and_saveexec_b32 s8, s3
	s_cbranch_execz .LBB243_44
; %bb.41:                               ;   in Loop: Header=BB243_4 Depth=1
	s_clause 0x3
	flat_load_b64 v[76:77], v[66:67] offset:1024
	flat_load_b64 v[74:75], v[62:63] offset:1024
	flat_load_b64 v[72:73], v[64:65] offset:1024
	flat_load_b64 v[70:71], v[68:69] offset:1024
	s_wait_xcnt 0x0
	s_and_saveexec_b32 s9, s4
	s_cbranch_execz .LBB243_43
; %bb.42:                               ;   in Loop: Header=BB243_4 Depth=1
	s_clause 0x3
	flat_load_b64 v[78:79], v[66:67] offset:1536
	flat_load_b64 v[80:81], v[62:63] offset:1536
	flat_load_b64 v[82:83], v[64:65] offset:1536
	flat_load_b64 v[84:85], v[68:69] offset:1536
	s_wait_loadcnt_dscnt 0x303
	v_fmac_f64_e32 v[36:37], v[42:43], v[78:79]
	s_wait_loadcnt_dscnt 0x202
	s_delay_alu instid0(VALU_DEP_1) | instskip(SKIP_1) | instid1(VALU_DEP_1)
	v_fmac_f64_e32 v[36:37], v[44:45], v[80:81]
	s_wait_loadcnt_dscnt 0x101
	v_fmac_f64_e32 v[36:37], v[46:47], v[82:83]
	s_wait_loadcnt_dscnt 0x0
	s_delay_alu instid0(VALU_DEP_1)
	v_fmac_f64_e32 v[36:37], v[48:49], v[84:85]
.LBB243_43:                             ;   in Loop: Header=BB243_4 Depth=1
	s_wait_xcnt 0x0
	s_or_b32 exec_lo, exec_lo, s9
	s_wait_loadcnt_dscnt 0x303
	v_fmac_f64_e32 v[34:35], v[42:43], v[76:77]
	s_wait_loadcnt_dscnt 0x202
	s_delay_alu instid0(VALU_DEP_1) | instskip(SKIP_1) | instid1(VALU_DEP_1)
	v_fmac_f64_e32 v[34:35], v[44:45], v[74:75]
	s_wait_loadcnt_dscnt 0x101
	v_fmac_f64_e32 v[34:35], v[46:47], v[72:73]
	s_wait_loadcnt_dscnt 0x0
	s_delay_alu instid0(VALU_DEP_1)
	v_fmac_f64_e32 v[34:35], v[48:49], v[70:71]
.LBB243_44:                             ;   in Loop: Header=BB243_4 Depth=1
	s_or_b32 exec_lo, exec_lo, s8
	s_wait_loadcnt_dscnt 0x303
	v_fmac_f64_e32 v[32:33], v[42:43], v[60:61]
	s_wait_loadcnt_dscnt 0x202
	s_delay_alu instid0(VALU_DEP_1) | instskip(SKIP_1) | instid1(VALU_DEP_1)
	v_fmac_f64_e32 v[32:33], v[44:45], v[58:59]
	s_wait_loadcnt_dscnt 0x101
	v_fmac_f64_e32 v[32:33], v[46:47], v[56:57]
	s_wait_loadcnt_dscnt 0x0
	s_delay_alu instid0(VALU_DEP_1)
	v_fmac_f64_e32 v[32:33], v[48:49], v[54:55]
.LBB243_45:                             ;   in Loop: Header=BB243_4 Depth=1
	s_or_b32 exec_lo, exec_lo, s7
	s_wait_loadcnt_dscnt 0x303
	v_fmac_f64_e32 v[30:31], v[42:43], v[52:53]
	s_wait_loadcnt_dscnt 0x202
	s_delay_alu instid0(VALU_DEP_1) | instskip(SKIP_1) | instid1(VALU_DEP_1)
	v_fmac_f64_e32 v[30:31], v[44:45], v[50:51]
	s_wait_loadcnt_dscnt 0x101
	v_fmac_f64_e32 v[30:31], v[46:47], v[40:41]
	s_wait_loadcnt_dscnt 0x0
	s_delay_alu instid0(VALU_DEP_1)
	v_fmac_f64_e32 v[30:31], v[48:49], v[38:39]
.LBB243_46:                             ;   in Loop: Header=BB243_4 Depth=1
	s_or_b32 exec_lo, exec_lo, s47
.LBB243_47:                             ;   in Loop: Header=BB243_4 Depth=1
	ds_store_2addr_stride64_b64 v93, v[30:31], v[32:33] offset1:1
	ds_store_2addr_stride64_b64 v93, v[34:35], v[36:37] offset0:2 offset1:3
	s_wait_loadcnt_dscnt 0x0
	s_barrier_signal -1
	s_barrier_wait -1
                                        ; implicit-def: $vgpr30_vgpr31
	s_and_saveexec_b32 s7, s5
	s_cbranch_execz .LBB243_53
; %bb.48:                               ;   in Loop: Header=BB243_4 Depth=1
	ds_load_2addr_stride64_b64 v[30:33], v94 offset1:4
	s_mov_b32 s9, s46
	s_wait_dscnt 0x0
	v_add_f64_e32 v[34:35], v[30:31], v[32:33]
	ds_load_2addr_stride64_b64 v[30:33], v94 offset0:8 offset1:12
	s_wait_dscnt 0x0
	v_add_f64_e32 v[30:31], v[30:31], v[34:35]
	s_delay_alu instid0(VALU_DEP_1)
	v_add_f64_e32 v[32:33], v[32:33], v[30:31]
                                        ; implicit-def: $vgpr30_vgpr31
	ds_store_b64 v94, v[32:33]
	s_and_saveexec_b32 s8, s6
	s_cbranch_execz .LBB243_52
; %bb.49:                               ;   in Loop: Header=BB243_4 Depth=1
	v_cmp_eq_f64_e32 vcc_lo, 0, v[24:25]
	v_mul_f64_e32 v[30:31], v[28:29], v[32:33]
	s_cbranch_vccnz .LBB243_51
; %bb.50:                               ;   in Loop: Header=BB243_4 Depth=1
	v_lshl_add_u64 v[28:29], v[4:5], 3, v[26:27]
	flat_load_b64 v[28:29], v[28:29]
	s_wait_loadcnt_dscnt 0x0
	v_fmac_f64_e32 v[30:31], v[24:25], v[28:29]
.LBB243_51:                             ;   in Loop: Header=BB243_4 Depth=1
	s_or_b32 s9, s46, exec_lo
.LBB243_52:                             ;   in Loop: Header=BB243_4 Depth=1
	s_wait_xcnt 0x0
	s_or_b32 exec_lo, exec_lo, s8
	s_delay_alu instid0(SALU_CYCLE_1) | instskip(SKIP_1) | instid1(SALU_CYCLE_1)
	s_and_not1_b32 s8, s46, exec_lo
	s_and_b32 s9, s9, exec_lo
	s_or_b32 s46, s8, s9
.LBB243_53:                             ;   in Loop: Header=BB243_4 Depth=1
	s_or_b32 exec_lo, exec_lo, s7
	v_mov_b64_e32 v[24:25], v[4:5]
	s_and_saveexec_b32 s7, s46
	s_cbranch_execz .LBB243_2
.LBB243_54:                             ;   in Loop: Header=BB243_4 Depth=1
	s_delay_alu instid0(VALU_DEP_1)
	v_lshl_add_u64 v[24:25], v[24:25], 3, v[26:27]
	flat_store_b64 v[24:25], v[30:31]
	s_branch .LBB243_2
.LBB243_55:
	s_sendmsg sendmsg(MSG_DEALLOC_VGPRS)
	s_endpgm
	.section	.rodata,"a",@progbits
	.p2align	6, 0x0
	.amdhsa_kernel _ZL20rocblas_gemvn_kernelILi64ELi4ElPKdS1_KPdEviiT3_lPKT2_lT1_lS7_lS8_lS4_lPT4_lS8_li
		.amdhsa_group_segment_fixed_size 8192
		.amdhsa_private_segment_fixed_size 0
		.amdhsa_kernarg_size 400
		.amdhsa_user_sgpr_count 2
		.amdhsa_user_sgpr_dispatch_ptr 0
		.amdhsa_user_sgpr_queue_ptr 0
		.amdhsa_user_sgpr_kernarg_segment_ptr 1
		.amdhsa_user_sgpr_dispatch_id 0
		.amdhsa_user_sgpr_kernarg_preload_length 0
		.amdhsa_user_sgpr_kernarg_preload_offset 0
		.amdhsa_user_sgpr_private_segment_size 0
		.amdhsa_wavefront_size32 1
		.amdhsa_uses_dynamic_stack 0
		.amdhsa_enable_private_segment 0
		.amdhsa_system_sgpr_workgroup_id_x 1
		.amdhsa_system_sgpr_workgroup_id_y 0
		.amdhsa_system_sgpr_workgroup_id_z 1
		.amdhsa_system_sgpr_workgroup_info 0
		.amdhsa_system_vgpr_workitem_id 1
		.amdhsa_next_free_vgpr 104
		.amdhsa_next_free_sgpr 50
		.amdhsa_named_barrier_count 0
		.amdhsa_reserve_vcc 1
		.amdhsa_float_round_mode_32 0
		.amdhsa_float_round_mode_16_64 0
		.amdhsa_float_denorm_mode_32 3
		.amdhsa_float_denorm_mode_16_64 3
		.amdhsa_fp16_overflow 0
		.amdhsa_memory_ordered 1
		.amdhsa_forward_progress 1
		.amdhsa_inst_pref_size 22
		.amdhsa_round_robin_scheduling 0
		.amdhsa_exception_fp_ieee_invalid_op 0
		.amdhsa_exception_fp_denorm_src 0
		.amdhsa_exception_fp_ieee_div_zero 0
		.amdhsa_exception_fp_ieee_overflow 0
		.amdhsa_exception_fp_ieee_underflow 0
		.amdhsa_exception_fp_ieee_inexact 0
		.amdhsa_exception_int_div_zero 0
	.end_amdhsa_kernel
	.section	.text._ZL20rocblas_gemvn_kernelILi64ELi4ElPKdS1_KPdEviiT3_lPKT2_lT1_lS7_lS8_lS4_lPT4_lS8_li,"axG",@progbits,_ZL20rocblas_gemvn_kernelILi64ELi4ElPKdS1_KPdEviiT3_lPKT2_lT1_lS7_lS8_lS4_lPT4_lS8_li,comdat
.Lfunc_end243:
	.size	_ZL20rocblas_gemvn_kernelILi64ELi4ElPKdS1_KPdEviiT3_lPKT2_lT1_lS7_lS8_lS4_lPT4_lS8_li, .Lfunc_end243-_ZL20rocblas_gemvn_kernelILi64ELi4ElPKdS1_KPdEviiT3_lPKT2_lT1_lS7_lS8_lS4_lPT4_lS8_li
                                        ; -- End function
	.set _ZL20rocblas_gemvn_kernelILi64ELi4ElPKdS1_KPdEviiT3_lPKT2_lT1_lS7_lS8_lS4_lPT4_lS8_li.num_vgpr, 104
	.set _ZL20rocblas_gemvn_kernelILi64ELi4ElPKdS1_KPdEviiT3_lPKT2_lT1_lS7_lS8_lS4_lPT4_lS8_li.num_agpr, 0
	.set _ZL20rocblas_gemvn_kernelILi64ELi4ElPKdS1_KPdEviiT3_lPKT2_lT1_lS7_lS8_lS4_lPT4_lS8_li.numbered_sgpr, 50
	.set _ZL20rocblas_gemvn_kernelILi64ELi4ElPKdS1_KPdEviiT3_lPKT2_lT1_lS7_lS8_lS4_lPT4_lS8_li.num_named_barrier, 0
	.set _ZL20rocblas_gemvn_kernelILi64ELi4ElPKdS1_KPdEviiT3_lPKT2_lT1_lS7_lS8_lS4_lPT4_lS8_li.private_seg_size, 0
	.set _ZL20rocblas_gemvn_kernelILi64ELi4ElPKdS1_KPdEviiT3_lPKT2_lT1_lS7_lS8_lS4_lPT4_lS8_li.uses_vcc, 1
	.set _ZL20rocblas_gemvn_kernelILi64ELi4ElPKdS1_KPdEviiT3_lPKT2_lT1_lS7_lS8_lS4_lPT4_lS8_li.uses_flat_scratch, 1
	.set _ZL20rocblas_gemvn_kernelILi64ELi4ElPKdS1_KPdEviiT3_lPKT2_lT1_lS7_lS8_lS4_lPT4_lS8_li.has_dyn_sized_stack, 0
	.set _ZL20rocblas_gemvn_kernelILi64ELi4ElPKdS1_KPdEviiT3_lPKT2_lT1_lS7_lS8_lS4_lPT4_lS8_li.has_recursion, 0
	.set _ZL20rocblas_gemvn_kernelILi64ELi4ElPKdS1_KPdEviiT3_lPKT2_lT1_lS7_lS8_lS4_lPT4_lS8_li.has_indirect_call, 0
	.section	.AMDGPU.csdata,"",@progbits
; Kernel info:
; codeLenInByte = 2736
; TotalNumSgprs: 52
; NumVgprs: 104
; ScratchSize: 0
; MemoryBound: 1
; FloatMode: 240
; IeeeMode: 1
; LDSByteSize: 8192 bytes/workgroup (compile time only)
; SGPRBlocks: 0
; VGPRBlocks: 6
; NumSGPRsForWavesPerEU: 52
; NumVGPRsForWavesPerEU: 104
; NamedBarCnt: 0
; Occupancy: 9
; WaveLimiterHint : 1
; COMPUTE_PGM_RSRC2:SCRATCH_EN: 0
; COMPUTE_PGM_RSRC2:USER_SGPR: 2
; COMPUTE_PGM_RSRC2:TRAP_HANDLER: 0
; COMPUTE_PGM_RSRC2:TGID_X_EN: 1
; COMPUTE_PGM_RSRC2:TGID_Y_EN: 0
; COMPUTE_PGM_RSRC2:TGID_Z_EN: 1
; COMPUTE_PGM_RSRC2:TIDIG_COMP_CNT: 1
	.section	.text._ZL20rocblas_gemvn_kernelILi64ELi4EiPKddKPdEviiT3_lPKT2_lT1_lS7_lS8_lS4_lPT4_lS8_li,"axG",@progbits,_ZL20rocblas_gemvn_kernelILi64ELi4EiPKddKPdEviiT3_lPKT2_lT1_lS7_lS8_lS4_lPT4_lS8_li,comdat
	.globl	_ZL20rocblas_gemvn_kernelILi64ELi4EiPKddKPdEviiT3_lPKT2_lT1_lS7_lS8_lS4_lPT4_lS8_li ; -- Begin function _ZL20rocblas_gemvn_kernelILi64ELi4EiPKddKPdEviiT3_lPKT2_lT1_lS7_lS8_lS4_lPT4_lS8_li
	.p2align	8
	.type	_ZL20rocblas_gemvn_kernelILi64ELi4EiPKddKPdEviiT3_lPKT2_lT1_lS7_lS8_lS4_lPT4_lS8_li,@function
_ZL20rocblas_gemvn_kernelILi64ELi4EiPKddKPdEviiT3_lPKT2_lT1_lS7_lS8_lS4_lPT4_lS8_li: ; @_ZL20rocblas_gemvn_kernelILi64ELi4EiPKddKPdEviiT3_lPKT2_lT1_lS7_lS8_lS4_lPT4_lS8_li
; %bb.0:
	s_clause 0x1
	s_load_b64 s[4:5], s[0:1], 0x9c
	s_load_b32 s28, s[0:1], 0x88
	s_bfe_u32 s2, ttmp6, 0x40014
	s_lshr_b32 s3, ttmp7, 16
	s_add_co_i32 s2, s2, 1
	s_bfe_u32 s6, ttmp6, 0x40008
	s_mul_i32 s7, s3, s2
	s_getreg_b32 s2, hwreg(HW_REG_IB_STS2, 6, 4)
	s_add_co_i32 s6, s6, s7
	s_mov_b32 s25, 0
	s_wait_kmcnt 0x0
	s_lshr_b32 s7, s4, 16
	s_and_b32 s4, s4, 0xffff
	s_and_b32 s5, s5, 0xffff
	s_mul_i32 s4, s7, s4
	s_cmp_eq_u32 s2, 0
	s_mul_i32 s4, s4, s5
	s_cselect_b32 s24, s3, s6
	s_cmp_lg_u32 s4, 0x100
	s_cselect_b32 s3, -1, 0
	s_cmp_ge_u32 s24, s28
	s_cselect_b32 s4, -1, 0
	s_delay_alu instid0(SALU_CYCLE_1) | instskip(NEXT) | instid1(SALU_CYCLE_1)
	s_or_b32 s3, s3, s4
	s_and_b32 vcc_lo, exec_lo, s3
	s_cbranch_vccnz .LBB244_58
; %bb.1:
	s_clause 0x7
	s_load_b64 s[26:27], s[0:1], 0x58
	s_load_b128 s[8:11], s[0:1], 0x0
	s_load_b128 s[12:15], s[0:1], 0x18
	s_load_b32 s4, s[0:1], 0x78
	s_load_b32 s29, s[0:1], 0x28
	s_load_b128 s[16:19], s[0:1], 0x38
	s_load_b32 s30, s[0:1], 0x48
	s_load_b128 s[20:23], s[0:1], 0x68
	s_wait_xcnt 0x0
	s_bfe_u32 s1, ttmp6, 0x4000c
	v_and_b32_e32 v6, 0x3ff, v0
	s_add_co_i32 s1, s1, 1
	v_bfe_u32 v7, v0, 10, 10
	s_and_b32 s0, ttmp6, 15
	s_mul_i32 s1, ttmp9, s1
	v_dual_mov_b32 v1, 0 :: v_dual_lshlrev_b32 v0, 3, v6
	s_add_co_i32 s1, s0, s1
	v_lshl_add_u32 v2, v7, 6, v6
	s_delay_alu instid0(VALU_DEP_2) | instskip(SKIP_1) | instid1(VALU_DEP_3)
	v_lshl_add_u32 v61, v7, 11, v0
	v_lshl_add_u32 v62, v7, 9, v0
	v_cmp_gt_u32_e64 s0, 0x100, v2
	s_wait_kmcnt 0x0
	s_ashr_i32 s5, s4, 31
	v_cmp_neq_f64_e64 s3, s[26:27], 1.0
	v_cmp_neq_f64_e64 s7, s[10:11], 0
	v_cmp_eq_f64_e64 s38, s[10:11], 0
	v_cmp_neq_f64_e64 s39, s[26:27], 0
	v_mul_lo_u32 v11, v7, s29
	s_mov_b32 s6, s8
	s_delay_alu instid0(VALU_DEP_1)
	v_lshl_add_u32 v67, v11, 2, v6
	s_or_b32 s31, s7, s3
	s_cmp_eq_u32 s2, 0
	v_cndmask_b32_e64 v63, 0, 1, s7
	s_cselect_b32 s1, ttmp9, s1
	s_ashr_i32 s2, s9, 31
	s_lshl_b32 s33, s1, 8
	s_delay_alu instid0(SALU_CYCLE_1) | instskip(SKIP_3) | instid1(VALU_DEP_3)
	v_dual_lshlrev_b32 v60, 2, v7 :: v_dual_add_nc_u32 v0, s33, v2
	v_or_b32_e32 v5, s33, v2
	v_mul_lo_u32 v7, v7, s30
	s_lshr_b32 s1, s2, 28
	v_or_b32_e32 v8, 2, v60
	v_mul_u64_e32 v[2:3], s[4:5], v[0:1]
	v_mul_lo_u32 v4, s4, v5
	v_or_b32_e32 v9, 3, v60
	v_mul_lo_u32 v10, s29, v60
	s_add_co_i32 s1, s9, s1
	v_or_b32_e32 v64, s33, v6
	s_and_b32 s34, s1, -16
	s_ashr_i32 s7, s8, 31
	s_sub_co_i32 s3, s9, s34
	v_mad_u32 v66, s29, v9, v6
	v_mad_u32 v68, s30, v60, s30
	v_mul_lo_u32 v70, s30, v9
	v_lshlrev_b32_e32 v71, 2, v7
	v_mad_u32 v65, s29, v8, v6
	v_mul_lo_u32 v69, s30, v8
	v_cmp_gt_i64_e32 vcc_lo, s[6:7], v[0:1]
	s_cmp_gt_i32 s3, 0
	v_cmp_gt_i32_e64 s3, s8, v5
	v_ashrrev_i32_e32 v5, 31, v4
	v_add_nc_u32_e32 v0, 64, v64
	v_add_nc_u32_e32 v12, 0x80, v64
	v_add_nc_u32_e32 v13, 0xc0, v64
	v_cmp_gt_i32_e64 s1, s34, v60
	v_cmp_gt_i32_e64 s2, s8, v64
	;; [unrolled: 1-line block ×5, first 2 shown]
	v_add3_u32 v0, v10, s29, v6
	s_cselect_b32 s35, -1, 0
	s_and_b32 s8, s0, vcc_lo
	s_lshl_b32 s36, s29, 4
	s_lshl_b32 s37, s30, 4
	s_lshl_b64 s[14:15], s[14:15], 3
	s_lshl_b64 s[18:19], s[18:19], 3
	;; [unrolled: 1-line block ×3, first 2 shown]
	s_branch .LBB244_4
.LBB244_2:                              ;   in Loop: Header=BB244_4 Depth=1
	s_wait_xcnt 0x0
	s_or_b32 exec_lo, exec_lo, s7
.LBB244_3:                              ;   in Loop: Header=BB244_4 Depth=1
	s_add_co_i32 s24, s24, 0x10000
	s_delay_alu instid0(SALU_CYCLE_1)
	s_cmp_lt_u32 s24, s28
	s_cbranch_scc0 .LBB244_58
.LBB244_4:                              ; =>This Loop Header: Depth=1
                                        ;     Child Loop BB244_26 Depth 2
	s_and_not1_b32 vcc_lo, exec_lo, s31
	s_cbranch_vccnz .LBB244_3
; %bb.5:                                ;   in Loop: Header=BB244_4 Depth=1
	s_and_not1_b32 vcc_lo, exec_lo, s38
	s_cbranch_vccnz .LBB244_7
; %bb.6:                                ;   in Loop: Header=BB244_4 Depth=1
	v_mov_b64_e32 v[18:19], 0
	v_mov_b64_e32 v[16:17], 0
	s_cbranch_execz .LBB244_8
	s_branch .LBB244_9
.LBB244_7:                              ;   in Loop: Header=BB244_4 Depth=1
	v_mov_b64_e32 v[18:19], 0
	v_mov_b64_e32 v[16:17], 0
.LBB244_8:                              ;   in Loop: Header=BB244_4 Depth=1
	s_lshl_b64 s[40:41], s[24:25], 3
	s_delay_alu instid0(SALU_CYCLE_1)
	s_add_nc_u64 s[40:41], s[12:13], s[40:41]
	global_load_b64 v[6:7], v1, s[40:41]
	s_wait_loadcnt 0x0
	v_add_nc_u64_e32 v[16:17], s[14:15], v[6:7]
.LBB244_9:                              ;   in Loop: Header=BB244_4 Depth=1
	v_cmp_ne_u32_e32 vcc_lo, 1, v63
	s_cbranch_vccnz .LBB244_11
; %bb.10:                               ;   in Loop: Header=BB244_4 Depth=1
	s_wait_xcnt 0x0
	s_lshl_b64 s[40:41], s[24:25], 3
	s_delay_alu instid0(SALU_CYCLE_1)
	s_add_nc_u64 s[40:41], s[16:17], s[40:41]
	global_load_b64 v[6:7], v1, s[40:41]
	s_wait_loadcnt 0x0
	v_add_nc_u64_e32 v[18:19], s[18:19], v[6:7]
.LBB244_11:                             ;   in Loop: Header=BB244_4 Depth=1
	s_wait_xcnt 0x0
	s_lshl_b64 s[40:41], s[24:25], 3
	s_and_not1_b32 vcc_lo, exec_lo, s38
	s_add_nc_u64 s[40:41], s[20:21], s[40:41]
	global_load_b64 v[6:7], v1, s[40:41]
	s_wait_loadcnt 0x0
	v_add_nc_u64_e32 v[6:7], s[22:23], v[6:7]
	s_cbranch_vccnz .LBB244_15
; %bb.12:                               ;   in Loop: Header=BB244_4 Depth=1
	s_mov_b32 s7, 0
	s_wait_xcnt 0x0
	s_mov_b32 s40, 0
                                        ; implicit-def: $vgpr8_vgpr9
	s_and_saveexec_b32 s41, s8
	s_cbranch_execz .LBB244_16
; %bb.13:                               ;   in Loop: Header=BB244_4 Depth=1
	s_and_not1_b32 vcc_lo, exec_lo, s39
	s_cbranch_vccnz .LBB244_18
; %bb.14:                               ;   in Loop: Header=BB244_4 Depth=1
	v_lshl_add_u64 v[8:9], v[2:3], 3, v[6:7]
	flat_load_b64 v[8:9], v[8:9]
	s_wait_loadcnt_dscnt 0x0
	s_wait_xcnt 0x0
	v_mul_f64_e32 v[8:9], s[26:27], v[8:9]
	s_branch .LBB244_19
.LBB244_15:                             ;   in Loop: Header=BB244_4 Depth=1
	s_wait_xcnt 0x0
	s_mov_b32 s40, 0
                                        ; implicit-def: $vgpr8_vgpr9
	s_cbranch_execz .LBB244_17
	s_branch .LBB244_20
.LBB244_16:                             ;   in Loop: Header=BB244_4 Depth=1
	s_or_b32 exec_lo, exec_lo, s41
	s_delay_alu instid0(SALU_CYCLE_1)
	s_and_b32 vcc_lo, exec_lo, s7
	s_cbranch_vccnz .LBB244_20
.LBB244_17:                             ;   in Loop: Header=BB244_4 Depth=1
	v_mov_b64_e32 v[10:11], v[2:3]
	s_and_saveexec_b32 s7, s40
	s_cbranch_execz .LBB244_2
	s_branch .LBB244_57
.LBB244_18:                             ;   in Loop: Header=BB244_4 Depth=1
	v_mov_b64_e32 v[8:9], 0
.LBB244_19:                             ;   in Loop: Header=BB244_4 Depth=1
	s_mov_b32 s40, exec_lo
	s_or_b32 exec_lo, exec_lo, s41
	s_delay_alu instid0(SALU_CYCLE_1)
	s_and_b32 vcc_lo, exec_lo, s7
	s_cbranch_vccz .LBB244_17
.LBB244_20:                             ;   in Loop: Header=BB244_4 Depth=1
	v_mov_b64_e32 v[8:9], 0
	v_mov_b64_e32 v[10:11], 0
	;; [unrolled: 1-line block ×4, first 2 shown]
	v_mov_b32_e32 v72, v60
	s_and_saveexec_b32 s7, s1
	s_cbranch_execz .LBB244_32
; %bb.21:                               ;   in Loop: Header=BB244_4 Depth=1
	v_mov_b64_e32 v[8:9], 0
	v_mov_b64_e32 v[10:11], 0
	v_mov_b64_e32 v[12:13], 0
	v_mov_b64_e32 v[14:15], 0
	v_dual_mov_b32 v73, v67 :: v_dual_mov_b32 v74, v66
	v_dual_mov_b32 v75, v65 :: v_dual_mov_b32 v76, v0
	v_mov_b32_e32 v72, v60
	s_mov_b32 s41, 0
	s_mov_b32 s42, 0
	s_branch .LBB244_26
.LBB244_22:                             ;   in Loop: Header=BB244_26 Depth=2
	s_wait_xcnt 0x0
	s_or_b32 exec_lo, exec_lo, s46
	s_wait_loadcnt_dscnt 0x303
	v_fmac_f64_e32 v[12:13], v[26:27], v[58:59]
	s_wait_loadcnt_dscnt 0x202
	s_delay_alu instid0(VALU_DEP_1) | instskip(SKIP_1) | instid1(VALU_DEP_1)
	v_fmac_f64_e32 v[12:13], v[24:25], v[56:57]
	s_wait_loadcnt_dscnt 0x101
	v_fmac_f64_e32 v[12:13], v[22:23], v[52:53]
	s_wait_loadcnt_dscnt 0x0
	s_delay_alu instid0(VALU_DEP_1)
	v_fmac_f64_e32 v[12:13], v[20:21], v[48:49]
.LBB244_23:                             ;   in Loop: Header=BB244_26 Depth=2
	s_or_b32 exec_lo, exec_lo, s45
	s_wait_loadcnt_dscnt 0x303
	v_fmac_f64_e32 v[10:11], v[26:27], v[42:43]
	s_wait_loadcnt_dscnt 0x202
	s_delay_alu instid0(VALU_DEP_1) | instskip(SKIP_1) | instid1(VALU_DEP_1)
	v_fmac_f64_e32 v[10:11], v[24:25], v[40:41]
	s_wait_loadcnt_dscnt 0x101
	v_fmac_f64_e32 v[10:11], v[22:23], v[38:39]
	s_wait_loadcnt_dscnt 0x0
	s_delay_alu instid0(VALU_DEP_1)
	v_fmac_f64_e32 v[10:11], v[20:21], v[36:37]
.LBB244_24:                             ;   in Loop: Header=BB244_26 Depth=2
	s_or_b32 exec_lo, exec_lo, s44
	s_wait_loadcnt_dscnt 0x303
	v_fmac_f64_e32 v[8:9], v[26:27], v[34:35]
	s_wait_loadcnt_dscnt 0x202
	s_delay_alu instid0(VALU_DEP_1) | instskip(SKIP_1) | instid1(VALU_DEP_1)
	v_fmac_f64_e32 v[8:9], v[24:25], v[32:33]
	s_wait_loadcnt_dscnt 0x101
	v_fmac_f64_e32 v[8:9], v[22:23], v[30:31]
	s_wait_loadcnt_dscnt 0x0
	s_delay_alu instid0(VALU_DEP_1)
	v_fmac_f64_e32 v[8:9], v[20:21], v[28:29]
.LBB244_25:                             ;   in Loop: Header=BB244_26 Depth=2
	s_or_b32 exec_lo, exec_lo, s43
	v_dual_add_nc_u32 v72, 16, v72 :: v_dual_add_nc_u32 v75, s36, v75
	v_dual_add_nc_u32 v76, s36, v76 :: v_dual_add_nc_u32 v74, s36, v74
	v_add_nc_u32_e32 v73, s36, v73
	s_delay_alu instid0(VALU_DEP_3) | instskip(SKIP_2) | instid1(SALU_CYCLE_1)
	v_cmp_le_i32_e32 vcc_lo, s34, v72
	s_add_co_i32 s42, s42, s37
	s_or_b32 s41, vcc_lo, s41
	s_and_not1_b32 exec_lo, exec_lo, s41
	s_cbranch_execz .LBB244_31
.LBB244_26:                             ;   Parent Loop BB244_4 Depth=1
                                        ; =>  This Inner Loop Header: Depth=2
	s_and_saveexec_b32 s43, s2
	s_cbranch_execz .LBB244_25
; %bb.27:                               ;   in Loop: Header=BB244_26 Depth=2
	v_dual_add_nc_u32 v37, s42, v71 :: v_dual_add_nc_u32 v39, s42, v68
	v_readfirstlane_b32 s44, v18
	v_readfirstlane_b32 s45, v19
	v_dual_add_nc_u32 v41, s42, v69 :: v_dual_add_nc_u32 v43, s42, v70
	v_dual_add_nc_u32 v36, s33, v73 :: v_dual_add_nc_u32 v38, s33, v76
	v_readfirstlane_b32 s46, v16
	v_readfirstlane_b32 s47, v17
	v_dual_add_nc_u32 v42, s33, v75 :: v_dual_add_nc_u32 v40, s33, v74
	s_clause 0x3
	flat_load_b64 v[26:27], v37, s[44:45] scale_offset
	flat_load_b64 v[24:25], v39, s[44:45] scale_offset
	;; [unrolled: 1-line block ×4, first 2 shown]
	s_clause 0x3
	flat_load_b64 v[34:35], v36, s[46:47] scale_offset
	flat_load_b64 v[32:33], v38, s[46:47] scale_offset
	;; [unrolled: 1-line block ×4, first 2 shown]
	s_wait_xcnt 0x0
	s_and_saveexec_b32 s44, s4
	s_cbranch_execz .LBB244_24
; %bb.28:                               ;   in Loop: Header=BB244_26 Depth=2
	v_dual_ashrrev_i32 v37, 31, v36 :: v_dual_ashrrev_i32 v39, 31, v38
	v_dual_ashrrev_i32 v43, 31, v42 :: v_dual_ashrrev_i32 v41, 31, v40
	s_delay_alu instid0(VALU_DEP_2) | instskip(NEXT) | instid1(VALU_DEP_3)
	v_lshl_add_u64 v[46:47], v[36:37], 3, v[16:17]
	v_lshl_add_u64 v[44:45], v[38:39], 3, v[16:17]
	s_delay_alu instid0(VALU_DEP_3) | instskip(NEXT) | instid1(VALU_DEP_4)
	v_lshl_add_u64 v[50:51], v[42:43], 3, v[16:17]
	v_lshl_add_u64 v[54:55], v[40:41], 3, v[16:17]
	s_clause 0x3
	flat_load_b64 v[42:43], v[46:47] offset:512
	flat_load_b64 v[40:41], v[44:45] offset:512
	;; [unrolled: 1-line block ×4, first 2 shown]
	s_wait_xcnt 0x0
	s_and_saveexec_b32 s45, s5
	s_cbranch_execz .LBB244_23
; %bb.29:                               ;   in Loop: Header=BB244_26 Depth=2
	s_clause 0x3
	flat_load_b64 v[58:59], v[46:47] offset:1024
	flat_load_b64 v[56:57], v[44:45] offset:1024
	flat_load_b64 v[52:53], v[50:51] offset:1024
	flat_load_b64 v[48:49], v[54:55] offset:1024
	s_wait_xcnt 0x0
	s_and_saveexec_b32 s46, s6
	s_cbranch_execz .LBB244_22
; %bb.30:                               ;   in Loop: Header=BB244_26 Depth=2
	s_clause 0x3
	flat_load_b64 v[78:79], v[46:47] offset:1536
	flat_load_b64 v[80:81], v[44:45] offset:1536
	;; [unrolled: 1-line block ×4, first 2 shown]
	s_wait_loadcnt_dscnt 0x303
	v_fmac_f64_e32 v[14:15], v[26:27], v[78:79]
	s_wait_loadcnt_dscnt 0x202
	s_delay_alu instid0(VALU_DEP_1) | instskip(SKIP_1) | instid1(VALU_DEP_1)
	v_fmac_f64_e32 v[14:15], v[24:25], v[80:81]
	s_wait_loadcnt_dscnt 0x101
	v_fmac_f64_e32 v[14:15], v[22:23], v[82:83]
	s_wait_loadcnt_dscnt 0x0
	s_delay_alu instid0(VALU_DEP_1)
	v_fmac_f64_e32 v[14:15], v[20:21], v[84:85]
	s_branch .LBB244_22
.LBB244_31:                             ;   in Loop: Header=BB244_4 Depth=1
	s_or_b32 exec_lo, exec_lo, s41
.LBB244_32:                             ;   in Loop: Header=BB244_4 Depth=1
	s_delay_alu instid0(SALU_CYCLE_1) | instskip(NEXT) | instid1(SALU_CYCLE_1)
	s_or_b32 exec_lo, exec_lo, s7
	s_and_not1_b32 vcc_lo, exec_lo, s35
	s_cbranch_vccnz .LBB244_50
; %bb.33:                               ;   in Loop: Header=BB244_4 Depth=1
	v_mov_b64_e32 v[26:27], 0
	v_mov_b64_e32 v[24:25], 0
	;; [unrolled: 1-line block ×4, first 2 shown]
	v_cmp_gt_i32_e32 vcc_lo, s9, v72
	v_or_b32_e32 v28, 1, v72
	s_and_saveexec_b32 s41, vcc_lo
	s_cbranch_execz .LBB244_41
; %bb.34:                               ;   in Loop: Header=BB244_4 Depth=1
	v_mul_lo_u32 v20, v72, s30
	v_readfirstlane_b32 s42, v18
	v_readfirstlane_b32 s43, v19
	v_mov_b64_e32 v[22:23], 0
	v_mov_b64_e32 v[24:25], 0
	v_mov_b64_e32 v[26:27], 0
	flat_load_b64 v[20:21], v20, s[42:43] scale_offset
	s_wait_xcnt 0x0
	s_mov_b32 s42, exec_lo
	v_cmpx_gt_i32_e64 s9, v28
	s_cbranch_execz .LBB244_40
; %bb.35:                               ;   in Loop: Header=BB244_4 Depth=1
	v_mul_lo_u32 v22, v28, s30
	v_readfirstlane_b32 s44, v18
	v_readfirstlane_b32 s45, v19
	v_mov_b64_e32 v[24:25], 0
	v_mov_b64_e32 v[26:27], 0
	v_or_b32_e32 v29, 2, v72
	s_mov_b32 s43, exec_lo
	flat_load_b64 v[22:23], v22, s[44:45] scale_offset
	s_wait_xcnt 0x0
	v_cmpx_gt_i32_e64 s9, v29
	s_cbranch_execz .LBB244_39
; %bb.36:                               ;   in Loop: Header=BB244_4 Depth=1
	v_mul_lo_u32 v24, v29, s30
	v_readfirstlane_b32 s44, v18
	v_readfirstlane_b32 s45, v19
	v_mov_b64_e32 v[26:27], 0
	v_or_b32_e32 v29, 3, v72
	flat_load_b64 v[24:25], v24, s[44:45] scale_offset
	s_wait_xcnt 0x0
	s_mov_b32 s44, exec_lo
	v_cmpx_gt_i32_e64 s9, v29
	s_cbranch_execz .LBB244_38
; %bb.37:                               ;   in Loop: Header=BB244_4 Depth=1
	v_mul_lo_u32 v26, v29, s30
	v_readfirstlane_b32 s46, v18
	v_readfirstlane_b32 s47, v19
	flat_load_b64 v[26:27], v26, s[46:47] scale_offset
.LBB244_38:                             ;   in Loop: Header=BB244_4 Depth=1
	s_wait_xcnt 0x0
	s_or_b32 exec_lo, exec_lo, s44
.LBB244_39:                             ;   in Loop: Header=BB244_4 Depth=1
	s_delay_alu instid0(SALU_CYCLE_1)
	s_or_b32 exec_lo, exec_lo, s43
.LBB244_40:                             ;   in Loop: Header=BB244_4 Depth=1
	s_delay_alu instid0(SALU_CYCLE_1)
	s_or_b32 exec_lo, exec_lo, s42
.LBB244_41:                             ;   in Loop: Header=BB244_4 Depth=1
	s_delay_alu instid0(SALU_CYCLE_1)
	s_or_b32 exec_lo, exec_lo, s41
	s_and_saveexec_b32 s7, s2
	s_cbranch_execz .LBB244_49
; %bb.42:                               ;   in Loop: Header=BB244_4 Depth=1
	v_mul_lo_u32 v19, v72, s29
	v_mul_lo_u32 v30, v28, s29
	v_or_b32_e32 v18, 2, v72
	v_readfirstlane_b32 s42, v16
	v_readfirstlane_b32 s43, v17
	v_cndmask_b32_e32 v19, 0, v19, vcc_lo
	s_delay_alu instid0(VALU_DEP_4) | instskip(SKIP_2) | instid1(VALU_DEP_1)
	v_mul_lo_u32 v31, v18, s29
	v_cmp_gt_i32_e32 vcc_lo, s9, v28
	v_dual_cndmask_b32 v28, 0, v30, vcc_lo :: v_dual_bitop2_b32 v29, 3, v72 bitop3:0x54
	v_mul_lo_u32 v32, v29, s29
	v_cmp_gt_i32_e32 vcc_lo, s9, v18
	s_delay_alu instid0(VALU_DEP_3) | instskip(SKIP_3) | instid1(VALU_DEP_1)
	v_dual_add_nc_u32 v36, v19, v64 :: v_dual_add_nc_u32 v38, v28, v64
	v_cndmask_b32_e32 v18, 0, v31, vcc_lo
	v_cmp_gt_i32_e32 vcc_lo, s9, v29
	v_cndmask_b32_e32 v29, 0, v32, vcc_lo
	v_dual_add_nc_u32 v44, v18, v64 :: v_dual_add_nc_u32 v34, v29, v64
	s_clause 0x3
	flat_load_b64 v[32:33], v36, s[42:43] scale_offset
	flat_load_b64 v[30:31], v38, s[42:43] scale_offset
	;; [unrolled: 1-line block ×4, first 2 shown]
	s_wait_xcnt 0x0
	s_and_saveexec_b32 s41, s4
	s_cbranch_execz .LBB244_48
; %bb.43:                               ;   in Loop: Header=BB244_4 Depth=1
	v_dual_ashrrev_i32 v37, 31, v36 :: v_dual_ashrrev_i32 v39, 31, v38
	v_dual_ashrrev_i32 v45, 31, v44 :: v_dual_ashrrev_i32 v35, 31, v34
	s_delay_alu instid0(VALU_DEP_2) | instskip(NEXT) | instid1(VALU_DEP_3)
	v_lshl_add_u64 v[40:41], v[36:37], 3, v[16:17]
	v_lshl_add_u64 v[42:43], v[38:39], 3, v[16:17]
	s_delay_alu instid0(VALU_DEP_3) | instskip(NEXT) | instid1(VALU_DEP_4)
	v_lshl_add_u64 v[44:45], v[44:45], 3, v[16:17]
	v_lshl_add_u64 v[54:55], v[34:35], 3, v[16:17]
	s_clause 0x3
	flat_load_b64 v[38:39], v[40:41] offset:512
	flat_load_b64 v[36:37], v[42:43] offset:512
	;; [unrolled: 1-line block ×4, first 2 shown]
	s_wait_xcnt 0x0
	s_and_saveexec_b32 s42, s5
	s_cbranch_execz .LBB244_47
; %bb.44:                               ;   in Loop: Header=BB244_4 Depth=1
	s_clause 0x3
	flat_load_b64 v[52:53], v[40:41] offset:1024
	flat_load_b64 v[50:51], v[42:43] offset:1024
	;; [unrolled: 1-line block ×4, first 2 shown]
	s_wait_xcnt 0x0
	s_and_saveexec_b32 s43, s6
	s_cbranch_execz .LBB244_46
; %bb.45:                               ;   in Loop: Header=BB244_4 Depth=1
	s_clause 0x3
	flat_load_b64 v[56:57], v[40:41] offset:1536
	flat_load_b64 v[58:59], v[42:43] offset:1536
	;; [unrolled: 1-line block ×4, first 2 shown]
	s_wait_loadcnt_dscnt 0x303
	v_fmac_f64_e32 v[14:15], v[20:21], v[56:57]
	s_wait_loadcnt_dscnt 0x202
	s_delay_alu instid0(VALU_DEP_1) | instskip(SKIP_1) | instid1(VALU_DEP_1)
	v_fmac_f64_e32 v[14:15], v[22:23], v[58:59]
	s_wait_loadcnt_dscnt 0x101
	v_fmac_f64_e32 v[14:15], v[24:25], v[72:73]
	s_wait_loadcnt_dscnt 0x0
	s_delay_alu instid0(VALU_DEP_1)
	v_fmac_f64_e32 v[14:15], v[26:27], v[74:75]
.LBB244_46:                             ;   in Loop: Header=BB244_4 Depth=1
	s_wait_xcnt 0x0
	s_or_b32 exec_lo, exec_lo, s43
	s_wait_loadcnt_dscnt 0x303
	v_fmac_f64_e32 v[12:13], v[20:21], v[52:53]
	s_wait_loadcnt_dscnt 0x202
	s_delay_alu instid0(VALU_DEP_1) | instskip(SKIP_1) | instid1(VALU_DEP_1)
	v_fmac_f64_e32 v[12:13], v[22:23], v[50:51]
	s_wait_loadcnt_dscnt 0x101
	v_fmac_f64_e32 v[12:13], v[24:25], v[48:49]
	s_wait_loadcnt_dscnt 0x0
	s_delay_alu instid0(VALU_DEP_1)
	v_fmac_f64_e32 v[12:13], v[26:27], v[46:47]
.LBB244_47:                             ;   in Loop: Header=BB244_4 Depth=1
	s_or_b32 exec_lo, exec_lo, s42
	s_wait_loadcnt_dscnt 0x303
	v_fmac_f64_e32 v[10:11], v[20:21], v[38:39]
	s_wait_loadcnt_dscnt 0x202
	s_delay_alu instid0(VALU_DEP_1) | instskip(SKIP_1) | instid1(VALU_DEP_1)
	v_fmac_f64_e32 v[10:11], v[22:23], v[36:37]
	s_wait_loadcnt_dscnt 0x101
	v_fmac_f64_e32 v[10:11], v[24:25], v[34:35]
	s_wait_loadcnt_dscnt 0x0
	s_delay_alu instid0(VALU_DEP_1)
	v_fmac_f64_e32 v[10:11], v[26:27], v[16:17]
.LBB244_48:                             ;   in Loop: Header=BB244_4 Depth=1
	s_or_b32 exec_lo, exec_lo, s41
	s_wait_loadcnt_dscnt 0x303
	v_fmac_f64_e32 v[8:9], v[20:21], v[32:33]
	s_wait_loadcnt_dscnt 0x202
	s_delay_alu instid0(VALU_DEP_1) | instskip(SKIP_1) | instid1(VALU_DEP_1)
	v_fmac_f64_e32 v[8:9], v[22:23], v[30:31]
	s_wait_loadcnt_dscnt 0x101
	v_fmac_f64_e32 v[8:9], v[24:25], v[28:29]
	s_wait_loadcnt_dscnt 0x0
	s_delay_alu instid0(VALU_DEP_1)
	v_fmac_f64_e32 v[8:9], v[26:27], v[18:19]
.LBB244_49:                             ;   in Loop: Header=BB244_4 Depth=1
	s_or_b32 exec_lo, exec_lo, s7
.LBB244_50:                             ;   in Loop: Header=BB244_4 Depth=1
	ds_store_2addr_stride64_b64 v61, v[8:9], v[10:11] offset1:1
	ds_store_2addr_stride64_b64 v61, v[12:13], v[14:15] offset0:2 offset1:3
	s_wait_loadcnt_dscnt 0x0
	s_barrier_signal -1
	s_barrier_wait -1
                                        ; implicit-def: $vgpr8_vgpr9
	s_and_saveexec_b32 s7, s0
	s_cbranch_execz .LBB244_56
; %bb.51:                               ;   in Loop: Header=BB244_4 Depth=1
	ds_load_2addr_stride64_b64 v[8:11], v62 offset1:4
	s_mov_b32 s42, s40
	s_wait_dscnt 0x0
	v_add_f64_e32 v[12:13], v[8:9], v[10:11]
	ds_load_2addr_stride64_b64 v[8:11], v62 offset0:8 offset1:12
	s_wait_dscnt 0x0
	v_add_f64_e32 v[8:9], v[8:9], v[12:13]
	s_delay_alu instid0(VALU_DEP_1)
	v_add_f64_e32 v[10:11], v[10:11], v[8:9]
                                        ; implicit-def: $vgpr8_vgpr9
	ds_store_b64 v62, v[10:11]
	s_and_saveexec_b32 s41, s3
	s_cbranch_execz .LBB244_55
; %bb.52:                               ;   in Loop: Header=BB244_4 Depth=1
	v_mul_f64_e32 v[8:9], s[10:11], v[10:11]
	s_and_not1_b32 vcc_lo, exec_lo, s39
	s_cbranch_vccnz .LBB244_54
; %bb.53:                               ;   in Loop: Header=BB244_4 Depth=1
	v_lshl_add_u64 v[10:11], v[4:5], 3, v[6:7]
	flat_load_b64 v[10:11], v[10:11]
	s_wait_loadcnt_dscnt 0x0
	v_fmac_f64_e32 v[8:9], s[26:27], v[10:11]
.LBB244_54:                             ;   in Loop: Header=BB244_4 Depth=1
	s_or_b32 s42, s40, exec_lo
.LBB244_55:                             ;   in Loop: Header=BB244_4 Depth=1
	s_wait_xcnt 0x0
	s_or_b32 exec_lo, exec_lo, s41
	s_delay_alu instid0(SALU_CYCLE_1) | instskip(SKIP_1) | instid1(SALU_CYCLE_1)
	s_and_not1_b32 s40, s40, exec_lo
	s_and_b32 s41, s42, exec_lo
	s_or_b32 s40, s40, s41
.LBB244_56:                             ;   in Loop: Header=BB244_4 Depth=1
	s_or_b32 exec_lo, exec_lo, s7
	v_mov_b64_e32 v[10:11], v[4:5]
	s_and_saveexec_b32 s7, s40
	s_cbranch_execz .LBB244_2
.LBB244_57:                             ;   in Loop: Header=BB244_4 Depth=1
	s_delay_alu instid0(VALU_DEP_1)
	v_lshl_add_u64 v[6:7], v[10:11], 3, v[6:7]
	flat_store_b64 v[6:7], v[8:9]
	s_branch .LBB244_2
.LBB244_58:
	s_sendmsg sendmsg(MSG_DEALLOC_VGPRS)
	s_endpgm
	.section	.rodata,"a",@progbits
	.p2align	6, 0x0
	.amdhsa_kernel _ZL20rocblas_gemvn_kernelILi64ELi4EiPKddKPdEviiT3_lPKT2_lT1_lS7_lS8_lS4_lPT4_lS8_li
		.amdhsa_group_segment_fixed_size 8192
		.amdhsa_private_segment_fixed_size 0
		.amdhsa_kernarg_size 400
		.amdhsa_user_sgpr_count 2
		.amdhsa_user_sgpr_dispatch_ptr 0
		.amdhsa_user_sgpr_queue_ptr 0
		.amdhsa_user_sgpr_kernarg_segment_ptr 1
		.amdhsa_user_sgpr_dispatch_id 0
		.amdhsa_user_sgpr_kernarg_preload_length 0
		.amdhsa_user_sgpr_kernarg_preload_offset 0
		.amdhsa_user_sgpr_private_segment_size 0
		.amdhsa_wavefront_size32 1
		.amdhsa_uses_dynamic_stack 0
		.amdhsa_enable_private_segment 0
		.amdhsa_system_sgpr_workgroup_id_x 1
		.amdhsa_system_sgpr_workgroup_id_y 0
		.amdhsa_system_sgpr_workgroup_id_z 1
		.amdhsa_system_sgpr_workgroup_info 0
		.amdhsa_system_vgpr_workitem_id 1
		.amdhsa_next_free_vgpr 86
		.amdhsa_next_free_sgpr 48
		.amdhsa_named_barrier_count 0
		.amdhsa_reserve_vcc 1
		.amdhsa_float_round_mode_32 0
		.amdhsa_float_round_mode_16_64 0
		.amdhsa_float_denorm_mode_32 3
		.amdhsa_float_denorm_mode_16_64 3
		.amdhsa_fp16_overflow 0
		.amdhsa_memory_ordered 1
		.amdhsa_forward_progress 1
		.amdhsa_inst_pref_size 22
		.amdhsa_round_robin_scheduling 0
		.amdhsa_exception_fp_ieee_invalid_op 0
		.amdhsa_exception_fp_denorm_src 0
		.amdhsa_exception_fp_ieee_div_zero 0
		.amdhsa_exception_fp_ieee_overflow 0
		.amdhsa_exception_fp_ieee_underflow 0
		.amdhsa_exception_fp_ieee_inexact 0
		.amdhsa_exception_int_div_zero 0
	.end_amdhsa_kernel
	.section	.text._ZL20rocblas_gemvn_kernelILi64ELi4EiPKddKPdEviiT3_lPKT2_lT1_lS7_lS8_lS4_lPT4_lS8_li,"axG",@progbits,_ZL20rocblas_gemvn_kernelILi64ELi4EiPKddKPdEviiT3_lPKT2_lT1_lS7_lS8_lS4_lPT4_lS8_li,comdat
.Lfunc_end244:
	.size	_ZL20rocblas_gemvn_kernelILi64ELi4EiPKddKPdEviiT3_lPKT2_lT1_lS7_lS8_lS4_lPT4_lS8_li, .Lfunc_end244-_ZL20rocblas_gemvn_kernelILi64ELi4EiPKddKPdEviiT3_lPKT2_lT1_lS7_lS8_lS4_lPT4_lS8_li
                                        ; -- End function
	.set _ZL20rocblas_gemvn_kernelILi64ELi4EiPKddKPdEviiT3_lPKT2_lT1_lS7_lS8_lS4_lPT4_lS8_li.num_vgpr, 86
	.set _ZL20rocblas_gemvn_kernelILi64ELi4EiPKddKPdEviiT3_lPKT2_lT1_lS7_lS8_lS4_lPT4_lS8_li.num_agpr, 0
	.set _ZL20rocblas_gemvn_kernelILi64ELi4EiPKddKPdEviiT3_lPKT2_lT1_lS7_lS8_lS4_lPT4_lS8_li.numbered_sgpr, 48
	.set _ZL20rocblas_gemvn_kernelILi64ELi4EiPKddKPdEviiT3_lPKT2_lT1_lS7_lS8_lS4_lPT4_lS8_li.num_named_barrier, 0
	.set _ZL20rocblas_gemvn_kernelILi64ELi4EiPKddKPdEviiT3_lPKT2_lT1_lS7_lS8_lS4_lPT4_lS8_li.private_seg_size, 0
	.set _ZL20rocblas_gemvn_kernelILi64ELi4EiPKddKPdEviiT3_lPKT2_lT1_lS7_lS8_lS4_lPT4_lS8_li.uses_vcc, 1
	.set _ZL20rocblas_gemvn_kernelILi64ELi4EiPKddKPdEviiT3_lPKT2_lT1_lS7_lS8_lS4_lPT4_lS8_li.uses_flat_scratch, 1
	.set _ZL20rocblas_gemvn_kernelILi64ELi4EiPKddKPdEviiT3_lPKT2_lT1_lS7_lS8_lS4_lPT4_lS8_li.has_dyn_sized_stack, 0
	.set _ZL20rocblas_gemvn_kernelILi64ELi4EiPKddKPdEviiT3_lPKT2_lT1_lS7_lS8_lS4_lPT4_lS8_li.has_recursion, 0
	.set _ZL20rocblas_gemvn_kernelILi64ELi4EiPKddKPdEviiT3_lPKT2_lT1_lS7_lS8_lS4_lPT4_lS8_li.has_indirect_call, 0
	.section	.AMDGPU.csdata,"",@progbits
; Kernel info:
; codeLenInByte = 2808
; TotalNumSgprs: 50
; NumVgprs: 86
; ScratchSize: 0
; MemoryBound: 0
; FloatMode: 240
; IeeeMode: 1
; LDSByteSize: 8192 bytes/workgroup (compile time only)
; SGPRBlocks: 0
; VGPRBlocks: 5
; NumSGPRsForWavesPerEU: 50
; NumVGPRsForWavesPerEU: 86
; NamedBarCnt: 0
; Occupancy: 10
; WaveLimiterHint : 1
; COMPUTE_PGM_RSRC2:SCRATCH_EN: 0
; COMPUTE_PGM_RSRC2:USER_SGPR: 2
; COMPUTE_PGM_RSRC2:TRAP_HANDLER: 0
; COMPUTE_PGM_RSRC2:TGID_X_EN: 1
; COMPUTE_PGM_RSRC2:TGID_Y_EN: 0
; COMPUTE_PGM_RSRC2:TGID_Z_EN: 1
; COMPUTE_PGM_RSRC2:TIDIG_COMP_CNT: 1
	.section	.text._ZL20rocblas_gemvn_kernelILi64ELi4ElPKddKPdEviiT3_lPKT2_lT1_lS7_lS8_lS4_lPT4_lS8_li,"axG",@progbits,_ZL20rocblas_gemvn_kernelILi64ELi4ElPKddKPdEviiT3_lPKT2_lT1_lS7_lS8_lS4_lPT4_lS8_li,comdat
	.globl	_ZL20rocblas_gemvn_kernelILi64ELi4ElPKddKPdEviiT3_lPKT2_lT1_lS7_lS8_lS4_lPT4_lS8_li ; -- Begin function _ZL20rocblas_gemvn_kernelILi64ELi4ElPKddKPdEviiT3_lPKT2_lT1_lS7_lS8_lS4_lPT4_lS8_li
	.p2align	8
	.type	_ZL20rocblas_gemvn_kernelILi64ELi4ElPKddKPdEviiT3_lPKT2_lT1_lS7_lS8_lS4_lPT4_lS8_li,@function
_ZL20rocblas_gemvn_kernelILi64ELi4ElPKddKPdEviiT3_lPKT2_lT1_lS7_lS8_lS4_lPT4_lS8_li: ; @_ZL20rocblas_gemvn_kernelILi64ELi4ElPKddKPdEviiT3_lPKT2_lT1_lS7_lS8_lS4_lPT4_lS8_li
; %bb.0:
	s_clause 0x1
	s_load_b64 s[2:3], s[0:1], 0x9c
	s_load_b32 s33, s[0:1], 0x88
	s_bfe_u32 s4, ttmp6, 0x40014
	s_lshr_b32 s5, ttmp7, 16
	s_add_co_i32 s4, s4, 1
	s_bfe_u32 s6, ttmp6, 0x40008
	s_mul_i32 s7, s5, s4
	s_getreg_b32 s4, hwreg(HW_REG_IB_STS2, 6, 4)
	s_add_co_i32 s6, s6, s7
	s_mov_b32 s11, 0
	s_wait_kmcnt 0x0
	s_lshr_b32 s7, s2, 16
	s_and_b32 s2, s2, 0xffff
	s_and_b32 s3, s3, 0xffff
	s_mul_i32 s2, s7, s2
	s_cmp_eq_u32 s4, 0
	s_mul_i32 s2, s2, s3
	s_cselect_b32 s10, s5, s6
	s_cmp_lg_u32 s2, 0x100
	s_cselect_b32 s2, -1, 0
	s_cmp_ge_u32 s10, s33
	s_cselect_b32 s3, -1, 0
	s_delay_alu instid0(SALU_CYCLE_1) | instskip(NEXT) | instid1(SALU_CYCLE_1)
	s_or_b32 s2, s2, s3
	s_and_b32 vcc_lo, exec_lo, s2
	s_cbranch_vccnz .LBB245_58
; %bb.1:
	s_clause 0x6
	s_load_b64 s[28:29], s[0:1], 0x58
	s_load_b128 s[12:15], s[0:1], 0x0
	s_load_b128 s[16:19], s[0:1], 0x18
	s_load_b64 s[30:31], s[0:1], 0x48
	s_load_b64 s[34:35], s[0:1], 0x28
	s_load_b128 s[20:23], s[0:1], 0x38
	s_load_b64 s[2:3], s[0:1], 0x78
	s_bfe_u32 s7, ttmp6, 0x4000c
	v_bfe_u32 v4, v0, 10, 10
	s_add_co_i32 s7, s7, 1
	v_and_b32_e32 v24, 0x3ff, v0
	s_and_b32 s8, ttmp6, 15
	s_mul_i32 s7, ttmp9, s7
	v_dual_mov_b32 v1, 0 :: v_dual_lshlrev_b32 v88, 2, v4
	s_add_co_i32 s8, s8, s7
	v_lshl_add_u32 v14, v4, 6, v24
	s_load_b128 s[24:27], s[0:1], 0x68
	s_wait_kmcnt 0x0
	v_mad_nc_u64_u32 v[6:7], s30, v88, s[30:31]
	v_cmp_neq_f64_e64 s5, s[28:29], 1.0
	v_cmp_neq_f64_e64 s6, s[14:15], 0
	v_mad_nc_u64_u32 v[12:13], s34, v88, s[34:35]
	s_mov_b32 s0, s12
	v_cmp_eq_f64_e64 s43, s[14:15], 0
	v_cmp_neq_f64_e64 s44, s[28:29], 0
	v_mad_u32 v7, s31, v88, v7
	s_delay_alu instid0(VALU_DEP_4)
	v_mad_u32 v13, s35, v88, v13
	s_or_b32 s40, s6, s5
	s_cmp_eq_u32 s4, 0
	v_cndmask_b32_e64 v89, 0, 1, s6
	s_cselect_b32 s4, ttmp9, s8
	s_ashr_i32 s1, s12, 31
	s_lshl_b32 s4, s4, 8
	s_delay_alu instid0(SALU_CYCLE_1) | instskip(NEXT) | instid1(VALU_DEP_1)
	v_dual_mov_b32 v5, v1 :: v_dual_add_nc_u32 v0, s4, v14
	v_mul_u64_e32 v[8:9], s[30:31], v[4:5]
	v_mul_u64_e32 v[10:11], s[34:35], v[4:5]
	v_lshlrev_b32_e32 v5, 3, v24
	s_delay_alu instid0(VALU_DEP_4)
	v_cmp_gt_i64_e32 vcc_lo, s[0:1], v[0:1]
	v_mul_u64_e32 v[2:3], s[2:3], v[0:1]
	v_cmp_gt_u32_e64 s0, 0x100, v14
	v_or_b32_e32 v14, s4, v14
	v_or_b32_e32 v0, 3, v88
	v_lshl_add_u32 v90, v4, 11, v5
	v_lshl_add_u32 v91, v4, 9, v5
	v_lshlrev_b64_e32 v[4:5], 3, v[6:7]
	v_ashrrev_i32_e32 v15, 31, v14
	v_mul_u64_e32 v[16:17], s[34:35], v[0:1]
	v_mul_u64_e32 v[18:19], s[30:31], v[0:1]
	v_or_b32_e32 v0, 2, v88
	v_lshlrev_b64_e32 v[6:7], 3, v[12:13]
	v_mul_u64_e32 v[12:13], s[2:3], v[14:15]
	s_ashr_i32 s1, s13, 31
	v_or_b32_e32 v24, s4, v24
	v_mul_u64_e32 v[20:21], s[34:35], v[0:1]
	v_mul_u64_e32 v[22:23], s[30:31], v[0:1]
	s_lshr_b32 s1, s1, 28
	s_delay_alu instid0(SALU_CYCLE_1)
	s_add_co_i32 s1, s13, s1
	v_dual_ashrrev_i32 v25, 31, v24 :: v_dual_add_nc_u32 v0, 64, v24
	v_add_nc_u32_e32 v15, 0x80, v24
	s_and_b32 s41, s1, -16
	v_add_nc_u32_e32 v26, 0xc0, v24
	s_sub_co_i32 s3, s13, s41
	v_cmp_gt_i32_e64 s1, s41, v88
	s_cmp_gt_i32 s3, 0
	v_lshlrev_b64_e32 v[8:9], 5, v[8:9]
	v_lshlrev_b64_e32 v[10:11], 5, v[10:11]
	v_cmp_gt_i32_e64 s3, s12, v14
	v_cmp_gt_i32_e64 s5, s12, v15
	v_lshlrev_b64_e32 v[14:15], 3, v[24:25]
	v_cmp_gt_i32_e64 s2, s12, v24
	v_cmp_gt_i32_e64 s4, s12, v0
	;; [unrolled: 1-line block ×3, first 2 shown]
	s_cselect_b32 s42, -1, 0
	s_lshl_b64 s[36:37], s[30:31], 7
	s_lshl_b64 s[38:39], s[34:35], 7
	s_and_b32 s12, s0, vcc_lo
	v_lshlrev_b64_e32 v[16:17], 3, v[16:17]
	v_lshlrev_b64_e32 v[18:19], 3, v[18:19]
	s_lshl_b64 s[18:19], s[18:19], 3
	s_lshl_b64 s[22:23], s[22:23], 3
	;; [unrolled: 1-line block ×3, first 2 shown]
	v_lshlrev_b64_e32 v[20:21], 3, v[20:21]
	v_lshlrev_b64_e32 v[22:23], 3, v[22:23]
	s_branch .LBB245_4
.LBB245_2:                              ;   in Loop: Header=BB245_4 Depth=1
	s_wait_xcnt 0x0
	s_or_b32 exec_lo, exec_lo, s7
.LBB245_3:                              ;   in Loop: Header=BB245_4 Depth=1
	s_add_co_i32 s10, s10, 0x10000
	s_delay_alu instid0(SALU_CYCLE_1)
	s_cmp_lt_u32 s10, s33
	s_cbranch_scc0 .LBB245_58
.LBB245_4:                              ; =>This Loop Header: Depth=1
                                        ;     Child Loop BB245_26 Depth 2
	s_and_not1_b32 vcc_lo, exec_lo, s40
	s_cbranch_vccnz .LBB245_3
; %bb.5:                                ;   in Loop: Header=BB245_4 Depth=1
	s_and_not1_b32 vcc_lo, exec_lo, s43
	s_cbranch_vccnz .LBB245_7
; %bb.6:                                ;   in Loop: Header=BB245_4 Depth=1
	v_mov_b64_e32 v[36:37], 0
	v_mov_b64_e32 v[34:35], 0
	s_cbranch_execz .LBB245_8
	s_branch .LBB245_9
.LBB245_7:                              ;   in Loop: Header=BB245_4 Depth=1
	v_mov_b64_e32 v[36:37], 0
	v_mov_b64_e32 v[34:35], 0
.LBB245_8:                              ;   in Loop: Header=BB245_4 Depth=1
	s_lshl_b64 s[8:9], s[10:11], 3
	s_delay_alu instid0(SALU_CYCLE_1)
	s_add_nc_u64 s[8:9], s[16:17], s[8:9]
	global_load_b64 v[24:25], v1, s[8:9]
	s_wait_loadcnt 0x0
	v_add_nc_u64_e32 v[34:35], s[18:19], v[24:25]
.LBB245_9:                              ;   in Loop: Header=BB245_4 Depth=1
	v_cmp_ne_u32_e32 vcc_lo, 1, v89
	s_cbranch_vccnz .LBB245_11
; %bb.10:                               ;   in Loop: Header=BB245_4 Depth=1
	s_wait_xcnt 0x0
	s_lshl_b64 s[8:9], s[10:11], 3
	s_delay_alu instid0(SALU_CYCLE_1)
	s_add_nc_u64 s[8:9], s[20:21], s[8:9]
	global_load_b64 v[24:25], v1, s[8:9]
	s_wait_loadcnt 0x0
	v_add_nc_u64_e32 v[36:37], s[22:23], v[24:25]
.LBB245_11:                             ;   in Loop: Header=BB245_4 Depth=1
	s_wait_xcnt 0x0
	s_lshl_b64 s[8:9], s[10:11], 3
	s_and_not1_b32 vcc_lo, exec_lo, s43
	s_add_nc_u64 s[8:9], s[24:25], s[8:9]
	global_load_b64 v[24:25], v1, s[8:9]
	s_wait_loadcnt 0x0
	v_add_nc_u64_e32 v[24:25], s[26:27], v[24:25]
	s_cbranch_vccnz .LBB245_15
; %bb.12:                               ;   in Loop: Header=BB245_4 Depth=1
	s_mov_b32 s7, 0
	s_mov_b32 s45, 0
                                        ; implicit-def: $vgpr26_vgpr27
	s_wait_xcnt 0x0
	s_and_saveexec_b32 s8, s12
	s_cbranch_execz .LBB245_16
; %bb.13:                               ;   in Loop: Header=BB245_4 Depth=1
	s_and_not1_b32 vcc_lo, exec_lo, s44
	s_cbranch_vccnz .LBB245_18
; %bb.14:                               ;   in Loop: Header=BB245_4 Depth=1
	v_lshl_add_u64 v[26:27], v[2:3], 3, v[24:25]
	flat_load_b64 v[26:27], v[26:27]
	s_wait_loadcnt_dscnt 0x0
	s_wait_xcnt 0x0
	v_mul_f64_e32 v[26:27], s[28:29], v[26:27]
	s_branch .LBB245_19
.LBB245_15:                             ;   in Loop: Header=BB245_4 Depth=1
	s_mov_b32 s45, 0
                                        ; implicit-def: $vgpr26_vgpr27
	s_cbranch_execz .LBB245_17
	s_branch .LBB245_20
.LBB245_16:                             ;   in Loop: Header=BB245_4 Depth=1
	s_or_b32 exec_lo, exec_lo, s8
	s_delay_alu instid0(SALU_CYCLE_1)
	s_and_b32 vcc_lo, exec_lo, s7
	s_cbranch_vccnz .LBB245_20
.LBB245_17:                             ;   in Loop: Header=BB245_4 Depth=1
	v_mov_b64_e32 v[28:29], v[2:3]
	s_wait_xcnt 0x0
	s_and_saveexec_b32 s7, s45
	s_cbranch_execz .LBB245_2
	s_branch .LBB245_57
.LBB245_18:                             ;   in Loop: Header=BB245_4 Depth=1
	v_mov_b64_e32 v[26:27], 0
.LBB245_19:                             ;   in Loop: Header=BB245_4 Depth=1
	s_mov_b32 s45, exec_lo
	s_or_b32 exec_lo, exec_lo, s8
	s_delay_alu instid0(SALU_CYCLE_1)
	s_and_b32 vcc_lo, exec_lo, s7
	s_cbranch_vccz .LBB245_17
.LBB245_20:                             ;   in Loop: Header=BB245_4 Depth=1
	v_mov_b64_e32 v[26:27], 0
	v_mov_b64_e32 v[28:29], 0
	;; [unrolled: 1-line block ×4, first 2 shown]
	v_mov_b32_e32 v0, v88
	s_wait_xcnt 0x0
	s_and_saveexec_b32 s7, s1
	s_cbranch_execz .LBB245_32
; %bb.21:                               ;   in Loop: Header=BB245_4 Depth=1
	v_add_nc_u64_e32 v[38:39], v[34:35], v[16:17]
	v_add_nc_u64_e32 v[40:41], v[34:35], v[10:11]
	v_add_nc_u64_e32 v[42:43], v[34:35], v[20:21]
	v_add_nc_u64_e32 v[44:45], v[34:35], v[6:7]
	v_mov_b64_e32 v[26:27], 0
	v_mov_b64_e32 v[28:29], 0
	;; [unrolled: 1-line block ×5, first 2 shown]
	v_mov_b32_e32 v0, v88
	s_mov_b32 s8, 0
	s_branch .LBB245_26
.LBB245_22:                             ;   in Loop: Header=BB245_26 Depth=2
	s_wait_xcnt 0x0
	s_or_b32 exec_lo, exec_lo, s48
	s_wait_loadcnt_dscnt 0x303
	v_fmac_f64_e32 v[30:31], v[54:55], v[86:87]
	s_wait_loadcnt_dscnt 0x202
	s_delay_alu instid0(VALU_DEP_1) | instskip(SKIP_1) | instid1(VALU_DEP_1)
	v_fmac_f64_e32 v[30:31], v[52:53], v[84:85]
	s_wait_loadcnt_dscnt 0x101
	v_fmac_f64_e32 v[30:31], v[50:51], v[82:83]
	s_wait_loadcnt_dscnt 0x0
	s_delay_alu instid0(VALU_DEP_1)
	v_fmac_f64_e32 v[30:31], v[48:49], v[80:81]
.LBB245_23:                             ;   in Loop: Header=BB245_26 Depth=2
	s_or_b32 exec_lo, exec_lo, s47
	s_wait_loadcnt_dscnt 0x303
	v_fmac_f64_e32 v[28:29], v[54:55], v[74:75]
	s_wait_loadcnt_dscnt 0x202
	s_delay_alu instid0(VALU_DEP_1) | instskip(SKIP_1) | instid1(VALU_DEP_1)
	v_fmac_f64_e32 v[28:29], v[52:53], v[68:69]
	s_wait_loadcnt_dscnt 0x101
	v_fmac_f64_e32 v[28:29], v[50:51], v[66:67]
	s_wait_loadcnt_dscnt 0x0
	s_delay_alu instid0(VALU_DEP_1)
	v_fmac_f64_e32 v[28:29], v[48:49], v[64:65]
.LBB245_24:                             ;   in Loop: Header=BB245_26 Depth=2
	s_or_b32 exec_lo, exec_lo, s46
	s_wait_loadcnt_dscnt 0x303
	v_fmac_f64_e32 v[26:27], v[54:55], v[62:63]
	s_wait_loadcnt_dscnt 0x202
	s_delay_alu instid0(VALU_DEP_1) | instskip(SKIP_1) | instid1(VALU_DEP_1)
	v_fmac_f64_e32 v[26:27], v[52:53], v[60:61]
	s_wait_loadcnt_dscnt 0x101
	v_fmac_f64_e32 v[26:27], v[50:51], v[58:59]
	s_wait_loadcnt_dscnt 0x0
	s_delay_alu instid0(VALU_DEP_1)
	v_fmac_f64_e32 v[26:27], v[48:49], v[56:57]
.LBB245_25:                             ;   in Loop: Header=BB245_26 Depth=2
	s_or_b32 exec_lo, exec_lo, s9
	v_add_nc_u32_e32 v0, 16, v0
	v_add_nc_u64_e32 v[46:47], s[36:37], v[46:47]
	v_add_nc_u64_e32 v[38:39], s[38:39], v[38:39]
	v_add_nc_u64_e32 v[40:41], s[38:39], v[40:41]
	v_add_nc_u64_e32 v[42:43], s[38:39], v[42:43]
	v_cmp_le_i32_e32 vcc_lo, s41, v0
	v_add_nc_u64_e32 v[44:45], s[38:39], v[44:45]
	s_or_b32 s8, vcc_lo, s8
	s_delay_alu instid0(SALU_CYCLE_1)
	s_and_not1_b32 exec_lo, exec_lo, s8
	s_cbranch_execz .LBB245_31
.LBB245_26:                             ;   Parent Loop BB245_4 Depth=1
                                        ; =>  This Inner Loop Header: Depth=2
	s_and_saveexec_b32 s9, s2
	s_cbranch_execz .LBB245_25
; %bb.27:                               ;   in Loop: Header=BB245_26 Depth=2
	s_delay_alu instid0(VALU_DEP_2)
	v_add_nc_u64_e32 v[64:65], v[46:47], v[8:9]
	v_add_nc_u64_e32 v[66:67], v[46:47], v[4:5]
	;; [unrolled: 1-line block ×8, first 2 shown]
	s_clause 0x3
	flat_load_b64 v[54:55], v[64:65]
	flat_load_b64 v[52:53], v[66:67]
	;; [unrolled: 1-line block ×8, first 2 shown]
	s_wait_xcnt 0x0
	s_and_saveexec_b32 s46, s4
	s_cbranch_execz .LBB245_24
; %bb.28:                               ;   in Loop: Header=BB245_26 Depth=2
	flat_load_b64 v[74:75], v[70:71] offset:512
	flat_load_b64 v[68:69], v[72:73] offset:512
	flat_load_b64 v[66:67], v[76:77] offset:512
	flat_load_b64 v[64:65], v[78:79] offset:512
	s_wait_xcnt 0x0
	s_and_saveexec_b32 s47, s5
	s_cbranch_execz .LBB245_23
; %bb.29:                               ;   in Loop: Header=BB245_26 Depth=2
	flat_load_b64 v[86:87], v[70:71] offset:1024
	flat_load_b64 v[84:85], v[72:73] offset:1024
	flat_load_b64 v[82:83], v[76:77] offset:1024
	flat_load_b64 v[80:81], v[78:79] offset:1024
	s_wait_xcnt 0x0
	s_and_saveexec_b32 s48, s6
	s_cbranch_execz .LBB245_22
; %bb.30:                               ;   in Loop: Header=BB245_26 Depth=2
	flat_load_b64 v[92:93], v[70:71] offset:1536
	flat_load_b64 v[94:95], v[72:73] offset:1536
	flat_load_b64 v[96:97], v[76:77] offset:1536
	flat_load_b64 v[98:99], v[78:79] offset:1536
	s_wait_loadcnt_dscnt 0x303
	v_fmac_f64_e32 v[32:33], v[54:55], v[92:93]
	s_wait_loadcnt_dscnt 0x202
	s_delay_alu instid0(VALU_DEP_1) | instskip(SKIP_1) | instid1(VALU_DEP_1)
	v_fmac_f64_e32 v[32:33], v[52:53], v[94:95]
	s_wait_loadcnt_dscnt 0x101
	v_fmac_f64_e32 v[32:33], v[50:51], v[96:97]
	s_wait_loadcnt_dscnt 0x0
	s_delay_alu instid0(VALU_DEP_1)
	v_fmac_f64_e32 v[32:33], v[48:49], v[98:99]
	s_branch .LBB245_22
.LBB245_31:                             ;   in Loop: Header=BB245_4 Depth=1
	s_or_b32 exec_lo, exec_lo, s8
.LBB245_32:                             ;   in Loop: Header=BB245_4 Depth=1
	s_delay_alu instid0(SALU_CYCLE_1) | instskip(NEXT) | instid1(SALU_CYCLE_1)
	s_or_b32 exec_lo, exec_lo, s7
	s_and_not1_b32 vcc_lo, exec_lo, s42
	s_cbranch_vccnz .LBB245_50
; %bb.33:                               ;   in Loop: Header=BB245_4 Depth=1
	v_mov_b64_e32 v[44:45], 0
	v_mov_b64_e32 v[42:43], 0
	;; [unrolled: 1-line block ×4, first 2 shown]
	v_cmp_gt_i32_e32 vcc_lo, s13, v0
	v_or_b32_e32 v46, 1, v0
	s_and_saveexec_b32 s8, vcc_lo
	s_cbranch_execz .LBB245_41
; %bb.34:                               ;   in Loop: Header=BB245_4 Depth=1
	v_mul_u64_e32 v[38:39], s[30:31], v[0:1]
	v_mov_b64_e32 v[40:41], 0
	v_mov_b64_e32 v[42:43], 0
	;; [unrolled: 1-line block ×3, first 2 shown]
	s_mov_b32 s9, exec_lo
	s_delay_alu instid0(VALU_DEP_4)
	v_lshl_add_u64 v[38:39], v[38:39], 3, v[36:37]
	flat_load_b64 v[38:39], v[38:39]
	s_wait_xcnt 0x0
	v_cmpx_gt_i32_e64 s13, v46
	s_cbranch_execz .LBB245_40
; %bb.35:                               ;   in Loop: Header=BB245_4 Depth=1
	v_dual_mov_b32 v47, v1 :: v_dual_bitop2_b32 v48, 2, v0 bitop3:0x54
	v_mov_b64_e32 v[42:43], 0
	v_mov_b64_e32 v[44:45], 0
	s_mov_b32 s46, exec_lo
	s_delay_alu instid0(VALU_DEP_3) | instskip(NEXT) | instid1(VALU_DEP_1)
	v_mul_u64_e32 v[40:41], s[30:31], v[46:47]
	v_lshl_add_u64 v[40:41], v[40:41], 3, v[36:37]
	flat_load_b64 v[40:41], v[40:41]
	s_wait_xcnt 0x0
	v_cmpx_gt_i32_e64 s13, v48
	s_cbranch_execz .LBB245_39
; %bb.36:                               ;   in Loop: Header=BB245_4 Depth=1
	v_mov_b32_e32 v49, v1
	v_mov_b64_e32 v[44:45], 0
	s_mov_b32 s47, exec_lo
	s_delay_alu instid0(VALU_DEP_2) | instskip(SKIP_1) | instid1(VALU_DEP_2)
	v_mul_u64_e32 v[42:43], s[30:31], v[48:49]
	v_or_b32_e32 v48, 3, v0
	v_lshl_add_u64 v[42:43], v[42:43], 3, v[36:37]
	flat_load_b64 v[42:43], v[42:43]
	s_wait_xcnt 0x0
	v_cmpx_gt_i32_e64 s13, v48
	s_cbranch_execz .LBB245_38
; %bb.37:                               ;   in Loop: Header=BB245_4 Depth=1
	v_mov_b32_e32 v49, v1
	s_delay_alu instid0(VALU_DEP_1) | instskip(NEXT) | instid1(VALU_DEP_1)
	v_mul_u64_e32 v[44:45], s[30:31], v[48:49]
	v_lshl_add_u64 v[36:37], v[44:45], 3, v[36:37]
	flat_load_b64 v[44:45], v[36:37]
.LBB245_38:                             ;   in Loop: Header=BB245_4 Depth=1
	s_wait_xcnt 0x0
	s_or_b32 exec_lo, exec_lo, s47
.LBB245_39:                             ;   in Loop: Header=BB245_4 Depth=1
	s_delay_alu instid0(SALU_CYCLE_1)
	s_or_b32 exec_lo, exec_lo, s46
.LBB245_40:                             ;   in Loop: Header=BB245_4 Depth=1
	s_delay_alu instid0(SALU_CYCLE_1)
	s_or_b32 exec_lo, exec_lo, s9
.LBB245_41:                             ;   in Loop: Header=BB245_4 Depth=1
	s_delay_alu instid0(SALU_CYCLE_1)
	s_or_b32 exec_lo, exec_lo, s8
	s_and_saveexec_b32 s46, s2
	s_cbranch_execz .LBB245_49
; %bb.42:                               ;   in Loop: Header=BB245_4 Depth=1
	v_dual_mov_b32 v47, v1 :: v_dual_bitop2_b32 v36, 2, v0 bitop3:0x54
	v_mov_b32_e32 v37, v1
	v_mul_u64_e32 v[48:49], s[34:35], v[0:1]
	v_or_b32_e32 v0, 3, v0
	s_delay_alu instid0(VALU_DEP_4)
	v_mul_u64_e32 v[50:51], s[34:35], v[46:47]
	v_cmp_gt_i32_e64 s7, s13, v46
	v_mul_u64_e32 v[52:53], s[34:35], v[36:37]
	v_cmp_gt_i32_e64 s8, s13, v36
	;; [unrolled: 2-line block ×3, first 2 shown]
	v_dual_cndmask_b32 v37, 0, v49 :: v_dual_cndmask_b32 v36, 0, v48
	v_dual_cndmask_b32 v47, 0, v51, s7 :: v_dual_cndmask_b32 v46, 0, v50, s7
	v_dual_cndmask_b32 v49, 0, v53, s8 :: v_dual_cndmask_b32 v48, 0, v52, s8
	s_delay_alu instid0(VALU_DEP_4) | instskip(NEXT) | instid1(VALU_DEP_4)
	v_dual_cndmask_b32 v51, 0, v55, s9 :: v_dual_cndmask_b32 v50, 0, v54, s9
	v_lshl_add_u64 v[36:37], v[36:37], 3, v[34:35]
	s_delay_alu instid0(VALU_DEP_4) | instskip(NEXT) | instid1(VALU_DEP_4)
	v_lshl_add_u64 v[46:47], v[46:47], 3, v[34:35]
	v_lshl_add_u64 v[48:49], v[48:49], 3, v[34:35]
	s_delay_alu instid0(VALU_DEP_4) | instskip(NEXT) | instid1(VALU_DEP_4)
	v_lshl_add_u64 v[34:35], v[50:51], 3, v[34:35]
	v_add_nc_u64_e32 v[60:61], v[36:37], v[14:15]
	s_delay_alu instid0(VALU_DEP_4) | instskip(NEXT) | instid1(VALU_DEP_4)
	v_add_nc_u64_e32 v[58:59], v[46:47], v[14:15]
	v_add_nc_u64_e32 v[64:65], v[48:49], v[14:15]
	s_delay_alu instid0(VALU_DEP_4)
	v_add_nc_u64_e32 v[62:63], v[34:35], v[14:15]
	s_clause 0x3
	flat_load_b64 v[48:49], v[60:61]
	flat_load_b64 v[46:47], v[58:59]
	;; [unrolled: 1-line block ×4, first 2 shown]
	s_wait_xcnt 0x0
	s_and_saveexec_b32 s7, s4
	s_cbranch_execz .LBB245_48
; %bb.43:                               ;   in Loop: Header=BB245_4 Depth=1
	s_clause 0x3
	flat_load_b64 v[56:57], v[60:61] offset:512
	flat_load_b64 v[54:55], v[58:59] offset:512
	flat_load_b64 v[52:53], v[64:65] offset:512
	flat_load_b64 v[50:51], v[62:63] offset:512
	s_wait_xcnt 0x0
	s_and_saveexec_b32 s8, s5
	s_cbranch_execz .LBB245_47
; %bb.44:                               ;   in Loop: Header=BB245_4 Depth=1
	s_clause 0x3
	flat_load_b64 v[72:73], v[60:61] offset:1024
	flat_load_b64 v[70:71], v[58:59] offset:1024
	flat_load_b64 v[68:69], v[64:65] offset:1024
	flat_load_b64 v[66:67], v[62:63] offset:1024
	;; [unrolled: 9-line block ×3, first 2 shown]
	s_wait_loadcnt_dscnt 0x303
	v_fmac_f64_e32 v[32:33], v[38:39], v[74:75]
	s_wait_loadcnt_dscnt 0x202
	s_delay_alu instid0(VALU_DEP_1) | instskip(SKIP_1) | instid1(VALU_DEP_1)
	v_fmac_f64_e32 v[32:33], v[40:41], v[76:77]
	s_wait_loadcnt_dscnt 0x101
	v_fmac_f64_e32 v[32:33], v[42:43], v[78:79]
	s_wait_loadcnt_dscnt 0x0
	s_delay_alu instid0(VALU_DEP_1)
	v_fmac_f64_e32 v[32:33], v[44:45], v[80:81]
.LBB245_46:                             ;   in Loop: Header=BB245_4 Depth=1
	s_wait_xcnt 0x0
	s_or_b32 exec_lo, exec_lo, s9
	s_wait_loadcnt_dscnt 0x303
	v_fmac_f64_e32 v[30:31], v[38:39], v[72:73]
	s_wait_loadcnt_dscnt 0x202
	s_delay_alu instid0(VALU_DEP_1) | instskip(SKIP_1) | instid1(VALU_DEP_1)
	v_fmac_f64_e32 v[30:31], v[40:41], v[70:71]
	s_wait_loadcnt_dscnt 0x101
	v_fmac_f64_e32 v[30:31], v[42:43], v[68:69]
	s_wait_loadcnt_dscnt 0x0
	s_delay_alu instid0(VALU_DEP_1)
	v_fmac_f64_e32 v[30:31], v[44:45], v[66:67]
.LBB245_47:                             ;   in Loop: Header=BB245_4 Depth=1
	s_or_b32 exec_lo, exec_lo, s8
	s_wait_loadcnt_dscnt 0x303
	v_fmac_f64_e32 v[28:29], v[38:39], v[56:57]
	s_wait_loadcnt_dscnt 0x202
	s_delay_alu instid0(VALU_DEP_1) | instskip(SKIP_1) | instid1(VALU_DEP_1)
	v_fmac_f64_e32 v[28:29], v[40:41], v[54:55]
	s_wait_loadcnt_dscnt 0x101
	v_fmac_f64_e32 v[28:29], v[42:43], v[52:53]
	s_wait_loadcnt_dscnt 0x0
	s_delay_alu instid0(VALU_DEP_1)
	v_fmac_f64_e32 v[28:29], v[44:45], v[50:51]
.LBB245_48:                             ;   in Loop: Header=BB245_4 Depth=1
	s_or_b32 exec_lo, exec_lo, s7
	s_wait_loadcnt_dscnt 0x303
	v_fmac_f64_e32 v[26:27], v[38:39], v[48:49]
	s_wait_loadcnt_dscnt 0x202
	s_delay_alu instid0(VALU_DEP_1) | instskip(SKIP_1) | instid1(VALU_DEP_1)
	v_fmac_f64_e32 v[26:27], v[40:41], v[46:47]
	s_wait_loadcnt_dscnt 0x101
	v_fmac_f64_e32 v[26:27], v[42:43], v[36:37]
	s_wait_loadcnt_dscnt 0x0
	s_delay_alu instid0(VALU_DEP_1)
	v_fmac_f64_e32 v[26:27], v[44:45], v[34:35]
.LBB245_49:                             ;   in Loop: Header=BB245_4 Depth=1
	s_or_b32 exec_lo, exec_lo, s46
.LBB245_50:                             ;   in Loop: Header=BB245_4 Depth=1
	ds_store_2addr_stride64_b64 v90, v[26:27], v[28:29] offset1:1
	ds_store_2addr_stride64_b64 v90, v[30:31], v[32:33] offset0:2 offset1:3
	s_wait_loadcnt_dscnt 0x0
	s_barrier_signal -1
	s_barrier_wait -1
                                        ; implicit-def: $vgpr26_vgpr27
	s_and_saveexec_b32 s7, s0
	s_cbranch_execz .LBB245_56
; %bb.51:                               ;   in Loop: Header=BB245_4 Depth=1
	ds_load_2addr_stride64_b64 v[26:29], v91 offset1:4
	s_mov_b32 s9, s45
	s_wait_dscnt 0x0
	v_add_f64_e32 v[30:31], v[26:27], v[28:29]
	ds_load_2addr_stride64_b64 v[26:29], v91 offset0:8 offset1:12
	s_wait_dscnt 0x0
	v_add_f64_e32 v[26:27], v[26:27], v[30:31]
	s_delay_alu instid0(VALU_DEP_1)
	v_add_f64_e32 v[28:29], v[28:29], v[26:27]
                                        ; implicit-def: $vgpr26_vgpr27
	ds_store_b64 v91, v[28:29]
	s_and_saveexec_b32 s8, s3
	s_cbranch_execz .LBB245_55
; %bb.52:                               ;   in Loop: Header=BB245_4 Depth=1
	v_mul_f64_e32 v[26:27], s[14:15], v[28:29]
	s_and_not1_b32 vcc_lo, exec_lo, s44
	s_cbranch_vccnz .LBB245_54
; %bb.53:                               ;   in Loop: Header=BB245_4 Depth=1
	v_lshl_add_u64 v[28:29], v[12:13], 3, v[24:25]
	flat_load_b64 v[28:29], v[28:29]
	s_wait_loadcnt_dscnt 0x0
	v_fmac_f64_e32 v[26:27], s[28:29], v[28:29]
.LBB245_54:                             ;   in Loop: Header=BB245_4 Depth=1
	s_or_b32 s9, s45, exec_lo
.LBB245_55:                             ;   in Loop: Header=BB245_4 Depth=1
	s_wait_xcnt 0x0
	s_or_b32 exec_lo, exec_lo, s8
	s_delay_alu instid0(SALU_CYCLE_1) | instskip(SKIP_1) | instid1(SALU_CYCLE_1)
	s_and_not1_b32 s8, s45, exec_lo
	s_and_b32 s9, s9, exec_lo
	s_or_b32 s45, s8, s9
.LBB245_56:                             ;   in Loop: Header=BB245_4 Depth=1
	s_or_b32 exec_lo, exec_lo, s7
	v_mov_b64_e32 v[28:29], v[12:13]
	s_and_saveexec_b32 s7, s45
	s_cbranch_execz .LBB245_2
.LBB245_57:                             ;   in Loop: Header=BB245_4 Depth=1
	s_delay_alu instid0(VALU_DEP_1)
	v_lshl_add_u64 v[24:25], v[28:29], 3, v[24:25]
	flat_store_b64 v[24:25], v[26:27]
	s_branch .LBB245_2
.LBB245_58:
	s_sendmsg sendmsg(MSG_DEALLOC_VGPRS)
	s_endpgm
	.section	.rodata,"a",@progbits
	.p2align	6, 0x0
	.amdhsa_kernel _ZL20rocblas_gemvn_kernelILi64ELi4ElPKddKPdEviiT3_lPKT2_lT1_lS7_lS8_lS4_lPT4_lS8_li
		.amdhsa_group_segment_fixed_size 8192
		.amdhsa_private_segment_fixed_size 0
		.amdhsa_kernarg_size 400
		.amdhsa_user_sgpr_count 2
		.amdhsa_user_sgpr_dispatch_ptr 0
		.amdhsa_user_sgpr_queue_ptr 0
		.amdhsa_user_sgpr_kernarg_segment_ptr 1
		.amdhsa_user_sgpr_dispatch_id 0
		.amdhsa_user_sgpr_kernarg_preload_length 0
		.amdhsa_user_sgpr_kernarg_preload_offset 0
		.amdhsa_user_sgpr_private_segment_size 0
		.amdhsa_wavefront_size32 1
		.amdhsa_uses_dynamic_stack 0
		.amdhsa_enable_private_segment 0
		.amdhsa_system_sgpr_workgroup_id_x 1
		.amdhsa_system_sgpr_workgroup_id_y 0
		.amdhsa_system_sgpr_workgroup_id_z 1
		.amdhsa_system_sgpr_workgroup_info 0
		.amdhsa_system_vgpr_workitem_id 1
		.amdhsa_next_free_vgpr 100
		.amdhsa_next_free_sgpr 49
		.amdhsa_named_barrier_count 0
		.amdhsa_reserve_vcc 1
		.amdhsa_float_round_mode_32 0
		.amdhsa_float_round_mode_16_64 0
		.amdhsa_float_denorm_mode_32 3
		.amdhsa_float_denorm_mode_16_64 3
		.amdhsa_fp16_overflow 0
		.amdhsa_memory_ordered 1
		.amdhsa_forward_progress 1
		.amdhsa_inst_pref_size 22
		.amdhsa_round_robin_scheduling 0
		.amdhsa_exception_fp_ieee_invalid_op 0
		.amdhsa_exception_fp_denorm_src 0
		.amdhsa_exception_fp_ieee_div_zero 0
		.amdhsa_exception_fp_ieee_overflow 0
		.amdhsa_exception_fp_ieee_underflow 0
		.amdhsa_exception_fp_ieee_inexact 0
		.amdhsa_exception_int_div_zero 0
	.end_amdhsa_kernel
	.section	.text._ZL20rocblas_gemvn_kernelILi64ELi4ElPKddKPdEviiT3_lPKT2_lT1_lS7_lS8_lS4_lPT4_lS8_li,"axG",@progbits,_ZL20rocblas_gemvn_kernelILi64ELi4ElPKddKPdEviiT3_lPKT2_lT1_lS7_lS8_lS4_lPT4_lS8_li,comdat
.Lfunc_end245:
	.size	_ZL20rocblas_gemvn_kernelILi64ELi4ElPKddKPdEviiT3_lPKT2_lT1_lS7_lS8_lS4_lPT4_lS8_li, .Lfunc_end245-_ZL20rocblas_gemvn_kernelILi64ELi4ElPKddKPdEviiT3_lPKT2_lT1_lS7_lS8_lS4_lPT4_lS8_li
                                        ; -- End function
	.set _ZL20rocblas_gemvn_kernelILi64ELi4ElPKddKPdEviiT3_lPKT2_lT1_lS7_lS8_lS4_lPT4_lS8_li.num_vgpr, 100
	.set _ZL20rocblas_gemvn_kernelILi64ELi4ElPKddKPdEviiT3_lPKT2_lT1_lS7_lS8_lS4_lPT4_lS8_li.num_agpr, 0
	.set _ZL20rocblas_gemvn_kernelILi64ELi4ElPKddKPdEviiT3_lPKT2_lT1_lS7_lS8_lS4_lPT4_lS8_li.numbered_sgpr, 49
	.set _ZL20rocblas_gemvn_kernelILi64ELi4ElPKddKPdEviiT3_lPKT2_lT1_lS7_lS8_lS4_lPT4_lS8_li.num_named_barrier, 0
	.set _ZL20rocblas_gemvn_kernelILi64ELi4ElPKddKPdEviiT3_lPKT2_lT1_lS7_lS8_lS4_lPT4_lS8_li.private_seg_size, 0
	.set _ZL20rocblas_gemvn_kernelILi64ELi4ElPKddKPdEviiT3_lPKT2_lT1_lS7_lS8_lS4_lPT4_lS8_li.uses_vcc, 1
	.set _ZL20rocblas_gemvn_kernelILi64ELi4ElPKddKPdEviiT3_lPKT2_lT1_lS7_lS8_lS4_lPT4_lS8_li.uses_flat_scratch, 1
	.set _ZL20rocblas_gemvn_kernelILi64ELi4ElPKddKPdEviiT3_lPKT2_lT1_lS7_lS8_lS4_lPT4_lS8_li.has_dyn_sized_stack, 0
	.set _ZL20rocblas_gemvn_kernelILi64ELi4ElPKddKPdEviiT3_lPKT2_lT1_lS7_lS8_lS4_lPT4_lS8_li.has_recursion, 0
	.set _ZL20rocblas_gemvn_kernelILi64ELi4ElPKddKPdEviiT3_lPKT2_lT1_lS7_lS8_lS4_lPT4_lS8_li.has_indirect_call, 0
	.section	.AMDGPU.csdata,"",@progbits
; Kernel info:
; codeLenInByte = 2720
; TotalNumSgprs: 51
; NumVgprs: 100
; ScratchSize: 0
; MemoryBound: 1
; FloatMode: 240
; IeeeMode: 1
; LDSByteSize: 8192 bytes/workgroup (compile time only)
; SGPRBlocks: 0
; VGPRBlocks: 6
; NumSGPRsForWavesPerEU: 51
; NumVGPRsForWavesPerEU: 100
; NamedBarCnt: 0
; Occupancy: 9
; WaveLimiterHint : 1
; COMPUTE_PGM_RSRC2:SCRATCH_EN: 0
; COMPUTE_PGM_RSRC2:USER_SGPR: 2
; COMPUTE_PGM_RSRC2:TRAP_HANDLER: 0
; COMPUTE_PGM_RSRC2:TGID_X_EN: 1
; COMPUTE_PGM_RSRC2:TGID_Y_EN: 0
; COMPUTE_PGM_RSRC2:TGID_Z_EN: 1
; COMPUTE_PGM_RSRC2:TIDIG_COMP_CNT: 1
	.section	.text._ZL24rocblas_gemv_scal_kernelILi256EPKdPKPdEviT0_lT1_lili,"axG",@progbits,_ZL24rocblas_gemv_scal_kernelILi256EPKdPKPdEviT0_lT1_lili,comdat
	.globl	_ZL24rocblas_gemv_scal_kernelILi256EPKdPKPdEviT0_lT1_lili ; -- Begin function _ZL24rocblas_gemv_scal_kernelILi256EPKdPKPdEviT0_lT1_lili
	.p2align	8
	.type	_ZL24rocblas_gemv_scal_kernelILi256EPKdPKPdEviT0_lT1_lili,@function
_ZL24rocblas_gemv_scal_kernelILi256EPKdPKPdEviT0_lT1_lili: ; @_ZL24rocblas_gemv_scal_kernelILi256EPKdPKPdEviT0_lT1_lili
; %bb.0:
	s_load_b32 s16, s[0:1], 0x38
	s_bfe_u32 s2, ttmp6, 0x40014
	s_lshr_b32 s3, ttmp7, 16
	s_add_co_i32 s2, s2, 1
	s_bfe_u32 s4, ttmp6, 0x40008
	s_mul_i32 s2, s3, s2
	s_getreg_b32 s17, hwreg(HW_REG_IB_STS2, 6, 4)
	s_add_co_i32 s4, s4, s2
	s_cmp_eq_u32 s17, 0
	s_cselect_b32 s2, s3, s4
	s_mov_b32 s3, 0
	s_wait_kmcnt 0x0
	s_cmp_ge_u32 s2, s16
	s_cbranch_scc1 .LBB246_9
; %bb.1:
	s_clause 0x2
	s_load_b32 s12, s[0:1], 0x0
	s_load_b32 s14, s[0:1], 0x28
	s_load_b256 s[4:11], s[0:1], 0x8
	s_bfe_u32 s13, ttmp6, 0x4000c
	s_and_b32 s15, ttmp6, 15
	s_add_co_i32 s13, s13, 1
	v_mov_b32_e32 v3, 0
	s_mul_i32 s13, ttmp9, s13
	s_wait_xcnt 0x0
	s_add_nc_u64 s[0:1], s[0:1], 64
	s_add_co_i32 s18, s15, s13
	s_wait_kmcnt 0x0
	s_ashr_i32 s13, s12, 31
	s_ashr_i32 s15, s14, 31
	s_cmp_eq_u32 s17, 0
	s_cselect_b32 s17, ttmp9, s18
	s_lshl_b64 s[10:11], s[10:11], 3
	s_branch .LBB246_5
.LBB246_2:                              ;   in Loop: Header=BB246_5 Depth=1
	flat_store_b64 v[6:7], v[8:9]
.LBB246_3:                              ;   in Loop: Header=BB246_5 Depth=1
	s_wait_xcnt 0x0
	s_or_b32 exec_lo, exec_lo, s18
.LBB246_4:                              ;   in Loop: Header=BB246_5 Depth=1
	s_add_co_i32 s2, s2, 0x10000
	s_delay_alu instid0(SALU_CYCLE_1)
	s_cmp_lt_u32 s2, s16
	s_cbranch_scc0 .LBB246_9
.LBB246_5:                              ; =>This Inner Loop Header: Depth=1
	s_wait_xcnt 0x0
	s_mul_u64 s[18:19], s[6:7], s[2:3]
	s_delay_alu instid0(SALU_CYCLE_1) | instskip(NEXT) | instid1(SALU_CYCLE_1)
	s_lshl_b64 s[18:19], s[18:19], 3
	s_add_nc_u64 s[18:19], s[4:5], s[18:19]
	global_load_b64 v[4:5], v3, s[18:19]
	s_wait_loadcnt 0x0
	v_cmp_eq_f64_e32 vcc_lo, 1.0, v[4:5]
	s_cbranch_vccnz .LBB246_4
; %bb.6:                                ;   in Loop: Header=BB246_5 Depth=1
	s_wait_xcnt 0x0
	s_load_b32 s18, s[0:1], 0xc
	s_wait_kmcnt 0x0
	s_and_b32 s18, s18, 0xffff
	s_delay_alu instid0(SALU_CYCLE_1) | instskip(SKIP_1) | instid1(VALU_DEP_1)
	v_mad_u32 v2, s17, s18, v0
	s_mov_b32 s18, exec_lo
	v_cmpx_gt_i64_e64 s[12:13], v[2:3]
	s_cbranch_execz .LBB246_3
; %bb.7:                                ;   in Loop: Header=BB246_5 Depth=1
	v_mul_u64_e32 v[6:7], s[14:15], v[2:3]
	v_cmp_eq_f64_e32 vcc_lo, 0, v[4:5]
	s_lshl_b64 s[20:21], s[2:3], 3
	v_mov_b64_e32 v[8:9], 0
	s_add_nc_u64 s[20:21], s[8:9], s[20:21]
	s_load_b64 s[20:21], s[20:21], 0x0
	s_wait_kmcnt 0x0
	s_wait_xcnt 0x0
	s_add_nc_u64 s[20:21], s[20:21], s[10:11]
	s_delay_alu instid0(VALU_DEP_3) | instid1(SALU_CYCLE_1)
	v_lshl_add_u64 v[6:7], v[6:7], 3, s[20:21]
	s_cbranch_vccnz .LBB246_2
; %bb.8:                                ;   in Loop: Header=BB246_5 Depth=1
	flat_load_b64 v[8:9], v[6:7]
	s_wait_loadcnt_dscnt 0x0
	v_mul_f64_e32 v[8:9], v[4:5], v[8:9]
	s_branch .LBB246_2
.LBB246_9:
	s_endpgm
	.section	.rodata,"a",@progbits
	.p2align	6, 0x0
	.amdhsa_kernel _ZL24rocblas_gemv_scal_kernelILi256EPKdPKPdEviT0_lT1_lili
		.amdhsa_group_segment_fixed_size 0
		.amdhsa_private_segment_fixed_size 0
		.amdhsa_kernarg_size 320
		.amdhsa_user_sgpr_count 2
		.amdhsa_user_sgpr_dispatch_ptr 0
		.amdhsa_user_sgpr_queue_ptr 0
		.amdhsa_user_sgpr_kernarg_segment_ptr 1
		.amdhsa_user_sgpr_dispatch_id 0
		.amdhsa_user_sgpr_kernarg_preload_length 0
		.amdhsa_user_sgpr_kernarg_preload_offset 0
		.amdhsa_user_sgpr_private_segment_size 0
		.amdhsa_wavefront_size32 1
		.amdhsa_uses_dynamic_stack 0
		.amdhsa_enable_private_segment 0
		.amdhsa_system_sgpr_workgroup_id_x 1
		.amdhsa_system_sgpr_workgroup_id_y 0
		.amdhsa_system_sgpr_workgroup_id_z 1
		.amdhsa_system_sgpr_workgroup_info 0
		.amdhsa_system_vgpr_workitem_id 0
		.amdhsa_next_free_vgpr 10
		.amdhsa_next_free_sgpr 22
		.amdhsa_named_barrier_count 0
		.amdhsa_reserve_vcc 1
		.amdhsa_float_round_mode_32 0
		.amdhsa_float_round_mode_16_64 0
		.amdhsa_float_denorm_mode_32 3
		.amdhsa_float_denorm_mode_16_64 3
		.amdhsa_fp16_overflow 0
		.amdhsa_memory_ordered 1
		.amdhsa_forward_progress 1
		.amdhsa_inst_pref_size 3
		.amdhsa_round_robin_scheduling 0
		.amdhsa_exception_fp_ieee_invalid_op 0
		.amdhsa_exception_fp_denorm_src 0
		.amdhsa_exception_fp_ieee_div_zero 0
		.amdhsa_exception_fp_ieee_overflow 0
		.amdhsa_exception_fp_ieee_underflow 0
		.amdhsa_exception_fp_ieee_inexact 0
		.amdhsa_exception_int_div_zero 0
	.end_amdhsa_kernel
	.section	.text._ZL24rocblas_gemv_scal_kernelILi256EPKdPKPdEviT0_lT1_lili,"axG",@progbits,_ZL24rocblas_gemv_scal_kernelILi256EPKdPKPdEviT0_lT1_lili,comdat
.Lfunc_end246:
	.size	_ZL24rocblas_gemv_scal_kernelILi256EPKdPKPdEviT0_lT1_lili, .Lfunc_end246-_ZL24rocblas_gemv_scal_kernelILi256EPKdPKPdEviT0_lT1_lili
                                        ; -- End function
	.set _ZL24rocblas_gemv_scal_kernelILi256EPKdPKPdEviT0_lT1_lili.num_vgpr, 10
	.set _ZL24rocblas_gemv_scal_kernelILi256EPKdPKPdEviT0_lT1_lili.num_agpr, 0
	.set _ZL24rocblas_gemv_scal_kernelILi256EPKdPKPdEviT0_lT1_lili.numbered_sgpr, 22
	.set _ZL24rocblas_gemv_scal_kernelILi256EPKdPKPdEviT0_lT1_lili.num_named_barrier, 0
	.set _ZL24rocblas_gemv_scal_kernelILi256EPKdPKPdEviT0_lT1_lili.private_seg_size, 0
	.set _ZL24rocblas_gemv_scal_kernelILi256EPKdPKPdEviT0_lT1_lili.uses_vcc, 1
	.set _ZL24rocblas_gemv_scal_kernelILi256EPKdPKPdEviT0_lT1_lili.uses_flat_scratch, 0
	.set _ZL24rocblas_gemv_scal_kernelILi256EPKdPKPdEviT0_lT1_lili.has_dyn_sized_stack, 0
	.set _ZL24rocblas_gemv_scal_kernelILi256EPKdPKPdEviT0_lT1_lili.has_recursion, 0
	.set _ZL24rocblas_gemv_scal_kernelILi256EPKdPKPdEviT0_lT1_lili.has_indirect_call, 0
	.section	.AMDGPU.csdata,"",@progbits
; Kernel info:
; codeLenInByte = 380
; TotalNumSgprs: 24
; NumVgprs: 10
; ScratchSize: 0
; MemoryBound: 1
; FloatMode: 240
; IeeeMode: 1
; LDSByteSize: 0 bytes/workgroup (compile time only)
; SGPRBlocks: 0
; VGPRBlocks: 0
; NumSGPRsForWavesPerEU: 24
; NumVGPRsForWavesPerEU: 10
; NamedBarCnt: 0
; Occupancy: 16
; WaveLimiterHint : 1
; COMPUTE_PGM_RSRC2:SCRATCH_EN: 0
; COMPUTE_PGM_RSRC2:USER_SGPR: 2
; COMPUTE_PGM_RSRC2:TRAP_HANDLER: 0
; COMPUTE_PGM_RSRC2:TGID_X_EN: 1
; COMPUTE_PGM_RSRC2:TGID_Y_EN: 0
; COMPUTE_PGM_RSRC2:TGID_Z_EN: 1
; COMPUTE_PGM_RSRC2:TIDIG_COMP_CNT: 0
	.section	.text._ZL24rocblas_gemv_scal_kernelILi256EdPKPdEviT0_lT1_lili,"axG",@progbits,_ZL24rocblas_gemv_scal_kernelILi256EdPKPdEviT0_lT1_lili,comdat
	.globl	_ZL24rocblas_gemv_scal_kernelILi256EdPKPdEviT0_lT1_lili ; -- Begin function _ZL24rocblas_gemv_scal_kernelILi256EdPKPdEviT0_lT1_lili
	.p2align	8
	.type	_ZL24rocblas_gemv_scal_kernelILi256EdPKPdEviT0_lT1_lili,@function
_ZL24rocblas_gemv_scal_kernelILi256EdPKPdEviT0_lT1_lili: ; @_ZL24rocblas_gemv_scal_kernelILi256EdPKPdEviT0_lT1_lili
; %bb.0:
	s_load_b32 s12, s[0:1], 0x38
	s_bfe_u32 s2, ttmp6, 0x40014
	s_lshr_b32 s3, ttmp7, 16
	s_add_co_i32 s2, s2, 1
	s_bfe_u32 s4, ttmp6, 0x40008
	s_mul_i32 s2, s3, s2
	s_getreg_b32 s16, hwreg(HW_REG_IB_STS2, 6, 4)
	s_add_co_i32 s4, s4, s2
	s_cmp_eq_u32 s16, 0
	s_cselect_b32 s13, s3, s4
	s_wait_kmcnt 0x0
	s_cmp_ge_u32 s13, s12
	s_cbranch_scc1 .LBB247_10
; %bb.1:
	s_clause 0x3
	s_load_b32 s2, s[0:1], 0x0
	s_load_b32 s8, s[0:1], 0x28
	s_load_b64 s[10:11], s[0:1], 0x8
	s_load_b128 s[4:7], s[0:1], 0x18
	s_bfe_u32 s3, ttmp6, 0x4000c
	s_and_b32 s9, ttmp6, 15
	s_add_co_i32 s3, s3, 1
	v_mov_b32_e32 v3, 0
	s_mul_i32 s3, ttmp9, s3
	s_wait_xcnt 0x0
	s_add_nc_u64 s[0:1], s[0:1], 64
	s_add_co_i32 s17, s9, s3
	s_wait_kmcnt 0x0
	s_ashr_i32 s3, s2, 31
	s_ashr_i32 s9, s8, 31
	v_cmp_neq_f64_e64 s14, s[10:11], 1.0
	v_cmp_neq_f64_e64 s15, s[10:11], 0
	s_cmp_eq_u32 s16, 0
	s_cselect_b32 s16, ttmp9, s17
	s_lshl_b64 s[6:7], s[6:7], 3
	s_branch .LBB247_6
.LBB247_2:                              ;   in Loop: Header=BB247_6 Depth=1
	flat_load_b64 v[6:7], v[4:5]
	s_wait_loadcnt_dscnt 0x0
	v_mul_f64_e32 v[6:7], s[10:11], v[6:7]
.LBB247_3:                              ;   in Loop: Header=BB247_6 Depth=1
	flat_store_b64 v[4:5], v[6:7]
.LBB247_4:                              ;   in Loop: Header=BB247_6 Depth=1
	s_wait_xcnt 0x0
	s_or_b32 exec_lo, exec_lo, s17
.LBB247_5:                              ;   in Loop: Header=BB247_6 Depth=1
	s_add_co_i32 s13, s13, 0x10000
	s_delay_alu instid0(SALU_CYCLE_1)
	s_cmp_lt_u32 s13, s12
	s_cbranch_scc0 .LBB247_10
.LBB247_6:                              ; =>This Inner Loop Header: Depth=1
	s_and_not1_b32 vcc_lo, exec_lo, s14
	s_cbranch_vccnz .LBB247_5
; %bb.7:                                ;   in Loop: Header=BB247_6 Depth=1
	s_load_b32 s17, s[0:1], 0xc
	s_wait_kmcnt 0x0
	s_and_b32 s17, s17, 0xffff
	s_delay_alu instid0(SALU_CYCLE_1) | instskip(SKIP_1) | instid1(VALU_DEP_1)
	v_mad_u32 v2, s16, s17, v0
	s_mov_b32 s17, exec_lo
	v_cmpx_gt_i64_e64 s[2:3], v[2:3]
	s_cbranch_execz .LBB247_4
; %bb.8:                                ;   in Loop: Header=BB247_6 Depth=1
	v_mul_u64_e32 v[4:5], s[8:9], v[2:3]
	s_load_b64 s[18:19], s[4:5], s13 offset:0x0 scale_offset
	s_and_not1_b32 vcc_lo, exec_lo, s15
	s_wait_kmcnt 0x0
	s_add_nc_u64 s[18:19], s[18:19], s[6:7]
	s_delay_alu instid0(VALU_DEP_1) | instid1(SALU_CYCLE_1)
	v_lshl_add_u64 v[4:5], v[4:5], 3, s[18:19]
	s_cbranch_vccz .LBB247_2
; %bb.9:                                ;   in Loop: Header=BB247_6 Depth=1
	v_mov_b64_e32 v[6:7], 0
	s_branch .LBB247_3
.LBB247_10:
	s_endpgm
	.section	.rodata,"a",@progbits
	.p2align	6, 0x0
	.amdhsa_kernel _ZL24rocblas_gemv_scal_kernelILi256EdPKPdEviT0_lT1_lili
		.amdhsa_group_segment_fixed_size 0
		.amdhsa_private_segment_fixed_size 0
		.amdhsa_kernarg_size 320
		.amdhsa_user_sgpr_count 2
		.amdhsa_user_sgpr_dispatch_ptr 0
		.amdhsa_user_sgpr_queue_ptr 0
		.amdhsa_user_sgpr_kernarg_segment_ptr 1
		.amdhsa_user_sgpr_dispatch_id 0
		.amdhsa_user_sgpr_kernarg_preload_length 0
		.amdhsa_user_sgpr_kernarg_preload_offset 0
		.amdhsa_user_sgpr_private_segment_size 0
		.amdhsa_wavefront_size32 1
		.amdhsa_uses_dynamic_stack 0
		.amdhsa_enable_private_segment 0
		.amdhsa_system_sgpr_workgroup_id_x 1
		.amdhsa_system_sgpr_workgroup_id_y 0
		.amdhsa_system_sgpr_workgroup_id_z 1
		.amdhsa_system_sgpr_workgroup_info 0
		.amdhsa_system_vgpr_workitem_id 0
		.amdhsa_next_free_vgpr 8
		.amdhsa_next_free_sgpr 20
		.amdhsa_named_barrier_count 0
		.amdhsa_reserve_vcc 1
		.amdhsa_float_round_mode_32 0
		.amdhsa_float_round_mode_16_64 0
		.amdhsa_float_denorm_mode_32 3
		.amdhsa_float_denorm_mode_16_64 3
		.amdhsa_fp16_overflow 0
		.amdhsa_memory_ordered 1
		.amdhsa_forward_progress 1
		.amdhsa_inst_pref_size 3
		.amdhsa_round_robin_scheduling 0
		.amdhsa_exception_fp_ieee_invalid_op 0
		.amdhsa_exception_fp_denorm_src 0
		.amdhsa_exception_fp_ieee_div_zero 0
		.amdhsa_exception_fp_ieee_overflow 0
		.amdhsa_exception_fp_ieee_underflow 0
		.amdhsa_exception_fp_ieee_inexact 0
		.amdhsa_exception_int_div_zero 0
	.end_amdhsa_kernel
	.section	.text._ZL24rocblas_gemv_scal_kernelILi256EdPKPdEviT0_lT1_lili,"axG",@progbits,_ZL24rocblas_gemv_scal_kernelILi256EdPKPdEviT0_lT1_lili,comdat
.Lfunc_end247:
	.size	_ZL24rocblas_gemv_scal_kernelILi256EdPKPdEviT0_lT1_lili, .Lfunc_end247-_ZL24rocblas_gemv_scal_kernelILi256EdPKPdEviT0_lT1_lili
                                        ; -- End function
	.set _ZL24rocblas_gemv_scal_kernelILi256EdPKPdEviT0_lT1_lili.num_vgpr, 8
	.set _ZL24rocblas_gemv_scal_kernelILi256EdPKPdEviT0_lT1_lili.num_agpr, 0
	.set _ZL24rocblas_gemv_scal_kernelILi256EdPKPdEviT0_lT1_lili.numbered_sgpr, 20
	.set _ZL24rocblas_gemv_scal_kernelILi256EdPKPdEviT0_lT1_lili.num_named_barrier, 0
	.set _ZL24rocblas_gemv_scal_kernelILi256EdPKPdEviT0_lT1_lili.private_seg_size, 0
	.set _ZL24rocblas_gemv_scal_kernelILi256EdPKPdEviT0_lT1_lili.uses_vcc, 1
	.set _ZL24rocblas_gemv_scal_kernelILi256EdPKPdEviT0_lT1_lili.uses_flat_scratch, 0
	.set _ZL24rocblas_gemv_scal_kernelILi256EdPKPdEviT0_lT1_lili.has_dyn_sized_stack, 0
	.set _ZL24rocblas_gemv_scal_kernelILi256EdPKPdEviT0_lT1_lili.has_recursion, 0
	.set _ZL24rocblas_gemv_scal_kernelILi256EdPKPdEviT0_lT1_lili.has_indirect_call, 0
	.section	.AMDGPU.csdata,"",@progbits
; Kernel info:
; codeLenInByte = 348
; TotalNumSgprs: 22
; NumVgprs: 8
; ScratchSize: 0
; MemoryBound: 1
; FloatMode: 240
; IeeeMode: 1
; LDSByteSize: 0 bytes/workgroup (compile time only)
; SGPRBlocks: 0
; VGPRBlocks: 0
; NumSGPRsForWavesPerEU: 22
; NumVGPRsForWavesPerEU: 8
; NamedBarCnt: 0
; Occupancy: 16
; WaveLimiterHint : 1
; COMPUTE_PGM_RSRC2:SCRATCH_EN: 0
; COMPUTE_PGM_RSRC2:USER_SGPR: 2
; COMPUTE_PGM_RSRC2:TRAP_HANDLER: 0
; COMPUTE_PGM_RSRC2:TGID_X_EN: 1
; COMPUTE_PGM_RSRC2:TGID_Y_EN: 0
; COMPUTE_PGM_RSRC2:TGID_Z_EN: 1
; COMPUTE_PGM_RSRC2:TIDIG_COMP_CNT: 0
	.section	.text._ZL36rocblas_gemvn_double_buffered_kernelILi128ELi4ELi16EPKdS1_KPdEviiT3_lPKT2_lilS7_lilPT4_lili,"axG",@progbits,_ZL36rocblas_gemvn_double_buffered_kernelILi128ELi4ELi16EPKdS1_KPdEviiT3_lPKT2_lilS7_lilPT4_lili,comdat
	.globl	_ZL36rocblas_gemvn_double_buffered_kernelILi128ELi4ELi16EPKdS1_KPdEviiT3_lPKT2_lilS7_lilPT4_lili ; -- Begin function _ZL36rocblas_gemvn_double_buffered_kernelILi128ELi4ELi16EPKdS1_KPdEviiT3_lPKT2_lilS7_lilPT4_lili
	.p2align	8
	.type	_ZL36rocblas_gemvn_double_buffered_kernelILi128ELi4ELi16EPKdS1_KPdEviiT3_lPKT2_lilS7_lilPT4_lili,@function
_ZL36rocblas_gemvn_double_buffered_kernelILi128ELi4ELi16EPKdS1_KPdEviiT3_lPKT2_lilS7_lilPT4_lili: ; @_ZL36rocblas_gemvn_double_buffered_kernelILi128ELi4ELi16EPKdS1_KPdEviiT3_lPKT2_lilS7_lilPT4_lili
; %bb.0:
	s_load_b32 s33, s[0:1], 0x78
	s_bfe_u32 s2, ttmp6, 0x40014
	s_lshr_b32 s3, ttmp7, 16
	s_add_co_i32 s2, s2, 1
	s_bfe_u32 s5, ttmp6, 0x40008
	s_mul_i32 s2, s3, s2
	s_getreg_b32 s4, hwreg(HW_REG_IB_STS2, 6, 4)
	s_add_co_i32 s5, s5, s2
	s_cmp_eq_u32 s4, 0
	s_cselect_b32 s2, s3, s5
	s_mov_b32 s3, 0
	s_wait_kmcnt 0x0
	s_cmp_ge_u32 s2, s33
	s_cbranch_scc1 .LBB248_15
; %bb.1:
	s_clause 0x4
	s_load_b32 s5, s[0:1], 0x4
	s_load_b32 s20, s[0:1], 0x28
	;; [unrolled: 1-line block ×4, first 2 shown]
	s_load_b128 s[12:15], s[0:1], 0x38
	s_bfe_u32 s7, ttmp6, 0x4000c
	s_and_b32 s6, ttmp6, 15
	s_add_co_i32 s7, s7, 1
	s_bfe_u32 s9, ttmp6, 0x40010
	s_mul_i32 s7, ttmp9, s7
	s_and_b32 s8, ttmp7, 0xffff
	s_add_co_i32 s25, s6, s7
	s_add_co_i32 s9, s9, 1
	s_bfe_u32 s10, ttmp6, 0x40004
	s_mul_i32 s9, s8, s9
	v_and_b32_e32 v4, 0x3ff, v0
	s_add_co_i32 s10, s10, s9
	v_bfe_u32 v1, v0, 10, 10
	v_and_b32_e32 v64, 63, v0
	s_load_b128 s[16:19], s[0:1], 0x58
	s_wait_kmcnt 0x0
	s_ashr_i32 s6, s5, 31
	s_ashr_i32 s21, s20, 31
	s_lshr_b32 s6, s6, 25
	s_ashr_i32 s23, s22, 31
	s_add_co_i32 s5, s5, s6
	s_ashr_i32 s29, s28, 31
	s_ashr_i32 s24, s5, 7
	s_cmp_eq_u32 s4, 0
	v_lshl_add_u32 v6, v1, 7, v4
	s_cselect_b32 s48, s8, s10
	v_mov_b32_e32 v65, 0
	v_cvt_f64_i32_e32 v[2:3], s48
	s_load_b256 s[4:11], s[0:1], 0x8
	v_lshrrev_b32_e32 v6, 6, v6
	s_cselect_b32 s25, ttmp9, s25
	v_dual_mov_b32 v5, v65 :: v_dual_mov_b32 v73, v65
	s_delay_alu instid0(VALU_DEP_2) | instskip(SKIP_1) | instid1(VALU_DEP_3)
	v_dual_lshlrev_b32 v189, 3, v4 :: v_dual_lshlrev_b32 v0, 4, v6
	v_lshlrev_b32_e32 v72, 7, v6
	v_mul_u64_e32 v[66:67], s[28:29], v[4:5]
	s_lshl_b32 s30, s25, 7
	s_lshl_b32 s40, s22, 7
	v_mad_nc_i64_i32 v[70:71], s20, v0, v[64:65]
	s_ashr_i32 s31, s30, 31
	v_add_nc_u64_e32 v[74:75], 0x478, v[72:73]
	v_add_nc_u64_e32 v[76:77], 0x408, v[72:73]
	;; [unrolled: 1-line block ×3, first 2 shown]
	s_mul_u64 s[44:45], s[28:29], s[30:31]
	s_lshl_b64 s[30:31], s[30:31], 3
	s_add_nc_u64 s[26:27], s[0:1], 0x80
	s_wait_xcnt 0x0
	v_cmp_eq_u32_e64 s0, 0, v1
	s_wait_kmcnt 0x0
	s_lshl_b64 s[10:11], s[10:11], 3
	s_ashr_i32 s41, s40, 31
	s_add_nc_u64 s[36:37], s[10:11], s[30:31]
	s_lshl_b64 s[28:29], s[20:21], 10
	s_mov_b32 s25, s3
	s_lshl_b64 s[34:35], s[20:21], 3
	s_add_nc_u64 s[38:39], s[36:37], 0x200
	s_lshl_b64 s[14:15], s[14:15], 3
	s_lshl_b64 s[40:41], s[40:41], 3
	;; [unrolled: 1-line block ×4, first 2 shown]
	v_dual_max_num_f64 v[68:69], v[2:3], v[2:3] :: v_dual_lshlrev_b32 v64, 3, v64
	s_lshl_b64 s[44:45], s[44:45], 3
	s_delay_alu instid0(VALU_DEP_1)
	v_lshl_or_b32 v188, v6, 10, v64
	s_branch .LBB248_4
.LBB248_2:                              ;   in Loop: Header=BB248_4 Depth=1
	s_wait_xcnt 0x0
	s_or_b32 exec_lo, exec_lo, s1
.LBB248_3:                              ;   in Loop: Header=BB248_4 Depth=1
	s_add_co_i32 s2, s2, 0x10000
	s_delay_alu instid0(SALU_CYCLE_1)
	s_cmp_lt_u32 s2, s33
	s_cbranch_scc0 .LBB248_15
.LBB248_4:                              ; =>This Loop Header: Depth=1
                                        ;     Child Loop BB248_8 Depth 2
	s_wait_xcnt 0x0
	s_mul_u64 s[46:47], s[6:7], s[2:3]
	s_delay_alu instid0(SALU_CYCLE_1) | instskip(NEXT) | instid1(SALU_CYCLE_1)
	s_lshl_b64 s[46:47], s[46:47], 3
	s_add_nc_u64 s[46:47], s[4:5], s[46:47]
	global_load_b64 v[80:81], v65, s[46:47]
	s_wait_loadcnt 0x0
	v_cmp_eq_f64_e32 vcc_lo, 0, v[80:81]
	s_cbranch_vccnz .LBB248_3
; %bb.5:                                ;   in Loop: Header=BB248_4 Depth=1
	s_load_b32 s1, s[26:27], 0x4
	s_wait_kmcnt 0x0
	s_cvt_f32_u32 s46, s1
	s_sub_co_i32 s47, 0, s1
	s_delay_alu instid0(SALU_CYCLE_2) | instskip(SKIP_1) | instid1(TRANS32_DEP_1)
	v_rcp_iflag_f32_e32 v0, s46
	v_nop
	v_readfirstlane_b32 s46, v0
	s_mul_f32 s46, s46, 0x4f7ffffe
	s_delay_alu instid0(SALU_CYCLE_3) | instskip(NEXT) | instid1(SALU_CYCLE_3)
	s_cvt_u32_f32 s46, s46
	s_mul_i32 s47, s47, s46
	s_delay_alu instid0(SALU_CYCLE_1) | instskip(NEXT) | instid1(SALU_CYCLE_1)
	s_mul_hi_u32 s47, s46, s47
	s_add_co_i32 s46, s46, s47
	s_mov_b32 s47, s3
	s_delay_alu instid0(SALU_CYCLE_1) | instskip(NEXT) | instid1(SALU_CYCLE_1)
	s_mul_u64 s[46:47], s[24:25], s[46:47]
	s_mul_i32 s46, s47, s1
	s_add_co_i32 s49, s47, 1
	s_sub_co_i32 s46, s24, s46
	s_delay_alu instid0(SALU_CYCLE_1)
	s_sub_co_i32 s50, s46, s1
	s_cmp_ge_u32 s46, s1
	s_cselect_b32 s47, s49, s47
	s_cselect_b32 s46, s50, s46
	s_add_co_i32 s49, s47, 1
	s_cmp_ge_u32 s46, s1
	s_cselect_b32 s49, s49, s47
	s_delay_alu instid0(SALU_CYCLE_1) | instskip(NEXT) | instid1(SALU_CYCLE_1)
	s_mul_i32 s1, s49, s1
	s_sub_co_i32 s50, s24, s1
	s_delay_alu instid0(SALU_CYCLE_1) | instskip(SKIP_1) | instid1(SALU_CYCLE_1)
	s_cmp_lt_u32 s48, s50
	s_cselect_b32 s1, -1, 0
	s_cmp_lg_u32 s1, 0
	s_add_co_ci_u32 s1, s49, 0
	s_delay_alu instid0(SALU_CYCLE_1)
	s_cmp_eq_u32 s1, 0
	s_cbranch_scc1 .LBB248_3
; %bb.6:                                ;   in Loop: Header=BB248_4 Depth=1
	s_lshl_b64 s[46:47], s[2:3], 3
	s_cmp_lt_i32 s1, 1
	s_add_nc_u64 s[52:53], s[16:17], s[46:47]
	global_load_b64 v[82:83], v65, s[52:53]
	s_cbranch_scc1 .LBB248_12
; %bb.7:                                ;   in Loop: Header=BB248_4 Depth=1
	s_wait_xcnt 0x0
	s_add_nc_u64 s[52:53], s[8:9], s[46:47]
	v_cvt_f64_u32_e32 v[0:1], s50
	global_load_b64 v[32:33], v65, s[52:53]
	s_mul_i32 s49, s49, s48
	s_add_nc_u64 s[46:47], s[12:13], s[46:47]
	v_cvt_f64_u32_e32 v[2:3], s49
	global_load_b64 v[34:35], v65, s[46:47]
	v_add_nc_u64_e32 v[52:53], 0x450, v[72:73]
	v_add_nc_u64_e32 v[54:55], 0x458, v[72:73]
	v_add_nc_u64_e32 v[56:57], 0x460, v[72:73]
	v_mov_b64_e32 v[120:121], 0
	v_mov_b64_e32 v[122:123], 0
	v_min_num_f64_e32 v[0:1], v[68:69], v[0:1]
	s_delay_alu instid0(VALU_DEP_1) | instskip(NEXT) | instid1(VALU_DEP_1)
	v_add_f64_e32 v[0:1], v[0:1], v[2:3]
	v_cvt_i32_f64_e32 v2, v[0:1]
	s_wait_xcnt 0x0
	s_delay_alu instid0(VALU_DEP_1) | instskip(SKIP_1) | instid1(SALU_CYCLE_1)
	v_readfirstlane_b32 s46, v2
	s_lshl_b32 s46, s46, 7
	s_ashr_i32 s47, s46, 31
	s_delay_alu instid0(SALU_CYCLE_1)
	s_mul_u64 s[50:51], s[46:47], s[20:21]
	s_lshl_b64 s[46:47], s[46:47], 3
	s_lshl_b64 s[50:51], s[50:51], 3
	s_wait_loadcnt 0x1
	v_add_nc_u64_e32 v[0:1], s[10:11], v[32:33]
	s_wait_loadcnt 0x0
	v_add_nc_u64_e32 v[34:35], s[14:15], v[34:35]
	s_delay_alu instid0(VALU_DEP_2) | instskip(NEXT) | instid1(VALU_DEP_1)
	v_add_nc_u64_e32 v[0:1], s[30:31], v[0:1]
	v_add_nc_u64_e32 v[0:1], s[50:51], v[0:1]
	s_delay_alu instid0(VALU_DEP_1) | instskip(NEXT) | instid1(VALU_DEP_1)
	v_lshl_add_u64 v[18:19], v[70:71], 3, v[0:1]
	v_lshl_add_u64 v[20:21], s[20:21], 3, v[18:19]
	s_delay_alu instid0(VALU_DEP_1) | instskip(NEXT) | instid1(VALU_DEP_1)
	v_add_nc_u64_e32 v[22:23], s[34:35], v[20:21]
	v_add_nc_u64_e32 v[24:25], s[34:35], v[22:23]
	s_delay_alu instid0(VALU_DEP_1) | instskip(NEXT) | instid1(VALU_DEP_1)
	v_add_nc_u64_e32 v[26:27], s[34:35], v[24:25]
	v_add_nc_u64_e32 v[28:29], s[34:35], v[26:27]
	;; [unrolled: 3-line block ×3, first 2 shown]
	s_delay_alu instid0(VALU_DEP_1)
	v_add_nc_u64_e32 v[38:39], s[34:35], v[36:37]
	s_clause 0x6
	flat_load_b64 v[0:1], v[18:19]
	flat_load_b64 v[2:3], v[20:21]
	;; [unrolled: 1-line block ×9, first 2 shown]
	v_add_nc_u64_e32 v[40:41], s[34:35], v[38:39]
	s_wait_xcnt 0x0
	v_add_nc_u64_e32 v[38:39], 0x418, v[72:73]
	s_delay_alu instid0(VALU_DEP_2) | instskip(NEXT) | instid1(VALU_DEP_2)
	v_add_nc_u64_e32 v[42:43], s[34:35], v[40:41]
	v_add_nc_u64_e32 v[38:39], s[46:47], v[38:39]
	s_delay_alu instid0(VALU_DEP_2) | instskip(NEXT) | instid1(VALU_DEP_1)
	v_add_nc_u64_e32 v[44:45], s[34:35], v[42:43]
	v_add_nc_u64_e32 v[46:47], s[34:35], v[44:45]
	s_delay_alu instid0(VALU_DEP_1) | instskip(NEXT) | instid1(VALU_DEP_1)
	v_add_nc_u64_e32 v[48:49], s[34:35], v[46:47]
	v_add_nc_u64_e32 v[50:51], s[34:35], v[48:49]
	s_delay_alu instid0(VALU_DEP_1)
	v_add_nc_u64_e32 v[36:37], s[34:35], v[50:51]
	flat_load_b64 v[18:19], v[40:41]
	flat_load_b64 v[20:21], v[42:43]
	;; [unrolled: 1-line block ×7, first 2 shown]
	s_wait_xcnt 0x0
	v_add_nc_u64_e32 v[36:37], 0x410, v[72:73]
	v_add_nc_u64_e32 v[46:47], 0x430, v[72:73]
	;; [unrolled: 1-line block ×12, first 2 shown]
	v_mad_nc_u64_u32 v[86:87], s20, v38, v[44:45]
	v_add_nc_u64_e32 v[50:51], s[46:47], v[50:51]
	v_mad_nc_u64_u32 v[84:85], s20, v36, v[44:45]
	v_mad_nc_u64_u32 v[92:93], s20, v46, v[44:45]
	;; [unrolled: 1-line block ×5, first 2 shown]
	v_add_nc_u64_e32 v[32:33], s[38:39], v[32:33]
	v_mad_nc_u64_u32 v[96:97], s20, v50, v[44:45]
	v_mad_u32 v38, s21, v38, v87
	v_mad_u32 v36, s21, v36, v85
	;; [unrolled: 1-line block ×8, first 2 shown]
	v_add_nc_u64_e32 v[38:39], s[46:47], v[52:53]
	v_mad_u32 v85, s20, v37, v36
	v_add_nc_u64_e32 v[36:37], 0x448, v[72:73]
	v_mad_u32 v93, s20, v47, v46
	v_mad_u32 v95, s20, v49, v48
	v_add_nc_u64_e32 v[46:47], 0x468, v[72:73]
	v_add_nc_u64_e32 v[48:49], 0x470, v[72:73]
	v_mad_u32 v89, s20, v41, v40
	v_mad_u32 v91, s20, v43, v42
	v_add_nc_u64_e32 v[36:37], s[46:47], v[36:37]
	v_add_nc_u64_e32 v[40:41], s[46:47], v[54:55]
	;; [unrolled: 1-line block ×3, first 2 shown]
	v_mad_u32 v97, s20, v51, v50
	v_add_nc_u64_e32 v[46:47], s[46:47], v[46:47]
	v_add_nc_u64_e32 v[48:49], s[46:47], v[48:49]
	;; [unrolled: 1-line block ×6, first 2 shown]
	v_mad_nc_u64_u32 v[98:99], s20, v36, v[44:45]
	v_mad_nc_u64_u32 v[100:101], s20, v38, v[44:45]
	;; [unrolled: 1-line block ×11, first 2 shown]
	v_mad_u32 v32, s21, v36, v99
	v_mad_u32 v33, s21, v38, v101
	;; [unrolled: 1-line block ×22, first 2 shown]
	s_add_co_i32 s46, s1, -1
	s_mov_b32 s47, 0
	s_wait_loadcnt_dscnt 0x0
	v_mov_b64_e32 v[62:63], v[30:31]
	v_mov_b64_e32 v[60:61], v[28:29]
	;; [unrolled: 1-line block ×16, first 2 shown]
.LBB248_8:                              ;   Parent Loop BB248_4 Depth=1
                                        ; =>  This Inner Loop Header: Depth=2
	v_add_nc_u64_e32 v[124:125], v[116:117], v[64:65]
	v_add_nc_u64_e32 v[134:135], s[42:43], v[118:119]
	s_cmp_eq_u32 s46, s47
	s_delay_alu instid0(VALU_DEP_2) | instskip(NEXT) | instid1(VALU_DEP_2)
	v_add_nc_u64_e32 v[126:127], s[34:35], v[124:125]
	v_add_nc_u64_e32 v[136:137], s[42:43], v[134:135]
	s_delay_alu instid0(VALU_DEP_2) | instskip(NEXT) | instid1(VALU_DEP_2)
	v_add_nc_u64_e32 v[138:139], s[34:35], v[126:127]
	v_add_nc_u64_e32 v[142:143], s[42:43], v[136:137]
	s_delay_alu instid0(VALU_DEP_2) | instskip(NEXT) | instid1(VALU_DEP_2)
	v_add_nc_u64_e32 v[140:141], s[34:35], v[138:139]
	v_add_nc_u64_e32 v[144:145], s[42:43], v[142:143]
	flat_load_b64 v[130:131], v[118:119]
	s_clause 0x3
	flat_load_b64 v[132:133], v[124:125]
	flat_load_b64 v[128:129], v[126:127]
	;; [unrolled: 1-line block ×4, first 2 shown]
	v_add_nc_u64_e32 v[146:147], s[34:35], v[140:141]
	v_add_nc_u64_e32 v[150:151], s[42:43], v[144:145]
	s_delay_alu instid0(VALU_DEP_2) | instskip(NEXT) | instid1(VALU_DEP_2)
	v_add_nc_u64_e32 v[152:153], s[34:35], v[146:147]
	v_add_nc_u64_e32 v[154:155], s[42:43], v[150:151]
	s_delay_alu instid0(VALU_DEP_2) | instskip(NEXT) | instid1(VALU_DEP_2)
	;; [unrolled: 3-line block ×3, first 2 shown]
	v_add_nc_u64_e32 v[160:161], s[34:35], v[156:157]
	v_add_nc_u64_e32 v[162:163], s[42:43], v[158:159]
	s_clause 0x3
	flat_load_b64 v[148:149], v[134:135]
	flat_load_b64 v[140:141], v[136:137]
	;; [unrolled: 1-line block ×4, first 2 shown]
	s_clause 0x3
	flat_load_b64 v[136:137], v[146:147]
	flat_load_b64 v[144:145], v[152:153]
	flat_load_b64 v[142:143], v[156:157]
	flat_load_b64 v[146:147], v[160:161]
	v_add_nc_u64_e32 v[164:165], s[34:35], v[160:161]
	v_add_nc_u64_e32 v[166:167], s[42:43], v[162:163]
	s_delay_alu instid0(VALU_DEP_2) | instskip(NEXT) | instid1(VALU_DEP_2)
	v_add_nc_u64_e32 v[168:169], s[34:35], v[164:165]
	v_add_nc_u64_e32 v[170:171], s[42:43], v[166:167]
	s_clause 0x3
	flat_load_b64 v[174:175], v[150:151]
	flat_load_b64 v[160:161], v[154:155]
	;; [unrolled: 1-line block ×4, first 2 shown]
	s_clause 0x1
	flat_load_b64 v[152:153], v[164:165]
	flat_load_b64 v[156:157], v[168:169]
	v_add_nc_u64_e32 v[172:173], s[34:35], v[168:169]
	v_add_nc_u64_e32 v[178:179], s[42:43], v[170:171]
	s_delay_alu instid0(VALU_DEP_2) | instskip(NEXT) | instid1(VALU_DEP_2)
	v_add_nc_u64_e32 v[182:183], s[34:35], v[172:173]
	v_add_nc_u64_e32 v[184:185], s[42:43], v[178:179]
	s_clause 0x1
	flat_load_b64 v[186:187], v[166:167]
	flat_load_b64 v[176:177], v[170:171]
	;; [unrolled: 1-line block ×6, first 2 shown]
	v_add_nc_u64_e32 v[190:191], s[34:35], v[182:183]
	v_add_nc_u64_e32 v[192:193], s[42:43], v[184:185]
	s_delay_alu instid0(VALU_DEP_2) | instskip(NEXT) | instid1(VALU_DEP_2)
	v_add_nc_u64_e32 v[194:195], s[34:35], v[190:191]
	v_add_nc_u64_e32 v[158:159], s[42:43], v[192:193]
	s_delay_alu instid0(VALU_DEP_2) | instskip(NEXT) | instid1(VALU_DEP_2)
	v_add_nc_u64_e32 v[168:169], s[34:35], v[194:195]
	v_add_nc_u64_e32 v[198:199], s[42:43], v[158:159]
	s_delay_alu instid0(VALU_DEP_2)
	v_add_nc_u64_e32 v[196:197], s[34:35], v[168:169]
	flat_load_b64 v[184:185], v[190:191]
	flat_load_b64 v[178:179], v[192:193]
	flat_load_b64 v[182:183], v[194:195]
	flat_load_b64 v[166:167], v[158:159]
	flat_load_b64 v[172:173], v[168:169]
	flat_load_b64 v[158:159], v[196:197]
	flat_load_b64 v[168:169], v[198:199]
	s_cbranch_scc1 .LBB248_10
; %bb.9:                                ;   in Loop: Header=BB248_8 Depth=2
	v_add_nc_u64_e32 v[32:33], v[114:115], v[64:65]
	v_add_nc_u64_e32 v[36:37], v[84:85], v[64:65]
	;; [unrolled: 1-line block ×16, first 2 shown]
	flat_load_b64 v[32:33], v[32:33]
	flat_load_b64 v[34:35], v[34:35]
	;; [unrolled: 1-line block ×16, first 2 shown]
.LBB248_10:                             ;   in Loop: Header=BB248_8 Depth=2
	s_wait_loadcnt_dscnt 0x1f1f
	v_fmac_f64_e32 v[122:123], v[0:1], v[130:131]
	s_wait_loadcnt_dscnt 0x1e1e
	v_fmac_f64_e32 v[120:121], v[132:133], v[130:131]
	v_add_nc_u64_e32 v[84:85], s[28:29], v[84:85]
	v_add_nc_u64_e32 v[86:87], s[28:29], v[86:87]
	;; [unrolled: 1-line block ×18, first 2 shown]
	s_add_co_i32 s47, s47, 1
	s_delay_alu instid0(SALU_CYCLE_1) | instskip(SKIP_4) | instid1(VALU_DEP_2)
	s_cmp_lt_i32 s47, s1
	s_wait_loadcnt_dscnt 0x1a1a
	v_fmac_f64_e32 v[122:123], v[2:3], v[148:149]
	v_fmac_f64_e32 v[120:121], v[128:129], v[148:149]
	s_wait_loadcnt_dscnt 0x1919
	v_fmac_f64_e32 v[122:123], v[4:5], v[140:141]
	s_delay_alu instid0(VALU_DEP_2) | instskip(SKIP_1) | instid1(VALU_DEP_2)
	v_fmac_f64_e32 v[120:121], v[126:127], v[140:141]
	s_wait_loadcnt_dscnt 0x1818
	v_fmac_f64_e32 v[122:123], v[6:7], v[138:139]
	s_delay_alu instid0(VALU_DEP_2) | instskip(SKIP_1) | instid1(VALU_DEP_2)
	v_fmac_f64_e32 v[120:121], v[124:125], v[138:139]
	s_wait_loadcnt_dscnt 0x1717
	v_fmac_f64_e32 v[122:123], v[8:9], v[134:135]
	s_wait_loadcnt_dscnt 0x1616
	s_delay_alu instid0(VALU_DEP_2) | instskip(SKIP_1) | instid1(VALU_DEP_2)
	v_fmac_f64_e32 v[120:121], v[136:137], v[134:135]
	s_wait_loadcnt_dscnt 0x1212
	v_fmac_f64_e32 v[122:123], v[10:11], v[174:175]
	s_delay_alu instid0(VALU_DEP_2) | instskip(SKIP_1) | instid1(VALU_DEP_2)
	v_fmac_f64_e32 v[120:121], v[144:145], v[174:175]
	s_wait_loadcnt_dscnt 0x1111
	v_fmac_f64_e32 v[122:123], v[12:13], v[160:161]
	;; [unrolled: 4-line block ×4, first 2 shown]
	s_wait_loadcnt_dscnt 0xe0e
	s_delay_alu instid0(VALU_DEP_2) | instskip(SKIP_1) | instid1(VALU_DEP_2)
	v_fmac_f64_e32 v[120:121], v[152:153], v[150:151]
	s_wait_loadcnt_dscnt 0xc0c
	v_fmac_f64_e32 v[122:123], v[18:19], v[186:187]
	s_delay_alu instid0(VALU_DEP_2) | instskip(SKIP_1) | instid1(VALU_DEP_2)
	v_fmac_f64_e32 v[120:121], v[156:157], v[186:187]
	s_wait_loadcnt_dscnt 0xb0b
	v_fmac_f64_e32 v[122:123], v[20:21], v[176:177]
	s_wait_loadcnt_dscnt 0xa0a
	s_delay_alu instid0(VALU_DEP_2) | instskip(SKIP_1) | instid1(VALU_DEP_2)
	v_fmac_f64_e32 v[120:121], v[180:181], v[176:177]
	s_wait_loadcnt_dscnt 0x909
	v_fmac_f64_e32 v[122:123], v[22:23], v[164:165]
	s_wait_loadcnt_dscnt 0x808
	;; [unrolled: 5-line block ×5, first 2 shown]
	s_delay_alu instid0(VALU_DEP_2) | instskip(SKIP_1) | instid1(VALU_DEP_2)
	v_fmac_f64_e32 v[120:121], v[172:173], v[166:167]
	s_wait_loadcnt_dscnt 0x0
	v_fmac_f64_e32 v[122:123], v[30:31], v[168:169]
	s_delay_alu instid0(VALU_DEP_2)
	v_fmac_f64_e32 v[120:121], v[158:159], v[168:169]
	s_cbranch_scc0 .LBB248_13
; %bb.11:                               ;   in Loop: Header=BB248_8 Depth=2
	v_mov_b64_e32 v[0:1], v[32:33]
	v_mov_b64_e32 v[2:3], v[34:35]
	;; [unrolled: 1-line block ×16, first 2 shown]
	s_branch .LBB248_8
.LBB248_12:                             ;   in Loop: Header=BB248_4 Depth=1
	v_mov_b64_e32 v[120:121], 0
	v_mov_b64_e32 v[122:123], 0
.LBB248_13:                             ;   in Loop: Header=BB248_4 Depth=1
	ds_store_2addr_stride64_b64 v188, v[122:123], v[120:121] offset1:1
	s_wait_loadcnt_dscnt 0x0
	s_barrier_signal -1
	s_barrier_wait -1
	s_wait_xcnt 0x0
	s_and_saveexec_b32 s1, s0
	s_cbranch_execz .LBB248_2
; %bb.14:                               ;   in Loop: Header=BB248_4 Depth=1
	ds_load_2addr_stride64_b64 v[0:3], v189 offset1:2
	s_wait_dscnt 0x0
	v_add_f64_e32 v[0:1], 0, v[0:1]
	s_delay_alu instid0(VALU_DEP_1) | instskip(SKIP_3) | instid1(VALU_DEP_1)
	v_add_f64_e32 v[4:5], v[0:1], v[2:3]
	ds_load_2addr_stride64_b64 v[0:3], v189 offset0:4 offset1:6
	s_wait_dscnt 0x0
	v_add_f64_e32 v[0:1], v[4:5], v[0:1]
	v_add_f64_e32 v[4:5], v[0:1], v[2:3]
	ds_load_2addr_stride64_b64 v[0:3], v189 offset0:8 offset1:10
	s_wait_dscnt 0x0
	v_add_f64_e32 v[0:1], v[4:5], v[0:1]
	s_delay_alu instid0(VALU_DEP_1) | instskip(SKIP_3) | instid1(VALU_DEP_1)
	v_add_f64_e32 v[4:5], v[0:1], v[2:3]
	ds_load_2addr_stride64_b64 v[0:3], v189 offset0:12 offset1:14
	s_wait_dscnt 0x0
	v_add_f64_e32 v[0:1], v[4:5], v[0:1]
	v_add_f64_e32 v[0:1], v[0:1], v[2:3]
	v_add_nc_u64_e32 v[2:3], s[18:19], v[82:83]
	s_delay_alu instid0(VALU_DEP_1) | instskip(NEXT) | instid1(VALU_DEP_1)
	v_add_nc_u64_e32 v[2:3], s[44:45], v[2:3]
	v_lshl_add_u64 v[2:3], v[66:67], 3, v[2:3]
	s_delay_alu instid0(VALU_DEP_4)
	v_mul_f64_e32 v[0:1], v[80:81], v[0:1]
	flat_atomic_add_f64 v[2:3], v[0:1] scope:SCOPE_DEV
	s_branch .LBB248_2
.LBB248_15:
	s_sendmsg sendmsg(MSG_DEALLOC_VGPRS)
	s_endpgm
	.section	.rodata,"a",@progbits
	.p2align	6, 0x0
	.amdhsa_kernel _ZL36rocblas_gemvn_double_buffered_kernelILi128ELi4ELi16EPKdS1_KPdEviiT3_lPKT2_lilS7_lilPT4_lili
		.amdhsa_group_segment_fixed_size 8192
		.amdhsa_private_segment_fixed_size 0
		.amdhsa_kernarg_size 384
		.amdhsa_user_sgpr_count 2
		.amdhsa_user_sgpr_dispatch_ptr 0
		.amdhsa_user_sgpr_queue_ptr 0
		.amdhsa_user_sgpr_kernarg_segment_ptr 1
		.amdhsa_user_sgpr_dispatch_id 0
		.amdhsa_user_sgpr_kernarg_preload_length 0
		.amdhsa_user_sgpr_kernarg_preload_offset 0
		.amdhsa_user_sgpr_private_segment_size 0
		.amdhsa_wavefront_size32 1
		.amdhsa_uses_dynamic_stack 0
		.amdhsa_enable_private_segment 0
		.amdhsa_system_sgpr_workgroup_id_x 1
		.amdhsa_system_sgpr_workgroup_id_y 1
		.amdhsa_system_sgpr_workgroup_id_z 1
		.amdhsa_system_sgpr_workgroup_info 0
		.amdhsa_system_vgpr_workitem_id 1
		.amdhsa_next_free_vgpr 200
		.amdhsa_next_free_sgpr 54
		.amdhsa_named_barrier_count 0
		.amdhsa_reserve_vcc 1
		.amdhsa_float_round_mode_32 0
		.amdhsa_float_round_mode_16_64 0
		.amdhsa_float_denorm_mode_32 3
		.amdhsa_float_denorm_mode_16_64 3
		.amdhsa_fp16_overflow 0
		.amdhsa_memory_ordered 1
		.amdhsa_forward_progress 1
		.amdhsa_inst_pref_size 26
		.amdhsa_round_robin_scheduling 0
		.amdhsa_exception_fp_ieee_invalid_op 0
		.amdhsa_exception_fp_denorm_src 0
		.amdhsa_exception_fp_ieee_div_zero 0
		.amdhsa_exception_fp_ieee_overflow 0
		.amdhsa_exception_fp_ieee_underflow 0
		.amdhsa_exception_fp_ieee_inexact 0
		.amdhsa_exception_int_div_zero 0
	.end_amdhsa_kernel
	.section	.text._ZL36rocblas_gemvn_double_buffered_kernelILi128ELi4ELi16EPKdS1_KPdEviiT3_lPKT2_lilS7_lilPT4_lili,"axG",@progbits,_ZL36rocblas_gemvn_double_buffered_kernelILi128ELi4ELi16EPKdS1_KPdEviiT3_lPKT2_lilS7_lilPT4_lili,comdat
.Lfunc_end248:
	.size	_ZL36rocblas_gemvn_double_buffered_kernelILi128ELi4ELi16EPKdS1_KPdEviiT3_lPKT2_lilS7_lilPT4_lili, .Lfunc_end248-_ZL36rocblas_gemvn_double_buffered_kernelILi128ELi4ELi16EPKdS1_KPdEviiT3_lPKT2_lilS7_lilPT4_lili
                                        ; -- End function
	.set _ZL36rocblas_gemvn_double_buffered_kernelILi128ELi4ELi16EPKdS1_KPdEviiT3_lPKT2_lilS7_lilPT4_lili.num_vgpr, 200
	.set _ZL36rocblas_gemvn_double_buffered_kernelILi128ELi4ELi16EPKdS1_KPdEviiT3_lPKT2_lilS7_lilPT4_lili.num_agpr, 0
	.set _ZL36rocblas_gemvn_double_buffered_kernelILi128ELi4ELi16EPKdS1_KPdEviiT3_lPKT2_lilS7_lilPT4_lili.numbered_sgpr, 54
	.set _ZL36rocblas_gemvn_double_buffered_kernelILi128ELi4ELi16EPKdS1_KPdEviiT3_lPKT2_lilS7_lilPT4_lili.num_named_barrier, 0
	.set _ZL36rocblas_gemvn_double_buffered_kernelILi128ELi4ELi16EPKdS1_KPdEviiT3_lPKT2_lilS7_lilPT4_lili.private_seg_size, 0
	.set _ZL36rocblas_gemvn_double_buffered_kernelILi128ELi4ELi16EPKdS1_KPdEviiT3_lPKT2_lilS7_lilPT4_lili.uses_vcc, 1
	.set _ZL36rocblas_gemvn_double_buffered_kernelILi128ELi4ELi16EPKdS1_KPdEviiT3_lPKT2_lilS7_lilPT4_lili.uses_flat_scratch, 1
	.set _ZL36rocblas_gemvn_double_buffered_kernelILi128ELi4ELi16EPKdS1_KPdEviiT3_lPKT2_lilS7_lilPT4_lili.has_dyn_sized_stack, 0
	.set _ZL36rocblas_gemvn_double_buffered_kernelILi128ELi4ELi16EPKdS1_KPdEviiT3_lPKT2_lilS7_lilPT4_lili.has_recursion, 0
	.set _ZL36rocblas_gemvn_double_buffered_kernelILi128ELi4ELi16EPKdS1_KPdEviiT3_lPKT2_lilS7_lilPT4_lili.has_indirect_call, 0
	.section	.AMDGPU.csdata,"",@progbits
; Kernel info:
; codeLenInByte = 3324
; TotalNumSgprs: 56
; NumVgprs: 200
; ScratchSize: 0
; MemoryBound: 1
; FloatMode: 240
; IeeeMode: 1
; LDSByteSize: 8192 bytes/workgroup (compile time only)
; SGPRBlocks: 0
; VGPRBlocks: 12
; NumSGPRsForWavesPerEU: 56
; NumVGPRsForWavesPerEU: 200
; NamedBarCnt: 0
; Occupancy: 4
; WaveLimiterHint : 1
; COMPUTE_PGM_RSRC2:SCRATCH_EN: 0
; COMPUTE_PGM_RSRC2:USER_SGPR: 2
; COMPUTE_PGM_RSRC2:TRAP_HANDLER: 0
; COMPUTE_PGM_RSRC2:TGID_X_EN: 1
; COMPUTE_PGM_RSRC2:TGID_Y_EN: 1
; COMPUTE_PGM_RSRC2:TGID_Z_EN: 1
; COMPUTE_PGM_RSRC2:TIDIG_COMP_CNT: 1
	.section	.text._ZL36rocblas_gemvn_double_buffered_kernelILi128ELi4ELi16EPKddKPdEviiT3_lPKT2_lilS7_lilPT4_lili,"axG",@progbits,_ZL36rocblas_gemvn_double_buffered_kernelILi128ELi4ELi16EPKddKPdEviiT3_lPKT2_lilS7_lilPT4_lili,comdat
	.globl	_ZL36rocblas_gemvn_double_buffered_kernelILi128ELi4ELi16EPKddKPdEviiT3_lPKT2_lilS7_lilPT4_lili ; -- Begin function _ZL36rocblas_gemvn_double_buffered_kernelILi128ELi4ELi16EPKddKPdEviiT3_lPKT2_lilS7_lilPT4_lili
	.p2align	8
	.type	_ZL36rocblas_gemvn_double_buffered_kernelILi128ELi4ELi16EPKddKPdEviiT3_lPKT2_lilS7_lilPT4_lili,@function
_ZL36rocblas_gemvn_double_buffered_kernelILi128ELi4ELi16EPKddKPdEviiT3_lPKT2_lilS7_lilPT4_lili: ; @_ZL36rocblas_gemvn_double_buffered_kernelILi128ELi4ELi16EPKddKPdEviiT3_lPKT2_lilS7_lilPT4_lili
; %bb.0:
	s_load_b32 s33, s[0:1], 0x78
	s_bfe_u32 s2, ttmp6, 0x40014
	s_lshr_b32 s4, ttmp7, 16
	s_add_co_i32 s2, s2, 1
	s_bfe_u32 s5, ttmp6, 0x40008
	s_mul_i32 s2, s4, s2
	s_getreg_b32 s3, hwreg(HW_REG_IB_STS2, 6, 4)
	s_add_co_i32 s5, s5, s2
	s_cmp_eq_u32 s3, 0
	s_mov_b32 s17, 0
	s_cselect_b32 s2, s4, s5
	s_wait_kmcnt 0x0
	s_cmp_ge_u32 s2, s33
	s_cbranch_scc1 .LBB249_15
; %bb.1:
	s_clause 0x4
	s_load_b32 s12, s[0:1], 0x4
	s_load_b32 s18, s[0:1], 0x28
	s_load_b32 s20, s[0:1], 0x48
	s_load_b32 s28, s[0:1], 0x68
	s_load_b64 s[22:23], s[0:1], 0x8
	s_bfe_u32 s14, ttmp6, 0x4000c
	s_and_b32 s13, ttmp6, 15
	s_add_co_i32 s14, s14, 1
	s_bfe_u32 s15, ttmp6, 0x40010
	s_mul_i32 s14, ttmp9, s14
	s_and_b32 s16, ttmp7, 0xffff
	s_add_co_i32 s25, s13, s14
	s_add_co_i32 s15, s15, 1
	s_bfe_u32 s19, ttmp6, 0x40004
	s_mul_i32 s15, s16, s15
	v_and_b32_e32 v4, 0x3ff, v0
	s_add_co_i32 s26, s19, s15
	v_bfe_u32 v1, v0, 10, 10
	s_clause 0x1
	s_load_b128 s[4:7], s[0:1], 0x18
	s_load_b128 s[8:11], s[0:1], 0x38
	v_and_b32_e32 v64, 63, v0
	s_wait_kmcnt 0x0
	s_ashr_i32 s13, s12, 31
	s_ashr_i32 s19, s18, 31
	s_lshr_b32 s13, s13, 25
	s_ashr_i32 s21, s20, 31
	s_add_co_i32 s24, s12, s13
	s_ashr_i32 s29, s28, 31
	s_ashr_i32 s24, s24, 7
	s_cmp_eq_u32 s3, 0
	v_lshl_add_u32 v5, v1, 7, v4
	s_cselect_b32 s46, s16, s26
	v_mov_b32_e32 v65, 0
	v_cvt_f64_i32_e32 v[2:3], s46
	s_load_b128 s[12:15], s[0:1], 0x58
	v_lshrrev_b32_e32 v6, 6, v5
	s_add_nc_u64 s[26:27], s[0:1], 0x80
	v_mov_b32_e32 v5, v65
	s_wait_xcnt 0x0
	v_cmp_neq_f64_e64 s1, s[22:23], 0
	s_cselect_b32 s3, ttmp9, s25
	v_dual_lshlrev_b32 v0, 4, v6 :: v_dual_lshlrev_b32 v72, 7, v6
	v_mov_b32_e32 v73, v65
	v_mul_u64_e32 v[66:67], s[28:29], v[4:5]
	s_lshl_b32 s30, s3, 7
	s_delay_alu instid0(VALU_DEP_3)
	v_mad_nc_i64_i32 v[70:71], s18, v0, v[64:65]
	v_lshlrev_b32_e32 v64, 3, v64
	s_ashr_i32 s31, s30, 31
	v_add_nc_u64_e32 v[74:75], 0x478, v[72:73]
	v_add_nc_u64_e32 v[76:77], 0x408, v[72:73]
	;; [unrolled: 1-line block ×3, first 2 shown]
	s_mul_u64 s[44:45], s[28:29], s[30:31]
	s_lshl_b32 s40, s20, 7
	s_lshl_b64 s[6:7], s[6:7], 3
	s_lshl_b64 s[30:31], s[30:31], 3
	v_lshl_or_b32 v186, v6, 10, v64
	v_cmp_eq_u32_e64 s0, 0, v1
	s_ashr_i32 s41, s40, 31
	s_add_nc_u64 s[36:37], s[6:7], s[30:31]
	s_lshl_b64 s[28:29], s[18:19], 10
	s_mov_b32 s25, s17
	s_lshl_b64 s[34:35], s[18:19], 3
	s_add_nc_u64 s[38:39], s[36:37], 0x200
	s_lshl_b64 s[10:11], s[10:11], 3
	s_lshl_b64 s[40:41], s[40:41], 3
	v_dual_max_num_f64 v[68:69], v[2:3], v[2:3] :: v_dual_lshlrev_b32 v187, 3, v4
	s_lshl_b64 s[42:43], s[20:21], 3
	s_wait_kmcnt 0x0
	s_lshl_b64 s[14:15], s[14:15], 3
	s_lshl_b64 s[44:45], s[44:45], 3
	s_branch .LBB249_4
.LBB249_2:                              ;   in Loop: Header=BB249_4 Depth=1
	s_wait_xcnt 0x0
	s_or_b32 exec_lo, exec_lo, s3
.LBB249_3:                              ;   in Loop: Header=BB249_4 Depth=1
	s_add_co_i32 s2, s2, 0x10000
	s_delay_alu instid0(SALU_CYCLE_1)
	s_cmp_lt_u32 s2, s33
	s_cbranch_scc0 .LBB249_15
.LBB249_4:                              ; =>This Loop Header: Depth=1
                                        ;     Child Loop BB249_8 Depth 2
	s_and_not1_b32 vcc_lo, exec_lo, s1
	s_cbranch_vccnz .LBB249_3
; %bb.5:                                ;   in Loop: Header=BB249_4 Depth=1
	s_load_b32 s3, s[26:27], 0x4
	s_wait_kmcnt 0x0
	s_cvt_f32_u32 s16, s3
	s_sub_co_i32 s47, 0, s3
	s_delay_alu instid0(SALU_CYCLE_2) | instskip(SKIP_1) | instid1(TRANS32_DEP_1)
	v_rcp_iflag_f32_e32 v0, s16
	v_nop
	v_readfirstlane_b32 s16, v0
	s_mul_f32 s16, s16, 0x4f7ffffe
	s_delay_alu instid0(SALU_CYCLE_3) | instskip(NEXT) | instid1(SALU_CYCLE_3)
	s_cvt_u32_f32 s16, s16
	s_mul_i32 s47, s47, s16
	s_delay_alu instid0(SALU_CYCLE_1) | instskip(NEXT) | instid1(SALU_CYCLE_1)
	s_mul_hi_u32 s47, s16, s47
	s_add_co_i32 s16, s16, s47
	s_delay_alu instid0(SALU_CYCLE_1) | instskip(NEXT) | instid1(SALU_CYCLE_1)
	s_mul_u64 s[48:49], s[24:25], s[16:17]
	s_mul_i32 s16, s49, s3
	s_add_co_i32 s47, s49, 1
	s_sub_co_i32 s16, s24, s16
	s_delay_alu instid0(SALU_CYCLE_1)
	s_sub_co_i32 s48, s16, s3
	s_cmp_ge_u32 s16, s3
	s_cselect_b32 s47, s47, s49
	s_cselect_b32 s16, s48, s16
	s_add_co_i32 s48, s47, 1
	s_cmp_ge_u32 s16, s3
	s_cselect_b32 s47, s48, s47
	s_delay_alu instid0(SALU_CYCLE_1) | instskip(NEXT) | instid1(SALU_CYCLE_1)
	s_mul_i32 s3, s47, s3
	s_sub_co_i32 s48, s24, s3
	s_delay_alu instid0(SALU_CYCLE_1) | instskip(SKIP_1) | instid1(SALU_CYCLE_1)
	s_cmp_lt_u32 s46, s48
	s_cselect_b32 s3, -1, 0
	s_cmp_lg_u32 s3, 0
	s_add_co_ci_u32 s16, s47, 0
	s_delay_alu instid0(SALU_CYCLE_1)
	s_cmp_eq_u32 s16, 0
	s_cbranch_scc1 .LBB249_3
; %bb.6:                                ;   in Loop: Header=BB249_4 Depth=1
	v_mov_b32_e32 v0, s2
	s_cmp_lt_i32 s16, 1
	global_load_b64 v[80:81], v0, s[12:13] scale_offset
	s_cbranch_scc1 .LBB249_12
; %bb.7:                                ;   in Loop: Header=BB249_4 Depth=1
	s_mov_b32 s3, s17
	s_wait_xcnt 0x0
	v_cvt_f64_u32_e32 v[0:1], s48
	s_lshl_b64 s[50:51], s[2:3], 3
	s_mul_i32 s47, s47, s46
	s_add_nc_u64 s[52:53], s[4:5], s[50:51]
	v_cvt_f64_u32_e32 v[2:3], s47
	global_load_b64 v[32:33], v65, s[52:53]
	s_add_nc_u64 s[48:49], s[8:9], s[50:51]
	v_add_nc_u64_e32 v[52:53], 0x450, v[72:73]
	global_load_b64 v[34:35], v65, s[48:49]
	v_add_nc_u64_e32 v[54:55], 0x458, v[72:73]
	v_add_nc_u64_e32 v[56:57], 0x460, v[72:73]
	v_mov_b64_e32 v[118:119], 0
	v_mov_b64_e32 v[120:121], 0
	s_mov_b32 s47, 0
	v_min_num_f64_e32 v[0:1], v[68:69], v[0:1]
	s_delay_alu instid0(VALU_DEP_1) | instskip(NEXT) | instid1(VALU_DEP_1)
	v_add_f64_e32 v[0:1], v[0:1], v[2:3]
	v_cvt_i32_f64_e32 v2, v[0:1]
	s_delay_alu instid0(VALU_DEP_1) | instskip(SKIP_4) | instid1(SALU_CYCLE_1)
	v_readfirstlane_b32 s3, v2
	s_wait_xcnt 0x0
	s_lshl_b32 s48, s3, 7
	s_add_co_i32 s3, s16, -1
	s_ashr_i32 s49, s48, 31
	s_mul_u64 s[50:51], s[48:49], s[18:19]
	s_lshl_b64 s[48:49], s[48:49], 3
	s_lshl_b64 s[50:51], s[50:51], 3
	s_wait_loadcnt 0x1
	v_add_nc_u64_e32 v[0:1], s[6:7], v[32:33]
	s_wait_loadcnt 0x0
	v_add_nc_u64_e32 v[34:35], s[10:11], v[34:35]
	s_delay_alu instid0(VALU_DEP_2) | instskip(NEXT) | instid1(VALU_DEP_1)
	v_add_nc_u64_e32 v[0:1], s[30:31], v[0:1]
	v_add_nc_u64_e32 v[0:1], s[50:51], v[0:1]
	s_delay_alu instid0(VALU_DEP_1) | instskip(NEXT) | instid1(VALU_DEP_1)
	v_lshl_add_u64 v[18:19], v[70:71], 3, v[0:1]
	v_lshl_add_u64 v[20:21], s[18:19], 3, v[18:19]
	s_delay_alu instid0(VALU_DEP_1) | instskip(NEXT) | instid1(VALU_DEP_1)
	v_add_nc_u64_e32 v[22:23], s[34:35], v[20:21]
	v_add_nc_u64_e32 v[24:25], s[34:35], v[22:23]
	s_delay_alu instid0(VALU_DEP_1) | instskip(NEXT) | instid1(VALU_DEP_1)
	v_add_nc_u64_e32 v[26:27], s[34:35], v[24:25]
	v_add_nc_u64_e32 v[28:29], s[34:35], v[26:27]
	;; [unrolled: 3-line block ×3, first 2 shown]
	s_delay_alu instid0(VALU_DEP_1)
	v_add_nc_u64_e32 v[38:39], s[34:35], v[36:37]
	s_clause 0x6
	flat_load_b64 v[0:1], v[18:19]
	flat_load_b64 v[2:3], v[20:21]
	;; [unrolled: 1-line block ×9, first 2 shown]
	v_add_nc_u64_e32 v[40:41], s[34:35], v[38:39]
	s_wait_xcnt 0x0
	v_add_nc_u64_e32 v[38:39], 0x418, v[72:73]
	s_delay_alu instid0(VALU_DEP_2) | instskip(NEXT) | instid1(VALU_DEP_2)
	v_add_nc_u64_e32 v[42:43], s[34:35], v[40:41]
	v_add_nc_u64_e32 v[38:39], s[48:49], v[38:39]
	s_delay_alu instid0(VALU_DEP_2) | instskip(NEXT) | instid1(VALU_DEP_1)
	v_add_nc_u64_e32 v[44:45], s[34:35], v[42:43]
	v_add_nc_u64_e32 v[46:47], s[34:35], v[44:45]
	s_delay_alu instid0(VALU_DEP_1) | instskip(NEXT) | instid1(VALU_DEP_1)
	v_add_nc_u64_e32 v[48:49], s[34:35], v[46:47]
	v_add_nc_u64_e32 v[50:51], s[34:35], v[48:49]
	s_delay_alu instid0(VALU_DEP_1)
	v_add_nc_u64_e32 v[36:37], s[34:35], v[50:51]
	flat_load_b64 v[18:19], v[40:41]
	flat_load_b64 v[20:21], v[42:43]
	;; [unrolled: 1-line block ×7, first 2 shown]
	s_wait_xcnt 0x0
	v_add_nc_u64_e32 v[36:37], 0x410, v[72:73]
	v_add_nc_u64_e32 v[46:47], 0x430, v[72:73]
	;; [unrolled: 1-line block ×12, first 2 shown]
	v_mad_nc_u64_u32 v[84:85], s18, v38, v[44:45]
	v_add_nc_u64_e32 v[50:51], s[48:49], v[50:51]
	v_mad_nc_u64_u32 v[82:83], s18, v36, v[44:45]
	v_mad_nc_u64_u32 v[90:91], s18, v46, v[44:45]
	;; [unrolled: 1-line block ×5, first 2 shown]
	v_add_nc_u64_e32 v[32:33], s[38:39], v[32:33]
	v_mad_nc_u64_u32 v[94:95], s18, v50, v[44:45]
	v_mad_u32 v38, s19, v38, v85
	v_mad_u32 v36, s19, v36, v83
	;; [unrolled: 1-line block ×8, first 2 shown]
	v_add_nc_u64_e32 v[38:39], s[48:49], v[52:53]
	v_mad_u32 v83, s18, v37, v36
	v_add_nc_u64_e32 v[36:37], 0x448, v[72:73]
	v_mad_u32 v91, s18, v47, v46
	v_mad_u32 v93, s18, v49, v48
	v_add_nc_u64_e32 v[46:47], 0x468, v[72:73]
	v_add_nc_u64_e32 v[48:49], 0x470, v[72:73]
	v_mad_u32 v87, s18, v41, v40
	v_mad_u32 v89, s18, v43, v42
	v_add_nc_u64_e32 v[36:37], s[48:49], v[36:37]
	v_add_nc_u64_e32 v[40:41], s[48:49], v[54:55]
	;; [unrolled: 1-line block ×3, first 2 shown]
	v_mad_u32 v95, s18, v51, v50
	v_add_nc_u64_e32 v[46:47], s[48:49], v[46:47]
	v_add_nc_u64_e32 v[48:49], s[48:49], v[48:49]
	;; [unrolled: 1-line block ×6, first 2 shown]
	v_mad_nc_u64_u32 v[96:97], s18, v36, v[44:45]
	v_mad_nc_u64_u32 v[98:99], s18, v38, v[44:45]
	;; [unrolled: 1-line block ×11, first 2 shown]
	v_mad_u32 v32, s19, v36, v97
	v_mad_u32 v33, s19, v38, v99
	;; [unrolled: 1-line block ×22, first 2 shown]
	s_wait_loadcnt_dscnt 0x0
	v_mov_b64_e32 v[62:63], v[30:31]
	v_mov_b64_e32 v[60:61], v[28:29]
	;; [unrolled: 1-line block ×16, first 2 shown]
.LBB249_8:                              ;   Parent Loop BB249_4 Depth=1
                                        ; =>  This Inner Loop Header: Depth=2
	v_add_nc_u64_e32 v[122:123], v[114:115], v[64:65]
	v_add_nc_u64_e32 v[132:133], s[42:43], v[116:117]
	s_cmp_eq_u32 s3, s47
	s_delay_alu instid0(VALU_DEP_2) | instskip(NEXT) | instid1(VALU_DEP_2)
	v_add_nc_u64_e32 v[124:125], s[34:35], v[122:123]
	v_add_nc_u64_e32 v[134:135], s[42:43], v[132:133]
	s_delay_alu instid0(VALU_DEP_2) | instskip(NEXT) | instid1(VALU_DEP_2)
	v_add_nc_u64_e32 v[136:137], s[34:35], v[124:125]
	v_add_nc_u64_e32 v[140:141], s[42:43], v[134:135]
	;; [unrolled: 3-line block ×3, first 2 shown]
	flat_load_b64 v[128:129], v[116:117]
	s_clause 0x3
	flat_load_b64 v[130:131], v[122:123]
	flat_load_b64 v[126:127], v[124:125]
	;; [unrolled: 1-line block ×4, first 2 shown]
	v_add_nc_u64_e32 v[144:145], s[34:35], v[138:139]
	v_add_nc_u64_e32 v[148:149], s[42:43], v[142:143]
	s_delay_alu instid0(VALU_DEP_2) | instskip(NEXT) | instid1(VALU_DEP_2)
	v_add_nc_u64_e32 v[150:151], s[34:35], v[144:145]
	v_add_nc_u64_e32 v[152:153], s[42:43], v[148:149]
	s_delay_alu instid0(VALU_DEP_2) | instskip(NEXT) | instid1(VALU_DEP_2)
	;; [unrolled: 3-line block ×3, first 2 shown]
	v_add_nc_u64_e32 v[158:159], s[34:35], v[154:155]
	v_add_nc_u64_e32 v[160:161], s[42:43], v[156:157]
	s_clause 0x3
	flat_load_b64 v[146:147], v[132:133]
	flat_load_b64 v[138:139], v[134:135]
	flat_load_b64 v[136:137], v[140:141]
	flat_load_b64 v[132:133], v[142:143]
	s_clause 0x3
	flat_load_b64 v[134:135], v[144:145]
	flat_load_b64 v[142:143], v[150:151]
	;; [unrolled: 1-line block ×4, first 2 shown]
	v_add_nc_u64_e32 v[162:163], s[34:35], v[158:159]
	v_add_nc_u64_e32 v[164:165], s[42:43], v[160:161]
	s_delay_alu instid0(VALU_DEP_2) | instskip(NEXT) | instid1(VALU_DEP_2)
	v_add_nc_u64_e32 v[166:167], s[34:35], v[162:163]
	v_add_nc_u64_e32 v[168:169], s[42:43], v[164:165]
	s_clause 0x3
	flat_load_b64 v[172:173], v[148:149]
	flat_load_b64 v[158:159], v[152:153]
	;; [unrolled: 1-line block ×4, first 2 shown]
	s_clause 0x1
	flat_load_b64 v[150:151], v[162:163]
	flat_load_b64 v[154:155], v[166:167]
	v_add_nc_u64_e32 v[170:171], s[34:35], v[166:167]
	v_add_nc_u64_e32 v[176:177], s[42:43], v[168:169]
	s_delay_alu instid0(VALU_DEP_2) | instskip(NEXT) | instid1(VALU_DEP_2)
	v_add_nc_u64_e32 v[180:181], s[34:35], v[170:171]
	v_add_nc_u64_e32 v[182:183], s[42:43], v[176:177]
	s_clause 0x1
	flat_load_b64 v[184:185], v[164:165]
	flat_load_b64 v[174:175], v[168:169]
	;; [unrolled: 1-line block ×6, first 2 shown]
	v_add_nc_u64_e32 v[188:189], s[34:35], v[180:181]
	v_add_nc_u64_e32 v[190:191], s[42:43], v[182:183]
	s_delay_alu instid0(VALU_DEP_2) | instskip(NEXT) | instid1(VALU_DEP_2)
	v_add_nc_u64_e32 v[192:193], s[34:35], v[188:189]
	v_add_nc_u64_e32 v[156:157], s[42:43], v[190:191]
	s_delay_alu instid0(VALU_DEP_2) | instskip(NEXT) | instid1(VALU_DEP_2)
	v_add_nc_u64_e32 v[166:167], s[34:35], v[192:193]
	v_add_nc_u64_e32 v[196:197], s[42:43], v[156:157]
	s_delay_alu instid0(VALU_DEP_2)
	v_add_nc_u64_e32 v[194:195], s[34:35], v[166:167]
	flat_load_b64 v[182:183], v[188:189]
	flat_load_b64 v[176:177], v[190:191]
	;; [unrolled: 1-line block ×7, first 2 shown]
	s_cbranch_scc1 .LBB249_10
; %bb.9:                                ;   in Loop: Header=BB249_8 Depth=2
	v_add_nc_u64_e32 v[32:33], v[112:113], v[64:65]
	v_add_nc_u64_e32 v[36:37], v[82:83], v[64:65]
	v_add_nc_u64_e32 v[50:51], v[96:97], v[64:65]
	v_add_nc_u64_e32 v[34:35], v[110:111], v[64:65]
	v_add_nc_u64_e32 v[38:39], v[84:85], v[64:65]
	v_add_nc_u64_e32 v[52:53], v[98:99], v[64:65]
	v_add_nc_u64_e32 v[40:41], v[86:87], v[64:65]
	v_add_nc_u64_e32 v[54:55], v[100:101], v[64:65]
	v_add_nc_u64_e32 v[42:43], v[88:89], v[64:65]
	v_add_nc_u64_e32 v[56:57], v[102:103], v[64:65]
	v_add_nc_u64_e32 v[44:45], v[90:91], v[64:65]
	v_add_nc_u64_e32 v[58:59], v[104:105], v[64:65]
	v_add_nc_u64_e32 v[46:47], v[92:93], v[64:65]
	v_add_nc_u64_e32 v[60:61], v[106:107], v[64:65]
	v_add_nc_u64_e32 v[48:49], v[94:95], v[64:65]
	v_add_nc_u64_e32 v[62:63], v[108:109], v[64:65]
	flat_load_b64 v[32:33], v[32:33]
	flat_load_b64 v[34:35], v[34:35]
	;; [unrolled: 1-line block ×16, first 2 shown]
.LBB249_10:                             ;   in Loop: Header=BB249_8 Depth=2
	s_wait_loadcnt_dscnt 0x1f1f
	v_fmac_f64_e32 v[120:121], v[0:1], v[128:129]
	s_wait_loadcnt_dscnt 0x1e1e
	v_fmac_f64_e32 v[118:119], v[130:131], v[128:129]
	v_add_nc_u64_e32 v[82:83], s[28:29], v[82:83]
	v_add_nc_u64_e32 v[84:85], s[28:29], v[84:85]
	v_add_nc_u64_e32 v[86:87], s[28:29], v[86:87]
	v_add_nc_u64_e32 v[88:89], s[28:29], v[88:89]
	v_add_nc_u64_e32 v[90:91], s[28:29], v[90:91]
	v_add_nc_u64_e32 v[92:93], s[28:29], v[92:93]
	v_add_nc_u64_e32 v[94:95], s[28:29], v[94:95]
	v_add_nc_u64_e32 v[96:97], s[28:29], v[96:97]
	v_add_nc_u64_e32 v[98:99], s[28:29], v[98:99]
	v_add_nc_u64_e32 v[100:101], s[28:29], v[100:101]
	v_add_nc_u64_e32 v[102:103], s[28:29], v[102:103]
	v_add_nc_u64_e32 v[104:105], s[28:29], v[104:105]
	v_add_nc_u64_e32 v[106:107], s[28:29], v[106:107]
	v_add_nc_u64_e32 v[108:109], s[28:29], v[108:109]
	v_add_nc_u64_e32 v[110:111], s[28:29], v[110:111]
	v_add_nc_u64_e32 v[112:113], s[28:29], v[112:113]
	v_add_nc_u64_e32 v[114:115], s[28:29], v[114:115]
	v_add_nc_u64_e32 v[116:117], s[40:41], v[116:117]
	s_add_co_i32 s47, s47, 1
	s_delay_alu instid0(SALU_CYCLE_1) | instskip(SKIP_4) | instid1(VALU_DEP_2)
	s_cmp_lt_i32 s47, s16
	s_wait_loadcnt_dscnt 0x1a1a
	v_fmac_f64_e32 v[120:121], v[2:3], v[146:147]
	v_fmac_f64_e32 v[118:119], v[126:127], v[146:147]
	s_wait_loadcnt_dscnt 0x1919
	v_fmac_f64_e32 v[120:121], v[4:5], v[138:139]
	s_delay_alu instid0(VALU_DEP_2) | instskip(SKIP_1) | instid1(VALU_DEP_2)
	v_fmac_f64_e32 v[118:119], v[124:125], v[138:139]
	s_wait_loadcnt_dscnt 0x1818
	v_fmac_f64_e32 v[120:121], v[6:7], v[136:137]
	s_delay_alu instid0(VALU_DEP_2) | instskip(SKIP_1) | instid1(VALU_DEP_2)
	v_fmac_f64_e32 v[118:119], v[122:123], v[136:137]
	s_wait_loadcnt_dscnt 0x1717
	v_fmac_f64_e32 v[120:121], v[8:9], v[132:133]
	s_wait_loadcnt_dscnt 0x1616
	s_delay_alu instid0(VALU_DEP_2) | instskip(SKIP_1) | instid1(VALU_DEP_2)
	v_fmac_f64_e32 v[118:119], v[134:135], v[132:133]
	s_wait_loadcnt_dscnt 0x1212
	v_fmac_f64_e32 v[120:121], v[10:11], v[172:173]
	s_delay_alu instid0(VALU_DEP_2) | instskip(SKIP_1) | instid1(VALU_DEP_2)
	v_fmac_f64_e32 v[118:119], v[142:143], v[172:173]
	s_wait_loadcnt_dscnt 0x1111
	v_fmac_f64_e32 v[120:121], v[12:13], v[158:159]
	;; [unrolled: 4-line block ×4, first 2 shown]
	s_wait_loadcnt_dscnt 0xe0e
	s_delay_alu instid0(VALU_DEP_2) | instskip(SKIP_1) | instid1(VALU_DEP_2)
	v_fmac_f64_e32 v[118:119], v[150:151], v[148:149]
	s_wait_loadcnt_dscnt 0xc0c
	v_fmac_f64_e32 v[120:121], v[18:19], v[184:185]
	s_delay_alu instid0(VALU_DEP_2) | instskip(SKIP_1) | instid1(VALU_DEP_2)
	v_fmac_f64_e32 v[118:119], v[154:155], v[184:185]
	s_wait_loadcnt_dscnt 0xb0b
	v_fmac_f64_e32 v[120:121], v[20:21], v[174:175]
	s_wait_loadcnt_dscnt 0xa0a
	s_delay_alu instid0(VALU_DEP_2) | instskip(SKIP_1) | instid1(VALU_DEP_2)
	v_fmac_f64_e32 v[118:119], v[178:179], v[174:175]
	s_wait_loadcnt_dscnt 0x909
	v_fmac_f64_e32 v[120:121], v[22:23], v[162:163]
	s_wait_loadcnt_dscnt 0x808
	;; [unrolled: 5-line block ×5, first 2 shown]
	s_delay_alu instid0(VALU_DEP_2) | instskip(SKIP_1) | instid1(VALU_DEP_2)
	v_fmac_f64_e32 v[118:119], v[170:171], v[164:165]
	s_wait_loadcnt_dscnt 0x0
	v_fmac_f64_e32 v[120:121], v[30:31], v[166:167]
	s_delay_alu instid0(VALU_DEP_2)
	v_fmac_f64_e32 v[118:119], v[156:157], v[166:167]
	s_cbranch_scc0 .LBB249_13
; %bb.11:                               ;   in Loop: Header=BB249_8 Depth=2
	v_mov_b64_e32 v[0:1], v[32:33]
	v_mov_b64_e32 v[2:3], v[34:35]
	;; [unrolled: 1-line block ×16, first 2 shown]
	s_branch .LBB249_8
.LBB249_12:                             ;   in Loop: Header=BB249_4 Depth=1
	v_mov_b64_e32 v[118:119], 0
	v_mov_b64_e32 v[120:121], 0
.LBB249_13:                             ;   in Loop: Header=BB249_4 Depth=1
	ds_store_2addr_stride64_b64 v186, v[120:121], v[118:119] offset1:1
	s_wait_loadcnt_dscnt 0x0
	s_barrier_signal -1
	s_barrier_wait -1
	s_wait_xcnt 0x0
	s_and_saveexec_b32 s3, s0
	s_cbranch_execz .LBB249_2
; %bb.14:                               ;   in Loop: Header=BB249_4 Depth=1
	ds_load_2addr_stride64_b64 v[0:3], v187 offset1:2
	s_wait_dscnt 0x0
	v_add_f64_e32 v[0:1], 0, v[0:1]
	s_delay_alu instid0(VALU_DEP_1) | instskip(SKIP_3) | instid1(VALU_DEP_1)
	v_add_f64_e32 v[4:5], v[0:1], v[2:3]
	ds_load_2addr_stride64_b64 v[0:3], v187 offset0:4 offset1:6
	s_wait_dscnt 0x0
	v_add_f64_e32 v[0:1], v[4:5], v[0:1]
	v_add_f64_e32 v[4:5], v[0:1], v[2:3]
	ds_load_2addr_stride64_b64 v[0:3], v187 offset0:8 offset1:10
	s_wait_dscnt 0x0
	v_add_f64_e32 v[0:1], v[4:5], v[0:1]
	s_delay_alu instid0(VALU_DEP_1) | instskip(SKIP_3) | instid1(VALU_DEP_1)
	v_add_f64_e32 v[4:5], v[0:1], v[2:3]
	ds_load_2addr_stride64_b64 v[0:3], v187 offset0:12 offset1:14
	s_wait_dscnt 0x0
	v_add_f64_e32 v[0:1], v[4:5], v[0:1]
	v_add_f64_e32 v[0:1], v[0:1], v[2:3]
	v_add_nc_u64_e32 v[2:3], s[14:15], v[80:81]
	s_delay_alu instid0(VALU_DEP_1) | instskip(NEXT) | instid1(VALU_DEP_1)
	v_add_nc_u64_e32 v[2:3], s[44:45], v[2:3]
	v_lshl_add_u64 v[2:3], v[66:67], 3, v[2:3]
	s_delay_alu instid0(VALU_DEP_4)
	v_mul_f64_e32 v[0:1], s[22:23], v[0:1]
	flat_atomic_add_f64 v[2:3], v[0:1] scope:SCOPE_DEV
	s_branch .LBB249_2
.LBB249_15:
	s_sendmsg sendmsg(MSG_DEALLOC_VGPRS)
	s_endpgm
	.section	.rodata,"a",@progbits
	.p2align	6, 0x0
	.amdhsa_kernel _ZL36rocblas_gemvn_double_buffered_kernelILi128ELi4ELi16EPKddKPdEviiT3_lPKT2_lilS7_lilPT4_lili
		.amdhsa_group_segment_fixed_size 8192
		.amdhsa_private_segment_fixed_size 0
		.amdhsa_kernarg_size 384
		.amdhsa_user_sgpr_count 2
		.amdhsa_user_sgpr_dispatch_ptr 0
		.amdhsa_user_sgpr_queue_ptr 0
		.amdhsa_user_sgpr_kernarg_segment_ptr 1
		.amdhsa_user_sgpr_dispatch_id 0
		.amdhsa_user_sgpr_kernarg_preload_length 0
		.amdhsa_user_sgpr_kernarg_preload_offset 0
		.amdhsa_user_sgpr_private_segment_size 0
		.amdhsa_wavefront_size32 1
		.amdhsa_uses_dynamic_stack 0
		.amdhsa_enable_private_segment 0
		.amdhsa_system_sgpr_workgroup_id_x 1
		.amdhsa_system_sgpr_workgroup_id_y 1
		.amdhsa_system_sgpr_workgroup_id_z 1
		.amdhsa_system_sgpr_workgroup_info 0
		.amdhsa_system_vgpr_workitem_id 1
		.amdhsa_next_free_vgpr 198
		.amdhsa_next_free_sgpr 54
		.amdhsa_named_barrier_count 0
		.amdhsa_reserve_vcc 1
		.amdhsa_float_round_mode_32 0
		.amdhsa_float_round_mode_16_64 0
		.amdhsa_float_denorm_mode_32 3
		.amdhsa_float_denorm_mode_16_64 3
		.amdhsa_fp16_overflow 0
		.amdhsa_memory_ordered 1
		.amdhsa_forward_progress 1
		.amdhsa_inst_pref_size 26
		.amdhsa_round_robin_scheduling 0
		.amdhsa_exception_fp_ieee_invalid_op 0
		.amdhsa_exception_fp_denorm_src 0
		.amdhsa_exception_fp_ieee_div_zero 0
		.amdhsa_exception_fp_ieee_overflow 0
		.amdhsa_exception_fp_ieee_underflow 0
		.amdhsa_exception_fp_ieee_inexact 0
		.amdhsa_exception_int_div_zero 0
	.end_amdhsa_kernel
	.section	.text._ZL36rocblas_gemvn_double_buffered_kernelILi128ELi4ELi16EPKddKPdEviiT3_lPKT2_lilS7_lilPT4_lili,"axG",@progbits,_ZL36rocblas_gemvn_double_buffered_kernelILi128ELi4ELi16EPKddKPdEviiT3_lPKT2_lilS7_lilPT4_lili,comdat
.Lfunc_end249:
	.size	_ZL36rocblas_gemvn_double_buffered_kernelILi128ELi4ELi16EPKddKPdEviiT3_lPKT2_lilS7_lilPT4_lili, .Lfunc_end249-_ZL36rocblas_gemvn_double_buffered_kernelILi128ELi4ELi16EPKddKPdEviiT3_lPKT2_lilS7_lilPT4_lili
                                        ; -- End function
	.set _ZL36rocblas_gemvn_double_buffered_kernelILi128ELi4ELi16EPKddKPdEviiT3_lPKT2_lilS7_lilPT4_lili.num_vgpr, 198
	.set _ZL36rocblas_gemvn_double_buffered_kernelILi128ELi4ELi16EPKddKPdEviiT3_lPKT2_lilS7_lilPT4_lili.num_agpr, 0
	.set _ZL36rocblas_gemvn_double_buffered_kernelILi128ELi4ELi16EPKddKPdEviiT3_lPKT2_lilS7_lilPT4_lili.numbered_sgpr, 54
	.set _ZL36rocblas_gemvn_double_buffered_kernelILi128ELi4ELi16EPKddKPdEviiT3_lPKT2_lilS7_lilPT4_lili.num_named_barrier, 0
	.set _ZL36rocblas_gemvn_double_buffered_kernelILi128ELi4ELi16EPKddKPdEviiT3_lPKT2_lilS7_lilPT4_lili.private_seg_size, 0
	.set _ZL36rocblas_gemvn_double_buffered_kernelILi128ELi4ELi16EPKddKPdEviiT3_lPKT2_lilS7_lilPT4_lili.uses_vcc, 1
	.set _ZL36rocblas_gemvn_double_buffered_kernelILi128ELi4ELi16EPKddKPdEviiT3_lPKT2_lilS7_lilPT4_lili.uses_flat_scratch, 1
	.set _ZL36rocblas_gemvn_double_buffered_kernelILi128ELi4ELi16EPKddKPdEviiT3_lPKT2_lilS7_lilPT4_lili.has_dyn_sized_stack, 0
	.set _ZL36rocblas_gemvn_double_buffered_kernelILi128ELi4ELi16EPKddKPdEviiT3_lPKT2_lilS7_lilPT4_lili.has_recursion, 0
	.set _ZL36rocblas_gemvn_double_buffered_kernelILi128ELi4ELi16EPKddKPdEviiT3_lPKT2_lilS7_lilPT4_lili.has_indirect_call, 0
	.section	.AMDGPU.csdata,"",@progbits
; Kernel info:
; codeLenInByte = 3296
; TotalNumSgprs: 56
; NumVgprs: 198
; ScratchSize: 0
; MemoryBound: 1
; FloatMode: 240
; IeeeMode: 1
; LDSByteSize: 8192 bytes/workgroup (compile time only)
; SGPRBlocks: 0
; VGPRBlocks: 12
; NumSGPRsForWavesPerEU: 56
; NumVGPRsForWavesPerEU: 198
; NamedBarCnt: 0
; Occupancy: 4
; WaveLimiterHint : 1
; COMPUTE_PGM_RSRC2:SCRATCH_EN: 0
; COMPUTE_PGM_RSRC2:USER_SGPR: 2
; COMPUTE_PGM_RSRC2:TRAP_HANDLER: 0
; COMPUTE_PGM_RSRC2:TGID_X_EN: 1
; COMPUTE_PGM_RSRC2:TGID_Y_EN: 1
; COMPUTE_PGM_RSRC2:TGID_Z_EN: 1
; COMPUTE_PGM_RSRC2:TIDIG_COMP_CNT: 1
	.section	.text._ZL20rocblas_gemvn_kernelILi32ELi16EiPKdS1_KPdEviiT3_lPKT2_lT1_lS7_lS8_lS4_lPT4_lS8_li,"axG",@progbits,_ZL20rocblas_gemvn_kernelILi32ELi16EiPKdS1_KPdEviiT3_lPKT2_lT1_lS7_lS8_lS4_lPT4_lS8_li,comdat
	.globl	_ZL20rocblas_gemvn_kernelILi32ELi16EiPKdS1_KPdEviiT3_lPKT2_lT1_lS7_lS8_lS4_lPT4_lS8_li ; -- Begin function _ZL20rocblas_gemvn_kernelILi32ELi16EiPKdS1_KPdEviiT3_lPKT2_lT1_lS7_lS8_lS4_lPT4_lS8_li
	.p2align	8
	.type	_ZL20rocblas_gemvn_kernelILi32ELi16EiPKdS1_KPdEviiT3_lPKT2_lT1_lS7_lS8_lS4_lPT4_lS8_li,@function
_ZL20rocblas_gemvn_kernelILi32ELi16EiPKdS1_KPdEviiT3_lPKT2_lT1_lS7_lS8_lS4_lPT4_lS8_li: ; @_ZL20rocblas_gemvn_kernelILi32ELi16EiPKdS1_KPdEviiT3_lPKT2_lT1_lS7_lS8_lS4_lPT4_lS8_li
; %bb.0:
	s_clause 0x1
	s_load_b64 s[4:5], s[0:1], 0x9c
	s_load_b32 s33, s[0:1], 0x88
	s_bfe_u32 s2, ttmp6, 0x40014
	s_lshr_b32 s3, ttmp7, 16
	s_add_co_i32 s2, s2, 1
	s_bfe_u32 s6, ttmp6, 0x40008
	s_mul_i32 s7, s3, s2
	s_getreg_b32 s2, hwreg(HW_REG_IB_STS2, 6, 4)
	s_add_co_i32 s6, s6, s7
	s_mov_b32 s11, 0
	s_wait_kmcnt 0x0
	s_lshr_b32 s7, s4, 16
	s_and_b32 s4, s4, 0xffff
	s_and_b32 s5, s5, 0xffff
	s_mul_i32 s4, s7, s4
	s_cmp_eq_u32 s2, 0
	s_mul_i32 s4, s4, s5
	s_cselect_b32 s10, s3, s6
	s_cmp_lg_u32 s4, 0x200
	s_cselect_b32 s3, -1, 0
	s_cmp_ge_u32 s10, s33
	s_cselect_b32 s4, -1, 0
	s_delay_alu instid0(SALU_CYCLE_1) | instskip(NEXT) | instid1(SALU_CYCLE_1)
	s_or_b32 s3, s3, s4
	s_and_b32 vcc_lo, exec_lo, s3
	s_cbranch_vccnz .LBB250_55
; %bb.1:
	s_clause 0x6
	s_load_b32 s4, s[0:1], 0x78
	s_load_b64 s[8:9], s[0:1], 0x0
	s_load_b256 s[12:19], s[0:1], 0x8
	s_load_b32 s34, s[0:1], 0x28
	s_load_b128 s[28:31], s[0:1], 0x38
	s_load_b32 s35, s[0:1], 0x48
	s_load_b256 s[20:27], s[0:1], 0x58
	s_wait_xcnt 0x0
	s_bfe_u32 s0, ttmp6, 0x4000c
	v_and_b32_e32 v6, 0x3ff, v0
	s_add_co_i32 s0, s0, 1
	v_bfe_u32 v7, v0, 10, 10
	s_and_b32 s1, ttmp6, 15
	s_mul_i32 s0, ttmp9, s0
	v_mov_b32_e32 v1, 0
	s_add_co_i32 s1, s1, s0
	v_lshl_add_u32 v5, v7, 5, v6
	v_lshlrev_b32_e32 v64, 2, v7
	s_wait_kmcnt 0x0
	s_ashr_i32 s5, s4, 31
	s_cmp_eq_u32 s2, 0
	s_mov_b32 s2, s8
	s_cselect_b32 s0, ttmp9, s1
	s_ashr_i32 s3, s8, 31
	s_lshl_b32 s36, s0, 7
	s_ashr_i32 s1, s9, 31
	v_dual_add_nc_u32 v0, s36, v5 :: v_dual_add_nc_u32 v65, s36, v6
	v_or_b32_e32 v8, s36, v5
	s_lshr_b32 s0, s1, 26
	v_mul_lo_u32 v11, v7, s34
	s_delay_alu instid0(VALU_DEP_3) | instskip(SKIP_4) | instid1(VALU_DEP_3)
	v_mul_u64_e32 v[2:3], s[4:5], v[0:1]
	v_dual_add_nc_u32 v4, 32, v65 :: v_dual_add_nc_u32 v9, 64, v65
	v_cmp_gt_i64_e32 vcc_lo, s[2:3], v[0:1]
	v_add_nc_u32_e32 v0, 0x60, v65
	s_add_co_i32 s37, s9, s0
	v_cmp_gt_i32_e64 s2, s8, v4
	v_cmp_gt_i32_e64 s3, s8, v9
	v_lshlrev_b32_e32 v9, 3, v6
	v_mul_lo_u32 v4, s4, v8
	v_cmp_gt_i32_e64 s4, s8, v0
	s_and_not1_b32 s37, s37, 63
	v_or_b32_e32 v10, 3, v64
	v_lshl_add_u32 v0, v7, 10, v9
	v_lshl_add_u32 v66, v7, 8, v9
	v_mul_lo_u32 v7, v7, s35
	s_sub_co_i32 s6, s9, s37
	v_or_b32_e32 v9, 2, v64
	s_cmp_gt_i32 s6, 0
	v_cmp_gt_i32_e64 s6, s8, v8
	v_mul_lo_u32 v8, s34, v64
	v_mad_u32 v68, s34, v10, v6
	v_mad_u32 v69, s35, v64, s35
	v_mul_lo_u32 v71, s35, v10
	v_cmp_gt_u32_e64 s5, 0x80, v5
	v_cmp_gt_i32_e64 s0, s37, v64
	v_lshlrev_b32_e32 v74, 2, v7
	v_mad_u32 v67, s34, v9, v6
	v_mul_lo_u32 v70, s35, v9
	v_cmp_gt_i32_e64 s1, s8, v65
	v_ashrrev_i32_e32 v5, 31, v4
	v_add3_u32 v72, v8, s34, v6
	v_lshl_add_u32 v73, v11, 2, v6
	s_cselect_b32 s38, -1, 0
	s_and_b32 s39, s5, vcc_lo
	s_lshl_b32 s40, s34, 6
	s_lshl_b32 s41, s35, 6
	s_lshl_b64 s[18:19], s[18:19], 3
	s_lshl_b64 s[30:31], s[30:31], 3
	;; [unrolled: 1-line block ×3, first 2 shown]
	s_branch .LBB250_4
.LBB250_2:                              ;   in Loop: Header=BB250_4 Depth=1
	s_wait_xcnt 0x0
	s_or_b32 exec_lo, exec_lo, s7
.LBB250_3:                              ;   in Loop: Header=BB250_4 Depth=1
	s_add_co_i32 s10, s10, 0x10000
	s_delay_alu instid0(SALU_CYCLE_1)
	s_cmp_lt_u32 s10, s33
	s_cbranch_scc0 .LBB250_55
.LBB250_4:                              ; =>This Loop Header: Depth=1
                                        ;     Child Loop BB250_21 Depth 2
	s_wait_xcnt 0x1
	s_mul_u64 s[42:43], s[14:15], s[10:11]
	s_wait_xcnt 0x0
	s_mul_u64 s[44:45], s[22:23], s[10:11]
	s_lshl_b64 s[42:43], s[42:43], 3
	s_lshl_b64 s[44:45], s[44:45], 3
	s_add_nc_u64 s[42:43], s[12:13], s[42:43]
	s_add_nc_u64 s[44:45], s[20:21], s[44:45]
	s_clause 0x1
	global_load_b64 v[10:11], v1, s[42:43]
	global_load_b64 v[6:7], v1, s[44:45]
	s_wait_loadcnt 0x1
	v_cmp_eq_f64_e64 s7, 0, v[10:11]
	s_wait_loadcnt 0x0
	v_cmp_eq_f64_e32 vcc_lo, 1.0, v[6:7]
	s_and_b32 s8, s7, vcc_lo
	s_delay_alu instid0(SALU_CYCLE_1)
	s_and_b32 vcc_lo, exec_lo, s8
	s_cbranch_vccnz .LBB250_3
; %bb.5:                                ;   in Loop: Header=BB250_4 Depth=1
	v_cmp_neq_f64_e64 s8, 0, v[10:11]
	v_mov_b64_e32 v[22:23], 0
	v_mov_b64_e32 v[20:21], 0
	s_and_b32 vcc_lo, exec_lo, s7
	s_cbranch_vccnz .LBB250_7
; %bb.6:                                ;   in Loop: Header=BB250_4 Depth=1
	s_wait_xcnt 0x1
	s_lshl_b64 s[42:43], s[10:11], 3
	s_delay_alu instid0(SALU_CYCLE_1)
	s_add_nc_u64 s[42:43], s[16:17], s[42:43]
	global_load_b64 v[8:9], v1, s[42:43]
	s_wait_loadcnt 0x0
	v_add_nc_u64_e32 v[20:21], s[18:19], v[8:9]
.LBB250_7:                              ;   in Loop: Header=BB250_4 Depth=1
	s_and_not1_b32 vcc_lo, exec_lo, s8
	s_cbranch_vccnz .LBB250_9
; %bb.8:                                ;   in Loop: Header=BB250_4 Depth=1
	s_wait_xcnt 0x0
	s_lshl_b64 s[42:43], s[10:11], 3
	s_delay_alu instid0(SALU_CYCLE_1)
	s_add_nc_u64 s[42:43], s[28:29], s[42:43]
	global_load_b64 v[8:9], v1, s[42:43]
	s_wait_loadcnt 0x0
	v_add_nc_u64_e32 v[22:23], s[30:31], v[8:9]
.LBB250_9:                              ;   in Loop: Header=BB250_4 Depth=1
	s_wait_xcnt 0x0
	s_lshl_b64 s[42:43], s[10:11], 3
	s_and_not1_b32 vcc_lo, exec_lo, s7
	s_add_nc_u64 s[42:43], s[24:25], s[42:43]
	global_load_b64 v[8:9], v1, s[42:43]
	s_wait_loadcnt 0x0
	v_add_nc_u64_e32 v[8:9], s[26:27], v[8:9]
	s_cbranch_vccnz .LBB250_14
; %bb.10:                               ;   in Loop: Header=BB250_4 Depth=1
	s_mov_b32 s7, 0
	s_mov_b32 s8, 0
                                        ; implicit-def: $vgpr12_vgpr13
	s_wait_xcnt 0x0
	s_and_saveexec_b32 s42, s39
	s_cbranch_execz .LBB250_26
; %bb.11:                               ;   in Loop: Header=BB250_4 Depth=1
	v_cmp_eq_f64_e32 vcc_lo, 0, v[6:7]
	v_mov_b64_e32 v[12:13], 0
	s_cbranch_vccnz .LBB250_13
; %bb.12:                               ;   in Loop: Header=BB250_4 Depth=1
	v_lshl_add_u64 v[12:13], v[2:3], 3, v[8:9]
	flat_load_b64 v[12:13], v[12:13]
	s_wait_loadcnt_dscnt 0x0
	s_wait_xcnt 0x0
	v_mul_f64_e32 v[12:13], v[6:7], v[12:13]
.LBB250_13:                             ;   in Loop: Header=BB250_4 Depth=1
	s_mov_b32 s8, exec_lo
	s_or_b32 exec_lo, exec_lo, s42
	s_delay_alu instid0(SALU_CYCLE_1)
	s_and_b32 vcc_lo, exec_lo, s7
	s_cbranch_vccnz .LBB250_15
	s_branch .LBB250_27
.LBB250_14:                             ;   in Loop: Header=BB250_4 Depth=1
	s_mov_b32 s8, 0
                                        ; implicit-def: $vgpr12_vgpr13
	s_cbranch_execz .LBB250_27
.LBB250_15:                             ;   in Loop: Header=BB250_4 Depth=1
	v_mov_b64_e32 v[12:13], 0
	v_mov_b64_e32 v[14:15], 0
	;; [unrolled: 1-line block ×4, first 2 shown]
	v_mov_b32_e32 v75, v64
	s_wait_xcnt 0x0
	s_and_saveexec_b32 s7, s0
	s_cbranch_execz .LBB250_29
; %bb.16:                               ;   in Loop: Header=BB250_4 Depth=1
	v_mov_b64_e32 v[12:13], 0
	v_mov_b64_e32 v[14:15], 0
	;; [unrolled: 1-line block ×4, first 2 shown]
	v_dual_mov_b32 v76, v73 :: v_dual_mov_b32 v77, v68
	v_dual_mov_b32 v78, v67 :: v_dual_mov_b32 v79, v72
	v_mov_b32_e32 v75, v64
	s_mov_b32 s42, 0
	s_mov_b32 s43, 0
	s_branch .LBB250_21
.LBB250_17:                             ;   in Loop: Header=BB250_21 Depth=2
	s_wait_xcnt 0x0
	s_or_b32 exec_lo, exec_lo, s47
	s_wait_loadcnt_dscnt 0x303
	v_fmac_f64_e32 v[16:17], v[30:31], v[62:63]
	s_wait_loadcnt_dscnt 0x202
	s_delay_alu instid0(VALU_DEP_1) | instskip(SKIP_1) | instid1(VALU_DEP_1)
	v_fmac_f64_e32 v[16:17], v[28:29], v[58:59]
	s_wait_loadcnt_dscnt 0x101
	v_fmac_f64_e32 v[16:17], v[26:27], v[56:57]
	s_wait_loadcnt_dscnt 0x0
	s_delay_alu instid0(VALU_DEP_1)
	v_fmac_f64_e32 v[16:17], v[24:25], v[54:55]
.LBB250_18:                             ;   in Loop: Header=BB250_21 Depth=2
	s_or_b32 exec_lo, exec_lo, s46
	s_wait_loadcnt_dscnt 0x303
	v_fmac_f64_e32 v[14:15], v[30:31], v[46:47]
	s_wait_loadcnt_dscnt 0x202
	s_delay_alu instid0(VALU_DEP_1) | instskip(SKIP_1) | instid1(VALU_DEP_1)
	v_fmac_f64_e32 v[14:15], v[28:29], v[44:45]
	s_wait_loadcnt_dscnt 0x101
	v_fmac_f64_e32 v[14:15], v[26:27], v[42:43]
	s_wait_loadcnt_dscnt 0x0
	s_delay_alu instid0(VALU_DEP_1)
	v_fmac_f64_e32 v[14:15], v[24:25], v[40:41]
.LBB250_19:                             ;   in Loop: Header=BB250_21 Depth=2
	s_or_b32 exec_lo, exec_lo, s45
	s_wait_loadcnt_dscnt 0x303
	v_fmac_f64_e32 v[12:13], v[30:31], v[38:39]
	s_wait_loadcnt_dscnt 0x202
	s_delay_alu instid0(VALU_DEP_1) | instskip(SKIP_1) | instid1(VALU_DEP_1)
	v_fmac_f64_e32 v[12:13], v[28:29], v[36:37]
	s_wait_loadcnt_dscnt 0x101
	v_fmac_f64_e32 v[12:13], v[26:27], v[34:35]
	s_wait_loadcnt_dscnt 0x0
	s_delay_alu instid0(VALU_DEP_1)
	v_fmac_f64_e32 v[12:13], v[24:25], v[32:33]
.LBB250_20:                             ;   in Loop: Header=BB250_21 Depth=2
	s_or_b32 exec_lo, exec_lo, s44
	v_dual_add_nc_u32 v75, 64, v75 :: v_dual_add_nc_u32 v78, s40, v78
	v_dual_add_nc_u32 v79, s40, v79 :: v_dual_add_nc_u32 v77, s40, v77
	v_add_nc_u32_e32 v76, s40, v76
	s_delay_alu instid0(VALU_DEP_3) | instskip(SKIP_2) | instid1(SALU_CYCLE_1)
	v_cmp_le_i32_e32 vcc_lo, s37, v75
	s_add_co_i32 s43, s43, s41
	s_or_b32 s42, vcc_lo, s42
	s_and_not1_b32 exec_lo, exec_lo, s42
	s_cbranch_execz .LBB250_28
.LBB250_21:                             ;   Parent Loop BB250_4 Depth=1
                                        ; =>  This Inner Loop Header: Depth=2
	s_and_saveexec_b32 s44, s1
	s_cbranch_execz .LBB250_20
; %bb.22:                               ;   in Loop: Header=BB250_21 Depth=2
	v_dual_add_nc_u32 v41, s43, v74 :: v_dual_add_nc_u32 v43, s43, v69
	v_readfirstlane_b32 s46, v22
	v_readfirstlane_b32 s47, v23
	v_dual_add_nc_u32 v45, s43, v70 :: v_dual_add_nc_u32 v47, s43, v71
	v_dual_add_nc_u32 v40, s36, v76 :: v_dual_add_nc_u32 v42, s36, v79
	v_readfirstlane_b32 s48, v20
	v_readfirstlane_b32 s49, v21
	v_dual_add_nc_u32 v46, s36, v78 :: v_dual_add_nc_u32 v44, s36, v77
	s_clause 0x3
	flat_load_b64 v[30:31], v41, s[46:47] scale_offset
	flat_load_b64 v[28:29], v43, s[46:47] scale_offset
	;; [unrolled: 1-line block ×4, first 2 shown]
	s_clause 0x3
	flat_load_b64 v[38:39], v40, s[48:49] scale_offset
	flat_load_b64 v[36:37], v42, s[48:49] scale_offset
	;; [unrolled: 1-line block ×4, first 2 shown]
	s_wait_xcnt 0x0
	s_and_saveexec_b32 s45, s2
	s_cbranch_execz .LBB250_19
; %bb.23:                               ;   in Loop: Header=BB250_21 Depth=2
	v_dual_ashrrev_i32 v41, 31, v40 :: v_dual_ashrrev_i32 v43, 31, v42
	v_dual_ashrrev_i32 v47, 31, v46 :: v_dual_ashrrev_i32 v45, 31, v44
	s_delay_alu instid0(VALU_DEP_2) | instskip(NEXT) | instid1(VALU_DEP_3)
	v_lshl_add_u64 v[52:53], v[40:41], 3, v[20:21]
	v_lshl_add_u64 v[48:49], v[42:43], 3, v[20:21]
	s_delay_alu instid0(VALU_DEP_3) | instskip(NEXT) | instid1(VALU_DEP_4)
	v_lshl_add_u64 v[50:51], v[46:47], 3, v[20:21]
	v_lshl_add_u64 v[60:61], v[44:45], 3, v[20:21]
	s_clause 0x3
	flat_load_b64 v[46:47], v[52:53] offset:256
	flat_load_b64 v[44:45], v[48:49] offset:256
	;; [unrolled: 1-line block ×4, first 2 shown]
	s_wait_xcnt 0x0
	s_and_saveexec_b32 s46, s3
	s_cbranch_execz .LBB250_18
; %bb.24:                               ;   in Loop: Header=BB250_21 Depth=2
	s_clause 0x3
	flat_load_b64 v[62:63], v[52:53] offset:512
	flat_load_b64 v[58:59], v[48:49] offset:512
	;; [unrolled: 1-line block ×4, first 2 shown]
	s_wait_xcnt 0x0
	s_and_saveexec_b32 s47, s4
	s_cbranch_execz .LBB250_17
; %bb.25:                               ;   in Loop: Header=BB250_21 Depth=2
	s_clause 0x3
	flat_load_b64 v[80:81], v[52:53] offset:768
	flat_load_b64 v[82:83], v[48:49] offset:768
	;; [unrolled: 1-line block ×4, first 2 shown]
	s_wait_loadcnt_dscnt 0x303
	v_fmac_f64_e32 v[18:19], v[30:31], v[80:81]
	s_wait_loadcnt_dscnt 0x202
	s_delay_alu instid0(VALU_DEP_1) | instskip(SKIP_1) | instid1(VALU_DEP_1)
	v_fmac_f64_e32 v[18:19], v[28:29], v[82:83]
	s_wait_loadcnt_dscnt 0x101
	v_fmac_f64_e32 v[18:19], v[26:27], v[84:85]
	s_wait_loadcnt_dscnt 0x0
	s_delay_alu instid0(VALU_DEP_1)
	v_fmac_f64_e32 v[18:19], v[24:25], v[86:87]
	s_branch .LBB250_17
.LBB250_26:                             ;   in Loop: Header=BB250_4 Depth=1
	s_or_b32 exec_lo, exec_lo, s42
	s_delay_alu instid0(SALU_CYCLE_1)
	s_and_b32 vcc_lo, exec_lo, s7
	s_cbranch_vccnz .LBB250_15
.LBB250_27:                             ;   in Loop: Header=BB250_4 Depth=1
	v_mov_b64_e32 v[6:7], v[2:3]
	s_wait_xcnt 0x0
	s_and_saveexec_b32 s7, s8
	s_cbranch_execz .LBB250_2
	s_branch .LBB250_54
.LBB250_28:                             ;   in Loop: Header=BB250_4 Depth=1
	s_or_b32 exec_lo, exec_lo, s42
.LBB250_29:                             ;   in Loop: Header=BB250_4 Depth=1
	s_delay_alu instid0(SALU_CYCLE_1) | instskip(NEXT) | instid1(SALU_CYCLE_1)
	s_or_b32 exec_lo, exec_lo, s7
	s_and_not1_b32 vcc_lo, exec_lo, s38
	s_cbranch_vccnz .LBB250_47
; %bb.30:                               ;   in Loop: Header=BB250_4 Depth=1
	v_mov_b64_e32 v[30:31], 0
	v_mov_b64_e32 v[28:29], 0
	;; [unrolled: 1-line block ×4, first 2 shown]
	v_cmp_gt_i32_e32 vcc_lo, s9, v75
	v_or_b32_e32 v32, 1, v75
	s_and_saveexec_b32 s42, vcc_lo
	s_cbranch_execz .LBB250_38
; %bb.31:                               ;   in Loop: Header=BB250_4 Depth=1
	v_mul_lo_u32 v24, v75, s35
	v_readfirstlane_b32 s44, v22
	v_readfirstlane_b32 s45, v23
	v_mov_b64_e32 v[26:27], 0
	v_mov_b64_e32 v[28:29], 0
	;; [unrolled: 1-line block ×3, first 2 shown]
	s_mov_b32 s43, exec_lo
	flat_load_b64 v[24:25], v24, s[44:45] scale_offset
	s_wait_xcnt 0x0
	v_cmpx_gt_i32_e64 s9, v32
	s_cbranch_execz .LBB250_37
; %bb.32:                               ;   in Loop: Header=BB250_4 Depth=1
	v_mul_lo_u32 v26, v32, s35
	v_readfirstlane_b32 s44, v22
	v_readfirstlane_b32 s45, v23
	v_mov_b64_e32 v[28:29], 0
	v_mov_b64_e32 v[30:31], 0
	v_or_b32_e32 v33, 2, v75
	flat_load_b64 v[26:27], v26, s[44:45] scale_offset
	s_wait_xcnt 0x0
	s_mov_b32 s44, exec_lo
	v_cmpx_gt_i32_e64 s9, v33
	s_cbranch_execz .LBB250_36
; %bb.33:                               ;   in Loop: Header=BB250_4 Depth=1
	v_mul_lo_u32 v28, v33, s35
	v_readfirstlane_b32 s46, v22
	v_readfirstlane_b32 s47, v23
	v_mov_b64_e32 v[30:31], 0
	v_or_b32_e32 v33, 3, v75
	s_mov_b32 s45, exec_lo
	flat_load_b64 v[28:29], v28, s[46:47] scale_offset
	s_wait_xcnt 0x0
	v_cmpx_gt_i32_e64 s9, v33
	s_cbranch_execz .LBB250_35
; %bb.34:                               ;   in Loop: Header=BB250_4 Depth=1
	v_mul_lo_u32 v30, v33, s35
	v_readfirstlane_b32 s46, v22
	v_readfirstlane_b32 s47, v23
	flat_load_b64 v[30:31], v30, s[46:47] scale_offset
.LBB250_35:                             ;   in Loop: Header=BB250_4 Depth=1
	s_wait_xcnt 0x0
	s_or_b32 exec_lo, exec_lo, s45
.LBB250_36:                             ;   in Loop: Header=BB250_4 Depth=1
	s_delay_alu instid0(SALU_CYCLE_1)
	s_or_b32 exec_lo, exec_lo, s44
.LBB250_37:                             ;   in Loop: Header=BB250_4 Depth=1
	s_delay_alu instid0(SALU_CYCLE_1)
	s_or_b32 exec_lo, exec_lo, s43
.LBB250_38:                             ;   in Loop: Header=BB250_4 Depth=1
	s_delay_alu instid0(SALU_CYCLE_1)
	s_or_b32 exec_lo, exec_lo, s42
	s_and_saveexec_b32 s7, s1
	s_cbranch_execz .LBB250_46
; %bb.39:                               ;   in Loop: Header=BB250_4 Depth=1
	v_mul_lo_u32 v23, v75, s34
	v_mul_lo_u32 v34, v32, s34
	v_readfirstlane_b32 s42, v20
	v_readfirstlane_b32 s43, v21
	s_delay_alu instid0(VALU_DEP_4) | instskip(SKIP_2) | instid1(VALU_DEP_3)
	v_cndmask_b32_e32 v23, 0, v23, vcc_lo
	v_cmp_gt_i32_e32 vcc_lo, s9, v32
	v_or_b32_e32 v22, 2, v75
	v_dual_add_nc_u32 v40, v23, v65 :: v_dual_bitop2_b32 v33, 3, v75 bitop3:0x54
	v_cndmask_b32_e32 v32, 0, v34, vcc_lo
	s_delay_alu instid0(VALU_DEP_3) | instskip(NEXT) | instid1(VALU_DEP_3)
	v_mul_lo_u32 v35, v22, s34
	v_mul_lo_u32 v36, v33, s34
	v_cmp_gt_i32_e32 vcc_lo, s9, v22
	s_delay_alu instid0(VALU_DEP_3) | instskip(SKIP_1) | instid1(VALU_DEP_2)
	v_dual_add_nc_u32 v42, v32, v65 :: v_dual_cndmask_b32 v22, 0, v35, vcc_lo
	v_cmp_gt_i32_e32 vcc_lo, s9, v33
	v_dual_cndmask_b32 v33, 0, v36 :: v_dual_add_nc_u32 v48, v22, v65
	s_delay_alu instid0(VALU_DEP_1)
	v_add_nc_u32_e32 v38, v33, v65
	s_clause 0x3
	flat_load_b64 v[36:37], v40, s[42:43] scale_offset
	flat_load_b64 v[34:35], v42, s[42:43] scale_offset
	;; [unrolled: 1-line block ×4, first 2 shown]
	s_wait_xcnt 0x0
	s_and_saveexec_b32 s42, s2
	s_cbranch_execz .LBB250_45
; %bb.40:                               ;   in Loop: Header=BB250_4 Depth=1
	v_dual_ashrrev_i32 v41, 31, v40 :: v_dual_ashrrev_i32 v43, 31, v42
	v_dual_ashrrev_i32 v49, 31, v48 :: v_dual_ashrrev_i32 v39, 31, v38
	s_delay_alu instid0(VALU_DEP_2) | instskip(NEXT) | instid1(VALU_DEP_3)
	v_lshl_add_u64 v[46:47], v[40:41], 3, v[20:21]
	v_lshl_add_u64 v[44:45], v[42:43], 3, v[20:21]
	s_delay_alu instid0(VALU_DEP_3) | instskip(NEXT) | instid1(VALU_DEP_4)
	v_lshl_add_u64 v[50:51], v[48:49], 3, v[20:21]
	v_lshl_add_u64 v[54:55], v[38:39], 3, v[20:21]
	s_clause 0x3
	flat_load_b64 v[42:43], v[46:47] offset:256
	flat_load_b64 v[40:41], v[44:45] offset:256
	;; [unrolled: 1-line block ×4, first 2 shown]
	s_wait_xcnt 0x0
	s_and_saveexec_b32 s43, s3
	s_cbranch_execz .LBB250_44
; %bb.41:                               ;   in Loop: Header=BB250_4 Depth=1
	s_clause 0x3
	flat_load_b64 v[58:59], v[46:47] offset:512
	flat_load_b64 v[56:57], v[44:45] offset:512
	;; [unrolled: 1-line block ×4, first 2 shown]
	s_wait_xcnt 0x0
	s_and_saveexec_b32 s44, s4
	s_cbranch_execz .LBB250_43
; %bb.42:                               ;   in Loop: Header=BB250_4 Depth=1
	s_clause 0x3
	flat_load_b64 v[60:61], v[46:47] offset:768
	flat_load_b64 v[62:63], v[44:45] offset:768
	flat_load_b64 v[76:77], v[50:51] offset:768
	flat_load_b64 v[78:79], v[54:55] offset:768
	s_wait_loadcnt_dscnt 0x303
	v_fmac_f64_e32 v[18:19], v[24:25], v[60:61]
	s_wait_loadcnt_dscnt 0x202
	s_delay_alu instid0(VALU_DEP_1) | instskip(SKIP_1) | instid1(VALU_DEP_1)
	v_fmac_f64_e32 v[18:19], v[26:27], v[62:63]
	s_wait_loadcnt_dscnt 0x101
	v_fmac_f64_e32 v[18:19], v[28:29], v[76:77]
	s_wait_loadcnt_dscnt 0x0
	s_delay_alu instid0(VALU_DEP_1)
	v_fmac_f64_e32 v[18:19], v[30:31], v[78:79]
.LBB250_43:                             ;   in Loop: Header=BB250_4 Depth=1
	s_wait_xcnt 0x0
	s_or_b32 exec_lo, exec_lo, s44
	s_wait_loadcnt_dscnt 0x303
	v_fmac_f64_e32 v[16:17], v[24:25], v[58:59]
	s_wait_loadcnt_dscnt 0x202
	s_delay_alu instid0(VALU_DEP_1) | instskip(SKIP_1) | instid1(VALU_DEP_1)
	v_fmac_f64_e32 v[16:17], v[26:27], v[56:57]
	s_wait_loadcnt_dscnt 0x101
	v_fmac_f64_e32 v[16:17], v[28:29], v[52:53]
	s_wait_loadcnt_dscnt 0x0
	s_delay_alu instid0(VALU_DEP_1)
	v_fmac_f64_e32 v[16:17], v[30:31], v[48:49]
.LBB250_44:                             ;   in Loop: Header=BB250_4 Depth=1
	s_or_b32 exec_lo, exec_lo, s43
	s_wait_loadcnt_dscnt 0x303
	v_fmac_f64_e32 v[14:15], v[24:25], v[42:43]
	s_wait_loadcnt_dscnt 0x202
	s_delay_alu instid0(VALU_DEP_1) | instskip(SKIP_1) | instid1(VALU_DEP_1)
	v_fmac_f64_e32 v[14:15], v[26:27], v[40:41]
	s_wait_loadcnt_dscnt 0x101
	v_fmac_f64_e32 v[14:15], v[28:29], v[38:39]
	s_wait_loadcnt_dscnt 0x0
	s_delay_alu instid0(VALU_DEP_1)
	v_fmac_f64_e32 v[14:15], v[30:31], v[20:21]
.LBB250_45:                             ;   in Loop: Header=BB250_4 Depth=1
	s_or_b32 exec_lo, exec_lo, s42
	s_wait_loadcnt_dscnt 0x303
	v_fmac_f64_e32 v[12:13], v[24:25], v[36:37]
	s_wait_loadcnt_dscnt 0x202
	s_delay_alu instid0(VALU_DEP_1) | instskip(SKIP_1) | instid1(VALU_DEP_1)
	v_fmac_f64_e32 v[12:13], v[26:27], v[34:35]
	s_wait_loadcnt_dscnt 0x101
	v_fmac_f64_e32 v[12:13], v[28:29], v[32:33]
	s_wait_loadcnt_dscnt 0x0
	s_delay_alu instid0(VALU_DEP_1)
	v_fmac_f64_e32 v[12:13], v[30:31], v[22:23]
.LBB250_46:                             ;   in Loop: Header=BB250_4 Depth=1
	s_or_b32 exec_lo, exec_lo, s7
.LBB250_47:                             ;   in Loop: Header=BB250_4 Depth=1
	ds_store_2addr_b64 v0, v[12:13], v[14:15] offset1:32
	ds_store_2addr_b64 v0, v[16:17], v[18:19] offset0:64 offset1:96
	s_wait_loadcnt_dscnt 0x0
	s_barrier_signal -1
	s_barrier_wait -1
                                        ; implicit-def: $vgpr12_vgpr13
	s_and_saveexec_b32 s7, s5
	s_cbranch_execz .LBB250_53
; %bb.48:                               ;   in Loop: Header=BB250_4 Depth=1
	ds_load_2addr_stride64_b64 v[12:15], v66 offset1:2
	s_mov_b32 s43, s8
	s_wait_dscnt 0x0
	v_add_f64_e32 v[16:17], v[12:13], v[14:15]
	ds_load_2addr_stride64_b64 v[12:15], v66 offset0:4 offset1:6
	s_wait_dscnt 0x0
	v_add_f64_e32 v[12:13], v[12:13], v[16:17]
	s_delay_alu instid0(VALU_DEP_1) | instskip(SKIP_3) | instid1(VALU_DEP_1)
	v_add_f64_e32 v[16:17], v[14:15], v[12:13]
	ds_load_2addr_stride64_b64 v[12:15], v66 offset0:8 offset1:10
	s_wait_dscnt 0x0
	v_add_f64_e32 v[12:13], v[12:13], v[16:17]
	v_add_f64_e32 v[16:17], v[14:15], v[12:13]
	ds_load_2addr_stride64_b64 v[12:15], v66 offset0:12 offset1:14
	s_wait_dscnt 0x0
	v_add_f64_e32 v[12:13], v[12:13], v[16:17]
	s_delay_alu instid0(VALU_DEP_1) | instskip(SKIP_3) | instid1(VALU_DEP_1)
	v_add_f64_e32 v[16:17], v[14:15], v[12:13]
	ds_load_2addr_stride64_b64 v[12:15], v66 offset0:16 offset1:18
	s_wait_dscnt 0x0
	v_add_f64_e32 v[12:13], v[12:13], v[16:17]
	v_add_f64_e32 v[16:17], v[14:15], v[12:13]
	ds_load_2addr_stride64_b64 v[12:15], v66 offset0:20 offset1:22
	s_wait_dscnt 0x0
	v_add_f64_e32 v[12:13], v[12:13], v[16:17]
	s_delay_alu instid0(VALU_DEP_1) | instskip(SKIP_3) | instid1(VALU_DEP_1)
	v_add_f64_e32 v[16:17], v[14:15], v[12:13]
	ds_load_2addr_stride64_b64 v[12:15], v66 offset0:24 offset1:26
	s_wait_dscnt 0x0
	v_add_f64_e32 v[12:13], v[12:13], v[16:17]
	v_add_f64_e32 v[16:17], v[14:15], v[12:13]
	ds_load_2addr_stride64_b64 v[12:15], v66 offset0:28 offset1:30
	s_wait_dscnt 0x0
	v_add_f64_e32 v[12:13], v[12:13], v[16:17]
	s_delay_alu instid0(VALU_DEP_1)
	v_add_f64_e32 v[14:15], v[14:15], v[12:13]
                                        ; implicit-def: $vgpr12_vgpr13
	ds_store_b64 v66, v[14:15]
	s_and_saveexec_b32 s42, s6
	s_cbranch_execz .LBB250_52
; %bb.49:                               ;   in Loop: Header=BB250_4 Depth=1
	v_cmp_eq_f64_e32 vcc_lo, 0, v[6:7]
	v_mul_f64_e32 v[12:13], v[10:11], v[14:15]
	s_cbranch_vccnz .LBB250_51
; %bb.50:                               ;   in Loop: Header=BB250_4 Depth=1
	v_lshl_add_u64 v[10:11], v[4:5], 3, v[8:9]
	flat_load_b64 v[10:11], v[10:11]
	s_wait_loadcnt_dscnt 0x0
	v_fmac_f64_e32 v[12:13], v[6:7], v[10:11]
.LBB250_51:                             ;   in Loop: Header=BB250_4 Depth=1
	s_or_b32 s43, s8, exec_lo
.LBB250_52:                             ;   in Loop: Header=BB250_4 Depth=1
	s_wait_xcnt 0x0
	s_or_b32 exec_lo, exec_lo, s42
	s_delay_alu instid0(SALU_CYCLE_1) | instskip(SKIP_1) | instid1(SALU_CYCLE_1)
	s_and_not1_b32 s8, s8, exec_lo
	s_and_b32 s42, s43, exec_lo
	s_or_b32 s8, s8, s42
.LBB250_53:                             ;   in Loop: Header=BB250_4 Depth=1
	s_or_b32 exec_lo, exec_lo, s7
	v_mov_b64_e32 v[6:7], v[4:5]
	s_and_saveexec_b32 s7, s8
	s_cbranch_execz .LBB250_2
.LBB250_54:                             ;   in Loop: Header=BB250_4 Depth=1
	s_delay_alu instid0(VALU_DEP_1)
	v_lshl_add_u64 v[6:7], v[6:7], 3, v[8:9]
	flat_store_b64 v[6:7], v[12:13]
	s_branch .LBB250_2
.LBB250_55:
	s_sendmsg sendmsg(MSG_DEALLOC_VGPRS)
	s_endpgm
	.section	.rodata,"a",@progbits
	.p2align	6, 0x0
	.amdhsa_kernel _ZL20rocblas_gemvn_kernelILi32ELi16EiPKdS1_KPdEviiT3_lPKT2_lT1_lS7_lS8_lS4_lPT4_lS8_li
		.amdhsa_group_segment_fixed_size 16384
		.amdhsa_private_segment_fixed_size 0
		.amdhsa_kernarg_size 400
		.amdhsa_user_sgpr_count 2
		.amdhsa_user_sgpr_dispatch_ptr 0
		.amdhsa_user_sgpr_queue_ptr 0
		.amdhsa_user_sgpr_kernarg_segment_ptr 1
		.amdhsa_user_sgpr_dispatch_id 0
		.amdhsa_user_sgpr_kernarg_preload_length 0
		.amdhsa_user_sgpr_kernarg_preload_offset 0
		.amdhsa_user_sgpr_private_segment_size 0
		.amdhsa_wavefront_size32 1
		.amdhsa_uses_dynamic_stack 0
		.amdhsa_enable_private_segment 0
		.amdhsa_system_sgpr_workgroup_id_x 1
		.amdhsa_system_sgpr_workgroup_id_y 0
		.amdhsa_system_sgpr_workgroup_id_z 1
		.amdhsa_system_sgpr_workgroup_info 0
		.amdhsa_system_vgpr_workitem_id 1
		.amdhsa_next_free_vgpr 88
		.amdhsa_next_free_sgpr 50
		.amdhsa_named_barrier_count 0
		.amdhsa_reserve_vcc 1
		.amdhsa_float_round_mode_32 0
		.amdhsa_float_round_mode_16_64 0
		.amdhsa_float_denorm_mode_32 3
		.amdhsa_float_denorm_mode_16_64 3
		.amdhsa_fp16_overflow 0
		.amdhsa_memory_ordered 1
		.amdhsa_forward_progress 1
		.amdhsa_inst_pref_size 24
		.amdhsa_round_robin_scheduling 0
		.amdhsa_exception_fp_ieee_invalid_op 0
		.amdhsa_exception_fp_denorm_src 0
		.amdhsa_exception_fp_ieee_div_zero 0
		.amdhsa_exception_fp_ieee_overflow 0
		.amdhsa_exception_fp_ieee_underflow 0
		.amdhsa_exception_fp_ieee_inexact 0
		.amdhsa_exception_int_div_zero 0
	.end_amdhsa_kernel
	.section	.text._ZL20rocblas_gemvn_kernelILi32ELi16EiPKdS1_KPdEviiT3_lPKT2_lT1_lS7_lS8_lS4_lPT4_lS8_li,"axG",@progbits,_ZL20rocblas_gemvn_kernelILi32ELi16EiPKdS1_KPdEviiT3_lPKT2_lT1_lS7_lS8_lS4_lPT4_lS8_li,comdat
.Lfunc_end250:
	.size	_ZL20rocblas_gemvn_kernelILi32ELi16EiPKdS1_KPdEviiT3_lPKT2_lT1_lS7_lS8_lS4_lPT4_lS8_li, .Lfunc_end250-_ZL20rocblas_gemvn_kernelILi32ELi16EiPKdS1_KPdEviiT3_lPKT2_lT1_lS7_lS8_lS4_lPT4_lS8_li
                                        ; -- End function
	.set _ZL20rocblas_gemvn_kernelILi32ELi16EiPKdS1_KPdEviiT3_lPKT2_lT1_lS7_lS8_lS4_lPT4_lS8_li.num_vgpr, 88
	.set _ZL20rocblas_gemvn_kernelILi32ELi16EiPKdS1_KPdEviiT3_lPKT2_lT1_lS7_lS8_lS4_lPT4_lS8_li.num_agpr, 0
	.set _ZL20rocblas_gemvn_kernelILi32ELi16EiPKdS1_KPdEviiT3_lPKT2_lT1_lS7_lS8_lS4_lPT4_lS8_li.numbered_sgpr, 50
	.set _ZL20rocblas_gemvn_kernelILi32ELi16EiPKdS1_KPdEviiT3_lPKT2_lT1_lS7_lS8_lS4_lPT4_lS8_li.num_named_barrier, 0
	.set _ZL20rocblas_gemvn_kernelILi32ELi16EiPKdS1_KPdEviiT3_lPKT2_lT1_lS7_lS8_lS4_lPT4_lS8_li.private_seg_size, 0
	.set _ZL20rocblas_gemvn_kernelILi32ELi16EiPKdS1_KPdEviiT3_lPKT2_lT1_lS7_lS8_lS4_lPT4_lS8_li.uses_vcc, 1
	.set _ZL20rocblas_gemvn_kernelILi32ELi16EiPKdS1_KPdEviiT3_lPKT2_lT1_lS7_lS8_lS4_lPT4_lS8_li.uses_flat_scratch, 1
	.set _ZL20rocblas_gemvn_kernelILi32ELi16EiPKdS1_KPdEviiT3_lPKT2_lT1_lS7_lS8_lS4_lPT4_lS8_li.has_dyn_sized_stack, 0
	.set _ZL20rocblas_gemvn_kernelILi32ELi16EiPKdS1_KPdEviiT3_lPKT2_lT1_lS7_lS8_lS4_lPT4_lS8_li.has_recursion, 0
	.set _ZL20rocblas_gemvn_kernelILi32ELi16EiPKdS1_KPdEviiT3_lPKT2_lT1_lS7_lS8_lS4_lPT4_lS8_li.has_indirect_call, 0
	.section	.AMDGPU.csdata,"",@progbits
; Kernel info:
; codeLenInByte = 2968
; TotalNumSgprs: 52
; NumVgprs: 88
; ScratchSize: 0
; MemoryBound: 0
; FloatMode: 240
; IeeeMode: 1
; LDSByteSize: 16384 bytes/workgroup (compile time only)
; SGPRBlocks: 0
; VGPRBlocks: 5
; NumSGPRsForWavesPerEU: 52
; NumVGPRsForWavesPerEU: 88
; NamedBarCnt: 0
; Occupancy: 10
; WaveLimiterHint : 1
; COMPUTE_PGM_RSRC2:SCRATCH_EN: 0
; COMPUTE_PGM_RSRC2:USER_SGPR: 2
; COMPUTE_PGM_RSRC2:TRAP_HANDLER: 0
; COMPUTE_PGM_RSRC2:TGID_X_EN: 1
; COMPUTE_PGM_RSRC2:TGID_Y_EN: 0
; COMPUTE_PGM_RSRC2:TGID_Z_EN: 1
; COMPUTE_PGM_RSRC2:TIDIG_COMP_CNT: 1
	.section	.text._ZL20rocblas_gemvn_kernelILi32ELi16ElPKdS1_KPdEviiT3_lPKT2_lT1_lS7_lS8_lS4_lPT4_lS8_li,"axG",@progbits,_ZL20rocblas_gemvn_kernelILi32ELi16ElPKdS1_KPdEviiT3_lPKT2_lT1_lS7_lS8_lS4_lPT4_lS8_li,comdat
	.globl	_ZL20rocblas_gemvn_kernelILi32ELi16ElPKdS1_KPdEviiT3_lPKT2_lT1_lS7_lS8_lS4_lPT4_lS8_li ; -- Begin function _ZL20rocblas_gemvn_kernelILi32ELi16ElPKdS1_KPdEviiT3_lPKT2_lT1_lS7_lS8_lS4_lPT4_lS8_li
	.p2align	8
	.type	_ZL20rocblas_gemvn_kernelILi32ELi16ElPKdS1_KPdEviiT3_lPKT2_lT1_lS7_lS8_lS4_lPT4_lS8_li,@function
_ZL20rocblas_gemvn_kernelILi32ELi16ElPKdS1_KPdEviiT3_lPKT2_lT1_lS7_lS8_lS4_lPT4_lS8_li: ; @_ZL20rocblas_gemvn_kernelILi32ELi16ElPKdS1_KPdEviiT3_lPKT2_lT1_lS7_lS8_lS4_lPT4_lS8_li
; %bb.0:
	s_clause 0x1
	s_load_b64 s[4:5], s[0:1], 0x9c
	s_load_b32 s33, s[0:1], 0x88
	s_bfe_u32 s2, ttmp6, 0x40014
	s_lshr_b32 s3, ttmp7, 16
	s_add_co_i32 s2, s2, 1
	s_bfe_u32 s6, ttmp6, 0x40008
	s_mul_i32 s7, s3, s2
	s_getreg_b32 s2, hwreg(HW_REG_IB_STS2, 6, 4)
	s_add_co_i32 s6, s6, s7
	s_mov_b32 s11, 0
	s_wait_kmcnt 0x0
	s_lshr_b32 s7, s4, 16
	s_and_b32 s4, s4, 0xffff
	s_and_b32 s5, s5, 0xffff
	s_mul_i32 s4, s7, s4
	s_cmp_eq_u32 s2, 0
	s_mul_i32 s4, s4, s5
	s_cselect_b32 s10, s3, s6
	s_cmp_lg_u32 s4, 0x200
	s_cselect_b32 s3, -1, 0
	s_cmp_ge_u32 s10, s33
	s_cselect_b32 s4, -1, 0
	s_delay_alu instid0(SALU_CYCLE_1) | instskip(NEXT) | instid1(SALU_CYCLE_1)
	s_or_b32 s3, s3, s4
	s_and_b32 vcc_lo, exec_lo, s3
	s_cbranch_vccnz .LBB251_55
; %bb.1:
	s_clause 0x2
	s_load_b64 s[34:35], s[0:1], 0x0
	s_load_b64 s[36:37], s[0:1], 0x28
	;; [unrolled: 1-line block ×3, first 2 shown]
	s_bfe_u32 s3, ttmp6, 0x4000c
	v_and_b32_e32 v28, 0x3ff, v0
	s_add_co_i32 s3, s3, 1
	v_bfe_u32 v6, v0, 10, 10
	s_clause 0x1
	s_load_b64 s[38:39], s[0:1], 0x48
	s_load_b128 s[28:31], s[0:1], 0x38
	s_and_b32 s6, ttmp6, 15
	s_mul_i32 s3, ttmp9, s3
	v_lshl_add_u32 v29, v6, 5, v28
	s_add_co_i32 s6, s6, s3
	s_cmp_eq_u32 s2, 0
	s_load_b256 s[12:19], s[0:1], 0x8
	s_cselect_b32 s2, ttmp9, s6
	s_load_b256 s[20:27], s[0:1], 0x58
	s_lshl_b32 s6, s2, 7
	s_delay_alu instid0(SALU_CYCLE_1)
	v_dual_mov_b32 v1, 0 :: v_dual_add_nc_u32 v0, s6, v29
	v_lshlrev_b32_e32 v92, 2, v6
	s_wait_kmcnt 0x0
	s_ashr_i32 s3, s34, 31
	s_mov_b32 s2, s34
	v_mov_b32_e32 v7, v1
	v_cmp_gt_i64_e32 vcc_lo, s[2:3], v[0:1]
	v_mul_u64_e32 v[2:3], s[4:5], v[0:1]
	v_dual_add_nc_u32 v14, s6, v28 :: v_dual_bitop2_b32 v16, s6, v29 bitop3:0x54
	v_or_b32_e32 v0, 3, v92
	v_mul_u64_e32 v[8:9], s[38:39], v[6:7]
	v_mul_u64_e32 v[18:19], s[36:37], v[6:7]
	s_delay_alu instid0(VALU_DEP_4) | instskip(NEXT) | instid1(VALU_DEP_4)
	v_dual_ashrrev_i32 v15, 31, v14 :: v_dual_ashrrev_i32 v17, 31, v16
	v_mul_u64_e32 v[10:11], s[36:37], v[0:1]
	v_mul_u64_e32 v[12:13], s[38:39], v[0:1]
	v_or_b32_e32 v0, 2, v92
	v_mad_nc_u64_u32 v[24:25], s38, v92, s[38:39]
	v_mul_u64_e32 v[4:5], s[4:5], v[16:17]
	v_mad_nc_u64_u32 v[26:27], s36, v92, s[36:37]
	s_ashr_i32 s2, s35, 31
	v_mul_u64_e32 v[20:21], s[36:37], v[0:1]
	v_mul_u64_e32 v[22:23], s[38:39], v[0:1]
	v_add_nc_u32_e32 v0, 32, v14
	s_lshr_b32 s2, s2, 26
	v_add_nc_u32_e32 v7, 0x60, v14
	s_add_co_i32 s44, s35, s2
	v_lshlrev_b32_e32 v17, 3, v28
	v_mad_u32 v25, s39, v92, v25
	v_cmp_gt_i32_e64 s2, s34, v0
	v_mad_u32 v27, s37, v92, v27
	v_add_nc_u32_e32 v0, 64, v14
	s_and_not1_b32 s44, s44, 63
	v_cmp_gt_i32_e64 s1, s34, v14
	s_sub_co_i32 s6, s35, s44
	v_cmp_gt_i32_e64 s4, s34, v7
	s_cmp_gt_i32 s6, 0
	v_lshl_add_u32 v93, v6, 10, v17
	v_cmp_gt_u32_e64 s5, 0x80, v29
	v_lshl_add_u32 v94, v6, 8, v17
	v_cmp_gt_i32_e64 s6, s34, v16
	v_cmp_gt_i32_e64 s0, s44, v92
	v_lshlrev_b64_e32 v[6:7], 5, v[8:9]
	v_lshlrev_b64_e32 v[8:9], 3, v[14:15]
	;; [unrolled: 1-line block ×3, first 2 shown]
	v_cmp_gt_i32_e64 s3, s34, v0
	v_lshlrev_b64_e32 v[10:11], 3, v[10:11]
	v_lshlrev_b64_e32 v[12:13], 3, v[12:13]
	s_cselect_b32 s45, -1, 0
	s_and_b32 s34, s5, vcc_lo
	s_lshl_b64 s[40:41], s[38:39], 9
	s_lshl_b64 s[42:43], s[36:37], 9
	;; [unrolled: 1-line block ×3, first 2 shown]
	v_lshlrev_b64_e32 v[16:17], 3, v[20:21]
	v_lshlrev_b64_e32 v[18:19], 3, v[22:23]
	;; [unrolled: 1-line block ×4, first 2 shown]
	s_lshl_b64 s[30:31], s[30:31], 3
	s_lshl_b64 s[26:27], s[26:27], 3
	s_branch .LBB251_4
.LBB251_2:                              ;   in Loop: Header=BB251_4 Depth=1
	s_wait_xcnt 0x0
	s_or_b32 exec_lo, exec_lo, s7
.LBB251_3:                              ;   in Loop: Header=BB251_4 Depth=1
	s_add_co_i32 s10, s10, 0x10000
	s_delay_alu instid0(SALU_CYCLE_1)
	s_cmp_lt_u32 s10, s33
	s_cbranch_scc0 .LBB251_55
.LBB251_4:                              ; =>This Loop Header: Depth=1
                                        ;     Child Loop BB251_21 Depth 2
	s_mul_u64 s[8:9], s[14:15], s[10:11]
	s_wait_xcnt 0x0
	s_mul_u64 s[46:47], s[22:23], s[10:11]
	s_lshl_b64 s[8:9], s[8:9], 3
	s_lshl_b64 s[46:47], s[46:47], 3
	s_add_nc_u64 s[8:9], s[12:13], s[8:9]
	s_add_nc_u64 s[46:47], s[20:21], s[46:47]
	s_clause 0x1
	global_load_b64 v[28:29], v1, s[8:9]
	global_load_b64 v[24:25], v1, s[46:47]
	s_wait_loadcnt 0x1
	v_cmp_eq_f64_e64 s7, 0, v[28:29]
	s_wait_loadcnt 0x0
	v_cmp_eq_f64_e32 vcc_lo, 1.0, v[24:25]
	s_wait_xcnt 0x1
	s_and_b32 s8, s7, vcc_lo
	s_delay_alu instid0(SALU_CYCLE_1)
	s_and_b32 vcc_lo, exec_lo, s8
	s_cbranch_vccnz .LBB251_3
; %bb.5:                                ;   in Loop: Header=BB251_4 Depth=1
	v_cmp_neq_f64_e64 s8, 0, v[28:29]
	v_mov_b64_e32 v[40:41], 0
	v_mov_b64_e32 v[38:39], 0
	s_and_b32 vcc_lo, exec_lo, s7
	s_cbranch_vccnz .LBB251_7
; %bb.6:                                ;   in Loop: Header=BB251_4 Depth=1
	s_wait_xcnt 0x0
	s_lshl_b64 s[46:47], s[10:11], 3
	s_delay_alu instid0(SALU_CYCLE_1)
	s_add_nc_u64 s[46:47], s[16:17], s[46:47]
	global_load_b64 v[26:27], v1, s[46:47]
	s_wait_loadcnt 0x0
	v_add_nc_u64_e32 v[38:39], s[18:19], v[26:27]
.LBB251_7:                              ;   in Loop: Header=BB251_4 Depth=1
	s_and_not1_b32 vcc_lo, exec_lo, s8
	s_cbranch_vccnz .LBB251_9
; %bb.8:                                ;   in Loop: Header=BB251_4 Depth=1
	s_lshl_b64 s[8:9], s[10:11], 3
	s_delay_alu instid0(SALU_CYCLE_1)
	s_add_nc_u64 s[8:9], s[28:29], s[8:9]
	global_load_b64 v[26:27], v1, s[8:9]
	s_wait_loadcnt 0x0
	v_add_nc_u64_e32 v[40:41], s[30:31], v[26:27]
.LBB251_9:                              ;   in Loop: Header=BB251_4 Depth=1
	s_wait_xcnt 0x0
	s_lshl_b64 s[8:9], s[10:11], 3
	s_and_not1_b32 vcc_lo, exec_lo, s7
	s_add_nc_u64 s[8:9], s[24:25], s[8:9]
	global_load_b64 v[26:27], v1, s[8:9]
	s_wait_loadcnt 0x0
	v_add_nc_u64_e32 v[26:27], s[26:27], v[26:27]
	s_cbranch_vccnz .LBB251_14
; %bb.10:                               ;   in Loop: Header=BB251_4 Depth=1
	s_mov_b32 s7, 0
	s_mov_b32 s46, 0
                                        ; implicit-def: $vgpr30_vgpr31
	s_wait_xcnt 0x0
	s_and_saveexec_b32 s8, s34
	s_cbranch_execz .LBB251_26
; %bb.11:                               ;   in Loop: Header=BB251_4 Depth=1
	v_cmp_eq_f64_e32 vcc_lo, 0, v[24:25]
	v_mov_b64_e32 v[30:31], 0
	s_cbranch_vccnz .LBB251_13
; %bb.12:                               ;   in Loop: Header=BB251_4 Depth=1
	v_lshl_add_u64 v[30:31], v[2:3], 3, v[26:27]
	flat_load_b64 v[30:31], v[30:31]
	s_wait_loadcnt_dscnt 0x0
	s_wait_xcnt 0x0
	v_mul_f64_e32 v[30:31], v[24:25], v[30:31]
.LBB251_13:                             ;   in Loop: Header=BB251_4 Depth=1
	s_mov_b32 s46, exec_lo
	s_or_b32 exec_lo, exec_lo, s8
	s_delay_alu instid0(SALU_CYCLE_1)
	s_and_b32 vcc_lo, exec_lo, s7
	s_cbranch_vccnz .LBB251_15
	s_branch .LBB251_27
.LBB251_14:                             ;   in Loop: Header=BB251_4 Depth=1
	s_mov_b32 s46, 0
                                        ; implicit-def: $vgpr30_vgpr31
	s_cbranch_execz .LBB251_27
.LBB251_15:                             ;   in Loop: Header=BB251_4 Depth=1
	v_mov_b64_e32 v[30:31], 0
	v_mov_b64_e32 v[32:33], 0
	;; [unrolled: 1-line block ×4, first 2 shown]
	v_mov_b32_e32 v0, v92
	s_wait_xcnt 0x0
	s_and_saveexec_b32 s7, s0
	s_cbranch_execz .LBB251_29
; %bb.16:                               ;   in Loop: Header=BB251_4 Depth=1
	v_add_nc_u64_e32 v[42:43], v[38:39], v[10:11]
	v_add_nc_u64_e32 v[44:45], v[38:39], v[14:15]
	;; [unrolled: 1-line block ×4, first 2 shown]
	v_mov_b64_e32 v[30:31], 0
	v_mov_b64_e32 v[32:33], 0
	;; [unrolled: 1-line block ×5, first 2 shown]
	v_mov_b32_e32 v0, v92
	s_mov_b32 s8, 0
	s_branch .LBB251_21
.LBB251_17:                             ;   in Loop: Header=BB251_21 Depth=2
	s_wait_xcnt 0x0
	s_or_b32 exec_lo, exec_lo, s49
	s_wait_loadcnt_dscnt 0x303
	v_fmac_f64_e32 v[34:35], v[58:59], v[90:91]
	s_wait_loadcnt_dscnt 0x202
	s_delay_alu instid0(VALU_DEP_1) | instskip(SKIP_1) | instid1(VALU_DEP_1)
	v_fmac_f64_e32 v[34:35], v[56:57], v[88:89]
	s_wait_loadcnt_dscnt 0x101
	v_fmac_f64_e32 v[34:35], v[54:55], v[86:87]
	s_wait_loadcnt_dscnt 0x0
	s_delay_alu instid0(VALU_DEP_1)
	v_fmac_f64_e32 v[34:35], v[52:53], v[84:85]
.LBB251_18:                             ;   in Loop: Header=BB251_21 Depth=2
	s_or_b32 exec_lo, exec_lo, s48
	s_wait_loadcnt_dscnt 0x303
	v_fmac_f64_e32 v[32:33], v[58:59], v[76:77]
	s_wait_loadcnt_dscnt 0x202
	s_delay_alu instid0(VALU_DEP_1) | instskip(SKIP_1) | instid1(VALU_DEP_1)
	v_fmac_f64_e32 v[32:33], v[56:57], v[74:75]
	s_wait_loadcnt_dscnt 0x101
	v_fmac_f64_e32 v[32:33], v[54:55], v[72:73]
	s_wait_loadcnt_dscnt 0x0
	s_delay_alu instid0(VALU_DEP_1)
	v_fmac_f64_e32 v[32:33], v[52:53], v[68:69]
.LBB251_19:                             ;   in Loop: Header=BB251_21 Depth=2
	s_or_b32 exec_lo, exec_lo, s47
	s_wait_loadcnt_dscnt 0x303
	v_fmac_f64_e32 v[30:31], v[58:59], v[66:67]
	s_wait_loadcnt_dscnt 0x202
	s_delay_alu instid0(VALU_DEP_1) | instskip(SKIP_1) | instid1(VALU_DEP_1)
	v_fmac_f64_e32 v[30:31], v[56:57], v[64:65]
	s_wait_loadcnt_dscnt 0x101
	v_fmac_f64_e32 v[30:31], v[54:55], v[62:63]
	s_wait_loadcnt_dscnt 0x0
	s_delay_alu instid0(VALU_DEP_1)
	v_fmac_f64_e32 v[30:31], v[52:53], v[60:61]
.LBB251_20:                             ;   in Loop: Header=BB251_21 Depth=2
	s_or_b32 exec_lo, exec_lo, s9
	v_add_nc_u32_e32 v0, 64, v0
	v_add_nc_u64_e32 v[50:51], s[40:41], v[50:51]
	v_add_nc_u64_e32 v[42:43], s[42:43], v[42:43]
	;; [unrolled: 1-line block ×4, first 2 shown]
	v_cmp_le_i32_e32 vcc_lo, s44, v0
	v_add_nc_u64_e32 v[48:49], s[42:43], v[48:49]
	s_or_b32 s8, vcc_lo, s8
	s_delay_alu instid0(SALU_CYCLE_1)
	s_and_not1_b32 exec_lo, exec_lo, s8
	s_cbranch_execz .LBB251_28
.LBB251_21:                             ;   Parent Loop BB251_4 Depth=1
                                        ; =>  This Inner Loop Header: Depth=2
	s_and_saveexec_b32 s9, s1
	s_cbranch_execz .LBB251_20
; %bb.22:                               ;   in Loop: Header=BB251_21 Depth=2
	s_delay_alu instid0(VALU_DEP_2)
	v_add_nc_u64_e32 v[68:69], v[50:51], v[6:7]
	v_add_nc_u64_e32 v[72:73], v[50:51], v[20:21]
	;; [unrolled: 1-line block ×8, first 2 shown]
	s_clause 0x3
	flat_load_b64 v[58:59], v[68:69]
	flat_load_b64 v[56:57], v[72:73]
	;; [unrolled: 1-line block ×8, first 2 shown]
	s_wait_xcnt 0x0
	s_and_saveexec_b32 s47, s2
	s_cbranch_execz .LBB251_19
; %bb.23:                               ;   in Loop: Header=BB251_21 Depth=2
	flat_load_b64 v[76:77], v[70:71] offset:256
	flat_load_b64 v[74:75], v[78:79] offset:256
	flat_load_b64 v[72:73], v[80:81] offset:256
	flat_load_b64 v[68:69], v[82:83] offset:256
	s_wait_xcnt 0x0
	s_and_saveexec_b32 s48, s3
	s_cbranch_execz .LBB251_18
; %bb.24:                               ;   in Loop: Header=BB251_21 Depth=2
	flat_load_b64 v[90:91], v[70:71] offset:512
	flat_load_b64 v[88:89], v[78:79] offset:512
	flat_load_b64 v[86:87], v[80:81] offset:512
	flat_load_b64 v[84:85], v[82:83] offset:512
	;; [unrolled: 8-line block ×3, first 2 shown]
	s_wait_loadcnt_dscnt 0x303
	v_fmac_f64_e32 v[36:37], v[58:59], v[96:97]
	s_wait_loadcnt_dscnt 0x202
	s_delay_alu instid0(VALU_DEP_1) | instskip(SKIP_1) | instid1(VALU_DEP_1)
	v_fmac_f64_e32 v[36:37], v[56:57], v[98:99]
	s_wait_loadcnt_dscnt 0x101
	v_fmac_f64_e32 v[36:37], v[54:55], v[100:101]
	s_wait_loadcnt_dscnt 0x0
	s_delay_alu instid0(VALU_DEP_1)
	v_fmac_f64_e32 v[36:37], v[52:53], v[102:103]
	s_branch .LBB251_17
.LBB251_26:                             ;   in Loop: Header=BB251_4 Depth=1
	s_or_b32 exec_lo, exec_lo, s8
	s_delay_alu instid0(SALU_CYCLE_1)
	s_and_b32 vcc_lo, exec_lo, s7
	s_cbranch_vccnz .LBB251_15
.LBB251_27:                             ;   in Loop: Header=BB251_4 Depth=1
	v_mov_b64_e32 v[24:25], v[2:3]
	s_wait_xcnt 0x0
	s_and_saveexec_b32 s7, s46
	s_cbranch_execz .LBB251_2
	s_branch .LBB251_54
.LBB251_28:                             ;   in Loop: Header=BB251_4 Depth=1
	s_or_b32 exec_lo, exec_lo, s8
.LBB251_29:                             ;   in Loop: Header=BB251_4 Depth=1
	s_delay_alu instid0(SALU_CYCLE_1) | instskip(NEXT) | instid1(SALU_CYCLE_1)
	s_or_b32 exec_lo, exec_lo, s7
	s_and_not1_b32 vcc_lo, exec_lo, s45
	s_cbranch_vccnz .LBB251_47
; %bb.30:                               ;   in Loop: Header=BB251_4 Depth=1
	v_mov_b64_e32 v[48:49], 0
	v_mov_b64_e32 v[46:47], 0
	v_mov_b64_e32 v[44:45], 0
	v_mov_b64_e32 v[42:43], 0
	v_cmp_gt_i32_e32 vcc_lo, s35, v0
	v_or_b32_e32 v50, 1, v0
	s_and_saveexec_b32 s8, vcc_lo
	s_cbranch_execz .LBB251_38
; %bb.31:                               ;   in Loop: Header=BB251_4 Depth=1
	v_mul_u64_e32 v[42:43], s[38:39], v[0:1]
	v_mov_b64_e32 v[44:45], 0
	v_mov_b64_e32 v[46:47], 0
	;; [unrolled: 1-line block ×3, first 2 shown]
	s_mov_b32 s9, exec_lo
	s_delay_alu instid0(VALU_DEP_4)
	v_lshl_add_u64 v[42:43], v[42:43], 3, v[40:41]
	flat_load_b64 v[42:43], v[42:43]
	s_wait_xcnt 0x0
	v_cmpx_gt_i32_e64 s35, v50
	s_cbranch_execz .LBB251_37
; %bb.32:                               ;   in Loop: Header=BB251_4 Depth=1
	v_dual_mov_b32 v51, v1 :: v_dual_bitop2_b32 v52, 2, v0 bitop3:0x54
	v_mov_b64_e32 v[46:47], 0
	v_mov_b64_e32 v[48:49], 0
	s_mov_b32 s47, exec_lo
	s_delay_alu instid0(VALU_DEP_3) | instskip(NEXT) | instid1(VALU_DEP_1)
	v_mul_u64_e32 v[44:45], s[38:39], v[50:51]
	v_lshl_add_u64 v[44:45], v[44:45], 3, v[40:41]
	flat_load_b64 v[44:45], v[44:45]
	s_wait_xcnt 0x0
	v_cmpx_gt_i32_e64 s35, v52
	s_cbranch_execz .LBB251_36
; %bb.33:                               ;   in Loop: Header=BB251_4 Depth=1
	v_mov_b32_e32 v53, v1
	v_mov_b64_e32 v[48:49], 0
	s_mov_b32 s48, exec_lo
	s_delay_alu instid0(VALU_DEP_2) | instskip(SKIP_1) | instid1(VALU_DEP_2)
	v_mul_u64_e32 v[46:47], s[38:39], v[52:53]
	v_or_b32_e32 v52, 3, v0
	v_lshl_add_u64 v[46:47], v[46:47], 3, v[40:41]
	flat_load_b64 v[46:47], v[46:47]
	s_wait_xcnt 0x0
	v_cmpx_gt_i32_e64 s35, v52
	s_cbranch_execz .LBB251_35
; %bb.34:                               ;   in Loop: Header=BB251_4 Depth=1
	v_mov_b32_e32 v53, v1
	s_delay_alu instid0(VALU_DEP_1) | instskip(NEXT) | instid1(VALU_DEP_1)
	v_mul_u64_e32 v[48:49], s[38:39], v[52:53]
	v_lshl_add_u64 v[40:41], v[48:49], 3, v[40:41]
	flat_load_b64 v[48:49], v[40:41]
.LBB251_35:                             ;   in Loop: Header=BB251_4 Depth=1
	s_wait_xcnt 0x0
	s_or_b32 exec_lo, exec_lo, s48
.LBB251_36:                             ;   in Loop: Header=BB251_4 Depth=1
	s_delay_alu instid0(SALU_CYCLE_1)
	s_or_b32 exec_lo, exec_lo, s47
.LBB251_37:                             ;   in Loop: Header=BB251_4 Depth=1
	s_delay_alu instid0(SALU_CYCLE_1)
	s_or_b32 exec_lo, exec_lo, s9
.LBB251_38:                             ;   in Loop: Header=BB251_4 Depth=1
	s_delay_alu instid0(SALU_CYCLE_1)
	s_or_b32 exec_lo, exec_lo, s8
	s_and_saveexec_b32 s47, s1
	s_cbranch_execz .LBB251_46
; %bb.39:                               ;   in Loop: Header=BB251_4 Depth=1
	v_dual_mov_b32 v51, v1 :: v_dual_bitop2_b32 v40, 2, v0 bitop3:0x54
	v_mov_b32_e32 v41, v1
	v_mul_u64_e32 v[52:53], s[36:37], v[0:1]
	v_or_b32_e32 v0, 3, v0
	s_delay_alu instid0(VALU_DEP_4)
	v_mul_u64_e32 v[54:55], s[36:37], v[50:51]
	v_cmp_gt_i32_e64 s7, s35, v50
	v_mul_u64_e32 v[56:57], s[36:37], v[40:41]
	v_cmp_gt_i32_e64 s8, s35, v40
	;; [unrolled: 2-line block ×3, first 2 shown]
	v_dual_cndmask_b32 v41, 0, v53 :: v_dual_cndmask_b32 v40, 0, v52
	v_dual_cndmask_b32 v51, 0, v55, s7 :: v_dual_cndmask_b32 v50, 0, v54, s7
	v_dual_cndmask_b32 v53, 0, v57, s8 :: v_dual_cndmask_b32 v52, 0, v56, s8
	s_delay_alu instid0(VALU_DEP_4) | instskip(NEXT) | instid1(VALU_DEP_4)
	v_dual_cndmask_b32 v55, 0, v59, s9 :: v_dual_cndmask_b32 v54, 0, v58, s9
	v_lshl_add_u64 v[40:41], v[40:41], 3, v[38:39]
	s_delay_alu instid0(VALU_DEP_4) | instskip(NEXT) | instid1(VALU_DEP_4)
	v_lshl_add_u64 v[50:51], v[50:51], 3, v[38:39]
	v_lshl_add_u64 v[52:53], v[52:53], 3, v[38:39]
	s_delay_alu instid0(VALU_DEP_4) | instskip(NEXT) | instid1(VALU_DEP_4)
	v_lshl_add_u64 v[38:39], v[54:55], 3, v[38:39]
	v_add_nc_u64_e32 v[66:67], v[40:41], v[8:9]
	s_delay_alu instid0(VALU_DEP_4) | instskip(NEXT) | instid1(VALU_DEP_4)
	v_add_nc_u64_e32 v[62:63], v[50:51], v[8:9]
	v_add_nc_u64_e32 v[64:65], v[52:53], v[8:9]
	s_delay_alu instid0(VALU_DEP_4)
	v_add_nc_u64_e32 v[68:69], v[38:39], v[8:9]
	s_clause 0x3
	flat_load_b64 v[52:53], v[66:67]
	flat_load_b64 v[50:51], v[62:63]
	;; [unrolled: 1-line block ×4, first 2 shown]
	s_wait_xcnt 0x0
	s_and_saveexec_b32 s7, s2
	s_cbranch_execz .LBB251_45
; %bb.40:                               ;   in Loop: Header=BB251_4 Depth=1
	s_clause 0x3
	flat_load_b64 v[60:61], v[66:67] offset:256
	flat_load_b64 v[58:59], v[62:63] offset:256
	flat_load_b64 v[56:57], v[64:65] offset:256
	flat_load_b64 v[54:55], v[68:69] offset:256
	s_wait_xcnt 0x0
	s_and_saveexec_b32 s8, s3
	s_cbranch_execz .LBB251_44
; %bb.41:                               ;   in Loop: Header=BB251_4 Depth=1
	s_clause 0x3
	flat_load_b64 v[76:77], v[66:67] offset:512
	flat_load_b64 v[74:75], v[62:63] offset:512
	flat_load_b64 v[72:73], v[64:65] offset:512
	flat_load_b64 v[70:71], v[68:69] offset:512
	;; [unrolled: 9-line block ×3, first 2 shown]
	s_wait_loadcnt_dscnt 0x303
	v_fmac_f64_e32 v[36:37], v[42:43], v[78:79]
	s_wait_loadcnt_dscnt 0x202
	s_delay_alu instid0(VALU_DEP_1) | instskip(SKIP_1) | instid1(VALU_DEP_1)
	v_fmac_f64_e32 v[36:37], v[44:45], v[80:81]
	s_wait_loadcnt_dscnt 0x101
	v_fmac_f64_e32 v[36:37], v[46:47], v[82:83]
	s_wait_loadcnt_dscnt 0x0
	s_delay_alu instid0(VALU_DEP_1)
	v_fmac_f64_e32 v[36:37], v[48:49], v[84:85]
.LBB251_43:                             ;   in Loop: Header=BB251_4 Depth=1
	s_wait_xcnt 0x0
	s_or_b32 exec_lo, exec_lo, s9
	s_wait_loadcnt_dscnt 0x303
	v_fmac_f64_e32 v[34:35], v[42:43], v[76:77]
	s_wait_loadcnt_dscnt 0x202
	s_delay_alu instid0(VALU_DEP_1) | instskip(SKIP_1) | instid1(VALU_DEP_1)
	v_fmac_f64_e32 v[34:35], v[44:45], v[74:75]
	s_wait_loadcnt_dscnt 0x101
	v_fmac_f64_e32 v[34:35], v[46:47], v[72:73]
	s_wait_loadcnt_dscnt 0x0
	s_delay_alu instid0(VALU_DEP_1)
	v_fmac_f64_e32 v[34:35], v[48:49], v[70:71]
.LBB251_44:                             ;   in Loop: Header=BB251_4 Depth=1
	s_or_b32 exec_lo, exec_lo, s8
	s_wait_loadcnt_dscnt 0x303
	v_fmac_f64_e32 v[32:33], v[42:43], v[60:61]
	s_wait_loadcnt_dscnt 0x202
	s_delay_alu instid0(VALU_DEP_1) | instskip(SKIP_1) | instid1(VALU_DEP_1)
	v_fmac_f64_e32 v[32:33], v[44:45], v[58:59]
	s_wait_loadcnt_dscnt 0x101
	v_fmac_f64_e32 v[32:33], v[46:47], v[56:57]
	s_wait_loadcnt_dscnt 0x0
	s_delay_alu instid0(VALU_DEP_1)
	v_fmac_f64_e32 v[32:33], v[48:49], v[54:55]
.LBB251_45:                             ;   in Loop: Header=BB251_4 Depth=1
	s_or_b32 exec_lo, exec_lo, s7
	s_wait_loadcnt_dscnt 0x303
	v_fmac_f64_e32 v[30:31], v[42:43], v[52:53]
	s_wait_loadcnt_dscnt 0x202
	s_delay_alu instid0(VALU_DEP_1) | instskip(SKIP_1) | instid1(VALU_DEP_1)
	v_fmac_f64_e32 v[30:31], v[44:45], v[50:51]
	s_wait_loadcnt_dscnt 0x101
	v_fmac_f64_e32 v[30:31], v[46:47], v[40:41]
	s_wait_loadcnt_dscnt 0x0
	s_delay_alu instid0(VALU_DEP_1)
	v_fmac_f64_e32 v[30:31], v[48:49], v[38:39]
.LBB251_46:                             ;   in Loop: Header=BB251_4 Depth=1
	s_or_b32 exec_lo, exec_lo, s47
.LBB251_47:                             ;   in Loop: Header=BB251_4 Depth=1
	ds_store_2addr_b64 v93, v[30:31], v[32:33] offset1:32
	ds_store_2addr_b64 v93, v[34:35], v[36:37] offset0:64 offset1:96
	s_wait_loadcnt_dscnt 0x0
	s_barrier_signal -1
	s_barrier_wait -1
                                        ; implicit-def: $vgpr30_vgpr31
	s_and_saveexec_b32 s7, s5
	s_cbranch_execz .LBB251_53
; %bb.48:                               ;   in Loop: Header=BB251_4 Depth=1
	ds_load_2addr_stride64_b64 v[30:33], v94 offset1:2
	s_mov_b32 s9, s46
	s_wait_dscnt 0x0
	v_add_f64_e32 v[34:35], v[30:31], v[32:33]
	ds_load_2addr_stride64_b64 v[30:33], v94 offset0:4 offset1:6
	s_wait_dscnt 0x0
	v_add_f64_e32 v[30:31], v[30:31], v[34:35]
	s_delay_alu instid0(VALU_DEP_1) | instskip(SKIP_3) | instid1(VALU_DEP_1)
	v_add_f64_e32 v[34:35], v[32:33], v[30:31]
	ds_load_2addr_stride64_b64 v[30:33], v94 offset0:8 offset1:10
	s_wait_dscnt 0x0
	v_add_f64_e32 v[30:31], v[30:31], v[34:35]
	v_add_f64_e32 v[34:35], v[32:33], v[30:31]
	ds_load_2addr_stride64_b64 v[30:33], v94 offset0:12 offset1:14
	s_wait_dscnt 0x0
	v_add_f64_e32 v[30:31], v[30:31], v[34:35]
	s_delay_alu instid0(VALU_DEP_1) | instskip(SKIP_3) | instid1(VALU_DEP_1)
	v_add_f64_e32 v[34:35], v[32:33], v[30:31]
	ds_load_2addr_stride64_b64 v[30:33], v94 offset0:16 offset1:18
	s_wait_dscnt 0x0
	v_add_f64_e32 v[30:31], v[30:31], v[34:35]
	;; [unrolled: 9-line block ×3, first 2 shown]
	v_add_f64_e32 v[34:35], v[32:33], v[30:31]
	ds_load_2addr_stride64_b64 v[30:33], v94 offset0:28 offset1:30
	s_wait_dscnt 0x0
	v_add_f64_e32 v[30:31], v[30:31], v[34:35]
	s_delay_alu instid0(VALU_DEP_1)
	v_add_f64_e32 v[32:33], v[32:33], v[30:31]
                                        ; implicit-def: $vgpr30_vgpr31
	ds_store_b64 v94, v[32:33]
	s_and_saveexec_b32 s8, s6
	s_cbranch_execz .LBB251_52
; %bb.49:                               ;   in Loop: Header=BB251_4 Depth=1
	v_cmp_eq_f64_e32 vcc_lo, 0, v[24:25]
	v_mul_f64_e32 v[30:31], v[28:29], v[32:33]
	s_cbranch_vccnz .LBB251_51
; %bb.50:                               ;   in Loop: Header=BB251_4 Depth=1
	v_lshl_add_u64 v[28:29], v[4:5], 3, v[26:27]
	flat_load_b64 v[28:29], v[28:29]
	s_wait_loadcnt_dscnt 0x0
	v_fmac_f64_e32 v[30:31], v[24:25], v[28:29]
.LBB251_51:                             ;   in Loop: Header=BB251_4 Depth=1
	s_or_b32 s9, s46, exec_lo
.LBB251_52:                             ;   in Loop: Header=BB251_4 Depth=1
	s_wait_xcnt 0x0
	s_or_b32 exec_lo, exec_lo, s8
	s_delay_alu instid0(SALU_CYCLE_1) | instskip(SKIP_1) | instid1(SALU_CYCLE_1)
	s_and_not1_b32 s8, s46, exec_lo
	s_and_b32 s9, s9, exec_lo
	s_or_b32 s46, s8, s9
.LBB251_53:                             ;   in Loop: Header=BB251_4 Depth=1
	s_or_b32 exec_lo, exec_lo, s7
	v_mov_b64_e32 v[24:25], v[4:5]
	s_and_saveexec_b32 s7, s46
	s_cbranch_execz .LBB251_2
.LBB251_54:                             ;   in Loop: Header=BB251_4 Depth=1
	s_delay_alu instid0(VALU_DEP_1)
	v_lshl_add_u64 v[24:25], v[24:25], 3, v[26:27]
	flat_store_b64 v[24:25], v[30:31]
	s_branch .LBB251_2
.LBB251_55:
	s_sendmsg sendmsg(MSG_DEALLOC_VGPRS)
	s_endpgm
	.section	.rodata,"a",@progbits
	.p2align	6, 0x0
	.amdhsa_kernel _ZL20rocblas_gemvn_kernelILi32ELi16ElPKdS1_KPdEviiT3_lPKT2_lT1_lS7_lS8_lS4_lPT4_lS8_li
		.amdhsa_group_segment_fixed_size 16384
		.amdhsa_private_segment_fixed_size 0
		.amdhsa_kernarg_size 400
		.amdhsa_user_sgpr_count 2
		.amdhsa_user_sgpr_dispatch_ptr 0
		.amdhsa_user_sgpr_queue_ptr 0
		.amdhsa_user_sgpr_kernarg_segment_ptr 1
		.amdhsa_user_sgpr_dispatch_id 0
		.amdhsa_user_sgpr_kernarg_preload_length 0
		.amdhsa_user_sgpr_kernarg_preload_offset 0
		.amdhsa_user_sgpr_private_segment_size 0
		.amdhsa_wavefront_size32 1
		.amdhsa_uses_dynamic_stack 0
		.amdhsa_enable_private_segment 0
		.amdhsa_system_sgpr_workgroup_id_x 1
		.amdhsa_system_sgpr_workgroup_id_y 0
		.amdhsa_system_sgpr_workgroup_id_z 1
		.amdhsa_system_sgpr_workgroup_info 0
		.amdhsa_system_vgpr_workitem_id 1
		.amdhsa_next_free_vgpr 104
		.amdhsa_next_free_sgpr 50
		.amdhsa_named_barrier_count 0
		.amdhsa_reserve_vcc 1
		.amdhsa_float_round_mode_32 0
		.amdhsa_float_round_mode_16_64 0
		.amdhsa_float_denorm_mode_32 3
		.amdhsa_float_denorm_mode_16_64 3
		.amdhsa_fp16_overflow 0
		.amdhsa_memory_ordered 1
		.amdhsa_forward_progress 1
		.amdhsa_inst_pref_size 23
		.amdhsa_round_robin_scheduling 0
		.amdhsa_exception_fp_ieee_invalid_op 0
		.amdhsa_exception_fp_denorm_src 0
		.amdhsa_exception_fp_ieee_div_zero 0
		.amdhsa_exception_fp_ieee_overflow 0
		.amdhsa_exception_fp_ieee_underflow 0
		.amdhsa_exception_fp_ieee_inexact 0
		.amdhsa_exception_int_div_zero 0
	.end_amdhsa_kernel
	.section	.text._ZL20rocblas_gemvn_kernelILi32ELi16ElPKdS1_KPdEviiT3_lPKT2_lT1_lS7_lS8_lS4_lPT4_lS8_li,"axG",@progbits,_ZL20rocblas_gemvn_kernelILi32ELi16ElPKdS1_KPdEviiT3_lPKT2_lT1_lS7_lS8_lS4_lPT4_lS8_li,comdat
.Lfunc_end251:
	.size	_ZL20rocblas_gemvn_kernelILi32ELi16ElPKdS1_KPdEviiT3_lPKT2_lT1_lS7_lS8_lS4_lPT4_lS8_li, .Lfunc_end251-_ZL20rocblas_gemvn_kernelILi32ELi16ElPKdS1_KPdEviiT3_lPKT2_lT1_lS7_lS8_lS4_lPT4_lS8_li
                                        ; -- End function
	.set _ZL20rocblas_gemvn_kernelILi32ELi16ElPKdS1_KPdEviiT3_lPKT2_lT1_lS7_lS8_lS4_lPT4_lS8_li.num_vgpr, 104
	.set _ZL20rocblas_gemvn_kernelILi32ELi16ElPKdS1_KPdEviiT3_lPKT2_lT1_lS7_lS8_lS4_lPT4_lS8_li.num_agpr, 0
	.set _ZL20rocblas_gemvn_kernelILi32ELi16ElPKdS1_KPdEviiT3_lPKT2_lT1_lS7_lS8_lS4_lPT4_lS8_li.numbered_sgpr, 50
	.set _ZL20rocblas_gemvn_kernelILi32ELi16ElPKdS1_KPdEviiT3_lPKT2_lT1_lS7_lS8_lS4_lPT4_lS8_li.num_named_barrier, 0
	.set _ZL20rocblas_gemvn_kernelILi32ELi16ElPKdS1_KPdEviiT3_lPKT2_lT1_lS7_lS8_lS4_lPT4_lS8_li.private_seg_size, 0
	.set _ZL20rocblas_gemvn_kernelILi32ELi16ElPKdS1_KPdEviiT3_lPKT2_lT1_lS7_lS8_lS4_lPT4_lS8_li.uses_vcc, 1
	.set _ZL20rocblas_gemvn_kernelILi32ELi16ElPKdS1_KPdEviiT3_lPKT2_lT1_lS7_lS8_lS4_lPT4_lS8_li.uses_flat_scratch, 1
	.set _ZL20rocblas_gemvn_kernelILi32ELi16ElPKdS1_KPdEviiT3_lPKT2_lT1_lS7_lS8_lS4_lPT4_lS8_li.has_dyn_sized_stack, 0
	.set _ZL20rocblas_gemvn_kernelILi32ELi16ElPKdS1_KPdEviiT3_lPKT2_lT1_lS7_lS8_lS4_lPT4_lS8_li.has_recursion, 0
	.set _ZL20rocblas_gemvn_kernelILi32ELi16ElPKdS1_KPdEviiT3_lPKT2_lT1_lS7_lS8_lS4_lPT4_lS8_li.has_indirect_call, 0
	.section	.AMDGPU.csdata,"",@progbits
; Kernel info:
; codeLenInByte = 2872
; TotalNumSgprs: 52
; NumVgprs: 104
; ScratchSize: 0
; MemoryBound: 1
; FloatMode: 240
; IeeeMode: 1
; LDSByteSize: 16384 bytes/workgroup (compile time only)
; SGPRBlocks: 0
; VGPRBlocks: 6
; NumSGPRsForWavesPerEU: 52
; NumVGPRsForWavesPerEU: 104
; NamedBarCnt: 0
; Occupancy: 9
; WaveLimiterHint : 1
; COMPUTE_PGM_RSRC2:SCRATCH_EN: 0
; COMPUTE_PGM_RSRC2:USER_SGPR: 2
; COMPUTE_PGM_RSRC2:TRAP_HANDLER: 0
; COMPUTE_PGM_RSRC2:TGID_X_EN: 1
; COMPUTE_PGM_RSRC2:TGID_Y_EN: 0
; COMPUTE_PGM_RSRC2:TGID_Z_EN: 1
; COMPUTE_PGM_RSRC2:TIDIG_COMP_CNT: 1
	.section	.text._ZL20rocblas_gemvn_kernelILi32ELi16EiPKddKPdEviiT3_lPKT2_lT1_lS7_lS8_lS4_lPT4_lS8_li,"axG",@progbits,_ZL20rocblas_gemvn_kernelILi32ELi16EiPKddKPdEviiT3_lPKT2_lT1_lS7_lS8_lS4_lPT4_lS8_li,comdat
	.globl	_ZL20rocblas_gemvn_kernelILi32ELi16EiPKddKPdEviiT3_lPKT2_lT1_lS7_lS8_lS4_lPT4_lS8_li ; -- Begin function _ZL20rocblas_gemvn_kernelILi32ELi16EiPKddKPdEviiT3_lPKT2_lT1_lS7_lS8_lS4_lPT4_lS8_li
	.p2align	8
	.type	_ZL20rocblas_gemvn_kernelILi32ELi16EiPKddKPdEviiT3_lPKT2_lT1_lS7_lS8_lS4_lPT4_lS8_li,@function
_ZL20rocblas_gemvn_kernelILi32ELi16EiPKddKPdEviiT3_lPKT2_lT1_lS7_lS8_lS4_lPT4_lS8_li: ; @_ZL20rocblas_gemvn_kernelILi32ELi16EiPKddKPdEviiT3_lPKT2_lT1_lS7_lS8_lS4_lPT4_lS8_li
; %bb.0:
	s_clause 0x1
	s_load_b64 s[4:5], s[0:1], 0x9c
	s_load_b32 s28, s[0:1], 0x88
	s_bfe_u32 s2, ttmp6, 0x40014
	s_lshr_b32 s3, ttmp7, 16
	s_add_co_i32 s2, s2, 1
	s_bfe_u32 s6, ttmp6, 0x40008
	s_mul_i32 s7, s3, s2
	s_getreg_b32 s2, hwreg(HW_REG_IB_STS2, 6, 4)
	s_add_co_i32 s6, s6, s7
	s_mov_b32 s25, 0
	s_wait_kmcnt 0x0
	s_lshr_b32 s7, s4, 16
	s_and_b32 s4, s4, 0xffff
	s_and_b32 s5, s5, 0xffff
	s_mul_i32 s4, s7, s4
	s_cmp_eq_u32 s2, 0
	s_mul_i32 s4, s4, s5
	s_cselect_b32 s24, s3, s6
	s_cmp_lg_u32 s4, 0x200
	s_cselect_b32 s3, -1, 0
	s_cmp_ge_u32 s24, s28
	s_cselect_b32 s4, -1, 0
	s_delay_alu instid0(SALU_CYCLE_1) | instskip(NEXT) | instid1(SALU_CYCLE_1)
	s_or_b32 s3, s3, s4
	s_and_b32 vcc_lo, exec_lo, s3
	s_cbranch_vccnz .LBB252_58
; %bb.1:
	s_clause 0x7
	s_load_b64 s[26:27], s[0:1], 0x58
	s_load_b128 s[8:11], s[0:1], 0x0
	s_load_b128 s[12:15], s[0:1], 0x18
	s_load_b32 s4, s[0:1], 0x78
	s_load_b32 s29, s[0:1], 0x28
	s_load_b128 s[16:19], s[0:1], 0x38
	s_load_b32 s30, s[0:1], 0x48
	s_load_b128 s[20:23], s[0:1], 0x68
	s_wait_xcnt 0x0
	s_bfe_u32 s1, ttmp6, 0x4000c
	v_and_b32_e32 v6, 0x3ff, v0
	s_add_co_i32 s1, s1, 1
	v_bfe_u32 v0, v0, 10, 10
	s_and_b32 s0, ttmp6, 15
	s_mul_i32 s1, ttmp9, s1
	v_dual_mov_b32 v1, 0 :: v_dual_lshlrev_b32 v2, 3, v6
	s_add_co_i32 s1, s0, s1
	v_lshl_add_u32 v3, v0, 5, v6
	s_delay_alu instid0(VALU_DEP_2) | instskip(SKIP_1) | instid1(VALU_DEP_3)
	v_lshl_add_u32 v61, v0, 10, v2
	v_lshl_add_u32 v62, v0, 8, v2
	v_cmp_gt_u32_e64 s0, 0x80, v3
	s_wait_kmcnt 0x0
	s_ashr_i32 s5, s4, 31
	v_cmp_neq_f64_e64 s3, s[26:27], 1.0
	v_cmp_neq_f64_e64 s7, s[10:11], 0
	v_mul_lo_u32 v10, v0, s29
	v_mul_lo_u32 v11, v0, s30
	v_cmp_eq_f64_e64 s38, s[10:11], 0
	v_cmp_neq_f64_e64 s39, s[26:27], 0
	s_mov_b32 s6, s8
	v_lshl_add_u32 v67, v10, 2, v6
	v_lshlrev_b32_e32 v71, 2, v11
	s_or_b32 s31, s7, s3
	s_cmp_eq_u32 s2, 0
	v_cndmask_b32_e64 v63, 0, 1, s7
	s_cselect_b32 s1, ttmp9, s1
	s_ashr_i32 s7, s8, 31
	s_lshl_b32 s33, s1, 7
	s_delay_alu instid0(SALU_CYCLE_1) | instskip(SKIP_2) | instid1(VALU_DEP_2)
	v_dual_lshlrev_b32 v60, 2, v0 :: v_dual_add_nc_u32 v0, s33, v3
	v_dual_add_nc_u32 v64, s33, v6 :: v_dual_bitop2_b32 v5, s33, v3 bitop3:0x54
	s_ashr_i32 s2, s9, 31
	v_or_b32_e32 v7, 2, v60
	s_delay_alu instid0(VALU_DEP_3)
	v_mul_u64_e32 v[2:3], s[4:5], v[0:1]
	v_or_b32_e32 v8, 3, v60
	v_mul_lo_u32 v9, s29, v60
	v_cmp_gt_i64_e32 vcc_lo, s[6:7], v[0:1]
	v_add_nc_u32_e32 v0, 32, v64
	v_mul_lo_u32 v4, s4, v5
	s_lshr_b32 s1, s2, 26
	v_mad_u32 v65, s29, v7, v6
	s_add_co_i32 s34, s9, s1
	v_mad_u32 v66, s29, v8, v6
	v_mad_u32 v68, s30, v60, s30
	v_mul_lo_u32 v69, s30, v7
	v_mul_lo_u32 v70, s30, v8
	v_add_nc_u32_e32 v12, 64, v64
	v_add_nc_u32_e32 v13, 0x60, v64
	s_and_not1_b32 s34, s34, 63
	v_cmp_gt_i32_e64 s2, s8, v64
	s_sub_co_i32 s3, s9, s34
	v_cmp_gt_i32_e64 s1, s34, v60
	s_cmp_gt_i32 s3, 0
	v_cmp_gt_i32_e64 s3, s8, v5
	v_cmp_gt_i32_e64 s4, s8, v0
	;; [unrolled: 1-line block ×4, first 2 shown]
	v_ashrrev_i32_e32 v5, 31, v4
	v_add3_u32 v0, v9, s29, v6
	s_cselect_b32 s35, -1, 0
	s_and_b32 s8, s0, vcc_lo
	s_lshl_b32 s36, s29, 6
	s_lshl_b32 s37, s30, 6
	s_lshl_b64 s[14:15], s[14:15], 3
	s_lshl_b64 s[18:19], s[18:19], 3
	;; [unrolled: 1-line block ×3, first 2 shown]
	s_branch .LBB252_4
.LBB252_2:                              ;   in Loop: Header=BB252_4 Depth=1
	s_wait_xcnt 0x0
	s_or_b32 exec_lo, exec_lo, s7
.LBB252_3:                              ;   in Loop: Header=BB252_4 Depth=1
	s_add_co_i32 s24, s24, 0x10000
	s_delay_alu instid0(SALU_CYCLE_1)
	s_cmp_lt_u32 s24, s28
	s_cbranch_scc0 .LBB252_58
.LBB252_4:                              ; =>This Loop Header: Depth=1
                                        ;     Child Loop BB252_26 Depth 2
	s_and_not1_b32 vcc_lo, exec_lo, s31
	s_cbranch_vccnz .LBB252_3
; %bb.5:                                ;   in Loop: Header=BB252_4 Depth=1
	s_and_not1_b32 vcc_lo, exec_lo, s38
	s_cbranch_vccnz .LBB252_7
; %bb.6:                                ;   in Loop: Header=BB252_4 Depth=1
	v_mov_b64_e32 v[18:19], 0
	v_mov_b64_e32 v[16:17], 0
	s_cbranch_execz .LBB252_8
	s_branch .LBB252_9
.LBB252_7:                              ;   in Loop: Header=BB252_4 Depth=1
	v_mov_b64_e32 v[18:19], 0
	v_mov_b64_e32 v[16:17], 0
.LBB252_8:                              ;   in Loop: Header=BB252_4 Depth=1
	s_lshl_b64 s[40:41], s[24:25], 3
	s_delay_alu instid0(SALU_CYCLE_1)
	s_add_nc_u64 s[40:41], s[12:13], s[40:41]
	global_load_b64 v[6:7], v1, s[40:41]
	s_wait_loadcnt 0x0
	v_add_nc_u64_e32 v[16:17], s[14:15], v[6:7]
.LBB252_9:                              ;   in Loop: Header=BB252_4 Depth=1
	v_cmp_ne_u32_e32 vcc_lo, 1, v63
	s_cbranch_vccnz .LBB252_11
; %bb.10:                               ;   in Loop: Header=BB252_4 Depth=1
	s_wait_xcnt 0x0
	s_lshl_b64 s[40:41], s[24:25], 3
	s_delay_alu instid0(SALU_CYCLE_1)
	s_add_nc_u64 s[40:41], s[16:17], s[40:41]
	global_load_b64 v[6:7], v1, s[40:41]
	s_wait_loadcnt 0x0
	v_add_nc_u64_e32 v[18:19], s[18:19], v[6:7]
.LBB252_11:                             ;   in Loop: Header=BB252_4 Depth=1
	s_wait_xcnt 0x0
	s_lshl_b64 s[40:41], s[24:25], 3
	s_and_not1_b32 vcc_lo, exec_lo, s38
	s_add_nc_u64 s[40:41], s[20:21], s[40:41]
	global_load_b64 v[6:7], v1, s[40:41]
	s_wait_loadcnt 0x0
	v_add_nc_u64_e32 v[6:7], s[22:23], v[6:7]
	s_cbranch_vccnz .LBB252_15
; %bb.12:                               ;   in Loop: Header=BB252_4 Depth=1
	s_mov_b32 s7, 0
	s_wait_xcnt 0x0
	s_mov_b32 s40, 0
                                        ; implicit-def: $vgpr8_vgpr9
	s_and_saveexec_b32 s41, s8
	s_cbranch_execz .LBB252_16
; %bb.13:                               ;   in Loop: Header=BB252_4 Depth=1
	s_and_not1_b32 vcc_lo, exec_lo, s39
	s_cbranch_vccnz .LBB252_18
; %bb.14:                               ;   in Loop: Header=BB252_4 Depth=1
	v_lshl_add_u64 v[8:9], v[2:3], 3, v[6:7]
	flat_load_b64 v[8:9], v[8:9]
	s_wait_loadcnt_dscnt 0x0
	s_wait_xcnt 0x0
	v_mul_f64_e32 v[8:9], s[26:27], v[8:9]
	s_branch .LBB252_19
.LBB252_15:                             ;   in Loop: Header=BB252_4 Depth=1
	s_wait_xcnt 0x0
	s_mov_b32 s40, 0
                                        ; implicit-def: $vgpr8_vgpr9
	s_cbranch_execz .LBB252_17
	s_branch .LBB252_20
.LBB252_16:                             ;   in Loop: Header=BB252_4 Depth=1
	s_or_b32 exec_lo, exec_lo, s41
	s_delay_alu instid0(SALU_CYCLE_1)
	s_and_b32 vcc_lo, exec_lo, s7
	s_cbranch_vccnz .LBB252_20
.LBB252_17:                             ;   in Loop: Header=BB252_4 Depth=1
	v_mov_b64_e32 v[10:11], v[2:3]
	s_and_saveexec_b32 s7, s40
	s_cbranch_execz .LBB252_2
	s_branch .LBB252_57
.LBB252_18:                             ;   in Loop: Header=BB252_4 Depth=1
	v_mov_b64_e32 v[8:9], 0
.LBB252_19:                             ;   in Loop: Header=BB252_4 Depth=1
	s_mov_b32 s40, exec_lo
	s_or_b32 exec_lo, exec_lo, s41
	s_delay_alu instid0(SALU_CYCLE_1)
	s_and_b32 vcc_lo, exec_lo, s7
	s_cbranch_vccz .LBB252_17
.LBB252_20:                             ;   in Loop: Header=BB252_4 Depth=1
	v_mov_b64_e32 v[8:9], 0
	v_mov_b64_e32 v[10:11], 0
	;; [unrolled: 1-line block ×4, first 2 shown]
	v_mov_b32_e32 v72, v60
	s_and_saveexec_b32 s7, s1
	s_cbranch_execz .LBB252_32
; %bb.21:                               ;   in Loop: Header=BB252_4 Depth=1
	v_mov_b64_e32 v[8:9], 0
	v_mov_b64_e32 v[10:11], 0
	;; [unrolled: 1-line block ×4, first 2 shown]
	v_dual_mov_b32 v73, v67 :: v_dual_mov_b32 v74, v66
	v_dual_mov_b32 v75, v65 :: v_dual_mov_b32 v76, v0
	v_mov_b32_e32 v72, v60
	s_mov_b32 s41, 0
	s_mov_b32 s42, 0
	s_branch .LBB252_26
.LBB252_22:                             ;   in Loop: Header=BB252_26 Depth=2
	s_wait_xcnt 0x0
	s_or_b32 exec_lo, exec_lo, s46
	s_wait_loadcnt_dscnt 0x303
	v_fmac_f64_e32 v[12:13], v[26:27], v[58:59]
	s_wait_loadcnt_dscnt 0x202
	s_delay_alu instid0(VALU_DEP_1) | instskip(SKIP_1) | instid1(VALU_DEP_1)
	v_fmac_f64_e32 v[12:13], v[24:25], v[56:57]
	s_wait_loadcnt_dscnt 0x101
	v_fmac_f64_e32 v[12:13], v[22:23], v[52:53]
	s_wait_loadcnt_dscnt 0x0
	s_delay_alu instid0(VALU_DEP_1)
	v_fmac_f64_e32 v[12:13], v[20:21], v[48:49]
.LBB252_23:                             ;   in Loop: Header=BB252_26 Depth=2
	s_or_b32 exec_lo, exec_lo, s45
	s_wait_loadcnt_dscnt 0x303
	v_fmac_f64_e32 v[10:11], v[26:27], v[42:43]
	s_wait_loadcnt_dscnt 0x202
	s_delay_alu instid0(VALU_DEP_1) | instskip(SKIP_1) | instid1(VALU_DEP_1)
	v_fmac_f64_e32 v[10:11], v[24:25], v[40:41]
	s_wait_loadcnt_dscnt 0x101
	v_fmac_f64_e32 v[10:11], v[22:23], v[38:39]
	s_wait_loadcnt_dscnt 0x0
	s_delay_alu instid0(VALU_DEP_1)
	v_fmac_f64_e32 v[10:11], v[20:21], v[36:37]
.LBB252_24:                             ;   in Loop: Header=BB252_26 Depth=2
	s_or_b32 exec_lo, exec_lo, s44
	s_wait_loadcnt_dscnt 0x303
	v_fmac_f64_e32 v[8:9], v[26:27], v[34:35]
	s_wait_loadcnt_dscnt 0x202
	s_delay_alu instid0(VALU_DEP_1) | instskip(SKIP_1) | instid1(VALU_DEP_1)
	v_fmac_f64_e32 v[8:9], v[24:25], v[32:33]
	s_wait_loadcnt_dscnt 0x101
	v_fmac_f64_e32 v[8:9], v[22:23], v[30:31]
	s_wait_loadcnt_dscnt 0x0
	s_delay_alu instid0(VALU_DEP_1)
	v_fmac_f64_e32 v[8:9], v[20:21], v[28:29]
.LBB252_25:                             ;   in Loop: Header=BB252_26 Depth=2
	s_or_b32 exec_lo, exec_lo, s43
	v_dual_add_nc_u32 v72, 64, v72 :: v_dual_add_nc_u32 v75, s36, v75
	v_dual_add_nc_u32 v76, s36, v76 :: v_dual_add_nc_u32 v74, s36, v74
	v_add_nc_u32_e32 v73, s36, v73
	s_delay_alu instid0(VALU_DEP_3) | instskip(SKIP_2) | instid1(SALU_CYCLE_1)
	v_cmp_le_i32_e32 vcc_lo, s34, v72
	s_add_co_i32 s42, s42, s37
	s_or_b32 s41, vcc_lo, s41
	s_and_not1_b32 exec_lo, exec_lo, s41
	s_cbranch_execz .LBB252_31
.LBB252_26:                             ;   Parent Loop BB252_4 Depth=1
                                        ; =>  This Inner Loop Header: Depth=2
	s_and_saveexec_b32 s43, s2
	s_cbranch_execz .LBB252_25
; %bb.27:                               ;   in Loop: Header=BB252_26 Depth=2
	v_dual_add_nc_u32 v37, s42, v71 :: v_dual_add_nc_u32 v39, s42, v68
	v_readfirstlane_b32 s44, v18
	v_readfirstlane_b32 s45, v19
	v_dual_add_nc_u32 v41, s42, v69 :: v_dual_add_nc_u32 v43, s42, v70
	v_dual_add_nc_u32 v36, s33, v73 :: v_dual_add_nc_u32 v38, s33, v76
	v_readfirstlane_b32 s46, v16
	v_readfirstlane_b32 s47, v17
	v_dual_add_nc_u32 v42, s33, v75 :: v_dual_add_nc_u32 v40, s33, v74
	s_clause 0x3
	flat_load_b64 v[26:27], v37, s[44:45] scale_offset
	flat_load_b64 v[24:25], v39, s[44:45] scale_offset
	;; [unrolled: 1-line block ×4, first 2 shown]
	s_clause 0x3
	flat_load_b64 v[34:35], v36, s[46:47] scale_offset
	flat_load_b64 v[32:33], v38, s[46:47] scale_offset
	;; [unrolled: 1-line block ×4, first 2 shown]
	s_wait_xcnt 0x0
	s_and_saveexec_b32 s44, s4
	s_cbranch_execz .LBB252_24
; %bb.28:                               ;   in Loop: Header=BB252_26 Depth=2
	v_dual_ashrrev_i32 v37, 31, v36 :: v_dual_ashrrev_i32 v39, 31, v38
	v_dual_ashrrev_i32 v43, 31, v42 :: v_dual_ashrrev_i32 v41, 31, v40
	s_delay_alu instid0(VALU_DEP_2) | instskip(NEXT) | instid1(VALU_DEP_3)
	v_lshl_add_u64 v[46:47], v[36:37], 3, v[16:17]
	v_lshl_add_u64 v[44:45], v[38:39], 3, v[16:17]
	s_delay_alu instid0(VALU_DEP_3) | instskip(NEXT) | instid1(VALU_DEP_4)
	v_lshl_add_u64 v[50:51], v[42:43], 3, v[16:17]
	v_lshl_add_u64 v[54:55], v[40:41], 3, v[16:17]
	s_clause 0x3
	flat_load_b64 v[42:43], v[46:47] offset:256
	flat_load_b64 v[40:41], v[44:45] offset:256
	;; [unrolled: 1-line block ×4, first 2 shown]
	s_wait_xcnt 0x0
	s_and_saveexec_b32 s45, s5
	s_cbranch_execz .LBB252_23
; %bb.29:                               ;   in Loop: Header=BB252_26 Depth=2
	s_clause 0x3
	flat_load_b64 v[58:59], v[46:47] offset:512
	flat_load_b64 v[56:57], v[44:45] offset:512
	;; [unrolled: 1-line block ×4, first 2 shown]
	s_wait_xcnt 0x0
	s_and_saveexec_b32 s46, s6
	s_cbranch_execz .LBB252_22
; %bb.30:                               ;   in Loop: Header=BB252_26 Depth=2
	s_clause 0x3
	flat_load_b64 v[78:79], v[46:47] offset:768
	flat_load_b64 v[80:81], v[44:45] offset:768
	;; [unrolled: 1-line block ×4, first 2 shown]
	s_wait_loadcnt_dscnt 0x303
	v_fmac_f64_e32 v[14:15], v[26:27], v[78:79]
	s_wait_loadcnt_dscnt 0x202
	s_delay_alu instid0(VALU_DEP_1) | instskip(SKIP_1) | instid1(VALU_DEP_1)
	v_fmac_f64_e32 v[14:15], v[24:25], v[80:81]
	s_wait_loadcnt_dscnt 0x101
	v_fmac_f64_e32 v[14:15], v[22:23], v[82:83]
	s_wait_loadcnt_dscnt 0x0
	s_delay_alu instid0(VALU_DEP_1)
	v_fmac_f64_e32 v[14:15], v[20:21], v[84:85]
	s_branch .LBB252_22
.LBB252_31:                             ;   in Loop: Header=BB252_4 Depth=1
	s_or_b32 exec_lo, exec_lo, s41
.LBB252_32:                             ;   in Loop: Header=BB252_4 Depth=1
	s_delay_alu instid0(SALU_CYCLE_1) | instskip(NEXT) | instid1(SALU_CYCLE_1)
	s_or_b32 exec_lo, exec_lo, s7
	s_and_not1_b32 vcc_lo, exec_lo, s35
	s_cbranch_vccnz .LBB252_50
; %bb.33:                               ;   in Loop: Header=BB252_4 Depth=1
	v_mov_b64_e32 v[26:27], 0
	v_mov_b64_e32 v[24:25], 0
	;; [unrolled: 1-line block ×4, first 2 shown]
	v_cmp_gt_i32_e32 vcc_lo, s9, v72
	v_or_b32_e32 v28, 1, v72
	s_and_saveexec_b32 s41, vcc_lo
	s_cbranch_execz .LBB252_41
; %bb.34:                               ;   in Loop: Header=BB252_4 Depth=1
	v_mul_lo_u32 v20, v72, s30
	v_readfirstlane_b32 s42, v18
	v_readfirstlane_b32 s43, v19
	v_mov_b64_e32 v[22:23], 0
	v_mov_b64_e32 v[24:25], 0
	;; [unrolled: 1-line block ×3, first 2 shown]
	flat_load_b64 v[20:21], v20, s[42:43] scale_offset
	s_wait_xcnt 0x0
	s_mov_b32 s42, exec_lo
	v_cmpx_gt_i32_e64 s9, v28
	s_cbranch_execz .LBB252_40
; %bb.35:                               ;   in Loop: Header=BB252_4 Depth=1
	v_mul_lo_u32 v22, v28, s30
	v_readfirstlane_b32 s44, v18
	v_readfirstlane_b32 s45, v19
	v_mov_b64_e32 v[24:25], 0
	v_mov_b64_e32 v[26:27], 0
	v_or_b32_e32 v29, 2, v72
	s_mov_b32 s43, exec_lo
	flat_load_b64 v[22:23], v22, s[44:45] scale_offset
	s_wait_xcnt 0x0
	v_cmpx_gt_i32_e64 s9, v29
	s_cbranch_execz .LBB252_39
; %bb.36:                               ;   in Loop: Header=BB252_4 Depth=1
	v_mul_lo_u32 v24, v29, s30
	v_readfirstlane_b32 s44, v18
	v_readfirstlane_b32 s45, v19
	v_mov_b64_e32 v[26:27], 0
	v_or_b32_e32 v29, 3, v72
	flat_load_b64 v[24:25], v24, s[44:45] scale_offset
	s_wait_xcnt 0x0
	s_mov_b32 s44, exec_lo
	v_cmpx_gt_i32_e64 s9, v29
	s_cbranch_execz .LBB252_38
; %bb.37:                               ;   in Loop: Header=BB252_4 Depth=1
	v_mul_lo_u32 v26, v29, s30
	v_readfirstlane_b32 s46, v18
	v_readfirstlane_b32 s47, v19
	flat_load_b64 v[26:27], v26, s[46:47] scale_offset
.LBB252_38:                             ;   in Loop: Header=BB252_4 Depth=1
	s_wait_xcnt 0x0
	s_or_b32 exec_lo, exec_lo, s44
.LBB252_39:                             ;   in Loop: Header=BB252_4 Depth=1
	s_delay_alu instid0(SALU_CYCLE_1)
	s_or_b32 exec_lo, exec_lo, s43
.LBB252_40:                             ;   in Loop: Header=BB252_4 Depth=1
	s_delay_alu instid0(SALU_CYCLE_1)
	s_or_b32 exec_lo, exec_lo, s42
.LBB252_41:                             ;   in Loop: Header=BB252_4 Depth=1
	s_delay_alu instid0(SALU_CYCLE_1)
	s_or_b32 exec_lo, exec_lo, s41
	s_and_saveexec_b32 s7, s2
	s_cbranch_execz .LBB252_49
; %bb.42:                               ;   in Loop: Header=BB252_4 Depth=1
	v_mul_lo_u32 v19, v72, s29
	v_mul_lo_u32 v30, v28, s29
	v_or_b32_e32 v18, 2, v72
	v_readfirstlane_b32 s42, v16
	v_readfirstlane_b32 s43, v17
	v_cndmask_b32_e32 v19, 0, v19, vcc_lo
	s_delay_alu instid0(VALU_DEP_4) | instskip(SKIP_2) | instid1(VALU_DEP_1)
	v_mul_lo_u32 v31, v18, s29
	v_cmp_gt_i32_e32 vcc_lo, s9, v28
	v_dual_cndmask_b32 v28, 0, v30, vcc_lo :: v_dual_bitop2_b32 v29, 3, v72 bitop3:0x54
	v_mul_lo_u32 v32, v29, s29
	v_cmp_gt_i32_e32 vcc_lo, s9, v18
	s_delay_alu instid0(VALU_DEP_3) | instskip(SKIP_3) | instid1(VALU_DEP_1)
	v_dual_add_nc_u32 v36, v19, v64 :: v_dual_add_nc_u32 v38, v28, v64
	v_cndmask_b32_e32 v18, 0, v31, vcc_lo
	v_cmp_gt_i32_e32 vcc_lo, s9, v29
	v_cndmask_b32_e32 v29, 0, v32, vcc_lo
	v_dual_add_nc_u32 v44, v18, v64 :: v_dual_add_nc_u32 v34, v29, v64
	s_clause 0x3
	flat_load_b64 v[32:33], v36, s[42:43] scale_offset
	flat_load_b64 v[30:31], v38, s[42:43] scale_offset
	;; [unrolled: 1-line block ×4, first 2 shown]
	s_wait_xcnt 0x0
	s_and_saveexec_b32 s41, s4
	s_cbranch_execz .LBB252_48
; %bb.43:                               ;   in Loop: Header=BB252_4 Depth=1
	v_dual_ashrrev_i32 v37, 31, v36 :: v_dual_ashrrev_i32 v39, 31, v38
	v_dual_ashrrev_i32 v45, 31, v44 :: v_dual_ashrrev_i32 v35, 31, v34
	s_delay_alu instid0(VALU_DEP_2) | instskip(NEXT) | instid1(VALU_DEP_3)
	v_lshl_add_u64 v[40:41], v[36:37], 3, v[16:17]
	v_lshl_add_u64 v[42:43], v[38:39], 3, v[16:17]
	s_delay_alu instid0(VALU_DEP_3) | instskip(NEXT) | instid1(VALU_DEP_4)
	v_lshl_add_u64 v[44:45], v[44:45], 3, v[16:17]
	v_lshl_add_u64 v[54:55], v[34:35], 3, v[16:17]
	s_clause 0x3
	flat_load_b64 v[38:39], v[40:41] offset:256
	flat_load_b64 v[36:37], v[42:43] offset:256
	;; [unrolled: 1-line block ×4, first 2 shown]
	s_wait_xcnt 0x0
	s_and_saveexec_b32 s42, s5
	s_cbranch_execz .LBB252_47
; %bb.44:                               ;   in Loop: Header=BB252_4 Depth=1
	s_clause 0x3
	flat_load_b64 v[52:53], v[40:41] offset:512
	flat_load_b64 v[50:51], v[42:43] offset:512
	;; [unrolled: 1-line block ×4, first 2 shown]
	s_wait_xcnt 0x0
	s_and_saveexec_b32 s43, s6
	s_cbranch_execz .LBB252_46
; %bb.45:                               ;   in Loop: Header=BB252_4 Depth=1
	s_clause 0x3
	flat_load_b64 v[56:57], v[40:41] offset:768
	flat_load_b64 v[58:59], v[42:43] offset:768
	;; [unrolled: 1-line block ×4, first 2 shown]
	s_wait_loadcnt_dscnt 0x303
	v_fmac_f64_e32 v[14:15], v[20:21], v[56:57]
	s_wait_loadcnt_dscnt 0x202
	s_delay_alu instid0(VALU_DEP_1) | instskip(SKIP_1) | instid1(VALU_DEP_1)
	v_fmac_f64_e32 v[14:15], v[22:23], v[58:59]
	s_wait_loadcnt_dscnt 0x101
	v_fmac_f64_e32 v[14:15], v[24:25], v[72:73]
	s_wait_loadcnt_dscnt 0x0
	s_delay_alu instid0(VALU_DEP_1)
	v_fmac_f64_e32 v[14:15], v[26:27], v[74:75]
.LBB252_46:                             ;   in Loop: Header=BB252_4 Depth=1
	s_wait_xcnt 0x0
	s_or_b32 exec_lo, exec_lo, s43
	s_wait_loadcnt_dscnt 0x303
	v_fmac_f64_e32 v[12:13], v[20:21], v[52:53]
	s_wait_loadcnt_dscnt 0x202
	s_delay_alu instid0(VALU_DEP_1) | instskip(SKIP_1) | instid1(VALU_DEP_1)
	v_fmac_f64_e32 v[12:13], v[22:23], v[50:51]
	s_wait_loadcnt_dscnt 0x101
	v_fmac_f64_e32 v[12:13], v[24:25], v[48:49]
	s_wait_loadcnt_dscnt 0x0
	s_delay_alu instid0(VALU_DEP_1)
	v_fmac_f64_e32 v[12:13], v[26:27], v[46:47]
.LBB252_47:                             ;   in Loop: Header=BB252_4 Depth=1
	s_or_b32 exec_lo, exec_lo, s42
	s_wait_loadcnt_dscnt 0x303
	v_fmac_f64_e32 v[10:11], v[20:21], v[38:39]
	s_wait_loadcnt_dscnt 0x202
	s_delay_alu instid0(VALU_DEP_1) | instskip(SKIP_1) | instid1(VALU_DEP_1)
	v_fmac_f64_e32 v[10:11], v[22:23], v[36:37]
	s_wait_loadcnt_dscnt 0x101
	v_fmac_f64_e32 v[10:11], v[24:25], v[34:35]
	s_wait_loadcnt_dscnt 0x0
	s_delay_alu instid0(VALU_DEP_1)
	v_fmac_f64_e32 v[10:11], v[26:27], v[16:17]
.LBB252_48:                             ;   in Loop: Header=BB252_4 Depth=1
	s_or_b32 exec_lo, exec_lo, s41
	s_wait_loadcnt_dscnt 0x303
	v_fmac_f64_e32 v[8:9], v[20:21], v[32:33]
	s_wait_loadcnt_dscnt 0x202
	s_delay_alu instid0(VALU_DEP_1) | instskip(SKIP_1) | instid1(VALU_DEP_1)
	v_fmac_f64_e32 v[8:9], v[22:23], v[30:31]
	s_wait_loadcnt_dscnt 0x101
	v_fmac_f64_e32 v[8:9], v[24:25], v[28:29]
	s_wait_loadcnt_dscnt 0x0
	s_delay_alu instid0(VALU_DEP_1)
	v_fmac_f64_e32 v[8:9], v[26:27], v[18:19]
.LBB252_49:                             ;   in Loop: Header=BB252_4 Depth=1
	s_or_b32 exec_lo, exec_lo, s7
.LBB252_50:                             ;   in Loop: Header=BB252_4 Depth=1
	ds_store_2addr_b64 v61, v[8:9], v[10:11] offset1:32
	ds_store_2addr_b64 v61, v[12:13], v[14:15] offset0:64 offset1:96
	s_wait_loadcnt_dscnt 0x0
	s_barrier_signal -1
	s_barrier_wait -1
                                        ; implicit-def: $vgpr8_vgpr9
	s_and_saveexec_b32 s7, s0
	s_cbranch_execz .LBB252_56
; %bb.51:                               ;   in Loop: Header=BB252_4 Depth=1
	ds_load_2addr_stride64_b64 v[8:11], v62 offset1:2
	s_mov_b32 s42, s40
	s_wait_dscnt 0x0
	v_add_f64_e32 v[12:13], v[8:9], v[10:11]
	ds_load_2addr_stride64_b64 v[8:11], v62 offset0:4 offset1:6
	s_wait_dscnt 0x0
	v_add_f64_e32 v[8:9], v[8:9], v[12:13]
	s_delay_alu instid0(VALU_DEP_1) | instskip(SKIP_3) | instid1(VALU_DEP_1)
	v_add_f64_e32 v[12:13], v[10:11], v[8:9]
	ds_load_2addr_stride64_b64 v[8:11], v62 offset0:8 offset1:10
	s_wait_dscnt 0x0
	v_add_f64_e32 v[8:9], v[8:9], v[12:13]
	v_add_f64_e32 v[12:13], v[10:11], v[8:9]
	ds_load_2addr_stride64_b64 v[8:11], v62 offset0:12 offset1:14
	s_wait_dscnt 0x0
	v_add_f64_e32 v[8:9], v[8:9], v[12:13]
	s_delay_alu instid0(VALU_DEP_1) | instskip(SKIP_3) | instid1(VALU_DEP_1)
	v_add_f64_e32 v[12:13], v[10:11], v[8:9]
	ds_load_2addr_stride64_b64 v[8:11], v62 offset0:16 offset1:18
	s_wait_dscnt 0x0
	v_add_f64_e32 v[8:9], v[8:9], v[12:13]
	;; [unrolled: 9-line block ×3, first 2 shown]
	v_add_f64_e32 v[12:13], v[10:11], v[8:9]
	ds_load_2addr_stride64_b64 v[8:11], v62 offset0:28 offset1:30
	s_wait_dscnt 0x0
	v_add_f64_e32 v[8:9], v[8:9], v[12:13]
	s_delay_alu instid0(VALU_DEP_1)
	v_add_f64_e32 v[10:11], v[10:11], v[8:9]
                                        ; implicit-def: $vgpr8_vgpr9
	ds_store_b64 v62, v[10:11]
	s_and_saveexec_b32 s41, s3
	s_cbranch_execz .LBB252_55
; %bb.52:                               ;   in Loop: Header=BB252_4 Depth=1
	v_mul_f64_e32 v[8:9], s[10:11], v[10:11]
	s_and_not1_b32 vcc_lo, exec_lo, s39
	s_cbranch_vccnz .LBB252_54
; %bb.53:                               ;   in Loop: Header=BB252_4 Depth=1
	v_lshl_add_u64 v[10:11], v[4:5], 3, v[6:7]
	flat_load_b64 v[10:11], v[10:11]
	s_wait_loadcnt_dscnt 0x0
	v_fmac_f64_e32 v[8:9], s[26:27], v[10:11]
.LBB252_54:                             ;   in Loop: Header=BB252_4 Depth=1
	s_or_b32 s42, s40, exec_lo
.LBB252_55:                             ;   in Loop: Header=BB252_4 Depth=1
	s_wait_xcnt 0x0
	s_or_b32 exec_lo, exec_lo, s41
	s_delay_alu instid0(SALU_CYCLE_1) | instskip(SKIP_1) | instid1(SALU_CYCLE_1)
	s_and_not1_b32 s40, s40, exec_lo
	s_and_b32 s41, s42, exec_lo
	s_or_b32 s40, s40, s41
.LBB252_56:                             ;   in Loop: Header=BB252_4 Depth=1
	s_or_b32 exec_lo, exec_lo, s7
	v_mov_b64_e32 v[10:11], v[4:5]
	s_and_saveexec_b32 s7, s40
	s_cbranch_execz .LBB252_2
.LBB252_57:                             ;   in Loop: Header=BB252_4 Depth=1
	s_delay_alu instid0(VALU_DEP_1)
	v_lshl_add_u64 v[6:7], v[10:11], 3, v[6:7]
	flat_store_b64 v[6:7], v[8:9]
	s_branch .LBB252_2
.LBB252_58:
	s_sendmsg sendmsg(MSG_DEALLOC_VGPRS)
	s_endpgm
	.section	.rodata,"a",@progbits
	.p2align	6, 0x0
	.amdhsa_kernel _ZL20rocblas_gemvn_kernelILi32ELi16EiPKddKPdEviiT3_lPKT2_lT1_lS7_lS8_lS4_lPT4_lS8_li
		.amdhsa_group_segment_fixed_size 16384
		.amdhsa_private_segment_fixed_size 0
		.amdhsa_kernarg_size 400
		.amdhsa_user_sgpr_count 2
		.amdhsa_user_sgpr_dispatch_ptr 0
		.amdhsa_user_sgpr_queue_ptr 0
		.amdhsa_user_sgpr_kernarg_segment_ptr 1
		.amdhsa_user_sgpr_dispatch_id 0
		.amdhsa_user_sgpr_kernarg_preload_length 0
		.amdhsa_user_sgpr_kernarg_preload_offset 0
		.amdhsa_user_sgpr_private_segment_size 0
		.amdhsa_wavefront_size32 1
		.amdhsa_uses_dynamic_stack 0
		.amdhsa_enable_private_segment 0
		.amdhsa_system_sgpr_workgroup_id_x 1
		.amdhsa_system_sgpr_workgroup_id_y 0
		.amdhsa_system_sgpr_workgroup_id_z 1
		.amdhsa_system_sgpr_workgroup_info 0
		.amdhsa_system_vgpr_workitem_id 1
		.amdhsa_next_free_vgpr 86
		.amdhsa_next_free_sgpr 48
		.amdhsa_named_barrier_count 0
		.amdhsa_reserve_vcc 1
		.amdhsa_float_round_mode_32 0
		.amdhsa_float_round_mode_16_64 0
		.amdhsa_float_denorm_mode_32 3
		.amdhsa_float_denorm_mode_16_64 3
		.amdhsa_fp16_overflow 0
		.amdhsa_memory_ordered 1
		.amdhsa_forward_progress 1
		.amdhsa_inst_pref_size 23
		.amdhsa_round_robin_scheduling 0
		.amdhsa_exception_fp_ieee_invalid_op 0
		.amdhsa_exception_fp_denorm_src 0
		.amdhsa_exception_fp_ieee_div_zero 0
		.amdhsa_exception_fp_ieee_overflow 0
		.amdhsa_exception_fp_ieee_underflow 0
		.amdhsa_exception_fp_ieee_inexact 0
		.amdhsa_exception_int_div_zero 0
	.end_amdhsa_kernel
	.section	.text._ZL20rocblas_gemvn_kernelILi32ELi16EiPKddKPdEviiT3_lPKT2_lT1_lS7_lS8_lS4_lPT4_lS8_li,"axG",@progbits,_ZL20rocblas_gemvn_kernelILi32ELi16EiPKddKPdEviiT3_lPKT2_lT1_lS7_lS8_lS4_lPT4_lS8_li,comdat
.Lfunc_end252:
	.size	_ZL20rocblas_gemvn_kernelILi32ELi16EiPKddKPdEviiT3_lPKT2_lT1_lS7_lS8_lS4_lPT4_lS8_li, .Lfunc_end252-_ZL20rocblas_gemvn_kernelILi32ELi16EiPKddKPdEviiT3_lPKT2_lT1_lS7_lS8_lS4_lPT4_lS8_li
                                        ; -- End function
	.set _ZL20rocblas_gemvn_kernelILi32ELi16EiPKddKPdEviiT3_lPKT2_lT1_lS7_lS8_lS4_lPT4_lS8_li.num_vgpr, 86
	.set _ZL20rocblas_gemvn_kernelILi32ELi16EiPKddKPdEviiT3_lPKT2_lT1_lS7_lS8_lS4_lPT4_lS8_li.num_agpr, 0
	.set _ZL20rocblas_gemvn_kernelILi32ELi16EiPKddKPdEviiT3_lPKT2_lT1_lS7_lS8_lS4_lPT4_lS8_li.numbered_sgpr, 48
	.set _ZL20rocblas_gemvn_kernelILi32ELi16EiPKddKPdEviiT3_lPKT2_lT1_lS7_lS8_lS4_lPT4_lS8_li.num_named_barrier, 0
	.set _ZL20rocblas_gemvn_kernelILi32ELi16EiPKddKPdEviiT3_lPKT2_lT1_lS7_lS8_lS4_lPT4_lS8_li.private_seg_size, 0
	.set _ZL20rocblas_gemvn_kernelILi32ELi16EiPKddKPdEviiT3_lPKT2_lT1_lS7_lS8_lS4_lPT4_lS8_li.uses_vcc, 1
	.set _ZL20rocblas_gemvn_kernelILi32ELi16EiPKddKPdEviiT3_lPKT2_lT1_lS7_lS8_lS4_lPT4_lS8_li.uses_flat_scratch, 1
	.set _ZL20rocblas_gemvn_kernelILi32ELi16EiPKddKPdEviiT3_lPKT2_lT1_lS7_lS8_lS4_lPT4_lS8_li.has_dyn_sized_stack, 0
	.set _ZL20rocblas_gemvn_kernelILi32ELi16EiPKddKPdEviiT3_lPKT2_lT1_lS7_lS8_lS4_lPT4_lS8_li.has_recursion, 0
	.set _ZL20rocblas_gemvn_kernelILi32ELi16EiPKddKPdEviiT3_lPKT2_lT1_lS7_lS8_lS4_lPT4_lS8_li.has_indirect_call, 0
	.section	.AMDGPU.csdata,"",@progbits
; Kernel info:
; codeLenInByte = 2940
; TotalNumSgprs: 50
; NumVgprs: 86
; ScratchSize: 0
; MemoryBound: 0
; FloatMode: 240
; IeeeMode: 1
; LDSByteSize: 16384 bytes/workgroup (compile time only)
; SGPRBlocks: 0
; VGPRBlocks: 5
; NumSGPRsForWavesPerEU: 50
; NumVGPRsForWavesPerEU: 86
; NamedBarCnt: 0
; Occupancy: 10
; WaveLimiterHint : 1
; COMPUTE_PGM_RSRC2:SCRATCH_EN: 0
; COMPUTE_PGM_RSRC2:USER_SGPR: 2
; COMPUTE_PGM_RSRC2:TRAP_HANDLER: 0
; COMPUTE_PGM_RSRC2:TGID_X_EN: 1
; COMPUTE_PGM_RSRC2:TGID_Y_EN: 0
; COMPUTE_PGM_RSRC2:TGID_Z_EN: 1
; COMPUTE_PGM_RSRC2:TIDIG_COMP_CNT: 1
	.section	.text._ZL20rocblas_gemvn_kernelILi32ELi16ElPKddKPdEviiT3_lPKT2_lT1_lS7_lS8_lS4_lPT4_lS8_li,"axG",@progbits,_ZL20rocblas_gemvn_kernelILi32ELi16ElPKddKPdEviiT3_lPKT2_lT1_lS7_lS8_lS4_lPT4_lS8_li,comdat
	.globl	_ZL20rocblas_gemvn_kernelILi32ELi16ElPKddKPdEviiT3_lPKT2_lT1_lS7_lS8_lS4_lPT4_lS8_li ; -- Begin function _ZL20rocblas_gemvn_kernelILi32ELi16ElPKddKPdEviiT3_lPKT2_lT1_lS7_lS8_lS4_lPT4_lS8_li
	.p2align	8
	.type	_ZL20rocblas_gemvn_kernelILi32ELi16ElPKddKPdEviiT3_lPKT2_lT1_lS7_lS8_lS4_lPT4_lS8_li,@function
_ZL20rocblas_gemvn_kernelILi32ELi16ElPKddKPdEviiT3_lPKT2_lT1_lS7_lS8_lS4_lPT4_lS8_li: ; @_ZL20rocblas_gemvn_kernelILi32ELi16ElPKddKPdEviiT3_lPKT2_lT1_lS7_lS8_lS4_lPT4_lS8_li
; %bb.0:
	s_clause 0x1
	s_load_b64 s[2:3], s[0:1], 0x9c
	s_load_b32 s33, s[0:1], 0x88
	s_bfe_u32 s4, ttmp6, 0x40014
	s_lshr_b32 s5, ttmp7, 16
	s_add_co_i32 s4, s4, 1
	s_bfe_u32 s6, ttmp6, 0x40008
	s_mul_i32 s7, s5, s4
	s_getreg_b32 s4, hwreg(HW_REG_IB_STS2, 6, 4)
	s_add_co_i32 s6, s6, s7
	s_mov_b32 s11, 0
	s_wait_kmcnt 0x0
	s_lshr_b32 s7, s2, 16
	s_and_b32 s2, s2, 0xffff
	s_and_b32 s3, s3, 0xffff
	s_mul_i32 s2, s7, s2
	s_cmp_eq_u32 s4, 0
	s_mul_i32 s2, s2, s3
	s_cselect_b32 s10, s5, s6
	s_cmp_lg_u32 s2, 0x200
	s_cselect_b32 s2, -1, 0
	s_cmp_ge_u32 s10, s33
	s_cselect_b32 s3, -1, 0
	s_delay_alu instid0(SALU_CYCLE_1) | instskip(NEXT) | instid1(SALU_CYCLE_1)
	s_or_b32 s2, s2, s3
	s_and_b32 vcc_lo, exec_lo, s2
	s_cbranch_vccnz .LBB253_58
; %bb.1:
	s_clause 0x6
	s_load_b64 s[28:29], s[0:1], 0x58
	s_load_b128 s[12:15], s[0:1], 0x0
	s_load_b128 s[16:19], s[0:1], 0x18
	s_load_b64 s[30:31], s[0:1], 0x48
	s_load_b64 s[34:35], s[0:1], 0x28
	s_load_b128 s[20:23], s[0:1], 0x38
	s_load_b64 s[2:3], s[0:1], 0x78
	s_bfe_u32 s7, ttmp6, 0x4000c
	v_bfe_u32 v4, v0, 10, 10
	s_add_co_i32 s7, s7, 1
	v_and_b32_e32 v24, 0x3ff, v0
	s_and_b32 s8, ttmp6, 15
	s_mul_i32 s7, ttmp9, s7
	v_dual_mov_b32 v1, 0 :: v_dual_lshlrev_b32 v88, 2, v4
	s_add_co_i32 s8, s8, s7
	v_lshl_add_u32 v14, v4, 5, v24
	s_load_b128 s[24:27], s[0:1], 0x68
	s_wait_kmcnt 0x0
	v_mad_nc_u64_u32 v[6:7], s30, v88, s[30:31]
	v_cmp_neq_f64_e64 s5, s[28:29], 1.0
	v_cmp_neq_f64_e64 s6, s[14:15], 0
	v_mad_nc_u64_u32 v[12:13], s34, v88, s[34:35]
	s_mov_b32 s0, s12
	v_cmp_eq_f64_e64 s41, s[14:15], 0
	v_cmp_neq_f64_e64 s44, s[28:29], 0
	v_mad_u32 v7, s31, v88, v7
	s_delay_alu instid0(VALU_DEP_4)
	v_mad_u32 v13, s35, v88, v13
	s_or_b32 s40, s6, s5
	s_cmp_eq_u32 s4, 0
	v_cndmask_b32_e64 v89, 0, 1, s6
	s_cselect_b32 s4, ttmp9, s8
	s_ashr_i32 s1, s12, 31
	s_lshl_b32 s4, s4, 7
	s_delay_alu instid0(SALU_CYCLE_1) | instskip(NEXT) | instid1(VALU_DEP_1)
	v_dual_mov_b32 v5, v1 :: v_dual_add_nc_u32 v0, s4, v14
	v_mul_u64_e32 v[8:9], s[30:31], v[4:5]
	v_mul_u64_e32 v[10:11], s[34:35], v[4:5]
	v_lshlrev_b32_e32 v5, 3, v24
	s_delay_alu instid0(VALU_DEP_4)
	v_cmp_gt_i64_e32 vcc_lo, s[0:1], v[0:1]
	v_mul_u64_e32 v[2:3], s[2:3], v[0:1]
	v_cmp_gt_u32_e64 s0, 0x80, v14
	v_or_b32_e32 v14, s4, v14
	v_or_b32_e32 v0, 3, v88
	v_lshl_add_u32 v90, v4, 10, v5
	v_lshl_add_u32 v91, v4, 8, v5
	v_lshlrev_b64_e32 v[4:5], 3, v[6:7]
	v_ashrrev_i32_e32 v15, 31, v14
	v_mul_u64_e32 v[16:17], s[34:35], v[0:1]
	v_mul_u64_e32 v[18:19], s[30:31], v[0:1]
	v_or_b32_e32 v0, 2, v88
	v_lshlrev_b64_e32 v[6:7], 3, v[12:13]
	v_mul_u64_e32 v[12:13], s[2:3], v[14:15]
	s_ashr_i32 s1, s13, 31
	v_add_nc_u32_e32 v24, s4, v24
	v_mul_u64_e32 v[20:21], s[34:35], v[0:1]
	v_mul_u64_e32 v[22:23], s[30:31], v[0:1]
	s_lshr_b32 s1, s1, 26
	s_delay_alu instid0(SALU_CYCLE_1)
	s_add_co_i32 s42, s13, s1
	v_dual_ashrrev_i32 v25, 31, v24 :: v_dual_add_nc_u32 v0, 32, v24
	v_add_nc_u32_e32 v15, 64, v24
	s_and_not1_b32 s42, s42, 63
	v_add_nc_u32_e32 v26, 0x60, v24
	s_sub_co_i32 s3, s13, s42
	v_cmp_gt_i32_e64 s1, s42, v88
	s_cmp_gt_i32 s3, 0
	v_lshlrev_b64_e32 v[8:9], 5, v[8:9]
	v_lshlrev_b64_e32 v[10:11], 5, v[10:11]
	v_cmp_gt_i32_e64 s3, s12, v14
	v_cmp_gt_i32_e64 s5, s12, v15
	v_lshlrev_b64_e32 v[14:15], 3, v[24:25]
	v_cmp_gt_i32_e64 s2, s12, v24
	v_cmp_gt_i32_e64 s4, s12, v0
	v_cmp_gt_i32_e64 s6, s12, v26
	s_cselect_b32 s43, -1, 0
	s_lshl_b64 s[36:37], s[30:31], 9
	s_lshl_b64 s[38:39], s[34:35], 9
	s_and_b32 s12, s0, vcc_lo
	v_lshlrev_b64_e32 v[16:17], 3, v[16:17]
	v_lshlrev_b64_e32 v[18:19], 3, v[18:19]
	s_lshl_b64 s[18:19], s[18:19], 3
	s_lshl_b64 s[22:23], s[22:23], 3
	;; [unrolled: 1-line block ×3, first 2 shown]
	v_lshlrev_b64_e32 v[20:21], 3, v[20:21]
	v_lshlrev_b64_e32 v[22:23], 3, v[22:23]
	s_branch .LBB253_4
.LBB253_2:                              ;   in Loop: Header=BB253_4 Depth=1
	s_wait_xcnt 0x0
	s_or_b32 exec_lo, exec_lo, s7
.LBB253_3:                              ;   in Loop: Header=BB253_4 Depth=1
	s_add_co_i32 s10, s10, 0x10000
	s_delay_alu instid0(SALU_CYCLE_1)
	s_cmp_lt_u32 s10, s33
	s_cbranch_scc0 .LBB253_58
.LBB253_4:                              ; =>This Loop Header: Depth=1
                                        ;     Child Loop BB253_26 Depth 2
	s_and_not1_b32 vcc_lo, exec_lo, s40
	s_cbranch_vccnz .LBB253_3
; %bb.5:                                ;   in Loop: Header=BB253_4 Depth=1
	s_and_not1_b32 vcc_lo, exec_lo, s41
	s_cbranch_vccnz .LBB253_7
; %bb.6:                                ;   in Loop: Header=BB253_4 Depth=1
	v_mov_b64_e32 v[36:37], 0
	v_mov_b64_e32 v[34:35], 0
	s_cbranch_execz .LBB253_8
	s_branch .LBB253_9
.LBB253_7:                              ;   in Loop: Header=BB253_4 Depth=1
	v_mov_b64_e32 v[36:37], 0
	v_mov_b64_e32 v[34:35], 0
.LBB253_8:                              ;   in Loop: Header=BB253_4 Depth=1
	s_lshl_b64 s[8:9], s[10:11], 3
	s_delay_alu instid0(SALU_CYCLE_1)
	s_add_nc_u64 s[8:9], s[16:17], s[8:9]
	global_load_b64 v[24:25], v1, s[8:9]
	s_wait_loadcnt 0x0
	v_add_nc_u64_e32 v[34:35], s[18:19], v[24:25]
.LBB253_9:                              ;   in Loop: Header=BB253_4 Depth=1
	v_cmp_ne_u32_e32 vcc_lo, 1, v89
	s_cbranch_vccnz .LBB253_11
; %bb.10:                               ;   in Loop: Header=BB253_4 Depth=1
	s_wait_xcnt 0x0
	s_lshl_b64 s[8:9], s[10:11], 3
	s_delay_alu instid0(SALU_CYCLE_1)
	s_add_nc_u64 s[8:9], s[20:21], s[8:9]
	global_load_b64 v[24:25], v1, s[8:9]
	s_wait_loadcnt 0x0
	v_add_nc_u64_e32 v[36:37], s[22:23], v[24:25]
.LBB253_11:                             ;   in Loop: Header=BB253_4 Depth=1
	s_wait_xcnt 0x0
	s_lshl_b64 s[8:9], s[10:11], 3
	s_and_not1_b32 vcc_lo, exec_lo, s41
	s_add_nc_u64 s[8:9], s[24:25], s[8:9]
	global_load_b64 v[24:25], v1, s[8:9]
	s_wait_loadcnt 0x0
	v_add_nc_u64_e32 v[24:25], s[26:27], v[24:25]
	s_cbranch_vccnz .LBB253_15
; %bb.12:                               ;   in Loop: Header=BB253_4 Depth=1
	s_mov_b32 s7, 0
	s_mov_b32 s45, 0
                                        ; implicit-def: $vgpr26_vgpr27
	s_wait_xcnt 0x0
	s_and_saveexec_b32 s8, s12
	s_cbranch_execz .LBB253_16
; %bb.13:                               ;   in Loop: Header=BB253_4 Depth=1
	s_and_not1_b32 vcc_lo, exec_lo, s44
	s_cbranch_vccnz .LBB253_18
; %bb.14:                               ;   in Loop: Header=BB253_4 Depth=1
	v_lshl_add_u64 v[26:27], v[2:3], 3, v[24:25]
	flat_load_b64 v[26:27], v[26:27]
	s_wait_loadcnt_dscnt 0x0
	s_wait_xcnt 0x0
	v_mul_f64_e32 v[26:27], s[28:29], v[26:27]
	s_branch .LBB253_19
.LBB253_15:                             ;   in Loop: Header=BB253_4 Depth=1
	s_mov_b32 s45, 0
                                        ; implicit-def: $vgpr26_vgpr27
	s_cbranch_execz .LBB253_17
	s_branch .LBB253_20
.LBB253_16:                             ;   in Loop: Header=BB253_4 Depth=1
	s_or_b32 exec_lo, exec_lo, s8
	s_delay_alu instid0(SALU_CYCLE_1)
	s_and_b32 vcc_lo, exec_lo, s7
	s_cbranch_vccnz .LBB253_20
.LBB253_17:                             ;   in Loop: Header=BB253_4 Depth=1
	v_mov_b64_e32 v[28:29], v[2:3]
	s_wait_xcnt 0x0
	s_and_saveexec_b32 s7, s45
	s_cbranch_execz .LBB253_2
	s_branch .LBB253_57
.LBB253_18:                             ;   in Loop: Header=BB253_4 Depth=1
	v_mov_b64_e32 v[26:27], 0
.LBB253_19:                             ;   in Loop: Header=BB253_4 Depth=1
	s_mov_b32 s45, exec_lo
	s_or_b32 exec_lo, exec_lo, s8
	s_delay_alu instid0(SALU_CYCLE_1)
	s_and_b32 vcc_lo, exec_lo, s7
	s_cbranch_vccz .LBB253_17
.LBB253_20:                             ;   in Loop: Header=BB253_4 Depth=1
	v_mov_b64_e32 v[26:27], 0
	v_mov_b64_e32 v[28:29], 0
	v_mov_b64_e32 v[30:31], 0
	v_mov_b64_e32 v[32:33], 0
	v_mov_b32_e32 v0, v88
	s_wait_xcnt 0x0
	s_and_saveexec_b32 s7, s1
	s_cbranch_execz .LBB253_32
; %bb.21:                               ;   in Loop: Header=BB253_4 Depth=1
	v_add_nc_u64_e32 v[38:39], v[34:35], v[16:17]
	v_add_nc_u64_e32 v[40:41], v[34:35], v[10:11]
	;; [unrolled: 1-line block ×4, first 2 shown]
	v_mov_b64_e32 v[26:27], 0
	v_mov_b64_e32 v[28:29], 0
	v_mov_b64_e32 v[30:31], 0
	v_mov_b64_e32 v[32:33], 0
	v_mov_b64_e32 v[46:47], v[36:37]
	v_mov_b32_e32 v0, v88
	s_mov_b32 s8, 0
	s_branch .LBB253_26
.LBB253_22:                             ;   in Loop: Header=BB253_26 Depth=2
	s_wait_xcnt 0x0
	s_or_b32 exec_lo, exec_lo, s48
	s_wait_loadcnt_dscnt 0x303
	v_fmac_f64_e32 v[30:31], v[54:55], v[86:87]
	s_wait_loadcnt_dscnt 0x202
	s_delay_alu instid0(VALU_DEP_1) | instskip(SKIP_1) | instid1(VALU_DEP_1)
	v_fmac_f64_e32 v[30:31], v[52:53], v[84:85]
	s_wait_loadcnt_dscnt 0x101
	v_fmac_f64_e32 v[30:31], v[50:51], v[82:83]
	s_wait_loadcnt_dscnt 0x0
	s_delay_alu instid0(VALU_DEP_1)
	v_fmac_f64_e32 v[30:31], v[48:49], v[80:81]
.LBB253_23:                             ;   in Loop: Header=BB253_26 Depth=2
	s_or_b32 exec_lo, exec_lo, s47
	s_wait_loadcnt_dscnt 0x303
	v_fmac_f64_e32 v[28:29], v[54:55], v[74:75]
	s_wait_loadcnt_dscnt 0x202
	s_delay_alu instid0(VALU_DEP_1) | instskip(SKIP_1) | instid1(VALU_DEP_1)
	v_fmac_f64_e32 v[28:29], v[52:53], v[68:69]
	s_wait_loadcnt_dscnt 0x101
	v_fmac_f64_e32 v[28:29], v[50:51], v[66:67]
	s_wait_loadcnt_dscnt 0x0
	s_delay_alu instid0(VALU_DEP_1)
	v_fmac_f64_e32 v[28:29], v[48:49], v[64:65]
.LBB253_24:                             ;   in Loop: Header=BB253_26 Depth=2
	s_or_b32 exec_lo, exec_lo, s46
	s_wait_loadcnt_dscnt 0x303
	v_fmac_f64_e32 v[26:27], v[54:55], v[62:63]
	s_wait_loadcnt_dscnt 0x202
	s_delay_alu instid0(VALU_DEP_1) | instskip(SKIP_1) | instid1(VALU_DEP_1)
	v_fmac_f64_e32 v[26:27], v[52:53], v[60:61]
	s_wait_loadcnt_dscnt 0x101
	v_fmac_f64_e32 v[26:27], v[50:51], v[58:59]
	s_wait_loadcnt_dscnt 0x0
	s_delay_alu instid0(VALU_DEP_1)
	v_fmac_f64_e32 v[26:27], v[48:49], v[56:57]
.LBB253_25:                             ;   in Loop: Header=BB253_26 Depth=2
	s_or_b32 exec_lo, exec_lo, s9
	v_add_nc_u32_e32 v0, 64, v0
	v_add_nc_u64_e32 v[46:47], s[36:37], v[46:47]
	v_add_nc_u64_e32 v[38:39], s[38:39], v[38:39]
	;; [unrolled: 1-line block ×4, first 2 shown]
	v_cmp_le_i32_e32 vcc_lo, s42, v0
	v_add_nc_u64_e32 v[44:45], s[38:39], v[44:45]
	s_or_b32 s8, vcc_lo, s8
	s_delay_alu instid0(SALU_CYCLE_1)
	s_and_not1_b32 exec_lo, exec_lo, s8
	s_cbranch_execz .LBB253_31
.LBB253_26:                             ;   Parent Loop BB253_4 Depth=1
                                        ; =>  This Inner Loop Header: Depth=2
	s_and_saveexec_b32 s9, s2
	s_cbranch_execz .LBB253_25
; %bb.27:                               ;   in Loop: Header=BB253_26 Depth=2
	s_delay_alu instid0(VALU_DEP_2)
	v_add_nc_u64_e32 v[64:65], v[46:47], v[8:9]
	v_add_nc_u64_e32 v[66:67], v[46:47], v[4:5]
	;; [unrolled: 1-line block ×8, first 2 shown]
	s_clause 0x3
	flat_load_b64 v[54:55], v[64:65]
	flat_load_b64 v[52:53], v[66:67]
	;; [unrolled: 1-line block ×8, first 2 shown]
	s_wait_xcnt 0x0
	s_and_saveexec_b32 s46, s4
	s_cbranch_execz .LBB253_24
; %bb.28:                               ;   in Loop: Header=BB253_26 Depth=2
	flat_load_b64 v[74:75], v[70:71] offset:256
	flat_load_b64 v[68:69], v[72:73] offset:256
	flat_load_b64 v[66:67], v[76:77] offset:256
	flat_load_b64 v[64:65], v[78:79] offset:256
	s_wait_xcnt 0x0
	s_and_saveexec_b32 s47, s5
	s_cbranch_execz .LBB253_23
; %bb.29:                               ;   in Loop: Header=BB253_26 Depth=2
	flat_load_b64 v[86:87], v[70:71] offset:512
	flat_load_b64 v[84:85], v[72:73] offset:512
	flat_load_b64 v[82:83], v[76:77] offset:512
	flat_load_b64 v[80:81], v[78:79] offset:512
	;; [unrolled: 8-line block ×3, first 2 shown]
	s_wait_loadcnt_dscnt 0x303
	v_fmac_f64_e32 v[32:33], v[54:55], v[92:93]
	s_wait_loadcnt_dscnt 0x202
	s_delay_alu instid0(VALU_DEP_1) | instskip(SKIP_1) | instid1(VALU_DEP_1)
	v_fmac_f64_e32 v[32:33], v[52:53], v[94:95]
	s_wait_loadcnt_dscnt 0x101
	v_fmac_f64_e32 v[32:33], v[50:51], v[96:97]
	s_wait_loadcnt_dscnt 0x0
	s_delay_alu instid0(VALU_DEP_1)
	v_fmac_f64_e32 v[32:33], v[48:49], v[98:99]
	s_branch .LBB253_22
.LBB253_31:                             ;   in Loop: Header=BB253_4 Depth=1
	s_or_b32 exec_lo, exec_lo, s8
.LBB253_32:                             ;   in Loop: Header=BB253_4 Depth=1
	s_delay_alu instid0(SALU_CYCLE_1) | instskip(NEXT) | instid1(SALU_CYCLE_1)
	s_or_b32 exec_lo, exec_lo, s7
	s_and_not1_b32 vcc_lo, exec_lo, s43
	s_cbranch_vccnz .LBB253_50
; %bb.33:                               ;   in Loop: Header=BB253_4 Depth=1
	v_mov_b64_e32 v[44:45], 0
	v_mov_b64_e32 v[42:43], 0
	;; [unrolled: 1-line block ×4, first 2 shown]
	v_cmp_gt_i32_e32 vcc_lo, s13, v0
	v_or_b32_e32 v46, 1, v0
	s_and_saveexec_b32 s8, vcc_lo
	s_cbranch_execz .LBB253_41
; %bb.34:                               ;   in Loop: Header=BB253_4 Depth=1
	v_mul_u64_e32 v[38:39], s[30:31], v[0:1]
	v_mov_b64_e32 v[40:41], 0
	v_mov_b64_e32 v[42:43], 0
	;; [unrolled: 1-line block ×3, first 2 shown]
	s_mov_b32 s9, exec_lo
	s_delay_alu instid0(VALU_DEP_4)
	v_lshl_add_u64 v[38:39], v[38:39], 3, v[36:37]
	flat_load_b64 v[38:39], v[38:39]
	s_wait_xcnt 0x0
	v_cmpx_gt_i32_e64 s13, v46
	s_cbranch_execz .LBB253_40
; %bb.35:                               ;   in Loop: Header=BB253_4 Depth=1
	v_dual_mov_b32 v47, v1 :: v_dual_bitop2_b32 v48, 2, v0 bitop3:0x54
	v_mov_b64_e32 v[42:43], 0
	v_mov_b64_e32 v[44:45], 0
	s_mov_b32 s46, exec_lo
	s_delay_alu instid0(VALU_DEP_3) | instskip(NEXT) | instid1(VALU_DEP_1)
	v_mul_u64_e32 v[40:41], s[30:31], v[46:47]
	v_lshl_add_u64 v[40:41], v[40:41], 3, v[36:37]
	flat_load_b64 v[40:41], v[40:41]
	s_wait_xcnt 0x0
	v_cmpx_gt_i32_e64 s13, v48
	s_cbranch_execz .LBB253_39
; %bb.36:                               ;   in Loop: Header=BB253_4 Depth=1
	v_mov_b32_e32 v49, v1
	v_mov_b64_e32 v[44:45], 0
	s_mov_b32 s47, exec_lo
	s_delay_alu instid0(VALU_DEP_2) | instskip(SKIP_1) | instid1(VALU_DEP_2)
	v_mul_u64_e32 v[42:43], s[30:31], v[48:49]
	v_or_b32_e32 v48, 3, v0
	v_lshl_add_u64 v[42:43], v[42:43], 3, v[36:37]
	flat_load_b64 v[42:43], v[42:43]
	s_wait_xcnt 0x0
	v_cmpx_gt_i32_e64 s13, v48
	s_cbranch_execz .LBB253_38
; %bb.37:                               ;   in Loop: Header=BB253_4 Depth=1
	v_mov_b32_e32 v49, v1
	s_delay_alu instid0(VALU_DEP_1) | instskip(NEXT) | instid1(VALU_DEP_1)
	v_mul_u64_e32 v[44:45], s[30:31], v[48:49]
	v_lshl_add_u64 v[36:37], v[44:45], 3, v[36:37]
	flat_load_b64 v[44:45], v[36:37]
.LBB253_38:                             ;   in Loop: Header=BB253_4 Depth=1
	s_wait_xcnt 0x0
	s_or_b32 exec_lo, exec_lo, s47
.LBB253_39:                             ;   in Loop: Header=BB253_4 Depth=1
	s_delay_alu instid0(SALU_CYCLE_1)
	s_or_b32 exec_lo, exec_lo, s46
.LBB253_40:                             ;   in Loop: Header=BB253_4 Depth=1
	s_delay_alu instid0(SALU_CYCLE_1)
	s_or_b32 exec_lo, exec_lo, s9
.LBB253_41:                             ;   in Loop: Header=BB253_4 Depth=1
	s_delay_alu instid0(SALU_CYCLE_1)
	s_or_b32 exec_lo, exec_lo, s8
	s_and_saveexec_b32 s46, s2
	s_cbranch_execz .LBB253_49
; %bb.42:                               ;   in Loop: Header=BB253_4 Depth=1
	v_dual_mov_b32 v47, v1 :: v_dual_bitop2_b32 v36, 2, v0 bitop3:0x54
	v_mov_b32_e32 v37, v1
	v_mul_u64_e32 v[48:49], s[34:35], v[0:1]
	v_or_b32_e32 v0, 3, v0
	s_delay_alu instid0(VALU_DEP_4)
	v_mul_u64_e32 v[50:51], s[34:35], v[46:47]
	v_cmp_gt_i32_e64 s7, s13, v46
	v_mul_u64_e32 v[52:53], s[34:35], v[36:37]
	v_cmp_gt_i32_e64 s8, s13, v36
	;; [unrolled: 2-line block ×3, first 2 shown]
	v_dual_cndmask_b32 v37, 0, v49 :: v_dual_cndmask_b32 v36, 0, v48
	v_dual_cndmask_b32 v47, 0, v51, s7 :: v_dual_cndmask_b32 v46, 0, v50, s7
	v_dual_cndmask_b32 v49, 0, v53, s8 :: v_dual_cndmask_b32 v48, 0, v52, s8
	s_delay_alu instid0(VALU_DEP_4) | instskip(NEXT) | instid1(VALU_DEP_4)
	v_dual_cndmask_b32 v51, 0, v55, s9 :: v_dual_cndmask_b32 v50, 0, v54, s9
	v_lshl_add_u64 v[36:37], v[36:37], 3, v[34:35]
	s_delay_alu instid0(VALU_DEP_4) | instskip(NEXT) | instid1(VALU_DEP_4)
	v_lshl_add_u64 v[46:47], v[46:47], 3, v[34:35]
	v_lshl_add_u64 v[48:49], v[48:49], 3, v[34:35]
	s_delay_alu instid0(VALU_DEP_4) | instskip(NEXT) | instid1(VALU_DEP_4)
	v_lshl_add_u64 v[34:35], v[50:51], 3, v[34:35]
	v_add_nc_u64_e32 v[60:61], v[36:37], v[14:15]
	s_delay_alu instid0(VALU_DEP_4) | instskip(NEXT) | instid1(VALU_DEP_4)
	v_add_nc_u64_e32 v[58:59], v[46:47], v[14:15]
	v_add_nc_u64_e32 v[64:65], v[48:49], v[14:15]
	s_delay_alu instid0(VALU_DEP_4)
	v_add_nc_u64_e32 v[62:63], v[34:35], v[14:15]
	s_clause 0x3
	flat_load_b64 v[48:49], v[60:61]
	flat_load_b64 v[46:47], v[58:59]
	;; [unrolled: 1-line block ×4, first 2 shown]
	s_wait_xcnt 0x0
	s_and_saveexec_b32 s7, s4
	s_cbranch_execz .LBB253_48
; %bb.43:                               ;   in Loop: Header=BB253_4 Depth=1
	s_clause 0x3
	flat_load_b64 v[56:57], v[60:61] offset:256
	flat_load_b64 v[54:55], v[58:59] offset:256
	flat_load_b64 v[52:53], v[64:65] offset:256
	flat_load_b64 v[50:51], v[62:63] offset:256
	s_wait_xcnt 0x0
	s_and_saveexec_b32 s8, s5
	s_cbranch_execz .LBB253_47
; %bb.44:                               ;   in Loop: Header=BB253_4 Depth=1
	s_clause 0x3
	flat_load_b64 v[72:73], v[60:61] offset:512
	flat_load_b64 v[70:71], v[58:59] offset:512
	flat_load_b64 v[68:69], v[64:65] offset:512
	flat_load_b64 v[66:67], v[62:63] offset:512
	;; [unrolled: 9-line block ×3, first 2 shown]
	s_wait_loadcnt_dscnt 0x303
	v_fmac_f64_e32 v[32:33], v[38:39], v[74:75]
	s_wait_loadcnt_dscnt 0x202
	s_delay_alu instid0(VALU_DEP_1) | instskip(SKIP_1) | instid1(VALU_DEP_1)
	v_fmac_f64_e32 v[32:33], v[40:41], v[76:77]
	s_wait_loadcnt_dscnt 0x101
	v_fmac_f64_e32 v[32:33], v[42:43], v[78:79]
	s_wait_loadcnt_dscnt 0x0
	s_delay_alu instid0(VALU_DEP_1)
	v_fmac_f64_e32 v[32:33], v[44:45], v[80:81]
.LBB253_46:                             ;   in Loop: Header=BB253_4 Depth=1
	s_wait_xcnt 0x0
	s_or_b32 exec_lo, exec_lo, s9
	s_wait_loadcnt_dscnt 0x303
	v_fmac_f64_e32 v[30:31], v[38:39], v[72:73]
	s_wait_loadcnt_dscnt 0x202
	s_delay_alu instid0(VALU_DEP_1) | instskip(SKIP_1) | instid1(VALU_DEP_1)
	v_fmac_f64_e32 v[30:31], v[40:41], v[70:71]
	s_wait_loadcnt_dscnt 0x101
	v_fmac_f64_e32 v[30:31], v[42:43], v[68:69]
	s_wait_loadcnt_dscnt 0x0
	s_delay_alu instid0(VALU_DEP_1)
	v_fmac_f64_e32 v[30:31], v[44:45], v[66:67]
.LBB253_47:                             ;   in Loop: Header=BB253_4 Depth=1
	s_or_b32 exec_lo, exec_lo, s8
	s_wait_loadcnt_dscnt 0x303
	v_fmac_f64_e32 v[28:29], v[38:39], v[56:57]
	s_wait_loadcnt_dscnt 0x202
	s_delay_alu instid0(VALU_DEP_1) | instskip(SKIP_1) | instid1(VALU_DEP_1)
	v_fmac_f64_e32 v[28:29], v[40:41], v[54:55]
	s_wait_loadcnt_dscnt 0x101
	v_fmac_f64_e32 v[28:29], v[42:43], v[52:53]
	s_wait_loadcnt_dscnt 0x0
	s_delay_alu instid0(VALU_DEP_1)
	v_fmac_f64_e32 v[28:29], v[44:45], v[50:51]
.LBB253_48:                             ;   in Loop: Header=BB253_4 Depth=1
	s_or_b32 exec_lo, exec_lo, s7
	s_wait_loadcnt_dscnt 0x303
	v_fmac_f64_e32 v[26:27], v[38:39], v[48:49]
	s_wait_loadcnt_dscnt 0x202
	s_delay_alu instid0(VALU_DEP_1) | instskip(SKIP_1) | instid1(VALU_DEP_1)
	v_fmac_f64_e32 v[26:27], v[40:41], v[46:47]
	s_wait_loadcnt_dscnt 0x101
	v_fmac_f64_e32 v[26:27], v[42:43], v[36:37]
	s_wait_loadcnt_dscnt 0x0
	s_delay_alu instid0(VALU_DEP_1)
	v_fmac_f64_e32 v[26:27], v[44:45], v[34:35]
.LBB253_49:                             ;   in Loop: Header=BB253_4 Depth=1
	s_or_b32 exec_lo, exec_lo, s46
.LBB253_50:                             ;   in Loop: Header=BB253_4 Depth=1
	ds_store_2addr_b64 v90, v[26:27], v[28:29] offset1:32
	ds_store_2addr_b64 v90, v[30:31], v[32:33] offset0:64 offset1:96
	s_wait_loadcnt_dscnt 0x0
	s_barrier_signal -1
	s_barrier_wait -1
                                        ; implicit-def: $vgpr26_vgpr27
	s_and_saveexec_b32 s7, s0
	s_cbranch_execz .LBB253_56
; %bb.51:                               ;   in Loop: Header=BB253_4 Depth=1
	ds_load_2addr_stride64_b64 v[26:29], v91 offset1:2
	s_mov_b32 s9, s45
	s_wait_dscnt 0x0
	v_add_f64_e32 v[30:31], v[26:27], v[28:29]
	ds_load_2addr_stride64_b64 v[26:29], v91 offset0:4 offset1:6
	s_wait_dscnt 0x0
	v_add_f64_e32 v[26:27], v[26:27], v[30:31]
	s_delay_alu instid0(VALU_DEP_1) | instskip(SKIP_3) | instid1(VALU_DEP_1)
	v_add_f64_e32 v[30:31], v[28:29], v[26:27]
	ds_load_2addr_stride64_b64 v[26:29], v91 offset0:8 offset1:10
	s_wait_dscnt 0x0
	v_add_f64_e32 v[26:27], v[26:27], v[30:31]
	v_add_f64_e32 v[30:31], v[28:29], v[26:27]
	ds_load_2addr_stride64_b64 v[26:29], v91 offset0:12 offset1:14
	s_wait_dscnt 0x0
	v_add_f64_e32 v[26:27], v[26:27], v[30:31]
	s_delay_alu instid0(VALU_DEP_1) | instskip(SKIP_3) | instid1(VALU_DEP_1)
	v_add_f64_e32 v[30:31], v[28:29], v[26:27]
	ds_load_2addr_stride64_b64 v[26:29], v91 offset0:16 offset1:18
	s_wait_dscnt 0x0
	v_add_f64_e32 v[26:27], v[26:27], v[30:31]
	;; [unrolled: 9-line block ×3, first 2 shown]
	v_add_f64_e32 v[30:31], v[28:29], v[26:27]
	ds_load_2addr_stride64_b64 v[26:29], v91 offset0:28 offset1:30
	s_wait_dscnt 0x0
	v_add_f64_e32 v[26:27], v[26:27], v[30:31]
	s_delay_alu instid0(VALU_DEP_1)
	v_add_f64_e32 v[28:29], v[28:29], v[26:27]
                                        ; implicit-def: $vgpr26_vgpr27
	ds_store_b64 v91, v[28:29]
	s_and_saveexec_b32 s8, s3
	s_cbranch_execz .LBB253_55
; %bb.52:                               ;   in Loop: Header=BB253_4 Depth=1
	v_mul_f64_e32 v[26:27], s[14:15], v[28:29]
	s_and_not1_b32 vcc_lo, exec_lo, s44
	s_cbranch_vccnz .LBB253_54
; %bb.53:                               ;   in Loop: Header=BB253_4 Depth=1
	v_lshl_add_u64 v[28:29], v[12:13], 3, v[24:25]
	flat_load_b64 v[28:29], v[28:29]
	s_wait_loadcnt_dscnt 0x0
	v_fmac_f64_e32 v[26:27], s[28:29], v[28:29]
.LBB253_54:                             ;   in Loop: Header=BB253_4 Depth=1
	s_or_b32 s9, s45, exec_lo
.LBB253_55:                             ;   in Loop: Header=BB253_4 Depth=1
	s_wait_xcnt 0x0
	s_or_b32 exec_lo, exec_lo, s8
	s_delay_alu instid0(SALU_CYCLE_1) | instskip(SKIP_1) | instid1(SALU_CYCLE_1)
	s_and_not1_b32 s8, s45, exec_lo
	s_and_b32 s9, s9, exec_lo
	s_or_b32 s45, s8, s9
.LBB253_56:                             ;   in Loop: Header=BB253_4 Depth=1
	s_or_b32 exec_lo, exec_lo, s7
	v_mov_b64_e32 v[28:29], v[12:13]
	s_and_saveexec_b32 s7, s45
	s_cbranch_execz .LBB253_2
.LBB253_57:                             ;   in Loop: Header=BB253_4 Depth=1
	s_delay_alu instid0(VALU_DEP_1)
	v_lshl_add_u64 v[24:25], v[28:29], 3, v[24:25]
	flat_store_b64 v[24:25], v[26:27]
	s_branch .LBB253_2
.LBB253_58:
	s_sendmsg sendmsg(MSG_DEALLOC_VGPRS)
	s_endpgm
	.section	.rodata,"a",@progbits
	.p2align	6, 0x0
	.amdhsa_kernel _ZL20rocblas_gemvn_kernelILi32ELi16ElPKddKPdEviiT3_lPKT2_lT1_lS7_lS8_lS4_lPT4_lS8_li
		.amdhsa_group_segment_fixed_size 16384
		.amdhsa_private_segment_fixed_size 0
		.amdhsa_kernarg_size 400
		.amdhsa_user_sgpr_count 2
		.amdhsa_user_sgpr_dispatch_ptr 0
		.amdhsa_user_sgpr_queue_ptr 0
		.amdhsa_user_sgpr_kernarg_segment_ptr 1
		.amdhsa_user_sgpr_dispatch_id 0
		.amdhsa_user_sgpr_kernarg_preload_length 0
		.amdhsa_user_sgpr_kernarg_preload_offset 0
		.amdhsa_user_sgpr_private_segment_size 0
		.amdhsa_wavefront_size32 1
		.amdhsa_uses_dynamic_stack 0
		.amdhsa_enable_private_segment 0
		.amdhsa_system_sgpr_workgroup_id_x 1
		.amdhsa_system_sgpr_workgroup_id_y 0
		.amdhsa_system_sgpr_workgroup_id_z 1
		.amdhsa_system_sgpr_workgroup_info 0
		.amdhsa_system_vgpr_workitem_id 1
		.amdhsa_next_free_vgpr 100
		.amdhsa_next_free_sgpr 49
		.amdhsa_named_barrier_count 0
		.amdhsa_reserve_vcc 1
		.amdhsa_float_round_mode_32 0
		.amdhsa_float_round_mode_16_64 0
		.amdhsa_float_denorm_mode_32 3
		.amdhsa_float_denorm_mode_16_64 3
		.amdhsa_fp16_overflow 0
		.amdhsa_memory_ordered 1
		.amdhsa_forward_progress 1
		.amdhsa_inst_pref_size 23
		.amdhsa_round_robin_scheduling 0
		.amdhsa_exception_fp_ieee_invalid_op 0
		.amdhsa_exception_fp_denorm_src 0
		.amdhsa_exception_fp_ieee_div_zero 0
		.amdhsa_exception_fp_ieee_overflow 0
		.amdhsa_exception_fp_ieee_underflow 0
		.amdhsa_exception_fp_ieee_inexact 0
		.amdhsa_exception_int_div_zero 0
	.end_amdhsa_kernel
	.section	.text._ZL20rocblas_gemvn_kernelILi32ELi16ElPKddKPdEviiT3_lPKT2_lT1_lS7_lS8_lS4_lPT4_lS8_li,"axG",@progbits,_ZL20rocblas_gemvn_kernelILi32ELi16ElPKddKPdEviiT3_lPKT2_lT1_lS7_lS8_lS4_lPT4_lS8_li,comdat
.Lfunc_end253:
	.size	_ZL20rocblas_gemvn_kernelILi32ELi16ElPKddKPdEviiT3_lPKT2_lT1_lS7_lS8_lS4_lPT4_lS8_li, .Lfunc_end253-_ZL20rocblas_gemvn_kernelILi32ELi16ElPKddKPdEviiT3_lPKT2_lT1_lS7_lS8_lS4_lPT4_lS8_li
                                        ; -- End function
	.set _ZL20rocblas_gemvn_kernelILi32ELi16ElPKddKPdEviiT3_lPKT2_lT1_lS7_lS8_lS4_lPT4_lS8_li.num_vgpr, 100
	.set _ZL20rocblas_gemvn_kernelILi32ELi16ElPKddKPdEviiT3_lPKT2_lT1_lS7_lS8_lS4_lPT4_lS8_li.num_agpr, 0
	.set _ZL20rocblas_gemvn_kernelILi32ELi16ElPKddKPdEviiT3_lPKT2_lT1_lS7_lS8_lS4_lPT4_lS8_li.numbered_sgpr, 49
	.set _ZL20rocblas_gemvn_kernelILi32ELi16ElPKddKPdEviiT3_lPKT2_lT1_lS7_lS8_lS4_lPT4_lS8_li.num_named_barrier, 0
	.set _ZL20rocblas_gemvn_kernelILi32ELi16ElPKddKPdEviiT3_lPKT2_lT1_lS7_lS8_lS4_lPT4_lS8_li.private_seg_size, 0
	.set _ZL20rocblas_gemvn_kernelILi32ELi16ElPKddKPdEviiT3_lPKT2_lT1_lS7_lS8_lS4_lPT4_lS8_li.uses_vcc, 1
	.set _ZL20rocblas_gemvn_kernelILi32ELi16ElPKddKPdEviiT3_lPKT2_lT1_lS7_lS8_lS4_lPT4_lS8_li.uses_flat_scratch, 1
	.set _ZL20rocblas_gemvn_kernelILi32ELi16ElPKddKPdEviiT3_lPKT2_lT1_lS7_lS8_lS4_lPT4_lS8_li.has_dyn_sized_stack, 0
	.set _ZL20rocblas_gemvn_kernelILi32ELi16ElPKddKPdEviiT3_lPKT2_lT1_lS7_lS8_lS4_lPT4_lS8_li.has_recursion, 0
	.set _ZL20rocblas_gemvn_kernelILi32ELi16ElPKddKPdEviiT3_lPKT2_lT1_lS7_lS8_lS4_lPT4_lS8_li.has_indirect_call, 0
	.section	.AMDGPU.csdata,"",@progbits
; Kernel info:
; codeLenInByte = 2848
; TotalNumSgprs: 51
; NumVgprs: 100
; ScratchSize: 0
; MemoryBound: 1
; FloatMode: 240
; IeeeMode: 1
; LDSByteSize: 16384 bytes/workgroup (compile time only)
; SGPRBlocks: 0
; VGPRBlocks: 6
; NumSGPRsForWavesPerEU: 51
; NumVGPRsForWavesPerEU: 100
; NamedBarCnt: 0
; Occupancy: 9
; WaveLimiterHint : 1
; COMPUTE_PGM_RSRC2:SCRATCH_EN: 0
; COMPUTE_PGM_RSRC2:USER_SGPR: 2
; COMPUTE_PGM_RSRC2:TRAP_HANDLER: 0
; COMPUTE_PGM_RSRC2:TGID_X_EN: 1
; COMPUTE_PGM_RSRC2:TGID_Y_EN: 0
; COMPUTE_PGM_RSRC2:TGID_Z_EN: 1
; COMPUTE_PGM_RSRC2:TIDIG_COMP_CNT: 1
	.section	.text._ZL20rocblas_gemvn_kernelILi64ELi16EiPKdS1_KPdEviiT3_lPKT2_lT1_lS7_lS8_lS4_lPT4_lS8_li,"axG",@progbits,_ZL20rocblas_gemvn_kernelILi64ELi16EiPKdS1_KPdEviiT3_lPKT2_lT1_lS7_lS8_lS4_lPT4_lS8_li,comdat
	.globl	_ZL20rocblas_gemvn_kernelILi64ELi16EiPKdS1_KPdEviiT3_lPKT2_lT1_lS7_lS8_lS4_lPT4_lS8_li ; -- Begin function _ZL20rocblas_gemvn_kernelILi64ELi16EiPKdS1_KPdEviiT3_lPKT2_lT1_lS7_lS8_lS4_lPT4_lS8_li
	.p2align	8
	.type	_ZL20rocblas_gemvn_kernelILi64ELi16EiPKdS1_KPdEviiT3_lPKT2_lT1_lS7_lS8_lS4_lPT4_lS8_li,@function
_ZL20rocblas_gemvn_kernelILi64ELi16EiPKdS1_KPdEviiT3_lPKT2_lT1_lS7_lS8_lS4_lPT4_lS8_li: ; @_ZL20rocblas_gemvn_kernelILi64ELi16EiPKdS1_KPdEviiT3_lPKT2_lT1_lS7_lS8_lS4_lPT4_lS8_li
; %bb.0:
	s_clause 0x1
	s_load_b64 s[4:5], s[0:1], 0x9c
	s_load_b32 s33, s[0:1], 0x88
	s_bfe_u32 s2, ttmp6, 0x40014
	s_lshr_b32 s3, ttmp7, 16
	s_add_co_i32 s2, s2, 1
	s_bfe_u32 s6, ttmp6, 0x40008
	s_mul_i32 s7, s3, s2
	s_getreg_b32 s2, hwreg(HW_REG_IB_STS2, 6, 4)
	s_add_co_i32 s6, s6, s7
	s_mov_b32 s11, 0
	s_wait_kmcnt 0x0
	s_lshr_b32 s7, s4, 16
	s_and_b32 s4, s4, 0xffff
	s_and_b32 s5, s5, 0xffff
	s_mul_i32 s4, s7, s4
	s_cmp_eq_u32 s2, 0
	s_mul_i32 s4, s4, s5
	s_cselect_b32 s10, s3, s6
	s_cmp_lg_u32 s4, 0x400
	s_cselect_b32 s3, -1, 0
	s_cmp_ge_u32 s10, s33
	s_cselect_b32 s4, -1, 0
	s_delay_alu instid0(SALU_CYCLE_1) | instskip(NEXT) | instid1(SALU_CYCLE_1)
	s_or_b32 s3, s3, s4
	s_and_b32 vcc_lo, exec_lo, s3
	s_cbranch_vccnz .LBB254_55
; %bb.1:
	s_clause 0x6
	s_load_b32 s4, s[0:1], 0x78
	s_load_b64 s[8:9], s[0:1], 0x0
	s_load_b256 s[12:19], s[0:1], 0x8
	s_load_b32 s34, s[0:1], 0x28
	s_load_b128 s[28:31], s[0:1], 0x38
	s_load_b32 s35, s[0:1], 0x48
	s_load_b256 s[20:27], s[0:1], 0x58
	s_wait_xcnt 0x0
	s_bfe_u32 s0, ttmp6, 0x4000c
	v_and_b32_e32 v6, 0x3ff, v0
	s_add_co_i32 s0, s0, 1
	v_bfe_u32 v7, v0, 10, 10
	s_and_b32 s1, ttmp6, 15
	s_mul_i32 s0, ttmp9, s0
	v_mov_b32_e32 v1, 0
	s_add_co_i32 s1, s1, s0
	v_lshl_add_u32 v5, v7, 6, v6
	v_lshlrev_b32_e32 v64, 2, v7
	s_wait_kmcnt 0x0
	s_ashr_i32 s5, s4, 31
	s_cmp_eq_u32 s2, 0
	s_mov_b32 s2, s8
	s_cselect_b32 s0, ttmp9, s1
	s_ashr_i32 s3, s8, 31
	s_lshl_b32 s36, s0, 8
	s_ashr_i32 s1, s9, 31
	v_dual_add_nc_u32 v0, s36, v5 :: v_dual_add_nc_u32 v65, s36, v6
	v_or_b32_e32 v8, s36, v5
	s_lshr_b32 s0, s1, 26
	v_mul_lo_u32 v11, v7, s34
	s_delay_alu instid0(VALU_DEP_3)
	v_mul_u64_e32 v[2:3], s[4:5], v[0:1]
	v_add_nc_u32_e32 v9, 0x80, v65
	v_add_nc_u32_e32 v4, 64, v65
	v_cmp_gt_i64_e32 vcc_lo, s[2:3], v[0:1]
	v_add_nc_u32_e32 v0, 0xc0, v65
	s_add_co_i32 s37, s9, s0
	v_cmp_gt_i32_e64 s3, s8, v9
	v_lshlrev_b32_e32 v9, 3, v6
	v_cmp_gt_i32_e64 s2, s8, v4
	v_mul_lo_u32 v4, s4, v8
	v_cmp_gt_i32_e64 s4, s8, v0
	s_and_not1_b32 s37, s37, 63
	v_lshl_add_u32 v0, v7, 11, v9
	v_lshl_add_u32 v66, v7, 9, v9
	v_mul_lo_u32 v7, v7, s35
	s_sub_co_i32 s6, s9, s37
	v_or_b32_e32 v9, 2, v64
	s_cmp_gt_i32 s6, 0
	v_cmp_gt_i32_e64 s6, s8, v8
	v_mul_lo_u32 v8, s34, v64
	v_or_b32_e32 v10, 3, v64
	v_mad_u32 v67, s34, v9, v6
	v_mad_u32 v69, s35, v64, s35
	v_mul_lo_u32 v70, s35, v9
	v_cmp_gt_u32_e64 s5, 0x100, v5
	v_lshlrev_b32_e32 v74, 2, v7
	v_mad_u32 v68, s34, v10, v6
	v_mul_lo_u32 v71, s35, v10
	v_cmp_gt_i32_e64 s0, s37, v64
	v_cmp_gt_i32_e64 s1, s8, v65
	v_ashrrev_i32_e32 v5, 31, v4
	v_add3_u32 v72, v8, s34, v6
	v_lshl_add_u32 v73, v11, 2, v6
	s_cselect_b32 s38, -1, 0
	s_and_b32 s39, s5, vcc_lo
	s_lshl_b32 s40, s34, 6
	s_lshl_b32 s41, s35, 6
	s_lshl_b64 s[18:19], s[18:19], 3
	s_lshl_b64 s[30:31], s[30:31], 3
	;; [unrolled: 1-line block ×3, first 2 shown]
	s_branch .LBB254_4
.LBB254_2:                              ;   in Loop: Header=BB254_4 Depth=1
	s_wait_xcnt 0x0
	s_or_b32 exec_lo, exec_lo, s7
.LBB254_3:                              ;   in Loop: Header=BB254_4 Depth=1
	s_add_co_i32 s10, s10, 0x10000
	s_delay_alu instid0(SALU_CYCLE_1)
	s_cmp_lt_u32 s10, s33
	s_cbranch_scc0 .LBB254_55
.LBB254_4:                              ; =>This Loop Header: Depth=1
                                        ;     Child Loop BB254_21 Depth 2
	s_wait_xcnt 0x1
	s_mul_u64 s[42:43], s[14:15], s[10:11]
	s_wait_xcnt 0x0
	s_mul_u64 s[44:45], s[22:23], s[10:11]
	s_lshl_b64 s[42:43], s[42:43], 3
	s_lshl_b64 s[44:45], s[44:45], 3
	s_add_nc_u64 s[42:43], s[12:13], s[42:43]
	s_add_nc_u64 s[44:45], s[20:21], s[44:45]
	s_clause 0x1
	global_load_b64 v[10:11], v1, s[42:43]
	global_load_b64 v[6:7], v1, s[44:45]
	s_wait_loadcnt 0x1
	v_cmp_eq_f64_e64 s7, 0, v[10:11]
	s_wait_loadcnt 0x0
	v_cmp_eq_f64_e32 vcc_lo, 1.0, v[6:7]
	s_and_b32 s8, s7, vcc_lo
	s_delay_alu instid0(SALU_CYCLE_1)
	s_and_b32 vcc_lo, exec_lo, s8
	s_cbranch_vccnz .LBB254_3
; %bb.5:                                ;   in Loop: Header=BB254_4 Depth=1
	v_cmp_neq_f64_e64 s8, 0, v[10:11]
	v_mov_b64_e32 v[22:23], 0
	v_mov_b64_e32 v[20:21], 0
	s_and_b32 vcc_lo, exec_lo, s7
	s_cbranch_vccnz .LBB254_7
; %bb.6:                                ;   in Loop: Header=BB254_4 Depth=1
	s_wait_xcnt 0x1
	s_lshl_b64 s[42:43], s[10:11], 3
	s_delay_alu instid0(SALU_CYCLE_1)
	s_add_nc_u64 s[42:43], s[16:17], s[42:43]
	global_load_b64 v[8:9], v1, s[42:43]
	s_wait_loadcnt 0x0
	v_add_nc_u64_e32 v[20:21], s[18:19], v[8:9]
.LBB254_7:                              ;   in Loop: Header=BB254_4 Depth=1
	s_and_not1_b32 vcc_lo, exec_lo, s8
	s_cbranch_vccnz .LBB254_9
; %bb.8:                                ;   in Loop: Header=BB254_4 Depth=1
	s_wait_xcnt 0x0
	s_lshl_b64 s[42:43], s[10:11], 3
	s_delay_alu instid0(SALU_CYCLE_1)
	s_add_nc_u64 s[42:43], s[28:29], s[42:43]
	global_load_b64 v[8:9], v1, s[42:43]
	s_wait_loadcnt 0x0
	v_add_nc_u64_e32 v[22:23], s[30:31], v[8:9]
.LBB254_9:                              ;   in Loop: Header=BB254_4 Depth=1
	s_wait_xcnt 0x0
	s_lshl_b64 s[42:43], s[10:11], 3
	s_and_not1_b32 vcc_lo, exec_lo, s7
	s_add_nc_u64 s[42:43], s[24:25], s[42:43]
	global_load_b64 v[8:9], v1, s[42:43]
	s_wait_loadcnt 0x0
	v_add_nc_u64_e32 v[8:9], s[26:27], v[8:9]
	s_cbranch_vccnz .LBB254_14
; %bb.10:                               ;   in Loop: Header=BB254_4 Depth=1
	s_mov_b32 s7, 0
	s_mov_b32 s8, 0
                                        ; implicit-def: $vgpr12_vgpr13
	s_wait_xcnt 0x0
	s_and_saveexec_b32 s42, s39
	s_cbranch_execz .LBB254_26
; %bb.11:                               ;   in Loop: Header=BB254_4 Depth=1
	v_cmp_eq_f64_e32 vcc_lo, 0, v[6:7]
	v_mov_b64_e32 v[12:13], 0
	s_cbranch_vccnz .LBB254_13
; %bb.12:                               ;   in Loop: Header=BB254_4 Depth=1
	v_lshl_add_u64 v[12:13], v[2:3], 3, v[8:9]
	flat_load_b64 v[12:13], v[12:13]
	s_wait_loadcnt_dscnt 0x0
	s_wait_xcnt 0x0
	v_mul_f64_e32 v[12:13], v[6:7], v[12:13]
.LBB254_13:                             ;   in Loop: Header=BB254_4 Depth=1
	s_mov_b32 s8, exec_lo
	s_or_b32 exec_lo, exec_lo, s42
	s_delay_alu instid0(SALU_CYCLE_1)
	s_and_b32 vcc_lo, exec_lo, s7
	s_cbranch_vccnz .LBB254_15
	s_branch .LBB254_27
.LBB254_14:                             ;   in Loop: Header=BB254_4 Depth=1
	s_mov_b32 s8, 0
                                        ; implicit-def: $vgpr12_vgpr13
	s_cbranch_execz .LBB254_27
.LBB254_15:                             ;   in Loop: Header=BB254_4 Depth=1
	v_mov_b64_e32 v[12:13], 0
	v_mov_b64_e32 v[14:15], 0
	;; [unrolled: 1-line block ×4, first 2 shown]
	v_mov_b32_e32 v75, v64
	s_wait_xcnt 0x0
	s_and_saveexec_b32 s7, s0
	s_cbranch_execz .LBB254_29
; %bb.16:                               ;   in Loop: Header=BB254_4 Depth=1
	v_mov_b64_e32 v[12:13], 0
	v_mov_b64_e32 v[14:15], 0
	;; [unrolled: 1-line block ×4, first 2 shown]
	v_dual_mov_b32 v76, v73 :: v_dual_mov_b32 v77, v68
	v_dual_mov_b32 v78, v67 :: v_dual_mov_b32 v79, v72
	v_mov_b32_e32 v75, v64
	s_mov_b32 s42, 0
	s_mov_b32 s43, 0
	s_branch .LBB254_21
.LBB254_17:                             ;   in Loop: Header=BB254_21 Depth=2
	s_wait_xcnt 0x0
	s_or_b32 exec_lo, exec_lo, s47
	s_wait_loadcnt_dscnt 0x303
	v_fmac_f64_e32 v[16:17], v[30:31], v[60:61]
	s_wait_loadcnt_dscnt 0x202
	s_delay_alu instid0(VALU_DEP_1) | instskip(SKIP_1) | instid1(VALU_DEP_1)
	v_fmac_f64_e32 v[16:17], v[28:29], v[56:57]
	s_wait_loadcnt_dscnt 0x101
	v_fmac_f64_e32 v[16:17], v[26:27], v[54:55]
	s_wait_loadcnt_dscnt 0x0
	s_delay_alu instid0(VALU_DEP_1)
	v_fmac_f64_e32 v[16:17], v[24:25], v[48:49]
.LBB254_18:                             ;   in Loop: Header=BB254_21 Depth=2
	s_or_b32 exec_lo, exec_lo, s46
	s_wait_loadcnt_dscnt 0x303
	v_fmac_f64_e32 v[14:15], v[30:31], v[46:47]
	s_wait_loadcnt_dscnt 0x202
	s_delay_alu instid0(VALU_DEP_1) | instskip(SKIP_1) | instid1(VALU_DEP_1)
	v_fmac_f64_e32 v[14:15], v[28:29], v[44:45]
	s_wait_loadcnt_dscnt 0x101
	v_fmac_f64_e32 v[14:15], v[26:27], v[42:43]
	s_wait_loadcnt_dscnt 0x0
	s_delay_alu instid0(VALU_DEP_1)
	v_fmac_f64_e32 v[14:15], v[24:25], v[40:41]
.LBB254_19:                             ;   in Loop: Header=BB254_21 Depth=2
	s_or_b32 exec_lo, exec_lo, s45
	s_wait_loadcnt_dscnt 0x303
	v_fmac_f64_e32 v[12:13], v[30:31], v[38:39]
	s_wait_loadcnt_dscnt 0x202
	s_delay_alu instid0(VALU_DEP_1) | instskip(SKIP_1) | instid1(VALU_DEP_1)
	v_fmac_f64_e32 v[12:13], v[28:29], v[36:37]
	s_wait_loadcnt_dscnt 0x101
	v_fmac_f64_e32 v[12:13], v[26:27], v[34:35]
	s_wait_loadcnt_dscnt 0x0
	s_delay_alu instid0(VALU_DEP_1)
	v_fmac_f64_e32 v[12:13], v[24:25], v[32:33]
.LBB254_20:                             ;   in Loop: Header=BB254_21 Depth=2
	s_or_b32 exec_lo, exec_lo, s44
	v_dual_add_nc_u32 v75, 64, v75 :: v_dual_add_nc_u32 v78, s40, v78
	v_dual_add_nc_u32 v79, s40, v79 :: v_dual_add_nc_u32 v77, s40, v77
	v_add_nc_u32_e32 v76, s40, v76
	s_delay_alu instid0(VALU_DEP_3) | instskip(SKIP_2) | instid1(SALU_CYCLE_1)
	v_cmp_le_i32_e32 vcc_lo, s37, v75
	s_add_co_i32 s43, s43, s41
	s_or_b32 s42, vcc_lo, s42
	s_and_not1_b32 exec_lo, exec_lo, s42
	s_cbranch_execz .LBB254_28
.LBB254_21:                             ;   Parent Loop BB254_4 Depth=1
                                        ; =>  This Inner Loop Header: Depth=2
	s_and_saveexec_b32 s44, s1
	s_cbranch_execz .LBB254_20
; %bb.22:                               ;   in Loop: Header=BB254_21 Depth=2
	v_dual_add_nc_u32 v41, s43, v74 :: v_dual_add_nc_u32 v43, s43, v69
	v_readfirstlane_b32 s46, v22
	v_readfirstlane_b32 s47, v23
	v_dual_add_nc_u32 v45, s43, v70 :: v_dual_add_nc_u32 v47, s43, v71
	v_dual_add_nc_u32 v40, s36, v76 :: v_dual_add_nc_u32 v42, s36, v79
	v_readfirstlane_b32 s48, v20
	v_readfirstlane_b32 s49, v21
	v_dual_add_nc_u32 v46, s36, v78 :: v_dual_add_nc_u32 v44, s36, v77
	s_clause 0x3
	flat_load_b64 v[30:31], v41, s[46:47] scale_offset
	flat_load_b64 v[28:29], v43, s[46:47] scale_offset
	;; [unrolled: 1-line block ×4, first 2 shown]
	s_clause 0x3
	flat_load_b64 v[38:39], v40, s[48:49] scale_offset
	flat_load_b64 v[36:37], v42, s[48:49] scale_offset
	;; [unrolled: 1-line block ×4, first 2 shown]
	s_wait_xcnt 0x0
	s_and_saveexec_b32 s45, s2
	s_cbranch_execz .LBB254_19
; %bb.23:                               ;   in Loop: Header=BB254_21 Depth=2
	v_dual_ashrrev_i32 v41, 31, v40 :: v_dual_ashrrev_i32 v43, 31, v42
	v_dual_ashrrev_i32 v47, 31, v46 :: v_dual_ashrrev_i32 v45, 31, v44
	s_delay_alu instid0(VALU_DEP_2) | instskip(NEXT) | instid1(VALU_DEP_3)
	v_lshl_add_u64 v[62:63], v[40:41], 3, v[20:21]
	v_lshl_add_u64 v[58:59], v[42:43], 3, v[20:21]
	s_delay_alu instid0(VALU_DEP_3) | instskip(NEXT) | instid1(VALU_DEP_4)
	v_lshl_add_u64 v[50:51], v[46:47], 3, v[20:21]
	v_lshl_add_u64 v[52:53], v[44:45], 3, v[20:21]
	s_clause 0x3
	flat_load_b64 v[46:47], v[62:63] offset:512
	flat_load_b64 v[44:45], v[58:59] offset:512
	;; [unrolled: 1-line block ×4, first 2 shown]
	s_wait_xcnt 0x0
	s_and_saveexec_b32 s46, s3
	s_cbranch_execz .LBB254_18
; %bb.24:                               ;   in Loop: Header=BB254_21 Depth=2
	s_clause 0x3
	flat_load_b64 v[60:61], v[62:63] offset:1024
	flat_load_b64 v[56:57], v[58:59] offset:1024
	;; [unrolled: 1-line block ×4, first 2 shown]
	s_wait_xcnt 0x0
	s_and_saveexec_b32 s47, s4
	s_cbranch_execz .LBB254_17
; %bb.25:                               ;   in Loop: Header=BB254_21 Depth=2
	s_clause 0x3
	flat_load_b64 v[62:63], v[62:63] offset:1536
	flat_load_b64 v[58:59], v[58:59] offset:1536
	;; [unrolled: 1-line block ×4, first 2 shown]
	s_wait_loadcnt_dscnt 0x303
	v_fmac_f64_e32 v[18:19], v[30:31], v[62:63]
	s_wait_loadcnt_dscnt 0x202
	s_delay_alu instid0(VALU_DEP_1) | instskip(SKIP_1) | instid1(VALU_DEP_1)
	v_fmac_f64_e32 v[18:19], v[28:29], v[58:59]
	s_wait_loadcnt_dscnt 0x101
	v_fmac_f64_e32 v[18:19], v[26:27], v[50:51]
	s_wait_loadcnt_dscnt 0x0
	s_delay_alu instid0(VALU_DEP_1)
	v_fmac_f64_e32 v[18:19], v[24:25], v[52:53]
	s_branch .LBB254_17
.LBB254_26:                             ;   in Loop: Header=BB254_4 Depth=1
	s_or_b32 exec_lo, exec_lo, s42
	s_delay_alu instid0(SALU_CYCLE_1)
	s_and_b32 vcc_lo, exec_lo, s7
	s_cbranch_vccnz .LBB254_15
.LBB254_27:                             ;   in Loop: Header=BB254_4 Depth=1
	v_mov_b64_e32 v[6:7], v[2:3]
	s_wait_xcnt 0x0
	s_and_saveexec_b32 s7, s8
	s_cbranch_execz .LBB254_2
	s_branch .LBB254_54
.LBB254_28:                             ;   in Loop: Header=BB254_4 Depth=1
	s_or_b32 exec_lo, exec_lo, s42
.LBB254_29:                             ;   in Loop: Header=BB254_4 Depth=1
	s_delay_alu instid0(SALU_CYCLE_1) | instskip(NEXT) | instid1(SALU_CYCLE_1)
	s_or_b32 exec_lo, exec_lo, s7
	s_and_not1_b32 vcc_lo, exec_lo, s38
	s_cbranch_vccnz .LBB254_47
; %bb.30:                               ;   in Loop: Header=BB254_4 Depth=1
	v_mov_b64_e32 v[30:31], 0
	v_mov_b64_e32 v[28:29], 0
	v_mov_b64_e32 v[26:27], 0
	v_mov_b64_e32 v[24:25], 0
	v_cmp_gt_i32_e32 vcc_lo, s9, v75
	v_or_b32_e32 v32, 1, v75
	s_and_saveexec_b32 s42, vcc_lo
	s_cbranch_execz .LBB254_38
; %bb.31:                               ;   in Loop: Header=BB254_4 Depth=1
	v_mul_lo_u32 v24, v75, s35
	v_readfirstlane_b32 s44, v22
	v_readfirstlane_b32 s45, v23
	v_mov_b64_e32 v[26:27], 0
	v_mov_b64_e32 v[28:29], 0
	v_mov_b64_e32 v[30:31], 0
	s_mov_b32 s43, exec_lo
	flat_load_b64 v[24:25], v24, s[44:45] scale_offset
	s_wait_xcnt 0x0
	v_cmpx_gt_i32_e64 s9, v32
	s_cbranch_execz .LBB254_37
; %bb.32:                               ;   in Loop: Header=BB254_4 Depth=1
	v_mul_lo_u32 v26, v32, s35
	v_readfirstlane_b32 s44, v22
	v_readfirstlane_b32 s45, v23
	v_mov_b64_e32 v[28:29], 0
	v_mov_b64_e32 v[30:31], 0
	v_or_b32_e32 v33, 2, v75
	flat_load_b64 v[26:27], v26, s[44:45] scale_offset
	s_wait_xcnt 0x0
	s_mov_b32 s44, exec_lo
	v_cmpx_gt_i32_e64 s9, v33
	s_cbranch_execz .LBB254_36
; %bb.33:                               ;   in Loop: Header=BB254_4 Depth=1
	v_mul_lo_u32 v28, v33, s35
	v_readfirstlane_b32 s46, v22
	v_readfirstlane_b32 s47, v23
	v_mov_b64_e32 v[30:31], 0
	v_or_b32_e32 v33, 3, v75
	s_mov_b32 s45, exec_lo
	flat_load_b64 v[28:29], v28, s[46:47] scale_offset
	s_wait_xcnt 0x0
	v_cmpx_gt_i32_e64 s9, v33
	s_cbranch_execz .LBB254_35
; %bb.34:                               ;   in Loop: Header=BB254_4 Depth=1
	v_mul_lo_u32 v30, v33, s35
	v_readfirstlane_b32 s46, v22
	v_readfirstlane_b32 s47, v23
	flat_load_b64 v[30:31], v30, s[46:47] scale_offset
.LBB254_35:                             ;   in Loop: Header=BB254_4 Depth=1
	s_wait_xcnt 0x0
	s_or_b32 exec_lo, exec_lo, s45
.LBB254_36:                             ;   in Loop: Header=BB254_4 Depth=1
	s_delay_alu instid0(SALU_CYCLE_1)
	s_or_b32 exec_lo, exec_lo, s44
.LBB254_37:                             ;   in Loop: Header=BB254_4 Depth=1
	s_delay_alu instid0(SALU_CYCLE_1)
	s_or_b32 exec_lo, exec_lo, s43
.LBB254_38:                             ;   in Loop: Header=BB254_4 Depth=1
	s_delay_alu instid0(SALU_CYCLE_1)
	s_or_b32 exec_lo, exec_lo, s42
	s_and_saveexec_b32 s7, s1
	s_cbranch_execz .LBB254_46
; %bb.39:                               ;   in Loop: Header=BB254_4 Depth=1
	v_mul_lo_u32 v23, v75, s34
	v_mul_lo_u32 v34, v32, s34
	v_readfirstlane_b32 s42, v20
	v_readfirstlane_b32 s43, v21
	s_delay_alu instid0(VALU_DEP_4) | instskip(SKIP_2) | instid1(VALU_DEP_3)
	v_cndmask_b32_e32 v23, 0, v23, vcc_lo
	v_cmp_gt_i32_e32 vcc_lo, s9, v32
	v_or_b32_e32 v22, 2, v75
	v_dual_add_nc_u32 v40, v23, v65 :: v_dual_bitop2_b32 v33, 3, v75 bitop3:0x54
	v_cndmask_b32_e32 v32, 0, v34, vcc_lo
	s_delay_alu instid0(VALU_DEP_3) | instskip(NEXT) | instid1(VALU_DEP_3)
	v_mul_lo_u32 v35, v22, s34
	v_mul_lo_u32 v36, v33, s34
	v_cmp_gt_i32_e32 vcc_lo, s9, v22
	s_delay_alu instid0(VALU_DEP_3) | instskip(SKIP_1) | instid1(VALU_DEP_2)
	v_dual_add_nc_u32 v42, v32, v65 :: v_dual_cndmask_b32 v22, 0, v35, vcc_lo
	v_cmp_gt_i32_e32 vcc_lo, s9, v33
	v_dual_cndmask_b32 v33, 0, v36 :: v_dual_add_nc_u32 v44, v22, v65
	s_delay_alu instid0(VALU_DEP_1)
	v_add_nc_u32_e32 v38, v33, v65
	s_clause 0x3
	flat_load_b64 v[36:37], v40, s[42:43] scale_offset
	flat_load_b64 v[34:35], v42, s[42:43] scale_offset
	;; [unrolled: 1-line block ×4, first 2 shown]
	s_wait_xcnt 0x0
	s_and_saveexec_b32 s42, s2
	s_cbranch_execz .LBB254_45
; %bb.40:                               ;   in Loop: Header=BB254_4 Depth=1
	v_dual_ashrrev_i32 v41, 31, v40 :: v_dual_ashrrev_i32 v43, 31, v42
	v_dual_ashrrev_i32 v45, 31, v44 :: v_dual_ashrrev_i32 v39, 31, v38
	s_delay_alu instid0(VALU_DEP_2) | instskip(NEXT) | instid1(VALU_DEP_3)
	v_lshl_add_u64 v[58:59], v[40:41], 3, v[20:21]
	v_lshl_add_u64 v[54:55], v[42:43], 3, v[20:21]
	s_delay_alu instid0(VALU_DEP_3) | instskip(NEXT) | instid1(VALU_DEP_4)
	v_lshl_add_u64 v[46:47], v[44:45], 3, v[20:21]
	v_lshl_add_u64 v[48:49], v[38:39], 3, v[20:21]
	s_clause 0x3
	flat_load_b64 v[42:43], v[58:59] offset:512
	flat_load_b64 v[40:41], v[54:55] offset:512
	;; [unrolled: 1-line block ×4, first 2 shown]
	s_wait_xcnt 0x0
	s_and_saveexec_b32 s43, s3
	s_cbranch_execz .LBB254_44
; %bb.41:                               ;   in Loop: Header=BB254_4 Depth=1
	s_clause 0x3
	flat_load_b64 v[56:57], v[58:59] offset:1024
	flat_load_b64 v[52:53], v[54:55] offset:1024
	;; [unrolled: 1-line block ×4, first 2 shown]
	s_wait_xcnt 0x0
	s_and_saveexec_b32 s44, s4
	s_cbranch_execz .LBB254_43
; %bb.42:                               ;   in Loop: Header=BB254_4 Depth=1
	s_clause 0x3
	flat_load_b64 v[58:59], v[58:59] offset:1536
	flat_load_b64 v[54:55], v[54:55] offset:1536
	;; [unrolled: 1-line block ×4, first 2 shown]
	s_wait_loadcnt_dscnt 0x303
	v_fmac_f64_e32 v[18:19], v[24:25], v[58:59]
	s_wait_loadcnt_dscnt 0x202
	s_delay_alu instid0(VALU_DEP_1) | instskip(SKIP_1) | instid1(VALU_DEP_1)
	v_fmac_f64_e32 v[18:19], v[26:27], v[54:55]
	s_wait_loadcnt_dscnt 0x101
	v_fmac_f64_e32 v[18:19], v[28:29], v[46:47]
	s_wait_loadcnt_dscnt 0x0
	s_delay_alu instid0(VALU_DEP_1)
	v_fmac_f64_e32 v[18:19], v[30:31], v[48:49]
.LBB254_43:                             ;   in Loop: Header=BB254_4 Depth=1
	s_wait_xcnt 0x0
	s_or_b32 exec_lo, exec_lo, s44
	s_wait_loadcnt_dscnt 0x303
	v_fmac_f64_e32 v[16:17], v[24:25], v[56:57]
	s_wait_loadcnt_dscnt 0x202
	s_delay_alu instid0(VALU_DEP_1) | instskip(SKIP_1) | instid1(VALU_DEP_1)
	v_fmac_f64_e32 v[16:17], v[26:27], v[52:53]
	s_wait_loadcnt_dscnt 0x101
	v_fmac_f64_e32 v[16:17], v[28:29], v[50:51]
	s_wait_loadcnt_dscnt 0x0
	s_delay_alu instid0(VALU_DEP_1)
	v_fmac_f64_e32 v[16:17], v[30:31], v[44:45]
.LBB254_44:                             ;   in Loop: Header=BB254_4 Depth=1
	s_or_b32 exec_lo, exec_lo, s43
	s_wait_loadcnt_dscnt 0x303
	v_fmac_f64_e32 v[14:15], v[24:25], v[42:43]
	s_wait_loadcnt_dscnt 0x202
	s_delay_alu instid0(VALU_DEP_1) | instskip(SKIP_1) | instid1(VALU_DEP_1)
	v_fmac_f64_e32 v[14:15], v[26:27], v[40:41]
	s_wait_loadcnt_dscnt 0x101
	v_fmac_f64_e32 v[14:15], v[28:29], v[38:39]
	s_wait_loadcnt_dscnt 0x0
	s_delay_alu instid0(VALU_DEP_1)
	v_fmac_f64_e32 v[14:15], v[30:31], v[20:21]
.LBB254_45:                             ;   in Loop: Header=BB254_4 Depth=1
	s_or_b32 exec_lo, exec_lo, s42
	s_wait_loadcnt_dscnt 0x303
	v_fmac_f64_e32 v[12:13], v[24:25], v[36:37]
	s_wait_loadcnt_dscnt 0x202
	s_delay_alu instid0(VALU_DEP_1) | instskip(SKIP_1) | instid1(VALU_DEP_1)
	v_fmac_f64_e32 v[12:13], v[26:27], v[34:35]
	s_wait_loadcnt_dscnt 0x101
	v_fmac_f64_e32 v[12:13], v[28:29], v[32:33]
	s_wait_loadcnt_dscnt 0x0
	s_delay_alu instid0(VALU_DEP_1)
	v_fmac_f64_e32 v[12:13], v[30:31], v[22:23]
.LBB254_46:                             ;   in Loop: Header=BB254_4 Depth=1
	s_or_b32 exec_lo, exec_lo, s7
.LBB254_47:                             ;   in Loop: Header=BB254_4 Depth=1
	ds_store_2addr_stride64_b64 v0, v[12:13], v[14:15] offset1:1
	ds_store_2addr_stride64_b64 v0, v[16:17], v[18:19] offset0:2 offset1:3
	s_wait_loadcnt_dscnt 0x0
	s_barrier_signal -1
	s_barrier_wait -1
                                        ; implicit-def: $vgpr12_vgpr13
	s_and_saveexec_b32 s7, s5
	s_cbranch_execz .LBB254_53
; %bb.48:                               ;   in Loop: Header=BB254_4 Depth=1
	ds_load_2addr_stride64_b64 v[12:15], v66 offset1:4
	s_mov_b32 s43, s8
	s_wait_dscnt 0x0
	v_add_f64_e32 v[16:17], v[12:13], v[14:15]
	ds_load_2addr_stride64_b64 v[12:15], v66 offset0:8 offset1:12
	s_wait_dscnt 0x0
	v_add_f64_e32 v[12:13], v[12:13], v[16:17]
	s_delay_alu instid0(VALU_DEP_1) | instskip(SKIP_3) | instid1(VALU_DEP_1)
	v_add_f64_e32 v[16:17], v[14:15], v[12:13]
	ds_load_2addr_stride64_b64 v[12:15], v66 offset0:16 offset1:20
	s_wait_dscnt 0x0
	v_add_f64_e32 v[12:13], v[12:13], v[16:17]
	v_add_f64_e32 v[16:17], v[14:15], v[12:13]
	ds_load_2addr_stride64_b64 v[12:15], v66 offset0:24 offset1:28
	s_wait_dscnt 0x0
	v_add_f64_e32 v[12:13], v[12:13], v[16:17]
	s_delay_alu instid0(VALU_DEP_1) | instskip(SKIP_3) | instid1(VALU_DEP_1)
	v_add_f64_e32 v[16:17], v[14:15], v[12:13]
	ds_load_2addr_stride64_b64 v[12:15], v66 offset0:32 offset1:36
	s_wait_dscnt 0x0
	v_add_f64_e32 v[12:13], v[12:13], v[16:17]
	;; [unrolled: 9-line block ×3, first 2 shown]
	v_add_f64_e32 v[16:17], v[14:15], v[12:13]
	ds_load_2addr_stride64_b64 v[12:15], v66 offset0:56 offset1:60
	s_wait_dscnt 0x0
	v_add_f64_e32 v[12:13], v[12:13], v[16:17]
	s_delay_alu instid0(VALU_DEP_1)
	v_add_f64_e32 v[14:15], v[14:15], v[12:13]
                                        ; implicit-def: $vgpr12_vgpr13
	ds_store_b64 v66, v[14:15]
	s_and_saveexec_b32 s42, s6
	s_cbranch_execz .LBB254_52
; %bb.49:                               ;   in Loop: Header=BB254_4 Depth=1
	v_cmp_eq_f64_e32 vcc_lo, 0, v[6:7]
	v_mul_f64_e32 v[12:13], v[10:11], v[14:15]
	s_cbranch_vccnz .LBB254_51
; %bb.50:                               ;   in Loop: Header=BB254_4 Depth=1
	v_lshl_add_u64 v[10:11], v[4:5], 3, v[8:9]
	flat_load_b64 v[10:11], v[10:11]
	s_wait_loadcnt_dscnt 0x0
	v_fmac_f64_e32 v[12:13], v[6:7], v[10:11]
.LBB254_51:                             ;   in Loop: Header=BB254_4 Depth=1
	s_or_b32 s43, s8, exec_lo
.LBB254_52:                             ;   in Loop: Header=BB254_4 Depth=1
	s_wait_xcnt 0x0
	s_or_b32 exec_lo, exec_lo, s42
	s_delay_alu instid0(SALU_CYCLE_1) | instskip(SKIP_1) | instid1(SALU_CYCLE_1)
	s_and_not1_b32 s8, s8, exec_lo
	s_and_b32 s42, s43, exec_lo
	s_or_b32 s8, s8, s42
.LBB254_53:                             ;   in Loop: Header=BB254_4 Depth=1
	s_or_b32 exec_lo, exec_lo, s7
	v_mov_b64_e32 v[6:7], v[4:5]
	s_and_saveexec_b32 s7, s8
	s_cbranch_execz .LBB254_2
.LBB254_54:                             ;   in Loop: Header=BB254_4 Depth=1
	s_delay_alu instid0(VALU_DEP_1)
	v_lshl_add_u64 v[6:7], v[6:7], 3, v[8:9]
	flat_store_b64 v[6:7], v[12:13]
	s_branch .LBB254_2
.LBB254_55:
	s_sendmsg sendmsg(MSG_DEALLOC_VGPRS)
	s_endpgm
	.section	.rodata,"a",@progbits
	.p2align	6, 0x0
	.amdhsa_kernel _ZL20rocblas_gemvn_kernelILi64ELi16EiPKdS1_KPdEviiT3_lPKT2_lT1_lS7_lS8_lS4_lPT4_lS8_li
		.amdhsa_group_segment_fixed_size 32768
		.amdhsa_private_segment_fixed_size 0
		.amdhsa_kernarg_size 400
		.amdhsa_user_sgpr_count 2
		.amdhsa_user_sgpr_dispatch_ptr 0
		.amdhsa_user_sgpr_queue_ptr 0
		.amdhsa_user_sgpr_kernarg_segment_ptr 1
		.amdhsa_user_sgpr_dispatch_id 0
		.amdhsa_user_sgpr_kernarg_preload_length 0
		.amdhsa_user_sgpr_kernarg_preload_offset 0
		.amdhsa_user_sgpr_private_segment_size 0
		.amdhsa_wavefront_size32 1
		.amdhsa_uses_dynamic_stack 0
		.amdhsa_enable_private_segment 0
		.amdhsa_system_sgpr_workgroup_id_x 1
		.amdhsa_system_sgpr_workgroup_id_y 0
		.amdhsa_system_sgpr_workgroup_id_z 1
		.amdhsa_system_sgpr_workgroup_info 0
		.amdhsa_system_vgpr_workitem_id 1
		.amdhsa_next_free_vgpr 80
		.amdhsa_next_free_sgpr 50
		.amdhsa_named_barrier_count 0
		.amdhsa_reserve_vcc 1
		.amdhsa_float_round_mode_32 0
		.amdhsa_float_round_mode_16_64 0
		.amdhsa_float_denorm_mode_32 3
		.amdhsa_float_denorm_mode_16_64 3
		.amdhsa_fp16_overflow 0
		.amdhsa_memory_ordered 1
		.amdhsa_forward_progress 1
		.amdhsa_inst_pref_size 24
		.amdhsa_round_robin_scheduling 0
		.amdhsa_exception_fp_ieee_invalid_op 0
		.amdhsa_exception_fp_denorm_src 0
		.amdhsa_exception_fp_ieee_div_zero 0
		.amdhsa_exception_fp_ieee_overflow 0
		.amdhsa_exception_fp_ieee_underflow 0
		.amdhsa_exception_fp_ieee_inexact 0
		.amdhsa_exception_int_div_zero 0
	.end_amdhsa_kernel
	.section	.text._ZL20rocblas_gemvn_kernelILi64ELi16EiPKdS1_KPdEviiT3_lPKT2_lT1_lS7_lS8_lS4_lPT4_lS8_li,"axG",@progbits,_ZL20rocblas_gemvn_kernelILi64ELi16EiPKdS1_KPdEviiT3_lPKT2_lT1_lS7_lS8_lS4_lPT4_lS8_li,comdat
.Lfunc_end254:
	.size	_ZL20rocblas_gemvn_kernelILi64ELi16EiPKdS1_KPdEviiT3_lPKT2_lT1_lS7_lS8_lS4_lPT4_lS8_li, .Lfunc_end254-_ZL20rocblas_gemvn_kernelILi64ELi16EiPKdS1_KPdEviiT3_lPKT2_lT1_lS7_lS8_lS4_lPT4_lS8_li
                                        ; -- End function
	.set _ZL20rocblas_gemvn_kernelILi64ELi16EiPKdS1_KPdEviiT3_lPKT2_lT1_lS7_lS8_lS4_lPT4_lS8_li.num_vgpr, 80
	.set _ZL20rocblas_gemvn_kernelILi64ELi16EiPKdS1_KPdEviiT3_lPKT2_lT1_lS7_lS8_lS4_lPT4_lS8_li.num_agpr, 0
	.set _ZL20rocblas_gemvn_kernelILi64ELi16EiPKdS1_KPdEviiT3_lPKT2_lT1_lS7_lS8_lS4_lPT4_lS8_li.numbered_sgpr, 50
	.set _ZL20rocblas_gemvn_kernelILi64ELi16EiPKdS1_KPdEviiT3_lPKT2_lT1_lS7_lS8_lS4_lPT4_lS8_li.num_named_barrier, 0
	.set _ZL20rocblas_gemvn_kernelILi64ELi16EiPKdS1_KPdEviiT3_lPKT2_lT1_lS7_lS8_lS4_lPT4_lS8_li.private_seg_size, 0
	.set _ZL20rocblas_gemvn_kernelILi64ELi16EiPKdS1_KPdEviiT3_lPKT2_lT1_lS7_lS8_lS4_lPT4_lS8_li.uses_vcc, 1
	.set _ZL20rocblas_gemvn_kernelILi64ELi16EiPKdS1_KPdEviiT3_lPKT2_lT1_lS7_lS8_lS4_lPT4_lS8_li.uses_flat_scratch, 1
	.set _ZL20rocblas_gemvn_kernelILi64ELi16EiPKdS1_KPdEviiT3_lPKT2_lT1_lS7_lS8_lS4_lPT4_lS8_li.has_dyn_sized_stack, 0
	.set _ZL20rocblas_gemvn_kernelILi64ELi16EiPKdS1_KPdEviiT3_lPKT2_lT1_lS7_lS8_lS4_lPT4_lS8_li.has_recursion, 0
	.set _ZL20rocblas_gemvn_kernelILi64ELi16EiPKdS1_KPdEviiT3_lPKT2_lT1_lS7_lS8_lS4_lPT4_lS8_li.has_indirect_call, 0
	.section	.AMDGPU.csdata,"",@progbits
; Kernel info:
; codeLenInByte = 2968
; TotalNumSgprs: 52
; NumVgprs: 80
; ScratchSize: 0
; MemoryBound: 0
; FloatMode: 240
; IeeeMode: 1
; LDSByteSize: 32768 bytes/workgroup (compile time only)
; SGPRBlocks: 0
; VGPRBlocks: 4
; NumSGPRsForWavesPerEU: 52
; NumVGPRsForWavesPerEU: 80
; NamedBarCnt: 0
; Occupancy: 12
; WaveLimiterHint : 1
; COMPUTE_PGM_RSRC2:SCRATCH_EN: 0
; COMPUTE_PGM_RSRC2:USER_SGPR: 2
; COMPUTE_PGM_RSRC2:TRAP_HANDLER: 0
; COMPUTE_PGM_RSRC2:TGID_X_EN: 1
; COMPUTE_PGM_RSRC2:TGID_Y_EN: 0
; COMPUTE_PGM_RSRC2:TGID_Z_EN: 1
; COMPUTE_PGM_RSRC2:TIDIG_COMP_CNT: 1
	.section	.text._ZL20rocblas_gemvn_kernelILi64ELi16ElPKdS1_KPdEviiT3_lPKT2_lT1_lS7_lS8_lS4_lPT4_lS8_li,"axG",@progbits,_ZL20rocblas_gemvn_kernelILi64ELi16ElPKdS1_KPdEviiT3_lPKT2_lT1_lS7_lS8_lS4_lPT4_lS8_li,comdat
	.globl	_ZL20rocblas_gemvn_kernelILi64ELi16ElPKdS1_KPdEviiT3_lPKT2_lT1_lS7_lS8_lS4_lPT4_lS8_li ; -- Begin function _ZL20rocblas_gemvn_kernelILi64ELi16ElPKdS1_KPdEviiT3_lPKT2_lT1_lS7_lS8_lS4_lPT4_lS8_li
	.p2align	8
	.type	_ZL20rocblas_gemvn_kernelILi64ELi16ElPKdS1_KPdEviiT3_lPKT2_lT1_lS7_lS8_lS4_lPT4_lS8_li,@function
_ZL20rocblas_gemvn_kernelILi64ELi16ElPKdS1_KPdEviiT3_lPKT2_lT1_lS7_lS8_lS4_lPT4_lS8_li: ; @_ZL20rocblas_gemvn_kernelILi64ELi16ElPKdS1_KPdEviiT3_lPKT2_lT1_lS7_lS8_lS4_lPT4_lS8_li
; %bb.0:
	s_clause 0x1
	s_load_b64 s[2:3], s[0:1], 0x9c
	s_load_b32 s33, s[0:1], 0x88
	s_bfe_u32 s4, ttmp6, 0x40014
	s_lshr_b32 s5, ttmp7, 16
	s_add_co_i32 s4, s4, 1
	s_bfe_u32 s6, ttmp6, 0x40008
	s_mul_i32 s7, s5, s4
	s_getreg_b32 s4, hwreg(HW_REG_IB_STS2, 6, 4)
	s_add_co_i32 s6, s6, s7
	s_mov_b32 s11, 0
	s_wait_kmcnt 0x0
	s_lshr_b32 s7, s2, 16
	s_and_b32 s2, s2, 0xffff
	s_and_b32 s3, s3, 0xffff
	s_mul_i32 s2, s7, s2
	s_cmp_eq_u32 s4, 0
	s_mul_i32 s2, s2, s3
	s_cselect_b32 s10, s5, s6
	s_cmp_lg_u32 s2, 0x400
	s_cselect_b32 s2, -1, 0
	s_cmp_ge_u32 s10, s33
	s_cselect_b32 s3, -1, 0
	s_delay_alu instid0(SALU_CYCLE_1) | instskip(NEXT) | instid1(SALU_CYCLE_1)
	s_or_b32 s2, s2, s3
	s_and_b32 vcc_lo, exec_lo, s2
	s_cbranch_vccnz .LBB255_55
; %bb.1:
	s_clause 0x2
	s_load_b64 s[34:35], s[0:1], 0x0
	s_load_b64 s[36:37], s[0:1], 0x28
	;; [unrolled: 1-line block ×3, first 2 shown]
	s_bfe_u32 s5, ttmp6, 0x4000c
	v_and_b32_e32 v28, 0x3ff, v0
	s_add_co_i32 s5, s5, 1
	v_bfe_u32 v6, v0, 10, 10
	s_clause 0x1
	s_load_b64 s[38:39], s[0:1], 0x48
	s_load_b128 s[28:31], s[0:1], 0x38
	s_and_b32 s6, ttmp6, 15
	s_mul_i32 s5, ttmp9, s5
	v_lshl_add_u32 v29, v6, 6, v28
	s_add_co_i32 s6, s6, s5
	s_cmp_eq_u32 s4, 0
	s_load_b256 s[12:19], s[0:1], 0x8
	s_cselect_b32 s4, ttmp9, s6
	s_load_b256 s[20:27], s[0:1], 0x58
	s_lshl_b32 s6, s4, 8
	s_delay_alu instid0(SALU_CYCLE_1)
	v_dual_mov_b32 v1, 0 :: v_dual_add_nc_u32 v0, s6, v29
	v_lshlrev_b32_e32 v92, 2, v6
	s_wait_kmcnt 0x0
	s_ashr_i32 s5, s34, 31
	s_mov_b32 s4, s34
	v_mov_b32_e32 v7, v1
	v_mul_u64_e32 v[2:3], s[2:3], v[0:1]
	v_cmp_gt_i64_e32 vcc_lo, s[4:5], v[0:1]
	v_dual_add_nc_u32 v14, s6, v28 :: v_dual_bitop2_b32 v16, s6, v29 bitop3:0x54
	v_or_b32_e32 v0, 3, v92
	v_mul_u64_e32 v[8:9], s[38:39], v[6:7]
	v_mul_u64_e32 v[18:19], s[36:37], v[6:7]
	s_delay_alu instid0(VALU_DEP_4) | instskip(NEXT) | instid1(VALU_DEP_4)
	v_dual_ashrrev_i32 v15, 31, v14 :: v_dual_ashrrev_i32 v17, 31, v16
	v_mul_u64_e32 v[10:11], s[36:37], v[0:1]
	v_mul_u64_e32 v[12:13], s[38:39], v[0:1]
	v_or_b32_e32 v0, 2, v92
	v_mad_nc_u64_u32 v[24:25], s38, v92, s[38:39]
	v_mad_nc_u64_u32 v[26:27], s36, v92, s[36:37]
	s_ashr_i32 s4, s35, 31
	v_add_nc_u32_e32 v7, 0x80, v14
	v_mul_u64_e32 v[20:21], s[36:37], v[0:1]
	v_mul_u64_e32 v[22:23], s[38:39], v[0:1]
	v_add_nc_u32_e32 v0, 64, v14
	v_mul_u64_e32 v[4:5], s[2:3], v[16:17]
	s_lshr_b32 s4, s4, 26
	v_add_nc_u32_e32 v17, 0xc0, v14
	s_add_co_i32 s44, s35, s4
	v_mad_u32 v25, s39, v92, v25
	v_mad_u32 v27, s37, v92, v27
	v_cmp_gt_i32_e64 s2, s34, v0
	v_lshlrev_b32_e32 v0, 3, v28
	s_and_not1_b32 s44, s44, 63
	v_cmp_gt_i32_e64 s1, s34, v14
	s_sub_co_i32 s4, s35, s44
	v_cmp_gt_i32_e64 s3, s34, v7
	s_cmp_gt_i32 s4, 0
	v_cmp_gt_i32_e64 s4, s34, v17
	v_lshl_add_u32 v93, v6, 11, v0
	v_cmp_gt_u32_e64 s5, 0x100, v29
	v_lshl_add_u32 v94, v6, 9, v0
	v_cmp_gt_i32_e64 s6, s34, v16
	v_lshlrev_b64_e32 v[6:7], 5, v[8:9]
	v_lshlrev_b64_e32 v[8:9], 3, v[14:15]
	;; [unrolled: 1-line block ×3, first 2 shown]
	v_cmp_gt_i32_e64 s0, s44, v92
	v_lshlrev_b64_e32 v[10:11], 3, v[10:11]
	v_lshlrev_b64_e32 v[12:13], 3, v[12:13]
	s_cselect_b32 s45, -1, 0
	s_and_b32 s34, s5, vcc_lo
	s_lshl_b64 s[40:41], s[38:39], 9
	s_lshl_b64 s[42:43], s[36:37], 9
	;; [unrolled: 1-line block ×3, first 2 shown]
	v_lshlrev_b64_e32 v[16:17], 3, v[20:21]
	v_lshlrev_b64_e32 v[18:19], 3, v[22:23]
	v_lshlrev_b64_e32 v[20:21], 3, v[24:25]
	v_lshlrev_b64_e32 v[22:23], 3, v[26:27]
	s_lshl_b64 s[30:31], s[30:31], 3
	s_lshl_b64 s[26:27], s[26:27], 3
	s_branch .LBB255_4
.LBB255_2:                              ;   in Loop: Header=BB255_4 Depth=1
	s_wait_xcnt 0x0
	s_or_b32 exec_lo, exec_lo, s7
.LBB255_3:                              ;   in Loop: Header=BB255_4 Depth=1
	s_add_co_i32 s10, s10, 0x10000
	s_delay_alu instid0(SALU_CYCLE_1)
	s_cmp_lt_u32 s10, s33
	s_cbranch_scc0 .LBB255_55
.LBB255_4:                              ; =>This Loop Header: Depth=1
                                        ;     Child Loop BB255_21 Depth 2
	s_mul_u64 s[8:9], s[14:15], s[10:11]
	s_wait_xcnt 0x0
	s_mul_u64 s[46:47], s[22:23], s[10:11]
	s_lshl_b64 s[8:9], s[8:9], 3
	s_lshl_b64 s[46:47], s[46:47], 3
	s_add_nc_u64 s[8:9], s[12:13], s[8:9]
	s_add_nc_u64 s[46:47], s[20:21], s[46:47]
	s_clause 0x1
	global_load_b64 v[28:29], v1, s[8:9]
	global_load_b64 v[24:25], v1, s[46:47]
	s_wait_loadcnt 0x1
	v_cmp_eq_f64_e64 s7, 0, v[28:29]
	s_wait_loadcnt 0x0
	v_cmp_eq_f64_e32 vcc_lo, 1.0, v[24:25]
	s_wait_xcnt 0x1
	s_and_b32 s8, s7, vcc_lo
	s_delay_alu instid0(SALU_CYCLE_1)
	s_and_b32 vcc_lo, exec_lo, s8
	s_cbranch_vccnz .LBB255_3
; %bb.5:                                ;   in Loop: Header=BB255_4 Depth=1
	v_cmp_neq_f64_e64 s8, 0, v[28:29]
	v_mov_b64_e32 v[40:41], 0
	v_mov_b64_e32 v[38:39], 0
	s_and_b32 vcc_lo, exec_lo, s7
	s_cbranch_vccnz .LBB255_7
; %bb.6:                                ;   in Loop: Header=BB255_4 Depth=1
	s_wait_xcnt 0x0
	s_lshl_b64 s[46:47], s[10:11], 3
	s_delay_alu instid0(SALU_CYCLE_1)
	s_add_nc_u64 s[46:47], s[16:17], s[46:47]
	global_load_b64 v[26:27], v1, s[46:47]
	s_wait_loadcnt 0x0
	v_add_nc_u64_e32 v[38:39], s[18:19], v[26:27]
.LBB255_7:                              ;   in Loop: Header=BB255_4 Depth=1
	s_and_not1_b32 vcc_lo, exec_lo, s8
	s_cbranch_vccnz .LBB255_9
; %bb.8:                                ;   in Loop: Header=BB255_4 Depth=1
	s_lshl_b64 s[8:9], s[10:11], 3
	s_delay_alu instid0(SALU_CYCLE_1)
	s_add_nc_u64 s[8:9], s[28:29], s[8:9]
	global_load_b64 v[26:27], v1, s[8:9]
	s_wait_loadcnt 0x0
	v_add_nc_u64_e32 v[40:41], s[30:31], v[26:27]
.LBB255_9:                              ;   in Loop: Header=BB255_4 Depth=1
	s_wait_xcnt 0x0
	s_lshl_b64 s[8:9], s[10:11], 3
	s_and_not1_b32 vcc_lo, exec_lo, s7
	s_add_nc_u64 s[8:9], s[24:25], s[8:9]
	global_load_b64 v[26:27], v1, s[8:9]
	s_wait_loadcnt 0x0
	v_add_nc_u64_e32 v[26:27], s[26:27], v[26:27]
	s_cbranch_vccnz .LBB255_14
; %bb.10:                               ;   in Loop: Header=BB255_4 Depth=1
	s_mov_b32 s7, 0
	s_mov_b32 s46, 0
                                        ; implicit-def: $vgpr30_vgpr31
	s_wait_xcnt 0x0
	s_and_saveexec_b32 s8, s34
	s_cbranch_execz .LBB255_26
; %bb.11:                               ;   in Loop: Header=BB255_4 Depth=1
	v_cmp_eq_f64_e32 vcc_lo, 0, v[24:25]
	v_mov_b64_e32 v[30:31], 0
	s_cbranch_vccnz .LBB255_13
; %bb.12:                               ;   in Loop: Header=BB255_4 Depth=1
	v_lshl_add_u64 v[30:31], v[2:3], 3, v[26:27]
	flat_load_b64 v[30:31], v[30:31]
	s_wait_loadcnt_dscnt 0x0
	s_wait_xcnt 0x0
	v_mul_f64_e32 v[30:31], v[24:25], v[30:31]
.LBB255_13:                             ;   in Loop: Header=BB255_4 Depth=1
	s_mov_b32 s46, exec_lo
	s_or_b32 exec_lo, exec_lo, s8
	s_delay_alu instid0(SALU_CYCLE_1)
	s_and_b32 vcc_lo, exec_lo, s7
	s_cbranch_vccnz .LBB255_15
	s_branch .LBB255_27
.LBB255_14:                             ;   in Loop: Header=BB255_4 Depth=1
	s_mov_b32 s46, 0
                                        ; implicit-def: $vgpr30_vgpr31
	s_cbranch_execz .LBB255_27
.LBB255_15:                             ;   in Loop: Header=BB255_4 Depth=1
	v_mov_b64_e32 v[30:31], 0
	v_mov_b64_e32 v[32:33], 0
	;; [unrolled: 1-line block ×4, first 2 shown]
	v_mov_b32_e32 v0, v92
	s_wait_xcnt 0x0
	s_and_saveexec_b32 s7, s0
	s_cbranch_execz .LBB255_29
; %bb.16:                               ;   in Loop: Header=BB255_4 Depth=1
	v_add_nc_u64_e32 v[42:43], v[38:39], v[10:11]
	v_add_nc_u64_e32 v[44:45], v[38:39], v[14:15]
	;; [unrolled: 1-line block ×4, first 2 shown]
	v_mov_b64_e32 v[30:31], 0
	v_mov_b64_e32 v[32:33], 0
	;; [unrolled: 1-line block ×5, first 2 shown]
	v_mov_b32_e32 v0, v92
	s_mov_b32 s8, 0
	s_branch .LBB255_21
.LBB255_17:                             ;   in Loop: Header=BB255_21 Depth=2
	s_wait_xcnt 0x0
	s_or_b32 exec_lo, exec_lo, s49
	s_wait_loadcnt_dscnt 0x303
	v_fmac_f64_e32 v[34:35], v[58:59], v[90:91]
	s_wait_loadcnt_dscnt 0x202
	s_delay_alu instid0(VALU_DEP_1) | instskip(SKIP_1) | instid1(VALU_DEP_1)
	v_fmac_f64_e32 v[34:35], v[56:57], v[88:89]
	s_wait_loadcnt_dscnt 0x101
	v_fmac_f64_e32 v[34:35], v[54:55], v[86:87]
	s_wait_loadcnt_dscnt 0x0
	s_delay_alu instid0(VALU_DEP_1)
	v_fmac_f64_e32 v[34:35], v[52:53], v[84:85]
.LBB255_18:                             ;   in Loop: Header=BB255_21 Depth=2
	s_or_b32 exec_lo, exec_lo, s48
	s_wait_loadcnt_dscnt 0x303
	v_fmac_f64_e32 v[32:33], v[58:59], v[74:75]
	s_wait_loadcnt_dscnt 0x202
	s_delay_alu instid0(VALU_DEP_1) | instskip(SKIP_1) | instid1(VALU_DEP_1)
	v_fmac_f64_e32 v[32:33], v[56:57], v[72:73]
	s_wait_loadcnt_dscnt 0x101
	v_fmac_f64_e32 v[32:33], v[54:55], v[70:71]
	s_wait_loadcnt_dscnt 0x0
	s_delay_alu instid0(VALU_DEP_1)
	v_fmac_f64_e32 v[32:33], v[52:53], v[68:69]
.LBB255_19:                             ;   in Loop: Header=BB255_21 Depth=2
	s_or_b32 exec_lo, exec_lo, s47
	s_wait_loadcnt_dscnt 0x303
	v_fmac_f64_e32 v[30:31], v[58:59], v[66:67]
	s_wait_loadcnt_dscnt 0x202
	s_delay_alu instid0(VALU_DEP_1) | instskip(SKIP_1) | instid1(VALU_DEP_1)
	v_fmac_f64_e32 v[30:31], v[56:57], v[64:65]
	s_wait_loadcnt_dscnt 0x101
	v_fmac_f64_e32 v[30:31], v[54:55], v[62:63]
	s_wait_loadcnt_dscnt 0x0
	s_delay_alu instid0(VALU_DEP_1)
	v_fmac_f64_e32 v[30:31], v[52:53], v[60:61]
.LBB255_20:                             ;   in Loop: Header=BB255_21 Depth=2
	s_or_b32 exec_lo, exec_lo, s9
	v_add_nc_u32_e32 v0, 64, v0
	v_add_nc_u64_e32 v[50:51], s[40:41], v[50:51]
	v_add_nc_u64_e32 v[42:43], s[42:43], v[42:43]
	;; [unrolled: 1-line block ×4, first 2 shown]
	v_cmp_le_i32_e32 vcc_lo, s44, v0
	v_add_nc_u64_e32 v[48:49], s[42:43], v[48:49]
	s_or_b32 s8, vcc_lo, s8
	s_delay_alu instid0(SALU_CYCLE_1)
	s_and_not1_b32 exec_lo, exec_lo, s8
	s_cbranch_execz .LBB255_28
.LBB255_21:                             ;   Parent Loop BB255_4 Depth=1
                                        ; =>  This Inner Loop Header: Depth=2
	s_and_saveexec_b32 s9, s1
	s_cbranch_execz .LBB255_20
; %bb.22:                               ;   in Loop: Header=BB255_21 Depth=2
	s_delay_alu instid0(VALU_DEP_2)
	v_add_nc_u64_e32 v[52:53], v[50:51], v[6:7]
	v_add_nc_u64_e32 v[54:55], v[50:51], v[20:21]
	;; [unrolled: 1-line block ×8, first 2 shown]
	s_clause 0x3
	flat_load_b64 v[58:59], v[52:53]
	flat_load_b64 v[56:57], v[54:55]
	;; [unrolled: 1-line block ×8, first 2 shown]
	s_wait_xcnt 0x0
	s_and_saveexec_b32 s47, s2
	s_cbranch_execz .LBB255_19
; %bb.23:                               ;   in Loop: Header=BB255_21 Depth=2
	flat_load_b64 v[74:75], v[82:83] offset:512
	flat_load_b64 v[72:73], v[80:81] offset:512
	flat_load_b64 v[70:71], v[78:79] offset:512
	flat_load_b64 v[68:69], v[76:77] offset:512
	s_wait_xcnt 0x0
	s_and_saveexec_b32 s48, s3
	s_cbranch_execz .LBB255_18
; %bb.24:                               ;   in Loop: Header=BB255_21 Depth=2
	flat_load_b64 v[90:91], v[82:83] offset:1024
	flat_load_b64 v[88:89], v[80:81] offset:1024
	flat_load_b64 v[86:87], v[78:79] offset:1024
	flat_load_b64 v[84:85], v[76:77] offset:1024
	;; [unrolled: 8-line block ×3, first 2 shown]
	s_wait_loadcnt_dscnt 0x303
	v_fmac_f64_e32 v[36:37], v[58:59], v[82:83]
	s_wait_loadcnt_dscnt 0x202
	s_delay_alu instid0(VALU_DEP_1) | instskip(SKIP_1) | instid1(VALU_DEP_1)
	v_fmac_f64_e32 v[36:37], v[56:57], v[80:81]
	s_wait_loadcnt_dscnt 0x101
	v_fmac_f64_e32 v[36:37], v[54:55], v[78:79]
	s_wait_loadcnt_dscnt 0x0
	s_delay_alu instid0(VALU_DEP_1)
	v_fmac_f64_e32 v[36:37], v[52:53], v[76:77]
	s_branch .LBB255_17
.LBB255_26:                             ;   in Loop: Header=BB255_4 Depth=1
	s_or_b32 exec_lo, exec_lo, s8
	s_delay_alu instid0(SALU_CYCLE_1)
	s_and_b32 vcc_lo, exec_lo, s7
	s_cbranch_vccnz .LBB255_15
.LBB255_27:                             ;   in Loop: Header=BB255_4 Depth=1
	v_mov_b64_e32 v[24:25], v[2:3]
	s_wait_xcnt 0x0
	s_and_saveexec_b32 s7, s46
	s_cbranch_execz .LBB255_2
	s_branch .LBB255_54
.LBB255_28:                             ;   in Loop: Header=BB255_4 Depth=1
	s_or_b32 exec_lo, exec_lo, s8
.LBB255_29:                             ;   in Loop: Header=BB255_4 Depth=1
	s_delay_alu instid0(SALU_CYCLE_1) | instskip(NEXT) | instid1(SALU_CYCLE_1)
	s_or_b32 exec_lo, exec_lo, s7
	s_and_not1_b32 vcc_lo, exec_lo, s45
	s_cbranch_vccnz .LBB255_47
; %bb.30:                               ;   in Loop: Header=BB255_4 Depth=1
	v_mov_b64_e32 v[48:49], 0
	v_mov_b64_e32 v[46:47], 0
	;; [unrolled: 1-line block ×4, first 2 shown]
	v_cmp_gt_i32_e32 vcc_lo, s35, v0
	v_or_b32_e32 v50, 1, v0
	s_and_saveexec_b32 s8, vcc_lo
	s_cbranch_execz .LBB255_38
; %bb.31:                               ;   in Loop: Header=BB255_4 Depth=1
	v_mul_u64_e32 v[42:43], s[38:39], v[0:1]
	v_mov_b64_e32 v[44:45], 0
	v_mov_b64_e32 v[46:47], 0
	;; [unrolled: 1-line block ×3, first 2 shown]
	s_mov_b32 s9, exec_lo
	s_delay_alu instid0(VALU_DEP_4)
	v_lshl_add_u64 v[42:43], v[42:43], 3, v[40:41]
	flat_load_b64 v[42:43], v[42:43]
	s_wait_xcnt 0x0
	v_cmpx_gt_i32_e64 s35, v50
	s_cbranch_execz .LBB255_37
; %bb.32:                               ;   in Loop: Header=BB255_4 Depth=1
	v_dual_mov_b32 v51, v1 :: v_dual_bitop2_b32 v52, 2, v0 bitop3:0x54
	v_mov_b64_e32 v[46:47], 0
	v_mov_b64_e32 v[48:49], 0
	s_mov_b32 s47, exec_lo
	s_delay_alu instid0(VALU_DEP_3) | instskip(NEXT) | instid1(VALU_DEP_1)
	v_mul_u64_e32 v[44:45], s[38:39], v[50:51]
	v_lshl_add_u64 v[44:45], v[44:45], 3, v[40:41]
	flat_load_b64 v[44:45], v[44:45]
	s_wait_xcnt 0x0
	v_cmpx_gt_i32_e64 s35, v52
	s_cbranch_execz .LBB255_36
; %bb.33:                               ;   in Loop: Header=BB255_4 Depth=1
	v_mov_b32_e32 v53, v1
	v_mov_b64_e32 v[48:49], 0
	s_mov_b32 s48, exec_lo
	s_delay_alu instid0(VALU_DEP_2) | instskip(SKIP_1) | instid1(VALU_DEP_2)
	v_mul_u64_e32 v[46:47], s[38:39], v[52:53]
	v_or_b32_e32 v52, 3, v0
	v_lshl_add_u64 v[46:47], v[46:47], 3, v[40:41]
	flat_load_b64 v[46:47], v[46:47]
	s_wait_xcnt 0x0
	v_cmpx_gt_i32_e64 s35, v52
	s_cbranch_execz .LBB255_35
; %bb.34:                               ;   in Loop: Header=BB255_4 Depth=1
	v_mov_b32_e32 v53, v1
	s_delay_alu instid0(VALU_DEP_1) | instskip(NEXT) | instid1(VALU_DEP_1)
	v_mul_u64_e32 v[48:49], s[38:39], v[52:53]
	v_lshl_add_u64 v[40:41], v[48:49], 3, v[40:41]
	flat_load_b64 v[48:49], v[40:41]
.LBB255_35:                             ;   in Loop: Header=BB255_4 Depth=1
	s_wait_xcnt 0x0
	s_or_b32 exec_lo, exec_lo, s48
.LBB255_36:                             ;   in Loop: Header=BB255_4 Depth=1
	s_delay_alu instid0(SALU_CYCLE_1)
	s_or_b32 exec_lo, exec_lo, s47
.LBB255_37:                             ;   in Loop: Header=BB255_4 Depth=1
	s_delay_alu instid0(SALU_CYCLE_1)
	s_or_b32 exec_lo, exec_lo, s9
.LBB255_38:                             ;   in Loop: Header=BB255_4 Depth=1
	s_delay_alu instid0(SALU_CYCLE_1)
	s_or_b32 exec_lo, exec_lo, s8
	s_and_saveexec_b32 s47, s1
	s_cbranch_execz .LBB255_46
; %bb.39:                               ;   in Loop: Header=BB255_4 Depth=1
	v_dual_mov_b32 v51, v1 :: v_dual_bitop2_b32 v40, 2, v0 bitop3:0x54
	v_mov_b32_e32 v41, v1
	v_mul_u64_e32 v[52:53], s[36:37], v[0:1]
	v_or_b32_e32 v0, 3, v0
	s_delay_alu instid0(VALU_DEP_4)
	v_mul_u64_e32 v[54:55], s[36:37], v[50:51]
	v_cmp_gt_i32_e64 s7, s35, v50
	v_mul_u64_e32 v[56:57], s[36:37], v[40:41]
	v_cmp_gt_i32_e64 s8, s35, v40
	v_mul_u64_e32 v[58:59], s[36:37], v[0:1]
	v_cmp_gt_i32_e64 s9, s35, v0
	v_dual_cndmask_b32 v41, 0, v53 :: v_dual_cndmask_b32 v40, 0, v52
	v_dual_cndmask_b32 v51, 0, v55, s7 :: v_dual_cndmask_b32 v50, 0, v54, s7
	v_dual_cndmask_b32 v53, 0, v57, s8 :: v_dual_cndmask_b32 v52, 0, v56, s8
	s_delay_alu instid0(VALU_DEP_4) | instskip(NEXT) | instid1(VALU_DEP_4)
	v_dual_cndmask_b32 v55, 0, v59, s9 :: v_dual_cndmask_b32 v54, 0, v58, s9
	v_lshl_add_u64 v[40:41], v[40:41], 3, v[38:39]
	s_delay_alu instid0(VALU_DEP_4) | instskip(NEXT) | instid1(VALU_DEP_4)
	v_lshl_add_u64 v[50:51], v[50:51], 3, v[38:39]
	v_lshl_add_u64 v[52:53], v[52:53], 3, v[38:39]
	s_delay_alu instid0(VALU_DEP_4) | instskip(NEXT) | instid1(VALU_DEP_4)
	v_lshl_add_u64 v[38:39], v[54:55], 3, v[38:39]
	v_add_nc_u64_e32 v[68:69], v[40:41], v[8:9]
	s_delay_alu instid0(VALU_DEP_4) | instskip(NEXT) | instid1(VALU_DEP_4)
	v_add_nc_u64_e32 v[66:67], v[50:51], v[8:9]
	v_add_nc_u64_e32 v[64:65], v[52:53], v[8:9]
	s_delay_alu instid0(VALU_DEP_4)
	v_add_nc_u64_e32 v[62:63], v[38:39], v[8:9]
	s_clause 0x3
	flat_load_b64 v[52:53], v[68:69]
	flat_load_b64 v[50:51], v[66:67]
	flat_load_b64 v[40:41], v[64:65]
	flat_load_b64 v[38:39], v[62:63]
	s_wait_xcnt 0x0
	s_and_saveexec_b32 s7, s2
	s_cbranch_execz .LBB255_45
; %bb.40:                               ;   in Loop: Header=BB255_4 Depth=1
	s_clause 0x3
	flat_load_b64 v[60:61], v[68:69] offset:512
	flat_load_b64 v[58:59], v[66:67] offset:512
	flat_load_b64 v[56:57], v[64:65] offset:512
	flat_load_b64 v[54:55], v[62:63] offset:512
	s_wait_xcnt 0x0
	s_and_saveexec_b32 s8, s3
	s_cbranch_execz .LBB255_44
; %bb.41:                               ;   in Loop: Header=BB255_4 Depth=1
	s_clause 0x3
	flat_load_b64 v[76:77], v[68:69] offset:1024
	flat_load_b64 v[74:75], v[66:67] offset:1024
	flat_load_b64 v[72:73], v[64:65] offset:1024
	flat_load_b64 v[70:71], v[62:63] offset:1024
	;; [unrolled: 9-line block ×3, first 2 shown]
	s_wait_loadcnt_dscnt 0x303
	v_fmac_f64_e32 v[36:37], v[42:43], v[68:69]
	s_wait_loadcnt_dscnt 0x202
	s_delay_alu instid0(VALU_DEP_1) | instskip(SKIP_1) | instid1(VALU_DEP_1)
	v_fmac_f64_e32 v[36:37], v[44:45], v[66:67]
	s_wait_loadcnt_dscnt 0x101
	v_fmac_f64_e32 v[36:37], v[46:47], v[64:65]
	s_wait_loadcnt_dscnt 0x0
	s_delay_alu instid0(VALU_DEP_1)
	v_fmac_f64_e32 v[36:37], v[48:49], v[62:63]
.LBB255_43:                             ;   in Loop: Header=BB255_4 Depth=1
	s_wait_xcnt 0x0
	s_or_b32 exec_lo, exec_lo, s9
	s_wait_loadcnt_dscnt 0x303
	v_fmac_f64_e32 v[34:35], v[42:43], v[76:77]
	s_wait_loadcnt_dscnt 0x202
	s_delay_alu instid0(VALU_DEP_1) | instskip(SKIP_1) | instid1(VALU_DEP_1)
	v_fmac_f64_e32 v[34:35], v[44:45], v[74:75]
	s_wait_loadcnt_dscnt 0x101
	v_fmac_f64_e32 v[34:35], v[46:47], v[72:73]
	s_wait_loadcnt_dscnt 0x0
	s_delay_alu instid0(VALU_DEP_1)
	v_fmac_f64_e32 v[34:35], v[48:49], v[70:71]
.LBB255_44:                             ;   in Loop: Header=BB255_4 Depth=1
	s_or_b32 exec_lo, exec_lo, s8
	s_wait_loadcnt_dscnt 0x303
	v_fmac_f64_e32 v[32:33], v[42:43], v[60:61]
	s_wait_loadcnt_dscnt 0x202
	s_delay_alu instid0(VALU_DEP_1) | instskip(SKIP_1) | instid1(VALU_DEP_1)
	v_fmac_f64_e32 v[32:33], v[44:45], v[58:59]
	s_wait_loadcnt_dscnt 0x101
	v_fmac_f64_e32 v[32:33], v[46:47], v[56:57]
	s_wait_loadcnt_dscnt 0x0
	s_delay_alu instid0(VALU_DEP_1)
	v_fmac_f64_e32 v[32:33], v[48:49], v[54:55]
.LBB255_45:                             ;   in Loop: Header=BB255_4 Depth=1
	s_or_b32 exec_lo, exec_lo, s7
	s_wait_loadcnt_dscnt 0x303
	v_fmac_f64_e32 v[30:31], v[42:43], v[52:53]
	s_wait_loadcnt_dscnt 0x202
	s_delay_alu instid0(VALU_DEP_1) | instskip(SKIP_1) | instid1(VALU_DEP_1)
	v_fmac_f64_e32 v[30:31], v[44:45], v[50:51]
	s_wait_loadcnt_dscnt 0x101
	v_fmac_f64_e32 v[30:31], v[46:47], v[40:41]
	s_wait_loadcnt_dscnt 0x0
	s_delay_alu instid0(VALU_DEP_1)
	v_fmac_f64_e32 v[30:31], v[48:49], v[38:39]
.LBB255_46:                             ;   in Loop: Header=BB255_4 Depth=1
	s_or_b32 exec_lo, exec_lo, s47
.LBB255_47:                             ;   in Loop: Header=BB255_4 Depth=1
	ds_store_2addr_stride64_b64 v93, v[30:31], v[32:33] offset1:1
	ds_store_2addr_stride64_b64 v93, v[34:35], v[36:37] offset0:2 offset1:3
	s_wait_loadcnt_dscnt 0x0
	s_barrier_signal -1
	s_barrier_wait -1
                                        ; implicit-def: $vgpr30_vgpr31
	s_and_saveexec_b32 s7, s5
	s_cbranch_execz .LBB255_53
; %bb.48:                               ;   in Loop: Header=BB255_4 Depth=1
	ds_load_2addr_stride64_b64 v[30:33], v94 offset1:4
	s_mov_b32 s9, s46
	s_wait_dscnt 0x0
	v_add_f64_e32 v[34:35], v[30:31], v[32:33]
	ds_load_2addr_stride64_b64 v[30:33], v94 offset0:8 offset1:12
	s_wait_dscnt 0x0
	v_add_f64_e32 v[30:31], v[30:31], v[34:35]
	s_delay_alu instid0(VALU_DEP_1) | instskip(SKIP_3) | instid1(VALU_DEP_1)
	v_add_f64_e32 v[34:35], v[32:33], v[30:31]
	ds_load_2addr_stride64_b64 v[30:33], v94 offset0:16 offset1:20
	s_wait_dscnt 0x0
	v_add_f64_e32 v[30:31], v[30:31], v[34:35]
	v_add_f64_e32 v[34:35], v[32:33], v[30:31]
	ds_load_2addr_stride64_b64 v[30:33], v94 offset0:24 offset1:28
	s_wait_dscnt 0x0
	v_add_f64_e32 v[30:31], v[30:31], v[34:35]
	s_delay_alu instid0(VALU_DEP_1) | instskip(SKIP_3) | instid1(VALU_DEP_1)
	v_add_f64_e32 v[34:35], v[32:33], v[30:31]
	ds_load_2addr_stride64_b64 v[30:33], v94 offset0:32 offset1:36
	s_wait_dscnt 0x0
	v_add_f64_e32 v[30:31], v[30:31], v[34:35]
	;; [unrolled: 9-line block ×3, first 2 shown]
	v_add_f64_e32 v[34:35], v[32:33], v[30:31]
	ds_load_2addr_stride64_b64 v[30:33], v94 offset0:56 offset1:60
	s_wait_dscnt 0x0
	v_add_f64_e32 v[30:31], v[30:31], v[34:35]
	s_delay_alu instid0(VALU_DEP_1)
	v_add_f64_e32 v[32:33], v[32:33], v[30:31]
                                        ; implicit-def: $vgpr30_vgpr31
	ds_store_b64 v94, v[32:33]
	s_and_saveexec_b32 s8, s6
	s_cbranch_execz .LBB255_52
; %bb.49:                               ;   in Loop: Header=BB255_4 Depth=1
	v_cmp_eq_f64_e32 vcc_lo, 0, v[24:25]
	v_mul_f64_e32 v[30:31], v[28:29], v[32:33]
	s_cbranch_vccnz .LBB255_51
; %bb.50:                               ;   in Loop: Header=BB255_4 Depth=1
	v_lshl_add_u64 v[28:29], v[4:5], 3, v[26:27]
	flat_load_b64 v[28:29], v[28:29]
	s_wait_loadcnt_dscnt 0x0
	v_fmac_f64_e32 v[30:31], v[24:25], v[28:29]
.LBB255_51:                             ;   in Loop: Header=BB255_4 Depth=1
	s_or_b32 s9, s46, exec_lo
.LBB255_52:                             ;   in Loop: Header=BB255_4 Depth=1
	s_wait_xcnt 0x0
	s_or_b32 exec_lo, exec_lo, s8
	s_delay_alu instid0(SALU_CYCLE_1) | instskip(SKIP_1) | instid1(SALU_CYCLE_1)
	s_and_not1_b32 s8, s46, exec_lo
	s_and_b32 s9, s9, exec_lo
	s_or_b32 s46, s8, s9
.LBB255_53:                             ;   in Loop: Header=BB255_4 Depth=1
	s_or_b32 exec_lo, exec_lo, s7
	v_mov_b64_e32 v[24:25], v[4:5]
	s_and_saveexec_b32 s7, s46
	s_cbranch_execz .LBB255_2
.LBB255_54:                             ;   in Loop: Header=BB255_4 Depth=1
	s_delay_alu instid0(VALU_DEP_1)
	v_lshl_add_u64 v[24:25], v[24:25], 3, v[26:27]
	flat_store_b64 v[24:25], v[30:31]
	s_branch .LBB255_2
.LBB255_55:
	s_sendmsg sendmsg(MSG_DEALLOC_VGPRS)
	s_endpgm
	.section	.rodata,"a",@progbits
	.p2align	6, 0x0
	.amdhsa_kernel _ZL20rocblas_gemvn_kernelILi64ELi16ElPKdS1_KPdEviiT3_lPKT2_lT1_lS7_lS8_lS4_lPT4_lS8_li
		.amdhsa_group_segment_fixed_size 32768
		.amdhsa_private_segment_fixed_size 0
		.amdhsa_kernarg_size 400
		.amdhsa_user_sgpr_count 2
		.amdhsa_user_sgpr_dispatch_ptr 0
		.amdhsa_user_sgpr_queue_ptr 0
		.amdhsa_user_sgpr_kernarg_segment_ptr 1
		.amdhsa_user_sgpr_dispatch_id 0
		.amdhsa_user_sgpr_kernarg_preload_length 0
		.amdhsa_user_sgpr_kernarg_preload_offset 0
		.amdhsa_user_sgpr_private_segment_size 0
		.amdhsa_wavefront_size32 1
		.amdhsa_uses_dynamic_stack 0
		.amdhsa_enable_private_segment 0
		.amdhsa_system_sgpr_workgroup_id_x 1
		.amdhsa_system_sgpr_workgroup_id_y 0
		.amdhsa_system_sgpr_workgroup_id_z 1
		.amdhsa_system_sgpr_workgroup_info 0
		.amdhsa_system_vgpr_workitem_id 1
		.amdhsa_next_free_vgpr 95
		.amdhsa_next_free_sgpr 50
		.amdhsa_named_barrier_count 0
		.amdhsa_reserve_vcc 1
		.amdhsa_float_round_mode_32 0
		.amdhsa_float_round_mode_16_64 0
		.amdhsa_float_denorm_mode_32 3
		.amdhsa_float_denorm_mode_16_64 3
		.amdhsa_fp16_overflow 0
		.amdhsa_memory_ordered 1
		.amdhsa_forward_progress 1
		.amdhsa_inst_pref_size 23
		.amdhsa_round_robin_scheduling 0
		.amdhsa_exception_fp_ieee_invalid_op 0
		.amdhsa_exception_fp_denorm_src 0
		.amdhsa_exception_fp_ieee_div_zero 0
		.amdhsa_exception_fp_ieee_overflow 0
		.amdhsa_exception_fp_ieee_underflow 0
		.amdhsa_exception_fp_ieee_inexact 0
		.amdhsa_exception_int_div_zero 0
	.end_amdhsa_kernel
	.section	.text._ZL20rocblas_gemvn_kernelILi64ELi16ElPKdS1_KPdEviiT3_lPKT2_lT1_lS7_lS8_lS4_lPT4_lS8_li,"axG",@progbits,_ZL20rocblas_gemvn_kernelILi64ELi16ElPKdS1_KPdEviiT3_lPKT2_lT1_lS7_lS8_lS4_lPT4_lS8_li,comdat
.Lfunc_end255:
	.size	_ZL20rocblas_gemvn_kernelILi64ELi16ElPKdS1_KPdEviiT3_lPKT2_lT1_lS7_lS8_lS4_lPT4_lS8_li, .Lfunc_end255-_ZL20rocblas_gemvn_kernelILi64ELi16ElPKdS1_KPdEviiT3_lPKT2_lT1_lS7_lS8_lS4_lPT4_lS8_li
                                        ; -- End function
	.set _ZL20rocblas_gemvn_kernelILi64ELi16ElPKdS1_KPdEviiT3_lPKT2_lT1_lS7_lS8_lS4_lPT4_lS8_li.num_vgpr, 95
	.set _ZL20rocblas_gemvn_kernelILi64ELi16ElPKdS1_KPdEviiT3_lPKT2_lT1_lS7_lS8_lS4_lPT4_lS8_li.num_agpr, 0
	.set _ZL20rocblas_gemvn_kernelILi64ELi16ElPKdS1_KPdEviiT3_lPKT2_lT1_lS7_lS8_lS4_lPT4_lS8_li.numbered_sgpr, 50
	.set _ZL20rocblas_gemvn_kernelILi64ELi16ElPKdS1_KPdEviiT3_lPKT2_lT1_lS7_lS8_lS4_lPT4_lS8_li.num_named_barrier, 0
	.set _ZL20rocblas_gemvn_kernelILi64ELi16ElPKdS1_KPdEviiT3_lPKT2_lT1_lS7_lS8_lS4_lPT4_lS8_li.private_seg_size, 0
	.set _ZL20rocblas_gemvn_kernelILi64ELi16ElPKdS1_KPdEviiT3_lPKT2_lT1_lS7_lS8_lS4_lPT4_lS8_li.uses_vcc, 1
	.set _ZL20rocblas_gemvn_kernelILi64ELi16ElPKdS1_KPdEviiT3_lPKT2_lT1_lS7_lS8_lS4_lPT4_lS8_li.uses_flat_scratch, 1
	.set _ZL20rocblas_gemvn_kernelILi64ELi16ElPKdS1_KPdEviiT3_lPKT2_lT1_lS7_lS8_lS4_lPT4_lS8_li.has_dyn_sized_stack, 0
	.set _ZL20rocblas_gemvn_kernelILi64ELi16ElPKdS1_KPdEviiT3_lPKT2_lT1_lS7_lS8_lS4_lPT4_lS8_li.has_recursion, 0
	.set _ZL20rocblas_gemvn_kernelILi64ELi16ElPKdS1_KPdEviiT3_lPKT2_lT1_lS7_lS8_lS4_lPT4_lS8_li.has_indirect_call, 0
	.section	.AMDGPU.csdata,"",@progbits
; Kernel info:
; codeLenInByte = 2876
; TotalNumSgprs: 52
; NumVgprs: 95
; ScratchSize: 0
; MemoryBound: 1
; FloatMode: 240
; IeeeMode: 1
; LDSByteSize: 32768 bytes/workgroup (compile time only)
; SGPRBlocks: 0
; VGPRBlocks: 5
; NumSGPRsForWavesPerEU: 52
; NumVGPRsForWavesPerEU: 95
; NamedBarCnt: 0
; Occupancy: 10
; WaveLimiterHint : 1
; COMPUTE_PGM_RSRC2:SCRATCH_EN: 0
; COMPUTE_PGM_RSRC2:USER_SGPR: 2
; COMPUTE_PGM_RSRC2:TRAP_HANDLER: 0
; COMPUTE_PGM_RSRC2:TGID_X_EN: 1
; COMPUTE_PGM_RSRC2:TGID_Y_EN: 0
; COMPUTE_PGM_RSRC2:TGID_Z_EN: 1
; COMPUTE_PGM_RSRC2:TIDIG_COMP_CNT: 1
	.section	.text._ZL20rocblas_gemvn_kernelILi64ELi16EiPKddKPdEviiT3_lPKT2_lT1_lS7_lS8_lS4_lPT4_lS8_li,"axG",@progbits,_ZL20rocblas_gemvn_kernelILi64ELi16EiPKddKPdEviiT3_lPKT2_lT1_lS7_lS8_lS4_lPT4_lS8_li,comdat
	.globl	_ZL20rocblas_gemvn_kernelILi64ELi16EiPKddKPdEviiT3_lPKT2_lT1_lS7_lS8_lS4_lPT4_lS8_li ; -- Begin function _ZL20rocblas_gemvn_kernelILi64ELi16EiPKddKPdEviiT3_lPKT2_lT1_lS7_lS8_lS4_lPT4_lS8_li
	.p2align	8
	.type	_ZL20rocblas_gemvn_kernelILi64ELi16EiPKddKPdEviiT3_lPKT2_lT1_lS7_lS8_lS4_lPT4_lS8_li,@function
_ZL20rocblas_gemvn_kernelILi64ELi16EiPKddKPdEviiT3_lPKT2_lT1_lS7_lS8_lS4_lPT4_lS8_li: ; @_ZL20rocblas_gemvn_kernelILi64ELi16EiPKddKPdEviiT3_lPKT2_lT1_lS7_lS8_lS4_lPT4_lS8_li
; %bb.0:
	s_clause 0x1
	s_load_b64 s[4:5], s[0:1], 0x9c
	s_load_b32 s28, s[0:1], 0x88
	s_bfe_u32 s2, ttmp6, 0x40014
	s_lshr_b32 s3, ttmp7, 16
	s_add_co_i32 s2, s2, 1
	s_bfe_u32 s6, ttmp6, 0x40008
	s_mul_i32 s7, s3, s2
	s_getreg_b32 s2, hwreg(HW_REG_IB_STS2, 6, 4)
	s_add_co_i32 s6, s6, s7
	s_mov_b32 s25, 0
	s_wait_kmcnt 0x0
	s_lshr_b32 s7, s4, 16
	s_and_b32 s4, s4, 0xffff
	s_and_b32 s5, s5, 0xffff
	s_mul_i32 s4, s7, s4
	s_cmp_eq_u32 s2, 0
	s_mul_i32 s4, s4, s5
	s_cselect_b32 s24, s3, s6
	s_cmp_lg_u32 s4, 0x400
	s_cselect_b32 s3, -1, 0
	s_cmp_ge_u32 s24, s28
	s_cselect_b32 s4, -1, 0
	s_delay_alu instid0(SALU_CYCLE_1) | instskip(NEXT) | instid1(SALU_CYCLE_1)
	s_or_b32 s3, s3, s4
	s_and_b32 vcc_lo, exec_lo, s3
	s_cbranch_vccnz .LBB256_58
; %bb.1:
	s_clause 0x7
	s_load_b64 s[26:27], s[0:1], 0x58
	s_load_b128 s[8:11], s[0:1], 0x0
	s_load_b128 s[12:15], s[0:1], 0x18
	s_load_b32 s4, s[0:1], 0x78
	s_load_b32 s29, s[0:1], 0x28
	s_load_b128 s[16:19], s[0:1], 0x38
	s_load_b32 s30, s[0:1], 0x48
	s_load_b128 s[20:23], s[0:1], 0x68
	s_wait_xcnt 0x0
	s_bfe_u32 s1, ttmp6, 0x4000c
	v_and_b32_e32 v6, 0x3ff, v0
	s_add_co_i32 s1, s1, 1
	v_bfe_u32 v7, v0, 10, 10
	s_and_b32 s0, ttmp6, 15
	s_mul_i32 s1, ttmp9, s1
	v_dual_mov_b32 v1, 0 :: v_dual_lshlrev_b32 v0, 3, v6
	s_add_co_i32 s1, s0, s1
	v_lshl_add_u32 v2, v7, 6, v6
	s_delay_alu instid0(VALU_DEP_2) | instskip(SKIP_1) | instid1(VALU_DEP_3)
	v_lshl_add_u32 v61, v7, 11, v0
	v_lshl_add_u32 v62, v7, 9, v0
	v_cmp_gt_u32_e64 s0, 0x100, v2
	s_wait_kmcnt 0x0
	s_ashr_i32 s5, s4, 31
	v_cmp_neq_f64_e64 s3, s[26:27], 1.0
	v_cmp_neq_f64_e64 s7, s[10:11], 0
	v_cmp_eq_f64_e64 s38, s[10:11], 0
	v_cmp_neq_f64_e64 s39, s[26:27], 0
	v_mul_lo_u32 v11, v7, s29
	s_mov_b32 s6, s8
	s_delay_alu instid0(VALU_DEP_1)
	v_lshl_add_u32 v67, v11, 2, v6
	s_or_b32 s31, s7, s3
	s_cmp_eq_u32 s2, 0
	v_cndmask_b32_e64 v63, 0, 1, s7
	s_cselect_b32 s1, ttmp9, s1
	s_ashr_i32 s7, s8, 31
	s_lshl_b32 s33, s1, 8
	s_delay_alu instid0(SALU_CYCLE_1) | instskip(SKIP_2) | instid1(VALU_DEP_2)
	v_dual_lshlrev_b32 v60, 2, v7 :: v_dual_add_nc_u32 v0, s33, v2
	v_mul_lo_u32 v7, v7, s30
	s_ashr_i32 s2, s9, 31
	v_dual_add_nc_u32 v64, s33, v6 :: v_dual_bitop2_b32 v8, 2, v60 bitop3:0x54
	v_or_b32_e32 v5, s33, v2
	v_mul_u64_e32 v[2:3], s[4:5], v[0:1]
	v_or_b32_e32 v9, 3, v60
	v_mul_lo_u32 v10, s29, v60
	v_cmp_gt_i64_e32 vcc_lo, s[6:7], v[0:1]
	v_add_nc_u32_e32 v0, 64, v64
	v_mul_lo_u32 v4, s4, v5
	s_lshr_b32 s1, s2, 26
	v_mad_u32 v65, s29, v8, v6
	s_add_co_i32 s34, s9, s1
	v_mad_u32 v68, s30, v60, s30
	v_mul_lo_u32 v69, s30, v8
	v_lshlrev_b32_e32 v71, 2, v7
	v_mad_u32 v66, s29, v9, v6
	v_mul_lo_u32 v70, s30, v9
	v_add_nc_u32_e32 v12, 0x80, v64
	v_add_nc_u32_e32 v13, 0xc0, v64
	s_and_not1_b32 s34, s34, 63
	v_cmp_gt_i32_e64 s2, s8, v64
	s_sub_co_i32 s3, s9, s34
	v_cmp_gt_i32_e64 s1, s34, v60
	s_cmp_gt_i32 s3, 0
	v_cmp_gt_i32_e64 s3, s8, v5
	v_cmp_gt_i32_e64 s4, s8, v0
	;; [unrolled: 1-line block ×4, first 2 shown]
	v_ashrrev_i32_e32 v5, 31, v4
	v_add3_u32 v0, v10, s29, v6
	s_cselect_b32 s35, -1, 0
	s_and_b32 s8, s0, vcc_lo
	s_lshl_b32 s36, s29, 6
	s_lshl_b32 s37, s30, 6
	s_lshl_b64 s[14:15], s[14:15], 3
	s_lshl_b64 s[18:19], s[18:19], 3
	;; [unrolled: 1-line block ×3, first 2 shown]
	s_branch .LBB256_4
.LBB256_2:                              ;   in Loop: Header=BB256_4 Depth=1
	s_wait_xcnt 0x0
	s_or_b32 exec_lo, exec_lo, s7
.LBB256_3:                              ;   in Loop: Header=BB256_4 Depth=1
	s_add_co_i32 s24, s24, 0x10000
	s_delay_alu instid0(SALU_CYCLE_1)
	s_cmp_lt_u32 s24, s28
	s_cbranch_scc0 .LBB256_58
.LBB256_4:                              ; =>This Loop Header: Depth=1
                                        ;     Child Loop BB256_26 Depth 2
	s_and_not1_b32 vcc_lo, exec_lo, s31
	s_cbranch_vccnz .LBB256_3
; %bb.5:                                ;   in Loop: Header=BB256_4 Depth=1
	s_and_not1_b32 vcc_lo, exec_lo, s38
	s_cbranch_vccnz .LBB256_7
; %bb.6:                                ;   in Loop: Header=BB256_4 Depth=1
	v_mov_b64_e32 v[18:19], 0
	v_mov_b64_e32 v[16:17], 0
	s_cbranch_execz .LBB256_8
	s_branch .LBB256_9
.LBB256_7:                              ;   in Loop: Header=BB256_4 Depth=1
	v_mov_b64_e32 v[18:19], 0
	v_mov_b64_e32 v[16:17], 0
.LBB256_8:                              ;   in Loop: Header=BB256_4 Depth=1
	s_lshl_b64 s[40:41], s[24:25], 3
	s_delay_alu instid0(SALU_CYCLE_1)
	s_add_nc_u64 s[40:41], s[12:13], s[40:41]
	global_load_b64 v[6:7], v1, s[40:41]
	s_wait_loadcnt 0x0
	v_add_nc_u64_e32 v[16:17], s[14:15], v[6:7]
.LBB256_9:                              ;   in Loop: Header=BB256_4 Depth=1
	v_cmp_ne_u32_e32 vcc_lo, 1, v63
	s_cbranch_vccnz .LBB256_11
; %bb.10:                               ;   in Loop: Header=BB256_4 Depth=1
	s_wait_xcnt 0x0
	s_lshl_b64 s[40:41], s[24:25], 3
	s_delay_alu instid0(SALU_CYCLE_1)
	s_add_nc_u64 s[40:41], s[16:17], s[40:41]
	global_load_b64 v[6:7], v1, s[40:41]
	s_wait_loadcnt 0x0
	v_add_nc_u64_e32 v[18:19], s[18:19], v[6:7]
.LBB256_11:                             ;   in Loop: Header=BB256_4 Depth=1
	s_wait_xcnt 0x0
	s_lshl_b64 s[40:41], s[24:25], 3
	s_and_not1_b32 vcc_lo, exec_lo, s38
	s_add_nc_u64 s[40:41], s[20:21], s[40:41]
	global_load_b64 v[6:7], v1, s[40:41]
	s_wait_loadcnt 0x0
	v_add_nc_u64_e32 v[6:7], s[22:23], v[6:7]
	s_cbranch_vccnz .LBB256_15
; %bb.12:                               ;   in Loop: Header=BB256_4 Depth=1
	s_mov_b32 s7, 0
	s_wait_xcnt 0x0
	s_mov_b32 s40, 0
                                        ; implicit-def: $vgpr8_vgpr9
	s_and_saveexec_b32 s41, s8
	s_cbranch_execz .LBB256_16
; %bb.13:                               ;   in Loop: Header=BB256_4 Depth=1
	s_and_not1_b32 vcc_lo, exec_lo, s39
	s_cbranch_vccnz .LBB256_18
; %bb.14:                               ;   in Loop: Header=BB256_4 Depth=1
	v_lshl_add_u64 v[8:9], v[2:3], 3, v[6:7]
	flat_load_b64 v[8:9], v[8:9]
	s_wait_loadcnt_dscnt 0x0
	s_wait_xcnt 0x0
	v_mul_f64_e32 v[8:9], s[26:27], v[8:9]
	s_branch .LBB256_19
.LBB256_15:                             ;   in Loop: Header=BB256_4 Depth=1
	s_wait_xcnt 0x0
	s_mov_b32 s40, 0
                                        ; implicit-def: $vgpr8_vgpr9
	s_cbranch_execz .LBB256_17
	s_branch .LBB256_20
.LBB256_16:                             ;   in Loop: Header=BB256_4 Depth=1
	s_or_b32 exec_lo, exec_lo, s41
	s_delay_alu instid0(SALU_CYCLE_1)
	s_and_b32 vcc_lo, exec_lo, s7
	s_cbranch_vccnz .LBB256_20
.LBB256_17:                             ;   in Loop: Header=BB256_4 Depth=1
	v_mov_b64_e32 v[10:11], v[2:3]
	s_and_saveexec_b32 s7, s40
	s_cbranch_execz .LBB256_2
	s_branch .LBB256_57
.LBB256_18:                             ;   in Loop: Header=BB256_4 Depth=1
	v_mov_b64_e32 v[8:9], 0
.LBB256_19:                             ;   in Loop: Header=BB256_4 Depth=1
	s_mov_b32 s40, exec_lo
	s_or_b32 exec_lo, exec_lo, s41
	s_delay_alu instid0(SALU_CYCLE_1)
	s_and_b32 vcc_lo, exec_lo, s7
	s_cbranch_vccz .LBB256_17
.LBB256_20:                             ;   in Loop: Header=BB256_4 Depth=1
	v_mov_b64_e32 v[8:9], 0
	v_mov_b64_e32 v[10:11], 0
	;; [unrolled: 1-line block ×4, first 2 shown]
	v_mov_b32_e32 v72, v60
	s_and_saveexec_b32 s7, s1
	s_cbranch_execz .LBB256_32
; %bb.21:                               ;   in Loop: Header=BB256_4 Depth=1
	v_mov_b64_e32 v[8:9], 0
	v_mov_b64_e32 v[10:11], 0
	;; [unrolled: 1-line block ×4, first 2 shown]
	v_dual_mov_b32 v73, v67 :: v_dual_mov_b32 v74, v66
	v_dual_mov_b32 v75, v65 :: v_dual_mov_b32 v76, v0
	v_mov_b32_e32 v72, v60
	s_mov_b32 s41, 0
	s_mov_b32 s42, 0
	s_branch .LBB256_26
.LBB256_22:                             ;   in Loop: Header=BB256_26 Depth=2
	s_wait_xcnt 0x0
	s_or_b32 exec_lo, exec_lo, s46
	s_wait_loadcnt_dscnt 0x303
	v_fmac_f64_e32 v[12:13], v[26:27], v[56:57]
	s_wait_loadcnt_dscnt 0x202
	s_delay_alu instid0(VALU_DEP_1) | instskip(SKIP_1) | instid1(VALU_DEP_1)
	v_fmac_f64_e32 v[12:13], v[24:25], v[52:53]
	s_wait_loadcnt_dscnt 0x101
	v_fmac_f64_e32 v[12:13], v[22:23], v[50:51]
	s_wait_loadcnt_dscnt 0x0
	s_delay_alu instid0(VALU_DEP_1)
	v_fmac_f64_e32 v[12:13], v[20:21], v[44:45]
.LBB256_23:                             ;   in Loop: Header=BB256_26 Depth=2
	s_or_b32 exec_lo, exec_lo, s45
	s_wait_loadcnt_dscnt 0x303
	v_fmac_f64_e32 v[10:11], v[26:27], v[42:43]
	s_wait_loadcnt_dscnt 0x202
	s_delay_alu instid0(VALU_DEP_1) | instskip(SKIP_1) | instid1(VALU_DEP_1)
	v_fmac_f64_e32 v[10:11], v[24:25], v[40:41]
	s_wait_loadcnt_dscnt 0x101
	v_fmac_f64_e32 v[10:11], v[22:23], v[38:39]
	s_wait_loadcnt_dscnt 0x0
	s_delay_alu instid0(VALU_DEP_1)
	v_fmac_f64_e32 v[10:11], v[20:21], v[36:37]
.LBB256_24:                             ;   in Loop: Header=BB256_26 Depth=2
	s_or_b32 exec_lo, exec_lo, s44
	s_wait_loadcnt_dscnt 0x303
	v_fmac_f64_e32 v[8:9], v[26:27], v[34:35]
	s_wait_loadcnt_dscnt 0x202
	s_delay_alu instid0(VALU_DEP_1) | instskip(SKIP_1) | instid1(VALU_DEP_1)
	v_fmac_f64_e32 v[8:9], v[24:25], v[32:33]
	s_wait_loadcnt_dscnt 0x101
	v_fmac_f64_e32 v[8:9], v[22:23], v[30:31]
	s_wait_loadcnt_dscnt 0x0
	s_delay_alu instid0(VALU_DEP_1)
	v_fmac_f64_e32 v[8:9], v[20:21], v[28:29]
.LBB256_25:                             ;   in Loop: Header=BB256_26 Depth=2
	s_or_b32 exec_lo, exec_lo, s43
	v_dual_add_nc_u32 v72, 64, v72 :: v_dual_add_nc_u32 v75, s36, v75
	v_dual_add_nc_u32 v76, s36, v76 :: v_dual_add_nc_u32 v74, s36, v74
	v_add_nc_u32_e32 v73, s36, v73
	s_delay_alu instid0(VALU_DEP_3) | instskip(SKIP_2) | instid1(SALU_CYCLE_1)
	v_cmp_le_i32_e32 vcc_lo, s34, v72
	s_add_co_i32 s42, s42, s37
	s_or_b32 s41, vcc_lo, s41
	s_and_not1_b32 exec_lo, exec_lo, s41
	s_cbranch_execz .LBB256_31
.LBB256_26:                             ;   Parent Loop BB256_4 Depth=1
                                        ; =>  This Inner Loop Header: Depth=2
	s_and_saveexec_b32 s43, s2
	s_cbranch_execz .LBB256_25
; %bb.27:                               ;   in Loop: Header=BB256_26 Depth=2
	v_dual_add_nc_u32 v37, s42, v71 :: v_dual_add_nc_u32 v39, s42, v68
	v_readfirstlane_b32 s44, v18
	v_readfirstlane_b32 s45, v19
	v_dual_add_nc_u32 v41, s42, v69 :: v_dual_add_nc_u32 v43, s42, v70
	v_dual_add_nc_u32 v36, s33, v73 :: v_dual_add_nc_u32 v38, s33, v76
	v_readfirstlane_b32 s46, v16
	v_readfirstlane_b32 s47, v17
	v_dual_add_nc_u32 v42, s33, v75 :: v_dual_add_nc_u32 v40, s33, v74
	s_clause 0x3
	flat_load_b64 v[26:27], v37, s[44:45] scale_offset
	flat_load_b64 v[24:25], v39, s[44:45] scale_offset
	;; [unrolled: 1-line block ×4, first 2 shown]
	s_clause 0x3
	flat_load_b64 v[34:35], v36, s[46:47] scale_offset
	flat_load_b64 v[32:33], v38, s[46:47] scale_offset
	;; [unrolled: 1-line block ×4, first 2 shown]
	s_wait_xcnt 0x0
	s_and_saveexec_b32 s44, s4
	s_cbranch_execz .LBB256_24
; %bb.28:                               ;   in Loop: Header=BB256_26 Depth=2
	v_dual_ashrrev_i32 v37, 31, v36 :: v_dual_ashrrev_i32 v39, 31, v38
	v_dual_ashrrev_i32 v43, 31, v42 :: v_dual_ashrrev_i32 v41, 31, v40
	s_delay_alu instid0(VALU_DEP_2) | instskip(NEXT) | instid1(VALU_DEP_3)
	v_lshl_add_u64 v[58:59], v[36:37], 3, v[16:17]
	v_lshl_add_u64 v[54:55], v[38:39], 3, v[16:17]
	s_delay_alu instid0(VALU_DEP_3) | instskip(NEXT) | instid1(VALU_DEP_4)
	v_lshl_add_u64 v[46:47], v[42:43], 3, v[16:17]
	v_lshl_add_u64 v[48:49], v[40:41], 3, v[16:17]
	s_clause 0x3
	flat_load_b64 v[42:43], v[58:59] offset:512
	flat_load_b64 v[40:41], v[54:55] offset:512
	;; [unrolled: 1-line block ×4, first 2 shown]
	s_wait_xcnt 0x0
	s_and_saveexec_b32 s45, s5
	s_cbranch_execz .LBB256_23
; %bb.29:                               ;   in Loop: Header=BB256_26 Depth=2
	s_clause 0x3
	flat_load_b64 v[56:57], v[58:59] offset:1024
	flat_load_b64 v[52:53], v[54:55] offset:1024
	flat_load_b64 v[50:51], v[46:47] offset:1024
	flat_load_b64 v[44:45], v[48:49] offset:1024
	s_wait_xcnt 0x0
	s_and_saveexec_b32 s46, s6
	s_cbranch_execz .LBB256_22
; %bb.30:                               ;   in Loop: Header=BB256_26 Depth=2
	s_clause 0x3
	flat_load_b64 v[58:59], v[58:59] offset:1536
	flat_load_b64 v[54:55], v[54:55] offset:1536
	;; [unrolled: 1-line block ×4, first 2 shown]
	s_wait_loadcnt_dscnt 0x303
	v_fmac_f64_e32 v[14:15], v[26:27], v[58:59]
	s_wait_loadcnt_dscnt 0x202
	s_delay_alu instid0(VALU_DEP_1) | instskip(SKIP_1) | instid1(VALU_DEP_1)
	v_fmac_f64_e32 v[14:15], v[24:25], v[54:55]
	s_wait_loadcnt_dscnt 0x101
	v_fmac_f64_e32 v[14:15], v[22:23], v[46:47]
	s_wait_loadcnt_dscnt 0x0
	s_delay_alu instid0(VALU_DEP_1)
	v_fmac_f64_e32 v[14:15], v[20:21], v[48:49]
	s_branch .LBB256_22
.LBB256_31:                             ;   in Loop: Header=BB256_4 Depth=1
	s_or_b32 exec_lo, exec_lo, s41
.LBB256_32:                             ;   in Loop: Header=BB256_4 Depth=1
	s_delay_alu instid0(SALU_CYCLE_1) | instskip(NEXT) | instid1(SALU_CYCLE_1)
	s_or_b32 exec_lo, exec_lo, s7
	s_and_not1_b32 vcc_lo, exec_lo, s35
	s_cbranch_vccnz .LBB256_50
; %bb.33:                               ;   in Loop: Header=BB256_4 Depth=1
	v_mov_b64_e32 v[26:27], 0
	v_mov_b64_e32 v[24:25], 0
	;; [unrolled: 1-line block ×4, first 2 shown]
	v_cmp_gt_i32_e32 vcc_lo, s9, v72
	v_or_b32_e32 v28, 1, v72
	s_and_saveexec_b32 s41, vcc_lo
	s_cbranch_execz .LBB256_41
; %bb.34:                               ;   in Loop: Header=BB256_4 Depth=1
	v_mul_lo_u32 v20, v72, s30
	v_readfirstlane_b32 s42, v18
	v_readfirstlane_b32 s43, v19
	v_mov_b64_e32 v[22:23], 0
	v_mov_b64_e32 v[24:25], 0
	;; [unrolled: 1-line block ×3, first 2 shown]
	flat_load_b64 v[20:21], v20, s[42:43] scale_offset
	s_wait_xcnt 0x0
	s_mov_b32 s42, exec_lo
	v_cmpx_gt_i32_e64 s9, v28
	s_cbranch_execz .LBB256_40
; %bb.35:                               ;   in Loop: Header=BB256_4 Depth=1
	v_mul_lo_u32 v22, v28, s30
	v_readfirstlane_b32 s44, v18
	v_readfirstlane_b32 s45, v19
	v_mov_b64_e32 v[24:25], 0
	v_mov_b64_e32 v[26:27], 0
	v_or_b32_e32 v29, 2, v72
	s_mov_b32 s43, exec_lo
	flat_load_b64 v[22:23], v22, s[44:45] scale_offset
	s_wait_xcnt 0x0
	v_cmpx_gt_i32_e64 s9, v29
	s_cbranch_execz .LBB256_39
; %bb.36:                               ;   in Loop: Header=BB256_4 Depth=1
	v_mul_lo_u32 v24, v29, s30
	v_readfirstlane_b32 s44, v18
	v_readfirstlane_b32 s45, v19
	v_mov_b64_e32 v[26:27], 0
	v_or_b32_e32 v29, 3, v72
	flat_load_b64 v[24:25], v24, s[44:45] scale_offset
	s_wait_xcnt 0x0
	s_mov_b32 s44, exec_lo
	v_cmpx_gt_i32_e64 s9, v29
	s_cbranch_execz .LBB256_38
; %bb.37:                               ;   in Loop: Header=BB256_4 Depth=1
	v_mul_lo_u32 v26, v29, s30
	v_readfirstlane_b32 s46, v18
	v_readfirstlane_b32 s47, v19
	flat_load_b64 v[26:27], v26, s[46:47] scale_offset
.LBB256_38:                             ;   in Loop: Header=BB256_4 Depth=1
	s_wait_xcnt 0x0
	s_or_b32 exec_lo, exec_lo, s44
.LBB256_39:                             ;   in Loop: Header=BB256_4 Depth=1
	s_delay_alu instid0(SALU_CYCLE_1)
	s_or_b32 exec_lo, exec_lo, s43
.LBB256_40:                             ;   in Loop: Header=BB256_4 Depth=1
	s_delay_alu instid0(SALU_CYCLE_1)
	s_or_b32 exec_lo, exec_lo, s42
.LBB256_41:                             ;   in Loop: Header=BB256_4 Depth=1
	s_delay_alu instid0(SALU_CYCLE_1)
	s_or_b32 exec_lo, exec_lo, s41
	s_and_saveexec_b32 s7, s2
	s_cbranch_execz .LBB256_49
; %bb.42:                               ;   in Loop: Header=BB256_4 Depth=1
	v_mul_lo_u32 v19, v72, s29
	v_mul_lo_u32 v30, v28, s29
	v_or_b32_e32 v18, 2, v72
	v_readfirstlane_b32 s42, v16
	v_readfirstlane_b32 s43, v17
	v_cndmask_b32_e32 v19, 0, v19, vcc_lo
	s_delay_alu instid0(VALU_DEP_4) | instskip(SKIP_2) | instid1(VALU_DEP_1)
	v_mul_lo_u32 v31, v18, s29
	v_cmp_gt_i32_e32 vcc_lo, s9, v28
	v_dual_cndmask_b32 v28, 0, v30, vcc_lo :: v_dual_bitop2_b32 v29, 3, v72 bitop3:0x54
	v_mul_lo_u32 v32, v29, s29
	v_cmp_gt_i32_e32 vcc_lo, s9, v18
	s_delay_alu instid0(VALU_DEP_3) | instskip(SKIP_3) | instid1(VALU_DEP_1)
	v_dual_add_nc_u32 v36, v19, v64 :: v_dual_add_nc_u32 v38, v28, v64
	v_cndmask_b32_e32 v18, 0, v31, vcc_lo
	v_cmp_gt_i32_e32 vcc_lo, s9, v29
	v_cndmask_b32_e32 v29, 0, v32, vcc_lo
	v_dual_add_nc_u32 v40, v18, v64 :: v_dual_add_nc_u32 v34, v29, v64
	s_clause 0x3
	flat_load_b64 v[32:33], v36, s[42:43] scale_offset
	flat_load_b64 v[30:31], v38, s[42:43] scale_offset
	flat_load_b64 v[28:29], v40, s[42:43] scale_offset
	flat_load_b64 v[18:19], v34, s[42:43] scale_offset
	s_wait_xcnt 0x0
	s_and_saveexec_b32 s41, s4
	s_cbranch_execz .LBB256_48
; %bb.43:                               ;   in Loop: Header=BB256_4 Depth=1
	v_dual_ashrrev_i32 v37, 31, v36 :: v_dual_ashrrev_i32 v39, 31, v38
	v_dual_ashrrev_i32 v41, 31, v40 :: v_dual_ashrrev_i32 v35, 31, v34
	s_delay_alu instid0(VALU_DEP_2) | instskip(NEXT) | instid1(VALU_DEP_3)
	v_lshl_add_u64 v[54:55], v[36:37], 3, v[16:17]
	v_lshl_add_u64 v[50:51], v[38:39], 3, v[16:17]
	s_delay_alu instid0(VALU_DEP_3) | instskip(NEXT) | instid1(VALU_DEP_4)
	v_lshl_add_u64 v[42:43], v[40:41], 3, v[16:17]
	v_lshl_add_u64 v[44:45], v[34:35], 3, v[16:17]
	s_clause 0x3
	flat_load_b64 v[38:39], v[54:55] offset:512
	flat_load_b64 v[36:37], v[50:51] offset:512
	;; [unrolled: 1-line block ×4, first 2 shown]
	s_wait_xcnt 0x0
	s_and_saveexec_b32 s42, s5
	s_cbranch_execz .LBB256_47
; %bb.44:                               ;   in Loop: Header=BB256_4 Depth=1
	s_clause 0x3
	flat_load_b64 v[52:53], v[54:55] offset:1024
	flat_load_b64 v[48:49], v[50:51] offset:1024
	;; [unrolled: 1-line block ×4, first 2 shown]
	s_wait_xcnt 0x0
	s_and_saveexec_b32 s43, s6
	s_cbranch_execz .LBB256_46
; %bb.45:                               ;   in Loop: Header=BB256_4 Depth=1
	s_clause 0x3
	flat_load_b64 v[54:55], v[54:55] offset:1536
	flat_load_b64 v[50:51], v[50:51] offset:1536
	;; [unrolled: 1-line block ×4, first 2 shown]
	s_wait_loadcnt_dscnt 0x303
	v_fmac_f64_e32 v[14:15], v[20:21], v[54:55]
	s_wait_loadcnt_dscnt 0x202
	s_delay_alu instid0(VALU_DEP_1) | instskip(SKIP_1) | instid1(VALU_DEP_1)
	v_fmac_f64_e32 v[14:15], v[22:23], v[50:51]
	s_wait_loadcnt_dscnt 0x101
	v_fmac_f64_e32 v[14:15], v[24:25], v[42:43]
	s_wait_loadcnt_dscnt 0x0
	s_delay_alu instid0(VALU_DEP_1)
	v_fmac_f64_e32 v[14:15], v[26:27], v[44:45]
.LBB256_46:                             ;   in Loop: Header=BB256_4 Depth=1
	s_wait_xcnt 0x0
	s_or_b32 exec_lo, exec_lo, s43
	s_wait_loadcnt_dscnt 0x303
	v_fmac_f64_e32 v[12:13], v[20:21], v[52:53]
	s_wait_loadcnt_dscnt 0x202
	s_delay_alu instid0(VALU_DEP_1) | instskip(SKIP_1) | instid1(VALU_DEP_1)
	v_fmac_f64_e32 v[12:13], v[22:23], v[48:49]
	s_wait_loadcnt_dscnt 0x101
	v_fmac_f64_e32 v[12:13], v[24:25], v[46:47]
	s_wait_loadcnt_dscnt 0x0
	s_delay_alu instid0(VALU_DEP_1)
	v_fmac_f64_e32 v[12:13], v[26:27], v[40:41]
.LBB256_47:                             ;   in Loop: Header=BB256_4 Depth=1
	s_or_b32 exec_lo, exec_lo, s42
	s_wait_loadcnt_dscnt 0x303
	v_fmac_f64_e32 v[10:11], v[20:21], v[38:39]
	s_wait_loadcnt_dscnt 0x202
	s_delay_alu instid0(VALU_DEP_1) | instskip(SKIP_1) | instid1(VALU_DEP_1)
	v_fmac_f64_e32 v[10:11], v[22:23], v[36:37]
	s_wait_loadcnt_dscnt 0x101
	v_fmac_f64_e32 v[10:11], v[24:25], v[34:35]
	s_wait_loadcnt_dscnt 0x0
	s_delay_alu instid0(VALU_DEP_1)
	v_fmac_f64_e32 v[10:11], v[26:27], v[16:17]
.LBB256_48:                             ;   in Loop: Header=BB256_4 Depth=1
	s_or_b32 exec_lo, exec_lo, s41
	s_wait_loadcnt_dscnt 0x303
	v_fmac_f64_e32 v[8:9], v[20:21], v[32:33]
	s_wait_loadcnt_dscnt 0x202
	s_delay_alu instid0(VALU_DEP_1) | instskip(SKIP_1) | instid1(VALU_DEP_1)
	v_fmac_f64_e32 v[8:9], v[22:23], v[30:31]
	s_wait_loadcnt_dscnt 0x101
	v_fmac_f64_e32 v[8:9], v[24:25], v[28:29]
	s_wait_loadcnt_dscnt 0x0
	s_delay_alu instid0(VALU_DEP_1)
	v_fmac_f64_e32 v[8:9], v[26:27], v[18:19]
.LBB256_49:                             ;   in Loop: Header=BB256_4 Depth=1
	s_or_b32 exec_lo, exec_lo, s7
.LBB256_50:                             ;   in Loop: Header=BB256_4 Depth=1
	ds_store_2addr_stride64_b64 v61, v[8:9], v[10:11] offset1:1
	ds_store_2addr_stride64_b64 v61, v[12:13], v[14:15] offset0:2 offset1:3
	s_wait_loadcnt_dscnt 0x0
	s_barrier_signal -1
	s_barrier_wait -1
                                        ; implicit-def: $vgpr8_vgpr9
	s_and_saveexec_b32 s7, s0
	s_cbranch_execz .LBB256_56
; %bb.51:                               ;   in Loop: Header=BB256_4 Depth=1
	ds_load_2addr_stride64_b64 v[8:11], v62 offset1:4
	s_mov_b32 s42, s40
	s_wait_dscnt 0x0
	v_add_f64_e32 v[12:13], v[8:9], v[10:11]
	ds_load_2addr_stride64_b64 v[8:11], v62 offset0:8 offset1:12
	s_wait_dscnt 0x0
	v_add_f64_e32 v[8:9], v[8:9], v[12:13]
	s_delay_alu instid0(VALU_DEP_1) | instskip(SKIP_3) | instid1(VALU_DEP_1)
	v_add_f64_e32 v[12:13], v[10:11], v[8:9]
	ds_load_2addr_stride64_b64 v[8:11], v62 offset0:16 offset1:20
	s_wait_dscnt 0x0
	v_add_f64_e32 v[8:9], v[8:9], v[12:13]
	v_add_f64_e32 v[12:13], v[10:11], v[8:9]
	ds_load_2addr_stride64_b64 v[8:11], v62 offset0:24 offset1:28
	s_wait_dscnt 0x0
	v_add_f64_e32 v[8:9], v[8:9], v[12:13]
	s_delay_alu instid0(VALU_DEP_1) | instskip(SKIP_3) | instid1(VALU_DEP_1)
	v_add_f64_e32 v[12:13], v[10:11], v[8:9]
	ds_load_2addr_stride64_b64 v[8:11], v62 offset0:32 offset1:36
	s_wait_dscnt 0x0
	v_add_f64_e32 v[8:9], v[8:9], v[12:13]
	;; [unrolled: 9-line block ×3, first 2 shown]
	v_add_f64_e32 v[12:13], v[10:11], v[8:9]
	ds_load_2addr_stride64_b64 v[8:11], v62 offset0:56 offset1:60
	s_wait_dscnt 0x0
	v_add_f64_e32 v[8:9], v[8:9], v[12:13]
	s_delay_alu instid0(VALU_DEP_1)
	v_add_f64_e32 v[10:11], v[10:11], v[8:9]
                                        ; implicit-def: $vgpr8_vgpr9
	ds_store_b64 v62, v[10:11]
	s_and_saveexec_b32 s41, s3
	s_cbranch_execz .LBB256_55
; %bb.52:                               ;   in Loop: Header=BB256_4 Depth=1
	v_mul_f64_e32 v[8:9], s[10:11], v[10:11]
	s_and_not1_b32 vcc_lo, exec_lo, s39
	s_cbranch_vccnz .LBB256_54
; %bb.53:                               ;   in Loop: Header=BB256_4 Depth=1
	v_lshl_add_u64 v[10:11], v[4:5], 3, v[6:7]
	flat_load_b64 v[10:11], v[10:11]
	s_wait_loadcnt_dscnt 0x0
	v_fmac_f64_e32 v[8:9], s[26:27], v[10:11]
.LBB256_54:                             ;   in Loop: Header=BB256_4 Depth=1
	s_or_b32 s42, s40, exec_lo
.LBB256_55:                             ;   in Loop: Header=BB256_4 Depth=1
	s_wait_xcnt 0x0
	s_or_b32 exec_lo, exec_lo, s41
	s_delay_alu instid0(SALU_CYCLE_1) | instskip(SKIP_1) | instid1(SALU_CYCLE_1)
	s_and_not1_b32 s40, s40, exec_lo
	s_and_b32 s41, s42, exec_lo
	s_or_b32 s40, s40, s41
.LBB256_56:                             ;   in Loop: Header=BB256_4 Depth=1
	s_or_b32 exec_lo, exec_lo, s7
	v_mov_b64_e32 v[10:11], v[4:5]
	s_and_saveexec_b32 s7, s40
	s_cbranch_execz .LBB256_2
.LBB256_57:                             ;   in Loop: Header=BB256_4 Depth=1
	s_delay_alu instid0(VALU_DEP_1)
	v_lshl_add_u64 v[6:7], v[10:11], 3, v[6:7]
	flat_store_b64 v[6:7], v[8:9]
	s_branch .LBB256_2
.LBB256_58:
	s_sendmsg sendmsg(MSG_DEALLOC_VGPRS)
	s_endpgm
	.section	.rodata,"a",@progbits
	.p2align	6, 0x0
	.amdhsa_kernel _ZL20rocblas_gemvn_kernelILi64ELi16EiPKddKPdEviiT3_lPKT2_lT1_lS7_lS8_lS4_lPT4_lS8_li
		.amdhsa_group_segment_fixed_size 32768
		.amdhsa_private_segment_fixed_size 0
		.amdhsa_kernarg_size 400
		.amdhsa_user_sgpr_count 2
		.amdhsa_user_sgpr_dispatch_ptr 0
		.amdhsa_user_sgpr_queue_ptr 0
		.amdhsa_user_sgpr_kernarg_segment_ptr 1
		.amdhsa_user_sgpr_dispatch_id 0
		.amdhsa_user_sgpr_kernarg_preload_length 0
		.amdhsa_user_sgpr_kernarg_preload_offset 0
		.amdhsa_user_sgpr_private_segment_size 0
		.amdhsa_wavefront_size32 1
		.amdhsa_uses_dynamic_stack 0
		.amdhsa_enable_private_segment 0
		.amdhsa_system_sgpr_workgroup_id_x 1
		.amdhsa_system_sgpr_workgroup_id_y 0
		.amdhsa_system_sgpr_workgroup_id_z 1
		.amdhsa_system_sgpr_workgroup_info 0
		.amdhsa_system_vgpr_workitem_id 1
		.amdhsa_next_free_vgpr 77
		.amdhsa_next_free_sgpr 48
		.amdhsa_named_barrier_count 0
		.amdhsa_reserve_vcc 1
		.amdhsa_float_round_mode_32 0
		.amdhsa_float_round_mode_16_64 0
		.amdhsa_float_denorm_mode_32 3
		.amdhsa_float_denorm_mode_16_64 3
		.amdhsa_fp16_overflow 0
		.amdhsa_memory_ordered 1
		.amdhsa_forward_progress 1
		.amdhsa_inst_pref_size 23
		.amdhsa_round_robin_scheduling 0
		.amdhsa_exception_fp_ieee_invalid_op 0
		.amdhsa_exception_fp_denorm_src 0
		.amdhsa_exception_fp_ieee_div_zero 0
		.amdhsa_exception_fp_ieee_overflow 0
		.amdhsa_exception_fp_ieee_underflow 0
		.amdhsa_exception_fp_ieee_inexact 0
		.amdhsa_exception_int_div_zero 0
	.end_amdhsa_kernel
	.section	.text._ZL20rocblas_gemvn_kernelILi64ELi16EiPKddKPdEviiT3_lPKT2_lT1_lS7_lS8_lS4_lPT4_lS8_li,"axG",@progbits,_ZL20rocblas_gemvn_kernelILi64ELi16EiPKddKPdEviiT3_lPKT2_lT1_lS7_lS8_lS4_lPT4_lS8_li,comdat
.Lfunc_end256:
	.size	_ZL20rocblas_gemvn_kernelILi64ELi16EiPKddKPdEviiT3_lPKT2_lT1_lS7_lS8_lS4_lPT4_lS8_li, .Lfunc_end256-_ZL20rocblas_gemvn_kernelILi64ELi16EiPKddKPdEviiT3_lPKT2_lT1_lS7_lS8_lS4_lPT4_lS8_li
                                        ; -- End function
	.set _ZL20rocblas_gemvn_kernelILi64ELi16EiPKddKPdEviiT3_lPKT2_lT1_lS7_lS8_lS4_lPT4_lS8_li.num_vgpr, 77
	.set _ZL20rocblas_gemvn_kernelILi64ELi16EiPKddKPdEviiT3_lPKT2_lT1_lS7_lS8_lS4_lPT4_lS8_li.num_agpr, 0
	.set _ZL20rocblas_gemvn_kernelILi64ELi16EiPKddKPdEviiT3_lPKT2_lT1_lS7_lS8_lS4_lPT4_lS8_li.numbered_sgpr, 48
	.set _ZL20rocblas_gemvn_kernelILi64ELi16EiPKddKPdEviiT3_lPKT2_lT1_lS7_lS8_lS4_lPT4_lS8_li.num_named_barrier, 0
	.set _ZL20rocblas_gemvn_kernelILi64ELi16EiPKddKPdEviiT3_lPKT2_lT1_lS7_lS8_lS4_lPT4_lS8_li.private_seg_size, 0
	.set _ZL20rocblas_gemvn_kernelILi64ELi16EiPKddKPdEviiT3_lPKT2_lT1_lS7_lS8_lS4_lPT4_lS8_li.uses_vcc, 1
	.set _ZL20rocblas_gemvn_kernelILi64ELi16EiPKddKPdEviiT3_lPKT2_lT1_lS7_lS8_lS4_lPT4_lS8_li.uses_flat_scratch, 1
	.set _ZL20rocblas_gemvn_kernelILi64ELi16EiPKddKPdEviiT3_lPKT2_lT1_lS7_lS8_lS4_lPT4_lS8_li.has_dyn_sized_stack, 0
	.set _ZL20rocblas_gemvn_kernelILi64ELi16EiPKddKPdEviiT3_lPKT2_lT1_lS7_lS8_lS4_lPT4_lS8_li.has_recursion, 0
	.set _ZL20rocblas_gemvn_kernelILi64ELi16EiPKddKPdEviiT3_lPKT2_lT1_lS7_lS8_lS4_lPT4_lS8_li.has_indirect_call, 0
	.section	.AMDGPU.csdata,"",@progbits
; Kernel info:
; codeLenInByte = 2944
; TotalNumSgprs: 50
; NumVgprs: 77
; ScratchSize: 0
; MemoryBound: 0
; FloatMode: 240
; IeeeMode: 1
; LDSByteSize: 32768 bytes/workgroup (compile time only)
; SGPRBlocks: 0
; VGPRBlocks: 4
; NumSGPRsForWavesPerEU: 50
; NumVGPRsForWavesPerEU: 77
; NamedBarCnt: 0
; Occupancy: 12
; WaveLimiterHint : 1
; COMPUTE_PGM_RSRC2:SCRATCH_EN: 0
; COMPUTE_PGM_RSRC2:USER_SGPR: 2
; COMPUTE_PGM_RSRC2:TRAP_HANDLER: 0
; COMPUTE_PGM_RSRC2:TGID_X_EN: 1
; COMPUTE_PGM_RSRC2:TGID_Y_EN: 0
; COMPUTE_PGM_RSRC2:TGID_Z_EN: 1
; COMPUTE_PGM_RSRC2:TIDIG_COMP_CNT: 1
	.section	.text._ZL20rocblas_gemvn_kernelILi64ELi16ElPKddKPdEviiT3_lPKT2_lT1_lS7_lS8_lS4_lPT4_lS8_li,"axG",@progbits,_ZL20rocblas_gemvn_kernelILi64ELi16ElPKddKPdEviiT3_lPKT2_lT1_lS7_lS8_lS4_lPT4_lS8_li,comdat
	.globl	_ZL20rocblas_gemvn_kernelILi64ELi16ElPKddKPdEviiT3_lPKT2_lT1_lS7_lS8_lS4_lPT4_lS8_li ; -- Begin function _ZL20rocblas_gemvn_kernelILi64ELi16ElPKddKPdEviiT3_lPKT2_lT1_lS7_lS8_lS4_lPT4_lS8_li
	.p2align	8
	.type	_ZL20rocblas_gemvn_kernelILi64ELi16ElPKddKPdEviiT3_lPKT2_lT1_lS7_lS8_lS4_lPT4_lS8_li,@function
_ZL20rocblas_gemvn_kernelILi64ELi16ElPKddKPdEviiT3_lPKT2_lT1_lS7_lS8_lS4_lPT4_lS8_li: ; @_ZL20rocblas_gemvn_kernelILi64ELi16ElPKddKPdEviiT3_lPKT2_lT1_lS7_lS8_lS4_lPT4_lS8_li
; %bb.0:
	s_clause 0x1
	s_load_b64 s[2:3], s[0:1], 0x9c
	s_load_b32 s33, s[0:1], 0x88
	s_bfe_u32 s4, ttmp6, 0x40014
	s_lshr_b32 s5, ttmp7, 16
	s_add_co_i32 s4, s4, 1
	s_bfe_u32 s6, ttmp6, 0x40008
	s_mul_i32 s7, s5, s4
	s_getreg_b32 s4, hwreg(HW_REG_IB_STS2, 6, 4)
	s_add_co_i32 s6, s6, s7
	s_mov_b32 s11, 0
	s_wait_kmcnt 0x0
	s_lshr_b32 s7, s2, 16
	s_and_b32 s2, s2, 0xffff
	s_and_b32 s3, s3, 0xffff
	s_mul_i32 s2, s7, s2
	s_cmp_eq_u32 s4, 0
	s_mul_i32 s2, s2, s3
	s_cselect_b32 s10, s5, s6
	s_cmp_lg_u32 s2, 0x400
	s_cselect_b32 s2, -1, 0
	s_cmp_ge_u32 s10, s33
	s_cselect_b32 s3, -1, 0
	s_delay_alu instid0(SALU_CYCLE_1) | instskip(NEXT) | instid1(SALU_CYCLE_1)
	s_or_b32 s2, s2, s3
	s_and_b32 vcc_lo, exec_lo, s2
	s_cbranch_vccnz .LBB257_58
; %bb.1:
	s_clause 0x6
	s_load_b64 s[28:29], s[0:1], 0x58
	s_load_b128 s[12:15], s[0:1], 0x0
	s_load_b128 s[16:19], s[0:1], 0x18
	s_load_b64 s[30:31], s[0:1], 0x48
	s_load_b64 s[34:35], s[0:1], 0x28
	s_load_b128 s[20:23], s[0:1], 0x38
	s_load_b64 s[2:3], s[0:1], 0x78
	s_bfe_u32 s7, ttmp6, 0x4000c
	v_bfe_u32 v4, v0, 10, 10
	s_add_co_i32 s7, s7, 1
	v_and_b32_e32 v24, 0x3ff, v0
	s_and_b32 s8, ttmp6, 15
	s_mul_i32 s7, ttmp9, s7
	v_dual_mov_b32 v1, 0 :: v_dual_lshlrev_b32 v88, 2, v4
	s_add_co_i32 s8, s8, s7
	v_lshl_add_u32 v14, v4, 6, v24
	s_load_b128 s[24:27], s[0:1], 0x68
	s_wait_kmcnt 0x0
	v_mad_nc_u64_u32 v[6:7], s30, v88, s[30:31]
	v_cmp_neq_f64_e64 s5, s[28:29], 1.0
	v_cmp_neq_f64_e64 s6, s[14:15], 0
	v_mad_nc_u64_u32 v[12:13], s34, v88, s[34:35]
	s_mov_b32 s0, s12
	v_cmp_eq_f64_e64 s43, s[14:15], 0
	v_cmp_neq_f64_e64 s44, s[28:29], 0
	v_mad_u32 v7, s31, v88, v7
	s_delay_alu instid0(VALU_DEP_4)
	v_mad_u32 v13, s35, v88, v13
	s_or_b32 s40, s6, s5
	s_cmp_eq_u32 s4, 0
	v_cndmask_b32_e64 v89, 0, 1, s6
	s_cselect_b32 s4, ttmp9, s8
	s_ashr_i32 s1, s12, 31
	s_lshl_b32 s4, s4, 8
	s_delay_alu instid0(SALU_CYCLE_1) | instskip(NEXT) | instid1(VALU_DEP_1)
	v_dual_mov_b32 v5, v1 :: v_dual_add_nc_u32 v0, s4, v14
	v_mul_u64_e32 v[8:9], s[30:31], v[4:5]
	v_mul_u64_e32 v[10:11], s[34:35], v[4:5]
	v_lshlrev_b32_e32 v5, 3, v24
	s_delay_alu instid0(VALU_DEP_4)
	v_cmp_gt_i64_e32 vcc_lo, s[0:1], v[0:1]
	v_mul_u64_e32 v[2:3], s[2:3], v[0:1]
	v_cmp_gt_u32_e64 s0, 0x100, v14
	v_or_b32_e32 v14, s4, v14
	v_or_b32_e32 v0, 3, v88
	v_lshl_add_u32 v90, v4, 11, v5
	v_lshl_add_u32 v91, v4, 9, v5
	v_lshlrev_b64_e32 v[4:5], 3, v[6:7]
	v_ashrrev_i32_e32 v15, 31, v14
	v_mul_u64_e32 v[16:17], s[34:35], v[0:1]
	v_mul_u64_e32 v[18:19], s[30:31], v[0:1]
	v_or_b32_e32 v0, 2, v88
	v_lshlrev_b64_e32 v[6:7], 3, v[12:13]
	v_mul_u64_e32 v[12:13], s[2:3], v[14:15]
	s_ashr_i32 s1, s13, 31
	v_add_nc_u32_e32 v24, s4, v24
	v_mul_u64_e32 v[20:21], s[34:35], v[0:1]
	v_mul_u64_e32 v[22:23], s[30:31], v[0:1]
	s_lshr_b32 s1, s1, 26
	s_delay_alu instid0(SALU_CYCLE_1)
	s_add_co_i32 s41, s13, s1
	v_dual_ashrrev_i32 v25, 31, v24 :: v_dual_add_nc_u32 v0, 64, v24
	v_add_nc_u32_e32 v15, 0x80, v24
	s_and_not1_b32 s41, s41, 63
	v_add_nc_u32_e32 v26, 0xc0, v24
	s_sub_co_i32 s3, s13, s41
	v_cmp_gt_i32_e64 s1, s41, v88
	s_cmp_gt_i32 s3, 0
	v_lshlrev_b64_e32 v[8:9], 5, v[8:9]
	v_lshlrev_b64_e32 v[10:11], 5, v[10:11]
	v_cmp_gt_i32_e64 s3, s12, v14
	v_cmp_gt_i32_e64 s5, s12, v15
	v_lshlrev_b64_e32 v[14:15], 3, v[24:25]
	v_cmp_gt_i32_e64 s2, s12, v24
	v_cmp_gt_i32_e64 s4, s12, v0
	;; [unrolled: 1-line block ×3, first 2 shown]
	s_cselect_b32 s42, -1, 0
	s_lshl_b64 s[36:37], s[30:31], 9
	s_lshl_b64 s[38:39], s[34:35], 9
	s_and_b32 s12, s0, vcc_lo
	v_lshlrev_b64_e32 v[16:17], 3, v[16:17]
	v_lshlrev_b64_e32 v[18:19], 3, v[18:19]
	s_lshl_b64 s[18:19], s[18:19], 3
	s_lshl_b64 s[22:23], s[22:23], 3
	;; [unrolled: 1-line block ×3, first 2 shown]
	v_lshlrev_b64_e32 v[20:21], 3, v[20:21]
	v_lshlrev_b64_e32 v[22:23], 3, v[22:23]
	s_branch .LBB257_4
.LBB257_2:                              ;   in Loop: Header=BB257_4 Depth=1
	s_wait_xcnt 0x0
	s_or_b32 exec_lo, exec_lo, s7
.LBB257_3:                              ;   in Loop: Header=BB257_4 Depth=1
	s_add_co_i32 s10, s10, 0x10000
	s_delay_alu instid0(SALU_CYCLE_1)
	s_cmp_lt_u32 s10, s33
	s_cbranch_scc0 .LBB257_58
.LBB257_4:                              ; =>This Loop Header: Depth=1
                                        ;     Child Loop BB257_26 Depth 2
	s_and_not1_b32 vcc_lo, exec_lo, s40
	s_cbranch_vccnz .LBB257_3
; %bb.5:                                ;   in Loop: Header=BB257_4 Depth=1
	s_and_not1_b32 vcc_lo, exec_lo, s43
	s_cbranch_vccnz .LBB257_7
; %bb.6:                                ;   in Loop: Header=BB257_4 Depth=1
	v_mov_b64_e32 v[36:37], 0
	v_mov_b64_e32 v[34:35], 0
	s_cbranch_execz .LBB257_8
	s_branch .LBB257_9
.LBB257_7:                              ;   in Loop: Header=BB257_4 Depth=1
	v_mov_b64_e32 v[36:37], 0
	v_mov_b64_e32 v[34:35], 0
.LBB257_8:                              ;   in Loop: Header=BB257_4 Depth=1
	s_lshl_b64 s[8:9], s[10:11], 3
	s_delay_alu instid0(SALU_CYCLE_1)
	s_add_nc_u64 s[8:9], s[16:17], s[8:9]
	global_load_b64 v[24:25], v1, s[8:9]
	s_wait_loadcnt 0x0
	v_add_nc_u64_e32 v[34:35], s[18:19], v[24:25]
.LBB257_9:                              ;   in Loop: Header=BB257_4 Depth=1
	v_cmp_ne_u32_e32 vcc_lo, 1, v89
	s_cbranch_vccnz .LBB257_11
; %bb.10:                               ;   in Loop: Header=BB257_4 Depth=1
	s_wait_xcnt 0x0
	s_lshl_b64 s[8:9], s[10:11], 3
	s_delay_alu instid0(SALU_CYCLE_1)
	s_add_nc_u64 s[8:9], s[20:21], s[8:9]
	global_load_b64 v[24:25], v1, s[8:9]
	s_wait_loadcnt 0x0
	v_add_nc_u64_e32 v[36:37], s[22:23], v[24:25]
.LBB257_11:                             ;   in Loop: Header=BB257_4 Depth=1
	s_wait_xcnt 0x0
	s_lshl_b64 s[8:9], s[10:11], 3
	s_and_not1_b32 vcc_lo, exec_lo, s43
	s_add_nc_u64 s[8:9], s[24:25], s[8:9]
	global_load_b64 v[24:25], v1, s[8:9]
	s_wait_loadcnt 0x0
	v_add_nc_u64_e32 v[24:25], s[26:27], v[24:25]
	s_cbranch_vccnz .LBB257_15
; %bb.12:                               ;   in Loop: Header=BB257_4 Depth=1
	s_mov_b32 s7, 0
	s_mov_b32 s45, 0
                                        ; implicit-def: $vgpr26_vgpr27
	s_wait_xcnt 0x0
	s_and_saveexec_b32 s8, s12
	s_cbranch_execz .LBB257_16
; %bb.13:                               ;   in Loop: Header=BB257_4 Depth=1
	s_and_not1_b32 vcc_lo, exec_lo, s44
	s_cbranch_vccnz .LBB257_18
; %bb.14:                               ;   in Loop: Header=BB257_4 Depth=1
	v_lshl_add_u64 v[26:27], v[2:3], 3, v[24:25]
	flat_load_b64 v[26:27], v[26:27]
	s_wait_loadcnt_dscnt 0x0
	s_wait_xcnt 0x0
	v_mul_f64_e32 v[26:27], s[28:29], v[26:27]
	s_branch .LBB257_19
.LBB257_15:                             ;   in Loop: Header=BB257_4 Depth=1
	s_mov_b32 s45, 0
                                        ; implicit-def: $vgpr26_vgpr27
	s_cbranch_execz .LBB257_17
	s_branch .LBB257_20
.LBB257_16:                             ;   in Loop: Header=BB257_4 Depth=1
	s_or_b32 exec_lo, exec_lo, s8
	s_delay_alu instid0(SALU_CYCLE_1)
	s_and_b32 vcc_lo, exec_lo, s7
	s_cbranch_vccnz .LBB257_20
.LBB257_17:                             ;   in Loop: Header=BB257_4 Depth=1
	v_mov_b64_e32 v[28:29], v[2:3]
	s_wait_xcnt 0x0
	s_and_saveexec_b32 s7, s45
	s_cbranch_execz .LBB257_2
	s_branch .LBB257_57
.LBB257_18:                             ;   in Loop: Header=BB257_4 Depth=1
	v_mov_b64_e32 v[26:27], 0
.LBB257_19:                             ;   in Loop: Header=BB257_4 Depth=1
	s_mov_b32 s45, exec_lo
	s_or_b32 exec_lo, exec_lo, s8
	s_delay_alu instid0(SALU_CYCLE_1)
	s_and_b32 vcc_lo, exec_lo, s7
	s_cbranch_vccz .LBB257_17
.LBB257_20:                             ;   in Loop: Header=BB257_4 Depth=1
	v_mov_b64_e32 v[26:27], 0
	v_mov_b64_e32 v[28:29], 0
	;; [unrolled: 1-line block ×4, first 2 shown]
	v_mov_b32_e32 v0, v88
	s_wait_xcnt 0x0
	s_and_saveexec_b32 s7, s1
	s_cbranch_execz .LBB257_32
; %bb.21:                               ;   in Loop: Header=BB257_4 Depth=1
	v_add_nc_u64_e32 v[38:39], v[34:35], v[16:17]
	v_add_nc_u64_e32 v[40:41], v[34:35], v[10:11]
	v_add_nc_u64_e32 v[42:43], v[34:35], v[20:21]
	v_add_nc_u64_e32 v[44:45], v[34:35], v[6:7]
	v_mov_b64_e32 v[26:27], 0
	v_mov_b64_e32 v[28:29], 0
	;; [unrolled: 1-line block ×5, first 2 shown]
	v_mov_b32_e32 v0, v88
	s_mov_b32 s8, 0
	s_branch .LBB257_26
.LBB257_22:                             ;   in Loop: Header=BB257_26 Depth=2
	s_wait_xcnt 0x0
	s_or_b32 exec_lo, exec_lo, s48
	s_wait_loadcnt_dscnt 0x303
	v_fmac_f64_e32 v[30:31], v[54:55], v[86:87]
	s_wait_loadcnt_dscnt 0x202
	s_delay_alu instid0(VALU_DEP_1) | instskip(SKIP_1) | instid1(VALU_DEP_1)
	v_fmac_f64_e32 v[30:31], v[52:53], v[84:85]
	s_wait_loadcnt_dscnt 0x101
	v_fmac_f64_e32 v[30:31], v[50:51], v[82:83]
	s_wait_loadcnt_dscnt 0x0
	s_delay_alu instid0(VALU_DEP_1)
	v_fmac_f64_e32 v[30:31], v[48:49], v[80:81]
.LBB257_23:                             ;   in Loop: Header=BB257_26 Depth=2
	s_or_b32 exec_lo, exec_lo, s47
	s_wait_loadcnt_dscnt 0x303
	v_fmac_f64_e32 v[28:29], v[54:55], v[70:71]
	s_wait_loadcnt_dscnt 0x202
	s_delay_alu instid0(VALU_DEP_1) | instskip(SKIP_1) | instid1(VALU_DEP_1)
	v_fmac_f64_e32 v[28:29], v[52:53], v[68:69]
	s_wait_loadcnt_dscnt 0x101
	v_fmac_f64_e32 v[28:29], v[50:51], v[66:67]
	s_wait_loadcnt_dscnt 0x0
	s_delay_alu instid0(VALU_DEP_1)
	v_fmac_f64_e32 v[28:29], v[48:49], v[64:65]
.LBB257_24:                             ;   in Loop: Header=BB257_26 Depth=2
	s_or_b32 exec_lo, exec_lo, s46
	s_wait_loadcnt_dscnt 0x303
	v_fmac_f64_e32 v[26:27], v[54:55], v[62:63]
	s_wait_loadcnt_dscnt 0x202
	s_delay_alu instid0(VALU_DEP_1) | instskip(SKIP_1) | instid1(VALU_DEP_1)
	v_fmac_f64_e32 v[26:27], v[52:53], v[60:61]
	s_wait_loadcnt_dscnt 0x101
	v_fmac_f64_e32 v[26:27], v[50:51], v[58:59]
	s_wait_loadcnt_dscnt 0x0
	s_delay_alu instid0(VALU_DEP_1)
	v_fmac_f64_e32 v[26:27], v[48:49], v[56:57]
.LBB257_25:                             ;   in Loop: Header=BB257_26 Depth=2
	s_or_b32 exec_lo, exec_lo, s9
	v_add_nc_u32_e32 v0, 64, v0
	v_add_nc_u64_e32 v[46:47], s[36:37], v[46:47]
	v_add_nc_u64_e32 v[38:39], s[38:39], v[38:39]
	;; [unrolled: 1-line block ×4, first 2 shown]
	v_cmp_le_i32_e32 vcc_lo, s41, v0
	v_add_nc_u64_e32 v[44:45], s[38:39], v[44:45]
	s_or_b32 s8, vcc_lo, s8
	s_delay_alu instid0(SALU_CYCLE_1)
	s_and_not1_b32 exec_lo, exec_lo, s8
	s_cbranch_execz .LBB257_31
.LBB257_26:                             ;   Parent Loop BB257_4 Depth=1
                                        ; =>  This Inner Loop Header: Depth=2
	s_and_saveexec_b32 s9, s2
	s_cbranch_execz .LBB257_25
; %bb.27:                               ;   in Loop: Header=BB257_26 Depth=2
	s_delay_alu instid0(VALU_DEP_2)
	v_add_nc_u64_e32 v[48:49], v[46:47], v[8:9]
	v_add_nc_u64_e32 v[50:51], v[46:47], v[4:5]
	;; [unrolled: 1-line block ×8, first 2 shown]
	s_clause 0x3
	flat_load_b64 v[54:55], v[48:49]
	flat_load_b64 v[52:53], v[50:51]
	flat_load_b64 v[50:51], v[56:57]
	flat_load_b64 v[48:49], v[58:59]
	flat_load_b64 v[62:63], v[78:79]
	flat_load_b64 v[60:61], v[76:77]
	flat_load_b64 v[58:59], v[74:75]
	flat_load_b64 v[56:57], v[72:73]
	s_wait_xcnt 0x0
	s_and_saveexec_b32 s46, s4
	s_cbranch_execz .LBB257_24
; %bb.28:                               ;   in Loop: Header=BB257_26 Depth=2
	flat_load_b64 v[70:71], v[78:79] offset:512
	flat_load_b64 v[68:69], v[76:77] offset:512
	flat_load_b64 v[66:67], v[74:75] offset:512
	flat_load_b64 v[64:65], v[72:73] offset:512
	s_wait_xcnt 0x0
	s_and_saveexec_b32 s47, s5
	s_cbranch_execz .LBB257_23
; %bb.29:                               ;   in Loop: Header=BB257_26 Depth=2
	flat_load_b64 v[86:87], v[78:79] offset:1024
	flat_load_b64 v[84:85], v[76:77] offset:1024
	flat_load_b64 v[82:83], v[74:75] offset:1024
	flat_load_b64 v[80:81], v[72:73] offset:1024
	;; [unrolled: 8-line block ×3, first 2 shown]
	s_wait_loadcnt_dscnt 0x303
	v_fmac_f64_e32 v[32:33], v[54:55], v[78:79]
	s_wait_loadcnt_dscnt 0x202
	s_delay_alu instid0(VALU_DEP_1) | instskip(SKIP_1) | instid1(VALU_DEP_1)
	v_fmac_f64_e32 v[32:33], v[52:53], v[76:77]
	s_wait_loadcnt_dscnt 0x101
	v_fmac_f64_e32 v[32:33], v[50:51], v[74:75]
	s_wait_loadcnt_dscnt 0x0
	s_delay_alu instid0(VALU_DEP_1)
	v_fmac_f64_e32 v[32:33], v[48:49], v[72:73]
	s_branch .LBB257_22
.LBB257_31:                             ;   in Loop: Header=BB257_4 Depth=1
	s_or_b32 exec_lo, exec_lo, s8
.LBB257_32:                             ;   in Loop: Header=BB257_4 Depth=1
	s_delay_alu instid0(SALU_CYCLE_1) | instskip(NEXT) | instid1(SALU_CYCLE_1)
	s_or_b32 exec_lo, exec_lo, s7
	s_and_not1_b32 vcc_lo, exec_lo, s42
	s_cbranch_vccnz .LBB257_50
; %bb.33:                               ;   in Loop: Header=BB257_4 Depth=1
	v_mov_b64_e32 v[44:45], 0
	v_mov_b64_e32 v[42:43], 0
	;; [unrolled: 1-line block ×4, first 2 shown]
	v_cmp_gt_i32_e32 vcc_lo, s13, v0
	v_or_b32_e32 v46, 1, v0
	s_and_saveexec_b32 s8, vcc_lo
	s_cbranch_execz .LBB257_41
; %bb.34:                               ;   in Loop: Header=BB257_4 Depth=1
	v_mul_u64_e32 v[38:39], s[30:31], v[0:1]
	v_mov_b64_e32 v[40:41], 0
	v_mov_b64_e32 v[42:43], 0
	;; [unrolled: 1-line block ×3, first 2 shown]
	s_mov_b32 s9, exec_lo
	s_delay_alu instid0(VALU_DEP_4)
	v_lshl_add_u64 v[38:39], v[38:39], 3, v[36:37]
	flat_load_b64 v[38:39], v[38:39]
	s_wait_xcnt 0x0
	v_cmpx_gt_i32_e64 s13, v46
	s_cbranch_execz .LBB257_40
; %bb.35:                               ;   in Loop: Header=BB257_4 Depth=1
	v_dual_mov_b32 v47, v1 :: v_dual_bitop2_b32 v48, 2, v0 bitop3:0x54
	v_mov_b64_e32 v[42:43], 0
	v_mov_b64_e32 v[44:45], 0
	s_mov_b32 s46, exec_lo
	s_delay_alu instid0(VALU_DEP_3) | instskip(NEXT) | instid1(VALU_DEP_1)
	v_mul_u64_e32 v[40:41], s[30:31], v[46:47]
	v_lshl_add_u64 v[40:41], v[40:41], 3, v[36:37]
	flat_load_b64 v[40:41], v[40:41]
	s_wait_xcnt 0x0
	v_cmpx_gt_i32_e64 s13, v48
	s_cbranch_execz .LBB257_39
; %bb.36:                               ;   in Loop: Header=BB257_4 Depth=1
	v_mov_b32_e32 v49, v1
	v_mov_b64_e32 v[44:45], 0
	s_mov_b32 s47, exec_lo
	s_delay_alu instid0(VALU_DEP_2) | instskip(SKIP_1) | instid1(VALU_DEP_2)
	v_mul_u64_e32 v[42:43], s[30:31], v[48:49]
	v_or_b32_e32 v48, 3, v0
	v_lshl_add_u64 v[42:43], v[42:43], 3, v[36:37]
	flat_load_b64 v[42:43], v[42:43]
	s_wait_xcnt 0x0
	v_cmpx_gt_i32_e64 s13, v48
	s_cbranch_execz .LBB257_38
; %bb.37:                               ;   in Loop: Header=BB257_4 Depth=1
	v_mov_b32_e32 v49, v1
	s_delay_alu instid0(VALU_DEP_1) | instskip(NEXT) | instid1(VALU_DEP_1)
	v_mul_u64_e32 v[44:45], s[30:31], v[48:49]
	v_lshl_add_u64 v[36:37], v[44:45], 3, v[36:37]
	flat_load_b64 v[44:45], v[36:37]
.LBB257_38:                             ;   in Loop: Header=BB257_4 Depth=1
	s_wait_xcnt 0x0
	s_or_b32 exec_lo, exec_lo, s47
.LBB257_39:                             ;   in Loop: Header=BB257_4 Depth=1
	s_delay_alu instid0(SALU_CYCLE_1)
	s_or_b32 exec_lo, exec_lo, s46
.LBB257_40:                             ;   in Loop: Header=BB257_4 Depth=1
	s_delay_alu instid0(SALU_CYCLE_1)
	s_or_b32 exec_lo, exec_lo, s9
.LBB257_41:                             ;   in Loop: Header=BB257_4 Depth=1
	s_delay_alu instid0(SALU_CYCLE_1)
	s_or_b32 exec_lo, exec_lo, s8
	s_and_saveexec_b32 s46, s2
	s_cbranch_execz .LBB257_49
; %bb.42:                               ;   in Loop: Header=BB257_4 Depth=1
	v_dual_mov_b32 v47, v1 :: v_dual_bitop2_b32 v36, 2, v0 bitop3:0x54
	v_mov_b32_e32 v37, v1
	v_mul_u64_e32 v[48:49], s[34:35], v[0:1]
	v_or_b32_e32 v0, 3, v0
	s_delay_alu instid0(VALU_DEP_4)
	v_mul_u64_e32 v[50:51], s[34:35], v[46:47]
	v_cmp_gt_i32_e64 s7, s13, v46
	v_mul_u64_e32 v[52:53], s[34:35], v[36:37]
	v_cmp_gt_i32_e64 s8, s13, v36
	;; [unrolled: 2-line block ×3, first 2 shown]
	v_dual_cndmask_b32 v37, 0, v49 :: v_dual_cndmask_b32 v36, 0, v48
	v_dual_cndmask_b32 v47, 0, v51, s7 :: v_dual_cndmask_b32 v46, 0, v50, s7
	v_dual_cndmask_b32 v49, 0, v53, s8 :: v_dual_cndmask_b32 v48, 0, v52, s8
	s_delay_alu instid0(VALU_DEP_4) | instskip(NEXT) | instid1(VALU_DEP_4)
	v_dual_cndmask_b32 v51, 0, v55, s9 :: v_dual_cndmask_b32 v50, 0, v54, s9
	v_lshl_add_u64 v[36:37], v[36:37], 3, v[34:35]
	s_delay_alu instid0(VALU_DEP_4) | instskip(NEXT) | instid1(VALU_DEP_4)
	v_lshl_add_u64 v[46:47], v[46:47], 3, v[34:35]
	v_lshl_add_u64 v[48:49], v[48:49], 3, v[34:35]
	s_delay_alu instid0(VALU_DEP_4) | instskip(NEXT) | instid1(VALU_DEP_4)
	v_lshl_add_u64 v[34:35], v[50:51], 3, v[34:35]
	v_add_nc_u64_e32 v[64:65], v[36:37], v[14:15]
	s_delay_alu instid0(VALU_DEP_4) | instskip(NEXT) | instid1(VALU_DEP_4)
	v_add_nc_u64_e32 v[62:63], v[46:47], v[14:15]
	v_add_nc_u64_e32 v[60:61], v[48:49], v[14:15]
	s_delay_alu instid0(VALU_DEP_4)
	v_add_nc_u64_e32 v[58:59], v[34:35], v[14:15]
	s_clause 0x3
	flat_load_b64 v[48:49], v[64:65]
	flat_load_b64 v[46:47], v[62:63]
	;; [unrolled: 1-line block ×4, first 2 shown]
	s_wait_xcnt 0x0
	s_and_saveexec_b32 s7, s4
	s_cbranch_execz .LBB257_48
; %bb.43:                               ;   in Loop: Header=BB257_4 Depth=1
	s_clause 0x3
	flat_load_b64 v[56:57], v[64:65] offset:512
	flat_load_b64 v[54:55], v[62:63] offset:512
	flat_load_b64 v[52:53], v[60:61] offset:512
	flat_load_b64 v[50:51], v[58:59] offset:512
	s_wait_xcnt 0x0
	s_and_saveexec_b32 s8, s5
	s_cbranch_execz .LBB257_47
; %bb.44:                               ;   in Loop: Header=BB257_4 Depth=1
	s_clause 0x3
	flat_load_b64 v[72:73], v[64:65] offset:1024
	flat_load_b64 v[70:71], v[62:63] offset:1024
	flat_load_b64 v[68:69], v[60:61] offset:1024
	flat_load_b64 v[66:67], v[58:59] offset:1024
	;; [unrolled: 9-line block ×3, first 2 shown]
	s_wait_loadcnt_dscnt 0x303
	v_fmac_f64_e32 v[32:33], v[38:39], v[64:65]
	s_wait_loadcnt_dscnt 0x202
	s_delay_alu instid0(VALU_DEP_1) | instskip(SKIP_1) | instid1(VALU_DEP_1)
	v_fmac_f64_e32 v[32:33], v[40:41], v[62:63]
	s_wait_loadcnt_dscnt 0x101
	v_fmac_f64_e32 v[32:33], v[42:43], v[60:61]
	s_wait_loadcnt_dscnt 0x0
	s_delay_alu instid0(VALU_DEP_1)
	v_fmac_f64_e32 v[32:33], v[44:45], v[58:59]
.LBB257_46:                             ;   in Loop: Header=BB257_4 Depth=1
	s_wait_xcnt 0x0
	s_or_b32 exec_lo, exec_lo, s9
	s_wait_loadcnt_dscnt 0x303
	v_fmac_f64_e32 v[30:31], v[38:39], v[72:73]
	s_wait_loadcnt_dscnt 0x202
	s_delay_alu instid0(VALU_DEP_1) | instskip(SKIP_1) | instid1(VALU_DEP_1)
	v_fmac_f64_e32 v[30:31], v[40:41], v[70:71]
	s_wait_loadcnt_dscnt 0x101
	v_fmac_f64_e32 v[30:31], v[42:43], v[68:69]
	s_wait_loadcnt_dscnt 0x0
	s_delay_alu instid0(VALU_DEP_1)
	v_fmac_f64_e32 v[30:31], v[44:45], v[66:67]
.LBB257_47:                             ;   in Loop: Header=BB257_4 Depth=1
	s_or_b32 exec_lo, exec_lo, s8
	s_wait_loadcnt_dscnt 0x303
	v_fmac_f64_e32 v[28:29], v[38:39], v[56:57]
	s_wait_loadcnt_dscnt 0x202
	s_delay_alu instid0(VALU_DEP_1) | instskip(SKIP_1) | instid1(VALU_DEP_1)
	v_fmac_f64_e32 v[28:29], v[40:41], v[54:55]
	s_wait_loadcnt_dscnt 0x101
	v_fmac_f64_e32 v[28:29], v[42:43], v[52:53]
	s_wait_loadcnt_dscnt 0x0
	s_delay_alu instid0(VALU_DEP_1)
	v_fmac_f64_e32 v[28:29], v[44:45], v[50:51]
.LBB257_48:                             ;   in Loop: Header=BB257_4 Depth=1
	s_or_b32 exec_lo, exec_lo, s7
	s_wait_loadcnt_dscnt 0x303
	v_fmac_f64_e32 v[26:27], v[38:39], v[48:49]
	s_wait_loadcnt_dscnt 0x202
	s_delay_alu instid0(VALU_DEP_1) | instskip(SKIP_1) | instid1(VALU_DEP_1)
	v_fmac_f64_e32 v[26:27], v[40:41], v[46:47]
	s_wait_loadcnt_dscnt 0x101
	v_fmac_f64_e32 v[26:27], v[42:43], v[36:37]
	s_wait_loadcnt_dscnt 0x0
	s_delay_alu instid0(VALU_DEP_1)
	v_fmac_f64_e32 v[26:27], v[44:45], v[34:35]
.LBB257_49:                             ;   in Loop: Header=BB257_4 Depth=1
	s_or_b32 exec_lo, exec_lo, s46
.LBB257_50:                             ;   in Loop: Header=BB257_4 Depth=1
	ds_store_2addr_stride64_b64 v90, v[26:27], v[28:29] offset1:1
	ds_store_2addr_stride64_b64 v90, v[30:31], v[32:33] offset0:2 offset1:3
	s_wait_loadcnt_dscnt 0x0
	s_barrier_signal -1
	s_barrier_wait -1
                                        ; implicit-def: $vgpr26_vgpr27
	s_and_saveexec_b32 s7, s0
	s_cbranch_execz .LBB257_56
; %bb.51:                               ;   in Loop: Header=BB257_4 Depth=1
	ds_load_2addr_stride64_b64 v[26:29], v91 offset1:4
	s_mov_b32 s9, s45
	s_wait_dscnt 0x0
	v_add_f64_e32 v[30:31], v[26:27], v[28:29]
	ds_load_2addr_stride64_b64 v[26:29], v91 offset0:8 offset1:12
	s_wait_dscnt 0x0
	v_add_f64_e32 v[26:27], v[26:27], v[30:31]
	s_delay_alu instid0(VALU_DEP_1) | instskip(SKIP_3) | instid1(VALU_DEP_1)
	v_add_f64_e32 v[30:31], v[28:29], v[26:27]
	ds_load_2addr_stride64_b64 v[26:29], v91 offset0:16 offset1:20
	s_wait_dscnt 0x0
	v_add_f64_e32 v[26:27], v[26:27], v[30:31]
	v_add_f64_e32 v[30:31], v[28:29], v[26:27]
	ds_load_2addr_stride64_b64 v[26:29], v91 offset0:24 offset1:28
	s_wait_dscnt 0x0
	v_add_f64_e32 v[26:27], v[26:27], v[30:31]
	s_delay_alu instid0(VALU_DEP_1) | instskip(SKIP_3) | instid1(VALU_DEP_1)
	v_add_f64_e32 v[30:31], v[28:29], v[26:27]
	ds_load_2addr_stride64_b64 v[26:29], v91 offset0:32 offset1:36
	s_wait_dscnt 0x0
	v_add_f64_e32 v[26:27], v[26:27], v[30:31]
	;; [unrolled: 9-line block ×3, first 2 shown]
	v_add_f64_e32 v[30:31], v[28:29], v[26:27]
	ds_load_2addr_stride64_b64 v[26:29], v91 offset0:56 offset1:60
	s_wait_dscnt 0x0
	v_add_f64_e32 v[26:27], v[26:27], v[30:31]
	s_delay_alu instid0(VALU_DEP_1)
	v_add_f64_e32 v[28:29], v[28:29], v[26:27]
                                        ; implicit-def: $vgpr26_vgpr27
	ds_store_b64 v91, v[28:29]
	s_and_saveexec_b32 s8, s3
	s_cbranch_execz .LBB257_55
; %bb.52:                               ;   in Loop: Header=BB257_4 Depth=1
	v_mul_f64_e32 v[26:27], s[14:15], v[28:29]
	s_and_not1_b32 vcc_lo, exec_lo, s44
	s_cbranch_vccnz .LBB257_54
; %bb.53:                               ;   in Loop: Header=BB257_4 Depth=1
	v_lshl_add_u64 v[28:29], v[12:13], 3, v[24:25]
	flat_load_b64 v[28:29], v[28:29]
	s_wait_loadcnt_dscnt 0x0
	v_fmac_f64_e32 v[26:27], s[28:29], v[28:29]
.LBB257_54:                             ;   in Loop: Header=BB257_4 Depth=1
	s_or_b32 s9, s45, exec_lo
.LBB257_55:                             ;   in Loop: Header=BB257_4 Depth=1
	s_wait_xcnt 0x0
	s_or_b32 exec_lo, exec_lo, s8
	s_delay_alu instid0(SALU_CYCLE_1) | instskip(SKIP_1) | instid1(SALU_CYCLE_1)
	s_and_not1_b32 s8, s45, exec_lo
	s_and_b32 s9, s9, exec_lo
	s_or_b32 s45, s8, s9
.LBB257_56:                             ;   in Loop: Header=BB257_4 Depth=1
	s_or_b32 exec_lo, exec_lo, s7
	v_mov_b64_e32 v[28:29], v[12:13]
	s_and_saveexec_b32 s7, s45
	s_cbranch_execz .LBB257_2
.LBB257_57:                             ;   in Loop: Header=BB257_4 Depth=1
	s_delay_alu instid0(VALU_DEP_1)
	v_lshl_add_u64 v[24:25], v[28:29], 3, v[24:25]
	flat_store_b64 v[24:25], v[26:27]
	s_branch .LBB257_2
.LBB257_58:
	s_sendmsg sendmsg(MSG_DEALLOC_VGPRS)
	s_endpgm
	.section	.rodata,"a",@progbits
	.p2align	6, 0x0
	.amdhsa_kernel _ZL20rocblas_gemvn_kernelILi64ELi16ElPKddKPdEviiT3_lPKT2_lT1_lS7_lS8_lS4_lPT4_lS8_li
		.amdhsa_group_segment_fixed_size 32768
		.amdhsa_private_segment_fixed_size 0
		.amdhsa_kernarg_size 400
		.amdhsa_user_sgpr_count 2
		.amdhsa_user_sgpr_dispatch_ptr 0
		.amdhsa_user_sgpr_queue_ptr 0
		.amdhsa_user_sgpr_kernarg_segment_ptr 1
		.amdhsa_user_sgpr_dispatch_id 0
		.amdhsa_user_sgpr_kernarg_preload_length 0
		.amdhsa_user_sgpr_kernarg_preload_offset 0
		.amdhsa_user_sgpr_private_segment_size 0
		.amdhsa_wavefront_size32 1
		.amdhsa_uses_dynamic_stack 0
		.amdhsa_enable_private_segment 0
		.amdhsa_system_sgpr_workgroup_id_x 1
		.amdhsa_system_sgpr_workgroup_id_y 0
		.amdhsa_system_sgpr_workgroup_id_z 1
		.amdhsa_system_sgpr_workgroup_info 0
		.amdhsa_system_vgpr_workitem_id 1
		.amdhsa_next_free_vgpr 92
		.amdhsa_next_free_sgpr 49
		.amdhsa_named_barrier_count 0
		.amdhsa_reserve_vcc 1
		.amdhsa_float_round_mode_32 0
		.amdhsa_float_round_mode_16_64 0
		.amdhsa_float_denorm_mode_32 3
		.amdhsa_float_denorm_mode_16_64 3
		.amdhsa_fp16_overflow 0
		.amdhsa_memory_ordered 1
		.amdhsa_forward_progress 1
		.amdhsa_inst_pref_size 23
		.amdhsa_round_robin_scheduling 0
		.amdhsa_exception_fp_ieee_invalid_op 0
		.amdhsa_exception_fp_denorm_src 0
		.amdhsa_exception_fp_ieee_div_zero 0
		.amdhsa_exception_fp_ieee_overflow 0
		.amdhsa_exception_fp_ieee_underflow 0
		.amdhsa_exception_fp_ieee_inexact 0
		.amdhsa_exception_int_div_zero 0
	.end_amdhsa_kernel
	.section	.text._ZL20rocblas_gemvn_kernelILi64ELi16ElPKddKPdEviiT3_lPKT2_lT1_lS7_lS8_lS4_lPT4_lS8_li,"axG",@progbits,_ZL20rocblas_gemvn_kernelILi64ELi16ElPKddKPdEviiT3_lPKT2_lT1_lS7_lS8_lS4_lPT4_lS8_li,comdat
.Lfunc_end257:
	.size	_ZL20rocblas_gemvn_kernelILi64ELi16ElPKddKPdEviiT3_lPKT2_lT1_lS7_lS8_lS4_lPT4_lS8_li, .Lfunc_end257-_ZL20rocblas_gemvn_kernelILi64ELi16ElPKddKPdEviiT3_lPKT2_lT1_lS7_lS8_lS4_lPT4_lS8_li
                                        ; -- End function
	.set _ZL20rocblas_gemvn_kernelILi64ELi16ElPKddKPdEviiT3_lPKT2_lT1_lS7_lS8_lS4_lPT4_lS8_li.num_vgpr, 92
	.set _ZL20rocblas_gemvn_kernelILi64ELi16ElPKddKPdEviiT3_lPKT2_lT1_lS7_lS8_lS4_lPT4_lS8_li.num_agpr, 0
	.set _ZL20rocblas_gemvn_kernelILi64ELi16ElPKddKPdEviiT3_lPKT2_lT1_lS7_lS8_lS4_lPT4_lS8_li.numbered_sgpr, 49
	.set _ZL20rocblas_gemvn_kernelILi64ELi16ElPKddKPdEviiT3_lPKT2_lT1_lS7_lS8_lS4_lPT4_lS8_li.num_named_barrier, 0
	.set _ZL20rocblas_gemvn_kernelILi64ELi16ElPKddKPdEviiT3_lPKT2_lT1_lS7_lS8_lS4_lPT4_lS8_li.private_seg_size, 0
	.set _ZL20rocblas_gemvn_kernelILi64ELi16ElPKddKPdEviiT3_lPKT2_lT1_lS7_lS8_lS4_lPT4_lS8_li.uses_vcc, 1
	.set _ZL20rocblas_gemvn_kernelILi64ELi16ElPKddKPdEviiT3_lPKT2_lT1_lS7_lS8_lS4_lPT4_lS8_li.uses_flat_scratch, 1
	.set _ZL20rocblas_gemvn_kernelILi64ELi16ElPKddKPdEviiT3_lPKT2_lT1_lS7_lS8_lS4_lPT4_lS8_li.has_dyn_sized_stack, 0
	.set _ZL20rocblas_gemvn_kernelILi64ELi16ElPKddKPdEviiT3_lPKT2_lT1_lS7_lS8_lS4_lPT4_lS8_li.has_recursion, 0
	.set _ZL20rocblas_gemvn_kernelILi64ELi16ElPKddKPdEviiT3_lPKT2_lT1_lS7_lS8_lS4_lPT4_lS8_li.has_indirect_call, 0
	.section	.AMDGPU.csdata,"",@progbits
; Kernel info:
; codeLenInByte = 2852
; TotalNumSgprs: 51
; NumVgprs: 92
; ScratchSize: 0
; MemoryBound: 1
; FloatMode: 240
; IeeeMode: 1
; LDSByteSize: 32768 bytes/workgroup (compile time only)
; SGPRBlocks: 0
; VGPRBlocks: 5
; NumSGPRsForWavesPerEU: 51
; NumVGPRsForWavesPerEU: 92
; NamedBarCnt: 0
; Occupancy: 10
; WaveLimiterHint : 1
; COMPUTE_PGM_RSRC2:SCRATCH_EN: 0
; COMPUTE_PGM_RSRC2:USER_SGPR: 2
; COMPUTE_PGM_RSRC2:TRAP_HANDLER: 0
; COMPUTE_PGM_RSRC2:TGID_X_EN: 1
; COMPUTE_PGM_RSRC2:TGID_Y_EN: 0
; COMPUTE_PGM_RSRC2:TGID_Z_EN: 1
; COMPUTE_PGM_RSRC2:TIDIG_COMP_CNT: 1
	.section	.text._ZL22rocblas_gemvtsm_kernelILb0ELi256EPKdS1_KPdEviiT2_lPKT1_lilS7_lilS4_lPT3_lil,"axG",@progbits,_ZL22rocblas_gemvtsm_kernelILb0ELi256EPKdS1_KPdEviiT2_lPKT1_lilS7_lilS4_lPT3_lil,comdat
	.globl	_ZL22rocblas_gemvtsm_kernelILb0ELi256EPKdS1_KPdEviiT2_lPKT1_lilS7_lilS4_lPT3_lil ; -- Begin function _ZL22rocblas_gemvtsm_kernelILb0ELi256EPKdS1_KPdEviiT2_lPKT1_lilS7_lilS4_lPT3_lil
	.p2align	8
	.type	_ZL22rocblas_gemvtsm_kernelILb0ELi256EPKdS1_KPdEviiT2_lPKT1_lilS7_lilS4_lPT3_lil,@function
_ZL22rocblas_gemvtsm_kernelILb0ELi256EPKdS1_KPdEviiT2_lPKT1_lilS7_lilS4_lPT3_lil: ; @_ZL22rocblas_gemvtsm_kernelILb0ELi256EPKdS1_KPdEviiT2_lPKT1_lilS7_lilS4_lPT3_lil
; %bb.0:
	s_clause 0x1
	s_load_b256 s[12:19], s[0:1], 0x8
	s_load_b256 s[4:11], s[0:1], 0x58
	s_bfe_u32 s2, ttmp6, 0x4000c
	s_and_b32 s3, ttmp6, 15
	s_add_co_i32 s2, s2, 1
	s_getreg_b32 s20, hwreg(HW_REG_IB_STS2, 6, 4)
	s_mul_i32 s2, ttmp9, s2
	s_delay_alu instid0(SALU_CYCLE_1)
	s_add_co_i32 s2, s3, s2
	s_cmp_eq_u32 s20, 0
	s_mov_b32 s3, 0
	s_cselect_b32 s2, ttmp9, s2
	s_wait_kmcnt 0x0
	s_mul_u64 s[14:15], s[14:15], s[2:3]
	s_mul_u64 s[6:7], s[6:7], s[2:3]
	s_lshl_b64 s[14:15], s[14:15], 3
	s_lshl_b64 s[6:7], s[6:7], 3
	s_add_nc_u64 s[12:13], s[12:13], s[14:15]
	s_add_nc_u64 s[6:7], s[4:5], s[6:7]
	s_load_b64 s[14:15], s[12:13], 0x0
	s_load_b64 s[4:5], s[6:7], 0x0
	s_wait_xcnt 0x0
	s_mov_b64 s[12:13], 0
	s_wait_kmcnt 0x0
	v_cmp_eq_f64_e64 s20, s[14:15], 0
	v_cmp_eq_f64_e64 s6, s[4:5], 1.0
	s_and_b32 s6, s20, s6
	s_delay_alu instid0(SALU_CYCLE_1)
	s_and_b32 vcc_lo, exec_lo, s6
	s_cbranch_vccnz .LBB258_39
; %bb.1:
	v_cmp_neq_f64_e64 s6, s[14:15], 0
	s_and_b32 vcc_lo, exec_lo, s20
	s_cbranch_vccnz .LBB258_3
; %bb.2:
	s_lshl_b64 s[12:13], s[2:3], 3
	s_delay_alu instid0(SALU_CYCLE_1)
	s_add_nc_u64 s[12:13], s[16:17], s[12:13]
	s_lshl_b64 s[16:17], s[18:19], 3
	s_load_b64 s[12:13], s[12:13], 0x0
	s_wait_kmcnt 0x0
	s_add_nc_u64 s[12:13], s[12:13], s[16:17]
.LBB258_3:
	s_and_not1_b32 vcc_lo, exec_lo, s6
	s_cbranch_vccnz .LBB258_5
; %bb.4:
	s_load_b128 s[16:19], s[0:1], 0x38
	s_lshl_b64 s[6:7], s[2:3], 3
	s_wait_kmcnt 0x0
	s_add_nc_u64 s[6:7], s[16:17], s[6:7]
	s_lshl_b64 s[16:17], s[18:19], 3
	s_load_b64 s[6:7], s[6:7], 0x0
	s_wait_kmcnt 0x0
	s_add_nc_u64 s[18:19], s[6:7], s[16:17]
	s_branch .LBB258_6
.LBB258_5:
	s_mov_b64 s[18:19], 0
.LBB258_6:
	s_lshl_b64 s[2:3], s[2:3], 3
	s_and_not1_b32 vcc_lo, exec_lo, s20
	s_add_nc_u64 s[2:3], s[8:9], s[2:3]
	s_clause 0x1
	s_load_b64 s[6:7], s[0:1], 0x0
	s_load_b32 s8, s[0:1], 0x78
	s_load_b64 s[16:17], s[2:3], 0x0
	s_wait_xcnt 0x0
	s_mov_b32 s2, -1
	s_cbranch_vccnz .LBB258_21
; %bb.7:
	v_cmp_neq_f64_e64 s2, s[4:5], 0
	s_wait_kmcnt 0x0
	s_cmp_gt_i32 s7, 0
	s_cselect_b32 s20, -1, 0
	s_delay_alu instid0(SALU_CYCLE_1) | instskip(SKIP_1) | instid1(VALU_DEP_1)
	v_cndmask_b32_e64 v1, 0, 1, s20
	s_and_b32 vcc_lo, exec_lo, s2
	v_cmp_ne_u32_e64 s2, 1, v1
	s_cbranch_vccnz .LBB258_14
; %bb.8:
	s_and_b32 vcc_lo, exec_lo, s2
	s_cbranch_vccnz .LBB258_13
; %bb.9:
	v_mov_b32_e32 v1, 0
	s_ashr_i32 s9, s8, 31
	s_lshl_b64 s[2:3], s[10:11], 3
	v_mov_b64_e32 v[2:3], 0
	s_add_nc_u64 s[2:3], s[16:17], s[2:3]
	v_mul_u64_e32 v[4:5], s[8:9], v[0:1]
	s_delay_alu instid0(VALU_DEP_1)
	v_lshl_add_u64 v[4:5], v[4:5], 3, s[2:3]
	s_lshl_b64 s[2:3], s[8:9], 11
	s_mov_b32 s9, 0
	s_branch .LBB258_11
.LBB258_10:                             ;   in Loop: Header=BB258_11 Depth=1
	s_wait_xcnt 0x0
	s_or_b32 exec_lo, exec_lo, s21
	v_add_nc_u64_e32 v[4:5], s[2:3], v[4:5]
	s_addk_co_i32 s9, 0x100
	s_delay_alu instid0(SALU_CYCLE_1)
	s_cmp_ge_i32 s9, s7
	s_cbranch_scc1 .LBB258_13
.LBB258_11:                             ; =>This Inner Loop Header: Depth=1
	v_add_nc_u32_e32 v1, s9, v0
	s_mov_b32 s21, exec_lo
	s_delay_alu instid0(VALU_DEP_1)
	v_cmpx_gt_i32_e64 s7, v1
	s_cbranch_execz .LBB258_10
; %bb.12:                               ;   in Loop: Header=BB258_11 Depth=1
	flat_store_b64 v[4:5], v[2:3]
	s_branch .LBB258_10
.LBB258_13:
	s_cbranch_execz .LBB258_15
	s_branch .LBB258_20
.LBB258_14:
.LBB258_15:
	s_and_not1_b32 vcc_lo, exec_lo, s20
	s_cbranch_vccnz .LBB258_20
; %bb.16:
	v_mov_b32_e32 v1, 0
	s_ashr_i32 s9, s8, 31
	s_lshl_b64 s[2:3], s[10:11], 3
	s_delay_alu instid0(SALU_CYCLE_1) | instskip(NEXT) | instid1(VALU_DEP_1)
	s_add_nc_u64 s[2:3], s[16:17], s[2:3]
	v_mul_u64_e32 v[2:3], s[8:9], v[0:1]
	s_delay_alu instid0(VALU_DEP_1)
	v_lshl_add_u64 v[2:3], v[2:3], 3, s[2:3]
	s_lshl_b64 s[2:3], s[8:9], 11
	s_mov_b32 s9, 0
	s_branch .LBB258_18
.LBB258_17:                             ;   in Loop: Header=BB258_18 Depth=1
	s_wait_xcnt 0x0
	s_or_b32 exec_lo, exec_lo, s20
	v_add_nc_u64_e32 v[2:3], s[2:3], v[2:3]
	s_addk_co_i32 s9, 0x100
	s_delay_alu instid0(SALU_CYCLE_1)
	s_cmp_ge_i32 s9, s7
	s_cbranch_scc1 .LBB258_20
.LBB258_18:                             ; =>This Inner Loop Header: Depth=1
	v_add_nc_u32_e32 v1, s9, v0
	s_mov_b32 s20, exec_lo
	s_delay_alu instid0(VALU_DEP_1)
	v_cmpx_gt_i32_e64 s7, v1
	s_cbranch_execz .LBB258_17
; %bb.19:                               ;   in Loop: Header=BB258_18 Depth=1
	flat_load_b64 v[4:5], v[2:3]
	s_wait_loadcnt_dscnt 0x0
	v_mul_f64_e32 v[4:5], s[4:5], v[4:5]
	flat_store_b64 v[2:3], v[4:5]
	s_branch .LBB258_17
.LBB258_20:
	s_mov_b32 s2, 0
.LBB258_21:
	s_delay_alu instid0(SALU_CYCLE_1)
	s_and_not1_b32 vcc_lo, exec_lo, s2
	s_cbranch_vccnz .LBB258_39
; %bb.22:
	s_mov_b32 s2, exec_lo
	s_wait_kmcnt 0x0
	v_cmpx_gt_i32_e64 s6, v0
	s_cbranch_execz .LBB258_24
; %bb.23:
	s_load_b32 s20, s[0:1], 0x48
	v_mov_b32_e32 v1, 0
	s_wait_kmcnt 0x0
	s_ashr_i32 s21, s20, 31
	s_delay_alu instid0(VALU_DEP_1) | instid1(SALU_CYCLE_1)
	v_mul_u64_e32 v[2:3], s[20:21], v[0:1]
	v_lshlrev_b32_e32 v1, 3, v0
	s_delay_alu instid0(VALU_DEP_2)
	v_lshl_add_u64 v[2:3], v[2:3], 3, s[18:19]
	flat_load_b64 v[2:3], v[2:3]
	s_wait_loadcnt_dscnt 0x0
	v_mul_f64_e32 v[2:3], s[14:15], v[2:3]
	ds_store_b64 v1, v[2:3]
.LBB258_24:
	s_or_b32 exec_lo, exec_lo, s2
	s_cmp_lt_i32 s7, 1
	s_wait_storecnt_dscnt 0x0
	s_barrier_signal -1
	s_barrier_wait -1
	s_cbranch_scc1 .LBB258_39
; %bb.25:
	s_load_b32 s18, s[0:1], 0x28
	v_mov_b32_e32 v3, 0
	v_cmp_neq_f64_e64 s14, s[4:5], 0
	s_wait_xcnt 0x0
	s_lshl_b64 s[0:1], s[10:11], 3
	s_ashr_i32 s9, s8, 31
	s_add_nc_u64 s[0:1], s[16:17], s[0:1]
	v_mov_b32_e32 v1, v3
	s_mov_b32 s3, 0
	s_mov_b32 s17, 0
	s_wait_kmcnt 0x0
	s_ashr_i32 s19, s18, 31
	s_cmp_gt_i32 s6, 0
	v_mul_u64_e32 v[4:5], s[18:19], v[0:1]
	s_cselect_b32 s15, -1, 0
	s_and_b32 s16, s6, 7
	s_cmp_gt_u32 s6, 7
	s_delay_alu instid0(VALU_DEP_1)
	v_lshl_add_u64 v[4:5], v[4:5], 3, s[12:13]
	s_cselect_b32 s12, -1, 0
	s_and_b32 s6, s6, 0x7ffffff8
	s_cmp_lg_u32 s16, 0
	s_cselect_b32 s13, -1, 0
	v_add_nc_u64_e32 v[6:7], 56, v[4:5]
	s_lshl_b64 s[10:11], s[18:19], 11
	s_branch .LBB258_28
.LBB258_26:                             ;   in Loop: Header=BB258_28 Depth=1
	flat_store_b64 v[8:9], v[10:11]
.LBB258_27:                             ;   in Loop: Header=BB258_28 Depth=1
	s_wait_xcnt 0x0
	s_or_b32 exec_lo, exec_lo, s18
	v_add_nc_u64_e32 v[6:7], s[10:11], v[6:7]
	v_add_nc_u64_e32 v[4:5], s[10:11], v[4:5]
	s_addk_co_i32 s17, 0x100
	s_delay_alu instid0(SALU_CYCLE_1)
	s_cmp_ge_i32 s17, s7
	s_cbranch_scc1 .LBB258_39
.LBB258_28:                             ; =>This Loop Header: Depth=1
                                        ;     Child Loop BB258_34 Depth 2
                                        ;     Child Loop BB258_38 Depth 2
	v_add_nc_u32_e32 v2, s17, v0
	s_mov_b32 s18, exec_lo
	s_delay_alu instid0(VALU_DEP_1)
	v_cmpx_gt_i32_e64 s7, v2
	s_cbranch_execz .LBB258_27
; %bb.29:                               ;   in Loop: Header=BB258_28 Depth=1
	v_mul_u64_e32 v[8:9], s[8:9], v[2:3]
	s_and_not1_b32 vcc_lo, exec_lo, s14
	s_delay_alu instid0(VALU_DEP_1)
	v_lshl_add_u64 v[8:9], v[8:9], 3, s[0:1]
	s_cbranch_vccnz .LBB258_31
; %bb.30:                               ;   in Loop: Header=BB258_28 Depth=1
	flat_load_b64 v[10:11], v[8:9]
	s_wait_loadcnt_dscnt 0x0
	v_mul_f64_e32 v[10:11], s[4:5], v[10:11]
	s_and_not1_b32 vcc_lo, exec_lo, s15
	s_cbranch_vccz .LBB258_32
	s_branch .LBB258_26
.LBB258_31:                             ;   in Loop: Header=BB258_28 Depth=1
	v_mov_b64_e32 v[10:11], 0
	s_and_not1_b32 vcc_lo, exec_lo, s15
	s_cbranch_vccnz .LBB258_26
.LBB258_32:                             ;   in Loop: Header=BB258_28 Depth=1
	s_and_not1_b32 vcc_lo, exec_lo, s12
	s_mov_b32 s2, 0
	s_cbranch_vccnz .LBB258_36
; %bb.33:                               ;   in Loop: Header=BB258_28 Depth=1
	v_mov_b64_e32 v[12:13], v[6:7]
	s_mov_b32 s19, 0
.LBB258_34:                             ;   Parent Loop BB258_28 Depth=1
                                        ; =>  This Inner Loop Header: Depth=2
	s_clause 0x3
	flat_load_b128 v[14:17], v[12:13] offset:-56
	flat_load_b128 v[18:21], v[12:13] offset:-40
	flat_load_b128 v[22:25], v[12:13] offset:-24
	flat_load_b128 v[26:29], v[12:13] offset:-8
	v_mov_b32_e32 v1, s2
	s_wait_xcnt 0x0
	v_add_nc_u64_e32 v[12:13], 64, v[12:13]
	s_add_co_i32 s19, s19, 8
	s_add_co_i32 s2, s2, 64
	ds_load_b128 v[30:33], v1
	ds_load_b128 v[34:37], v1 offset:16
	s_cmp_eq_u32 s6, s19
	s_wait_loadcnt_dscnt 0x301
	v_fmac_f64_e32 v[10:11], v[30:31], v[14:15]
	s_delay_alu instid0(VALU_DEP_1) | instskip(SKIP_1) | instid1(VALU_DEP_1)
	v_fmac_f64_e32 v[10:11], v[32:33], v[16:17]
	s_wait_loadcnt_dscnt 0x200
	v_fmac_f64_e32 v[10:11], v[34:35], v[18:19]
	s_delay_alu instid0(VALU_DEP_1) | instskip(SKIP_4) | instid1(VALU_DEP_1)
	v_fmac_f64_e32 v[10:11], v[36:37], v[20:21]
	ds_load_b128 v[14:17], v1 offset:32
	ds_load_b128 v[18:21], v1 offset:48
	s_wait_loadcnt_dscnt 0x101
	v_fmac_f64_e32 v[10:11], v[14:15], v[22:23]
	v_fmac_f64_e32 v[10:11], v[16:17], v[24:25]
	s_wait_loadcnt_dscnt 0x0
	s_delay_alu instid0(VALU_DEP_1) | instskip(NEXT) | instid1(VALU_DEP_1)
	v_fmac_f64_e32 v[10:11], v[18:19], v[26:27]
	v_fmac_f64_e32 v[10:11], v[20:21], v[28:29]
	s_cbranch_scc0 .LBB258_34
; %bb.35:                               ;   in Loop: Header=BB258_28 Depth=1
	s_mov_b32 s2, s6
.LBB258_36:                             ;   in Loop: Header=BB258_28 Depth=1
	s_and_not1_b32 vcc_lo, exec_lo, s13
	s_cbranch_vccnz .LBB258_26
; %bb.37:                               ;   in Loop: Header=BB258_28 Depth=1
	v_lshl_add_u64 v[12:13], s[2:3], 3, v[4:5]
	s_lshl_b32 s2, s2, 3
	s_mov_b32 s19, s16
.LBB258_38:                             ;   Parent Loop BB258_28 Depth=1
                                        ; =>  This Inner Loop Header: Depth=2
	flat_load_b64 v[14:15], v[12:13]
	v_mov_b32_e32 v1, s2
	s_wait_xcnt 0x0
	v_add_nc_u64_e32 v[12:13], 8, v[12:13]
	s_add_co_i32 s19, s19, -1
	s_add_co_i32 s2, s2, 8
	s_cmp_lg_u32 s19, 0
	ds_load_b64 v[16:17], v1
	s_wait_loadcnt_dscnt 0x0
	v_fmac_f64_e32 v[10:11], v[16:17], v[14:15]
	s_cbranch_scc1 .LBB258_38
	s_branch .LBB258_26
.LBB258_39:
	s_endpgm
	.section	.rodata,"a",@progbits
	.p2align	6, 0x0
	.amdhsa_kernel _ZL22rocblas_gemvtsm_kernelILb0ELi256EPKdS1_KPdEviiT2_lPKT1_lilS7_lilS4_lPT3_lil
		.amdhsa_group_segment_fixed_size 512
		.amdhsa_private_segment_fixed_size 0
		.amdhsa_kernarg_size 136
		.amdhsa_user_sgpr_count 2
		.amdhsa_user_sgpr_dispatch_ptr 0
		.amdhsa_user_sgpr_queue_ptr 0
		.amdhsa_user_sgpr_kernarg_segment_ptr 1
		.amdhsa_user_sgpr_dispatch_id 0
		.amdhsa_user_sgpr_kernarg_preload_length 0
		.amdhsa_user_sgpr_kernarg_preload_offset 0
		.amdhsa_user_sgpr_private_segment_size 0
		.amdhsa_wavefront_size32 1
		.amdhsa_uses_dynamic_stack 0
		.amdhsa_enable_private_segment 0
		.amdhsa_system_sgpr_workgroup_id_x 1
		.amdhsa_system_sgpr_workgroup_id_y 0
		.amdhsa_system_sgpr_workgroup_id_z 0
		.amdhsa_system_sgpr_workgroup_info 0
		.amdhsa_system_vgpr_workitem_id 0
		.amdhsa_next_free_vgpr 38
		.amdhsa_next_free_sgpr 22
		.amdhsa_named_barrier_count 0
		.amdhsa_reserve_vcc 1
		.amdhsa_float_round_mode_32 0
		.amdhsa_float_round_mode_16_64 0
		.amdhsa_float_denorm_mode_32 3
		.amdhsa_float_denorm_mode_16_64 3
		.amdhsa_fp16_overflow 0
		.amdhsa_memory_ordered 1
		.amdhsa_forward_progress 1
		.amdhsa_inst_pref_size 11
		.amdhsa_round_robin_scheduling 0
		.amdhsa_exception_fp_ieee_invalid_op 0
		.amdhsa_exception_fp_denorm_src 0
		.amdhsa_exception_fp_ieee_div_zero 0
		.amdhsa_exception_fp_ieee_overflow 0
		.amdhsa_exception_fp_ieee_underflow 0
		.amdhsa_exception_fp_ieee_inexact 0
		.amdhsa_exception_int_div_zero 0
	.end_amdhsa_kernel
	.section	.text._ZL22rocblas_gemvtsm_kernelILb0ELi256EPKdS1_KPdEviiT2_lPKT1_lilS7_lilS4_lPT3_lil,"axG",@progbits,_ZL22rocblas_gemvtsm_kernelILb0ELi256EPKdS1_KPdEviiT2_lPKT1_lilS7_lilS4_lPT3_lil,comdat
.Lfunc_end258:
	.size	_ZL22rocblas_gemvtsm_kernelILb0ELi256EPKdS1_KPdEviiT2_lPKT1_lilS7_lilS4_lPT3_lil, .Lfunc_end258-_ZL22rocblas_gemvtsm_kernelILb0ELi256EPKdS1_KPdEviiT2_lPKT1_lilS7_lilS4_lPT3_lil
                                        ; -- End function
	.set _ZL22rocblas_gemvtsm_kernelILb0ELi256EPKdS1_KPdEviiT2_lPKT1_lilS7_lilS4_lPT3_lil.num_vgpr, 38
	.set _ZL22rocblas_gemvtsm_kernelILb0ELi256EPKdS1_KPdEviiT2_lPKT1_lilS7_lilS4_lPT3_lil.num_agpr, 0
	.set _ZL22rocblas_gemvtsm_kernelILb0ELi256EPKdS1_KPdEviiT2_lPKT1_lilS7_lilS4_lPT3_lil.numbered_sgpr, 22
	.set _ZL22rocblas_gemvtsm_kernelILb0ELi256EPKdS1_KPdEviiT2_lPKT1_lilS7_lilS4_lPT3_lil.num_named_barrier, 0
	.set _ZL22rocblas_gemvtsm_kernelILb0ELi256EPKdS1_KPdEviiT2_lPKT1_lilS7_lilS4_lPT3_lil.private_seg_size, 0
	.set _ZL22rocblas_gemvtsm_kernelILb0ELi256EPKdS1_KPdEviiT2_lPKT1_lilS7_lilS4_lPT3_lil.uses_vcc, 1
	.set _ZL22rocblas_gemvtsm_kernelILb0ELi256EPKdS1_KPdEviiT2_lPKT1_lilS7_lilS4_lPT3_lil.uses_flat_scratch, 1
	.set _ZL22rocblas_gemvtsm_kernelILb0ELi256EPKdS1_KPdEviiT2_lPKT1_lilS7_lilS4_lPT3_lil.has_dyn_sized_stack, 0
	.set _ZL22rocblas_gemvtsm_kernelILb0ELi256EPKdS1_KPdEviiT2_lPKT1_lilS7_lilS4_lPT3_lil.has_recursion, 0
	.set _ZL22rocblas_gemvtsm_kernelILb0ELi256EPKdS1_KPdEviiT2_lPKT1_lilS7_lilS4_lPT3_lil.has_indirect_call, 0
	.section	.AMDGPU.csdata,"",@progbits
; Kernel info:
; codeLenInByte = 1304
; TotalNumSgprs: 24
; NumVgprs: 38
; ScratchSize: 0
; MemoryBound: 0
; FloatMode: 240
; IeeeMode: 1
; LDSByteSize: 512 bytes/workgroup (compile time only)
; SGPRBlocks: 0
; VGPRBlocks: 2
; NumSGPRsForWavesPerEU: 24
; NumVGPRsForWavesPerEU: 38
; NamedBarCnt: 0
; Occupancy: 16
; WaveLimiterHint : 1
; COMPUTE_PGM_RSRC2:SCRATCH_EN: 0
; COMPUTE_PGM_RSRC2:USER_SGPR: 2
; COMPUTE_PGM_RSRC2:TRAP_HANDLER: 0
; COMPUTE_PGM_RSRC2:TGID_X_EN: 1
; COMPUTE_PGM_RSRC2:TGID_Y_EN: 0
; COMPUTE_PGM_RSRC2:TGID_Z_EN: 0
; COMPUTE_PGM_RSRC2:TIDIG_COMP_CNT: 0
	.section	.text._ZL22rocblas_gemvtsm_kernelILb0ELi256EPKddKPdEviiT2_lPKT1_lilS7_lilS4_lPT3_lil,"axG",@progbits,_ZL22rocblas_gemvtsm_kernelILb0ELi256EPKddKPdEviiT2_lPKT1_lilS7_lilS4_lPT3_lil,comdat
	.globl	_ZL22rocblas_gemvtsm_kernelILb0ELi256EPKddKPdEviiT2_lPKT1_lilS7_lilS4_lPT3_lil ; -- Begin function _ZL22rocblas_gemvtsm_kernelILb0ELi256EPKddKPdEviiT2_lPKT1_lilS7_lilS4_lPT3_lil
	.p2align	8
	.type	_ZL22rocblas_gemvtsm_kernelILb0ELi256EPKddKPdEviiT2_lPKT1_lilS7_lilS4_lPT3_lil,@function
_ZL22rocblas_gemvtsm_kernelILb0ELi256EPKddKPdEviiT2_lPKT1_lilS7_lilS4_lPT3_lil: ; @_ZL22rocblas_gemvtsm_kernelILb0ELi256EPKddKPdEviiT2_lPKT1_lilS7_lilS4_lPT3_lil
; %bb.0:
	s_clause 0x1
	s_load_b64 s[12:13], s[0:1], 0x8
	s_load_b64 s[8:9], s[0:1], 0x58
	s_wait_kmcnt 0x0
	v_cmp_eq_f64_e64 s20, s[12:13], 0
	v_cmp_eq_f64_e64 s2, s[8:9], 1.0
	s_and_b32 s2, s20, s2
	s_delay_alu instid0(SALU_CYCLE_1)
	s_and_b32 vcc_lo, exec_lo, s2
	s_cbranch_vccnz .LBB259_40
; %bb.1:
	v_cmp_neq_f64_e64 s4, s[12:13], 0
	s_bfe_u32 s2, ttmp6, 0x4000c
	s_and_b32 s3, ttmp6, 15
	s_add_co_i32 s2, s2, 1
	s_getreg_b32 s5, hwreg(HW_REG_IB_STS2, 6, 4)
	s_mul_i32 s2, ttmp9, s2
	s_delay_alu instid0(SALU_CYCLE_1)
	s_add_co_i32 s3, s3, s2
	s_cmp_eq_u32 s5, 0
	s_cselect_b32 s2, ttmp9, s3
	s_mov_b32 s3, 0
	s_and_b32 vcc_lo, exec_lo, s4
	s_cbranch_vccnz .LBB259_3
; %bb.2:
	s_mov_b32 s5, s3
	s_mov_b64 s[18:19], 0
	s_and_not1_b32 vcc_lo, exec_lo, s5
	s_mov_b64 s[14:15], 0
	s_cbranch_vccz .LBB259_4
	s_branch .LBB259_5
.LBB259_3:
	s_mov_b64 s[18:19], 0
	s_mov_b64 s[14:15], 0
.LBB259_4:
	s_load_b128 s[24:27], s[0:1], 0x18
	s_lshl_b64 s[6:7], s[2:3], 3
	s_wait_kmcnt 0x0
	s_add_nc_u64 s[6:7], s[24:25], s[6:7]
	s_lshl_b64 s[10:11], s[26:27], 3
	s_load_b64 s[6:7], s[6:7], 0x0
	s_wait_kmcnt 0x0
	s_add_nc_u64 s[14:15], s[6:7], s[10:11]
.LBB259_5:
	s_and_not1_b32 vcc_lo, exec_lo, s4
	s_cbranch_vccnz .LBB259_7
; %bb.6:
	s_load_b128 s[4:7], s[0:1], 0x38
	s_lshl_b64 s[10:11], s[2:3], 3
	s_wait_kmcnt 0x0
	s_add_nc_u64 s[4:5], s[4:5], s[10:11]
	s_lshl_b64 s[6:7], s[6:7], 3
	s_load_b64 s[4:5], s[4:5], 0x0
	s_wait_kmcnt 0x0
	s_add_nc_u64 s[18:19], s[4:5], s[6:7]
.LBB259_7:
	s_clause 0x1
	s_load_b128 s[4:7], s[0:1], 0x68
	s_load_b64 s[10:11], s[0:1], 0x0
	s_lshl_b64 s[2:3], s[2:3], 3
	s_and_not1_b32 vcc_lo, exec_lo, s20
	s_wait_kmcnt 0x0
	s_add_nc_u64 s[2:3], s[4:5], s[2:3]
	s_load_b32 s4, s[0:1], 0x78
	s_load_b64 s[16:17], s[2:3], 0x0
	s_wait_xcnt 0x0
	s_mov_b32 s2, -1
	s_cbranch_vccnz .LBB259_22
; %bb.8:
	v_cmp_neq_f64_e64 s2, s[8:9], 0
	s_cmp_gt_i32 s11, 0
	s_cselect_b32 s20, -1, 0
	s_delay_alu instid0(SALU_CYCLE_1) | instskip(SKIP_1) | instid1(VALU_DEP_1)
	v_cndmask_b32_e64 v1, 0, 1, s20
	s_and_b32 vcc_lo, exec_lo, s2
	v_cmp_ne_u32_e64 s2, 1, v1
	s_cbranch_vccnz .LBB259_15
; %bb.9:
	s_and_b32 vcc_lo, exec_lo, s2
	s_cbranch_vccnz .LBB259_14
; %bb.10:
	v_mov_b32_e32 v1, 0
	s_wait_kmcnt 0x0
	s_ashr_i32 s5, s4, 31
	s_lshl_b64 s[2:3], s[6:7], 3
	v_mov_b64_e32 v[2:3], 0
	s_add_nc_u64 s[2:3], s[16:17], s[2:3]
	v_mul_u64_e32 v[4:5], s[4:5], v[0:1]
	s_delay_alu instid0(VALU_DEP_1)
	v_lshl_add_u64 v[4:5], v[4:5], 3, s[2:3]
	s_lshl_b64 s[2:3], s[4:5], 11
	s_mov_b32 s5, 0
	s_branch .LBB259_12
.LBB259_11:                             ;   in Loop: Header=BB259_12 Depth=1
	s_wait_xcnt 0x0
	s_or_b32 exec_lo, exec_lo, s21
	v_add_nc_u64_e32 v[4:5], s[2:3], v[4:5]
	s_addk_co_i32 s5, 0x100
	s_delay_alu instid0(SALU_CYCLE_1)
	s_cmp_ge_i32 s5, s11
	s_cbranch_scc1 .LBB259_14
.LBB259_12:                             ; =>This Inner Loop Header: Depth=1
	v_add_nc_u32_e32 v1, s5, v0
	s_mov_b32 s21, exec_lo
	s_delay_alu instid0(VALU_DEP_1)
	v_cmpx_gt_i32_e64 s11, v1
	s_cbranch_execz .LBB259_11
; %bb.13:                               ;   in Loop: Header=BB259_12 Depth=1
	flat_store_b64 v[4:5], v[2:3]
	s_branch .LBB259_11
.LBB259_14:
	s_cbranch_execz .LBB259_16
	s_branch .LBB259_21
.LBB259_15:
.LBB259_16:
	s_and_not1_b32 vcc_lo, exec_lo, s20
	s_cbranch_vccnz .LBB259_21
; %bb.17:
	v_mov_b32_e32 v1, 0
	s_wait_kmcnt 0x0
	s_ashr_i32 s5, s4, 31
	s_lshl_b64 s[2:3], s[6:7], 3
	s_delay_alu instid0(SALU_CYCLE_1) | instskip(SKIP_1) | instid1(VALU_DEP_1)
	s_add_nc_u64 s[2:3], s[16:17], s[2:3]
	v_mul_u64_e32 v[2:3], s[4:5], v[0:1]
	v_lshl_add_u64 v[2:3], v[2:3], 3, s[2:3]
	s_lshl_b64 s[2:3], s[4:5], 11
	s_mov_b32 s5, 0
	s_branch .LBB259_19
.LBB259_18:                             ;   in Loop: Header=BB259_19 Depth=1
	s_wait_xcnt 0x0
	s_or_b32 exec_lo, exec_lo, s20
	v_add_nc_u64_e32 v[2:3], s[2:3], v[2:3]
	s_addk_co_i32 s5, 0x100
	s_delay_alu instid0(SALU_CYCLE_1)
	s_cmp_ge_i32 s5, s11
	s_cbranch_scc1 .LBB259_21
.LBB259_19:                             ; =>This Inner Loop Header: Depth=1
	v_add_nc_u32_e32 v1, s5, v0
	s_mov_b32 s20, exec_lo
	s_delay_alu instid0(VALU_DEP_1)
	v_cmpx_gt_i32_e64 s11, v1
	s_cbranch_execz .LBB259_18
; %bb.20:                               ;   in Loop: Header=BB259_19 Depth=1
	flat_load_b64 v[4:5], v[2:3]
	s_wait_loadcnt_dscnt 0x0
	v_mul_f64_e32 v[4:5], s[8:9], v[4:5]
	flat_store_b64 v[2:3], v[4:5]
	s_branch .LBB259_18
.LBB259_21:
	s_mov_b32 s2, 0
.LBB259_22:
	s_delay_alu instid0(SALU_CYCLE_1)
	s_and_not1_b32 vcc_lo, exec_lo, s2
	s_cbranch_vccnz .LBB259_40
; %bb.23:
	s_mov_b32 s2, exec_lo
	v_cmpx_gt_i32_e64 s10, v0
	s_cbranch_execz .LBB259_25
; %bb.24:
	s_load_b32 s20, s[0:1], 0x48
	v_mov_b32_e32 v1, 0
	s_wait_kmcnt 0x0
	s_ashr_i32 s21, s20, 31
	s_delay_alu instid0(VALU_DEP_1) | instid1(SALU_CYCLE_1)
	v_mul_u64_e32 v[2:3], s[20:21], v[0:1]
	v_lshlrev_b32_e32 v1, 3, v0
	s_delay_alu instid0(VALU_DEP_2)
	v_lshl_add_u64 v[2:3], v[2:3], 3, s[18:19]
	flat_load_b64 v[2:3], v[2:3]
	s_wait_loadcnt_dscnt 0x0
	v_mul_f64_e32 v[2:3], s[12:13], v[2:3]
	ds_store_b64 v1, v[2:3]
.LBB259_25:
	s_or_b32 exec_lo, exec_lo, s2
	s_cmp_lt_i32 s11, 1
	s_wait_storecnt_dscnt 0x0
	s_barrier_signal -1
	s_barrier_wait -1
	s_cbranch_scc1 .LBB259_40
; %bb.26:
	s_load_b32 s18, s[0:1], 0x28
	v_mov_b32_e32 v3, 0
	v_cmp_neq_f64_e64 s12, s[8:9], 0
	s_wait_xcnt 0x0
	s_lshl_b64 s[0:1], s[6:7], 3
	s_wait_kmcnt 0x0
	s_ashr_i32 s5, s4, 31
	s_add_nc_u64 s[0:1], s[16:17], s[0:1]
	v_mov_b32_e32 v1, v3
	s_mov_b32 s3, 0
	s_mov_b32 s17, 0
	s_ashr_i32 s19, s18, 31
	s_cmp_gt_i32 s10, 0
	v_mul_u64_e32 v[4:5], s[18:19], v[0:1]
	s_cselect_b32 s13, -1, 0
	s_and_b32 s16, s10, 7
	s_cmp_gt_u32 s10, 7
	s_delay_alu instid0(VALU_DEP_1)
	v_lshl_add_u64 v[4:5], v[4:5], 3, s[14:15]
	s_cselect_b32 s14, -1, 0
	s_and_b32 s10, s10, 0x7ffffff8
	s_cmp_lg_u32 s16, 0
	s_cselect_b32 s15, -1, 0
	v_add_nc_u64_e32 v[6:7], 56, v[4:5]
	s_lshl_b64 s[6:7], s[18:19], 11
	s_branch .LBB259_29
.LBB259_27:                             ;   in Loop: Header=BB259_29 Depth=1
	flat_store_b64 v[8:9], v[10:11]
.LBB259_28:                             ;   in Loop: Header=BB259_29 Depth=1
	s_wait_xcnt 0x0
	s_or_b32 exec_lo, exec_lo, s18
	v_add_nc_u64_e32 v[6:7], s[6:7], v[6:7]
	v_add_nc_u64_e32 v[4:5], s[6:7], v[4:5]
	s_addk_co_i32 s17, 0x100
	s_delay_alu instid0(SALU_CYCLE_1)
	s_cmp_ge_i32 s17, s11
	s_cbranch_scc1 .LBB259_40
.LBB259_29:                             ; =>This Loop Header: Depth=1
                                        ;     Child Loop BB259_35 Depth 2
                                        ;     Child Loop BB259_39 Depth 2
	v_add_nc_u32_e32 v2, s17, v0
	s_mov_b32 s18, exec_lo
	s_delay_alu instid0(VALU_DEP_1)
	v_cmpx_gt_i32_e64 s11, v2
	s_cbranch_execz .LBB259_28
; %bb.30:                               ;   in Loop: Header=BB259_29 Depth=1
	v_mul_u64_e32 v[8:9], s[4:5], v[2:3]
	s_and_not1_b32 vcc_lo, exec_lo, s12
	s_delay_alu instid0(VALU_DEP_1)
	v_lshl_add_u64 v[8:9], v[8:9], 3, s[0:1]
	s_cbranch_vccnz .LBB259_32
; %bb.31:                               ;   in Loop: Header=BB259_29 Depth=1
	flat_load_b64 v[10:11], v[8:9]
	s_wait_loadcnt_dscnt 0x0
	v_mul_f64_e32 v[10:11], s[8:9], v[10:11]
	s_and_not1_b32 vcc_lo, exec_lo, s13
	s_cbranch_vccz .LBB259_33
	s_branch .LBB259_27
.LBB259_32:                             ;   in Loop: Header=BB259_29 Depth=1
	v_mov_b64_e32 v[10:11], 0
	s_and_not1_b32 vcc_lo, exec_lo, s13
	s_cbranch_vccnz .LBB259_27
.LBB259_33:                             ;   in Loop: Header=BB259_29 Depth=1
	s_and_not1_b32 vcc_lo, exec_lo, s14
	s_mov_b32 s2, 0
	s_cbranch_vccnz .LBB259_37
; %bb.34:                               ;   in Loop: Header=BB259_29 Depth=1
	v_mov_b64_e32 v[12:13], v[6:7]
	s_mov_b32 s19, 0
.LBB259_35:                             ;   Parent Loop BB259_29 Depth=1
                                        ; =>  This Inner Loop Header: Depth=2
	s_clause 0x3
	flat_load_b128 v[14:17], v[12:13] offset:-56
	flat_load_b128 v[18:21], v[12:13] offset:-40
	;; [unrolled: 1-line block ×4, first 2 shown]
	v_mov_b32_e32 v1, s2
	s_wait_xcnt 0x0
	v_add_nc_u64_e32 v[12:13], 64, v[12:13]
	s_add_co_i32 s19, s19, 8
	s_add_co_i32 s2, s2, 64
	ds_load_b128 v[30:33], v1
	ds_load_b128 v[34:37], v1 offset:16
	s_cmp_eq_u32 s10, s19
	s_wait_loadcnt_dscnt 0x301
	v_fmac_f64_e32 v[10:11], v[30:31], v[14:15]
	s_delay_alu instid0(VALU_DEP_1) | instskip(SKIP_1) | instid1(VALU_DEP_1)
	v_fmac_f64_e32 v[10:11], v[32:33], v[16:17]
	s_wait_loadcnt_dscnt 0x200
	v_fmac_f64_e32 v[10:11], v[34:35], v[18:19]
	s_delay_alu instid0(VALU_DEP_1) | instskip(SKIP_4) | instid1(VALU_DEP_1)
	v_fmac_f64_e32 v[10:11], v[36:37], v[20:21]
	ds_load_b128 v[14:17], v1 offset:32
	ds_load_b128 v[18:21], v1 offset:48
	s_wait_loadcnt_dscnt 0x101
	v_fmac_f64_e32 v[10:11], v[14:15], v[22:23]
	v_fmac_f64_e32 v[10:11], v[16:17], v[24:25]
	s_wait_loadcnt_dscnt 0x0
	s_delay_alu instid0(VALU_DEP_1) | instskip(NEXT) | instid1(VALU_DEP_1)
	v_fmac_f64_e32 v[10:11], v[18:19], v[26:27]
	v_fmac_f64_e32 v[10:11], v[20:21], v[28:29]
	s_cbranch_scc0 .LBB259_35
; %bb.36:                               ;   in Loop: Header=BB259_29 Depth=1
	s_mov_b32 s2, s10
.LBB259_37:                             ;   in Loop: Header=BB259_29 Depth=1
	s_and_not1_b32 vcc_lo, exec_lo, s15
	s_cbranch_vccnz .LBB259_27
; %bb.38:                               ;   in Loop: Header=BB259_29 Depth=1
	v_lshl_add_u64 v[12:13], s[2:3], 3, v[4:5]
	s_lshl_b32 s2, s2, 3
	s_mov_b32 s19, s16
.LBB259_39:                             ;   Parent Loop BB259_29 Depth=1
                                        ; =>  This Inner Loop Header: Depth=2
	flat_load_b64 v[14:15], v[12:13]
	v_mov_b32_e32 v1, s2
	s_wait_xcnt 0x0
	v_add_nc_u64_e32 v[12:13], 8, v[12:13]
	s_add_co_i32 s19, s19, -1
	s_add_co_i32 s2, s2, 8
	s_cmp_lg_u32 s19, 0
	ds_load_b64 v[16:17], v1
	s_wait_loadcnt_dscnt 0x0
	v_fmac_f64_e32 v[10:11], v[16:17], v[14:15]
	s_cbranch_scc1 .LBB259_39
	s_branch .LBB259_27
.LBB259_40:
	s_endpgm
	.section	.rodata,"a",@progbits
	.p2align	6, 0x0
	.amdhsa_kernel _ZL22rocblas_gemvtsm_kernelILb0ELi256EPKddKPdEviiT2_lPKT1_lilS7_lilS4_lPT3_lil
		.amdhsa_group_segment_fixed_size 512
		.amdhsa_private_segment_fixed_size 0
		.amdhsa_kernarg_size 136
		.amdhsa_user_sgpr_count 2
		.amdhsa_user_sgpr_dispatch_ptr 0
		.amdhsa_user_sgpr_queue_ptr 0
		.amdhsa_user_sgpr_kernarg_segment_ptr 1
		.amdhsa_user_sgpr_dispatch_id 0
		.amdhsa_user_sgpr_kernarg_preload_length 0
		.amdhsa_user_sgpr_kernarg_preload_offset 0
		.amdhsa_user_sgpr_private_segment_size 0
		.amdhsa_wavefront_size32 1
		.amdhsa_uses_dynamic_stack 0
		.amdhsa_enable_private_segment 0
		.amdhsa_system_sgpr_workgroup_id_x 1
		.amdhsa_system_sgpr_workgroup_id_y 0
		.amdhsa_system_sgpr_workgroup_id_z 0
		.amdhsa_system_sgpr_workgroup_info 0
		.amdhsa_system_vgpr_workitem_id 0
		.amdhsa_next_free_vgpr 38
		.amdhsa_next_free_sgpr 28
		.amdhsa_named_barrier_count 0
		.amdhsa_reserve_vcc 1
		.amdhsa_float_round_mode_32 0
		.amdhsa_float_round_mode_16_64 0
		.amdhsa_float_denorm_mode_32 3
		.amdhsa_float_denorm_mode_16_64 3
		.amdhsa_fp16_overflow 0
		.amdhsa_memory_ordered 1
		.amdhsa_forward_progress 1
		.amdhsa_inst_pref_size 11
		.amdhsa_round_robin_scheduling 0
		.amdhsa_exception_fp_ieee_invalid_op 0
		.amdhsa_exception_fp_denorm_src 0
		.amdhsa_exception_fp_ieee_div_zero 0
		.amdhsa_exception_fp_ieee_overflow 0
		.amdhsa_exception_fp_ieee_underflow 0
		.amdhsa_exception_fp_ieee_inexact 0
		.amdhsa_exception_int_div_zero 0
	.end_amdhsa_kernel
	.section	.text._ZL22rocblas_gemvtsm_kernelILb0ELi256EPKddKPdEviiT2_lPKT1_lilS7_lilS4_lPT3_lil,"axG",@progbits,_ZL22rocblas_gemvtsm_kernelILb0ELi256EPKddKPdEviiT2_lPKT1_lilS7_lilS4_lPT3_lil,comdat
.Lfunc_end259:
	.size	_ZL22rocblas_gemvtsm_kernelILb0ELi256EPKddKPdEviiT2_lPKT1_lilS7_lilS4_lPT3_lil, .Lfunc_end259-_ZL22rocblas_gemvtsm_kernelILb0ELi256EPKddKPdEviiT2_lPKT1_lilS7_lilS4_lPT3_lil
                                        ; -- End function
	.set _ZL22rocblas_gemvtsm_kernelILb0ELi256EPKddKPdEviiT2_lPKT1_lilS7_lilS4_lPT3_lil.num_vgpr, 38
	.set _ZL22rocblas_gemvtsm_kernelILb0ELi256EPKddKPdEviiT2_lPKT1_lilS7_lilS4_lPT3_lil.num_agpr, 0
	.set _ZL22rocblas_gemvtsm_kernelILb0ELi256EPKddKPdEviiT2_lPKT1_lilS7_lilS4_lPT3_lil.numbered_sgpr, 28
	.set _ZL22rocblas_gemvtsm_kernelILb0ELi256EPKddKPdEviiT2_lPKT1_lilS7_lilS4_lPT3_lil.num_named_barrier, 0
	.set _ZL22rocblas_gemvtsm_kernelILb0ELi256EPKddKPdEviiT2_lPKT1_lilS7_lilS4_lPT3_lil.private_seg_size, 0
	.set _ZL22rocblas_gemvtsm_kernelILb0ELi256EPKddKPdEviiT2_lPKT1_lilS7_lilS4_lPT3_lil.uses_vcc, 1
	.set _ZL22rocblas_gemvtsm_kernelILb0ELi256EPKddKPdEviiT2_lPKT1_lilS7_lilS4_lPT3_lil.uses_flat_scratch, 1
	.set _ZL22rocblas_gemvtsm_kernelILb0ELi256EPKddKPdEviiT2_lPKT1_lilS7_lilS4_lPT3_lil.has_dyn_sized_stack, 0
	.set _ZL22rocblas_gemvtsm_kernelILb0ELi256EPKddKPdEviiT2_lPKT1_lilS7_lilS4_lPT3_lil.has_recursion, 0
	.set _ZL22rocblas_gemvtsm_kernelILb0ELi256EPKddKPdEviiT2_lPKT1_lilS7_lilS4_lPT3_lil.has_indirect_call, 0
	.section	.AMDGPU.csdata,"",@progbits
; Kernel info:
; codeLenInByte = 1292
; TotalNumSgprs: 30
; NumVgprs: 38
; ScratchSize: 0
; MemoryBound: 0
; FloatMode: 240
; IeeeMode: 1
; LDSByteSize: 512 bytes/workgroup (compile time only)
; SGPRBlocks: 0
; VGPRBlocks: 2
; NumSGPRsForWavesPerEU: 30
; NumVGPRsForWavesPerEU: 38
; NamedBarCnt: 0
; Occupancy: 16
; WaveLimiterHint : 1
; COMPUTE_PGM_RSRC2:SCRATCH_EN: 0
; COMPUTE_PGM_RSRC2:USER_SGPR: 2
; COMPUTE_PGM_RSRC2:TRAP_HANDLER: 0
; COMPUTE_PGM_RSRC2:TGID_X_EN: 1
; COMPUTE_PGM_RSRC2:TGID_Y_EN: 0
; COMPUTE_PGM_RSRC2:TGID_Z_EN: 0
; COMPUTE_PGM_RSRC2:TIDIG_COMP_CNT: 0
	.section	.text._ZL23rocblas_gemvt_sn_kernelILb0ELi256ELi4EiPKdS1_dEviiT4_lPKT3_lilS5_lilPT5_i,"axG",@progbits,_ZL23rocblas_gemvt_sn_kernelILb0ELi256ELi4EiPKdS1_dEviiT4_lPKT3_lilS5_lilPT5_i,comdat
	.globl	_ZL23rocblas_gemvt_sn_kernelILb0ELi256ELi4EiPKdS1_dEviiT4_lPKT3_lilS5_lilPT5_i ; -- Begin function _ZL23rocblas_gemvt_sn_kernelILb0ELi256ELi4EiPKdS1_dEviiT4_lPKT3_lilS5_lilPT5_i
	.p2align	8
	.type	_ZL23rocblas_gemvt_sn_kernelILb0ELi256ELi4EiPKdS1_dEviiT4_lPKT3_lilS5_lilPT5_i,@function
_ZL23rocblas_gemvt_sn_kernelILb0ELi256ELi4EiPKdS1_dEviiT4_lPKT3_lilS5_lilPT5_i: ; @_ZL23rocblas_gemvt_sn_kernelILb0ELi256ELi4EiPKdS1_dEviiT4_lPKT3_lilS5_lilPT5_i
; %bb.0:
	s_load_b32 s33, s[0:1], 0x60
	s_bfe_u32 s2, ttmp6, 0x40014
	s_lshr_b32 s3, ttmp7, 16
	s_add_co_i32 s2, s2, 1
	s_bfe_u32 s5, ttmp6, 0x40008
	s_mul_i32 s2, s3, s2
	s_getreg_b32 s4, hwreg(HW_REG_IB_STS2, 6, 4)
	s_add_co_i32 s5, s5, s2
	s_cmp_eq_u32 s4, 0
	s_mov_b32 s25, 0
	s_cselect_b32 s10, s3, s5
	s_wait_kmcnt 0x0
	s_cmp_ge_u32 s10, s33
	s_cbranch_scc1 .LBB260_65
; %bb.1:
	s_clause 0x6
	s_load_b64 s[26:27], s[0:1], 0x0
	s_load_b256 s[12:19], s[0:1], 0x8
	s_load_b32 s28, s[0:1], 0x28
	s_load_b128 s[20:23], s[0:1], 0x38
	s_load_b32 s66, s[0:1], 0x48
	s_load_b64 s[30:31], s[0:1], 0x58
	s_load_b32 s34, s[0:1], 0x68
	s_wait_xcnt 0x0
	v_cmp_eq_u32_e64 s0, 0, v0
	v_dual_lshrrev_b32 v2, 2, v0 :: v_dual_bitop2_b32 v1, 31, v0 bitop3:0x40
	v_cmp_gt_u32_e64 s1, 32, v0
	v_cmp_gt_u32_e64 s2, 8, v0
	v_mbcnt_lo_u32_b32 v52, -1, 0
	s_delay_alu instid0(VALU_DEP_4)
	v_cmp_eq_u32_e64 s3, 0, v1
	v_dual_lshlrev_b32 v53, 3, v1 :: v_dual_bitop2_b32 v54, 56, v2 bitop3:0x40
	v_mov_b64_e32 v[34:35], 0
	s_mov_b32 s35, s25
	s_mov_b32 s37, s25
	v_lshl_or_b32 v55, v52, 2, 64
	s_wait_kmcnt 0x0
	s_ashr_i32 s7, s27, 31
	s_cmp_gt_i32 s27, 0
	s_mov_b32 s6, s27
	s_cselect_b32 s5, -1, 0
	s_bfe_u32 s8, ttmp6, 0x4000c
	s_and_b32 s9, ttmp6, 15
	s_add_co_i32 s8, s8, 1
	s_and_b32 s67, s0, s5
	s_mul_i32 s8, ttmp9, s8
	s_mul_u64 s[40:41], s[6:7], s[34:35]
	s_add_co_i32 s9, s9, s8
	s_cmp_eq_u32 s4, 0
	s_mov_b32 s29, s25
	s_cselect_b32 s36, ttmp9, s9
	s_ashr_i32 s4, s26, 31
	s_lshl_b32 s5, s36, 10
	s_lshr_b32 s4, s4, 30
	v_lshl_or_b32 v24, v0, 2, s5
	s_add_co_i32 s4, s26, s4
	s_lshr_b32 s5, s7, 30
	s_and_b32 s4, s4, -4
	s_add_co_i32 s5, s27, s5
	v_mul_lo_u32 v26, s66, v24
	s_sub_co_i32 s69, s26, s4
	s_and_b32 s68, s5, -4
	v_dual_add_nc_u32 v1, s69, v24 :: v_dual_ashrrev_i32 v25, 31, v24
	v_add_nc_u32_e32 v0, 4, v24
	s_cmp_gt_i32 s68, 0
	s_mov_b32 s39, s25
	s_cselect_b32 s70, -1, 0
	s_cmp_gt_i32 s69, 0
	v_cmp_ge_i32_e64 s4, s26, v0
	s_delay_alu instid0(VALU_DEP_4) | instskip(SKIP_3) | instid1(VALU_DEP_2)
	v_add_nc_u32_e32 v28, s66, v26
	s_cselect_b32 s71, -1, 0
	s_lshl_b32 s24, s28, 1
	v_cmp_ge_i32_e64 s5, s26, v1
	v_dual_ashrrev_i32 v27, 31, v26 :: v_dual_add_nc_u32 v30, s66, v28
	v_mov_b32_e32 v0, 0
	s_lshl_b64 s[42:43], s[36:37], 3
	s_mov_b64 s[50:51], s[24:25]
	s_delay_alu instid0(VALU_DEP_2)
	v_dual_ashrrev_i32 v29, 31, v28 :: v_dual_add_nc_u32 v32, s66, v30
	v_ashrrev_i32_e32 v31, 31, v30
	s_mul_i32 s24, s28, 3
	s_lshl_b64 s[44:45], s[40:41], 3
	s_lshl_b64 s[46:47], s[34:35], 3
	v_ashrrev_i32_e32 v33, 31, v32
	s_lshl_b32 s38, s28, 2
	s_add_nc_u64 s[48:49], s[30:31], s[42:43]
	s_mov_b64 s[52:53], s[24:25]
	s_lshl_b64 s[18:19], s[18:19], 3
	s_lshl_b64 s[22:23], s[22:23], 3
	s_branch .LBB260_3
.LBB260_2:                              ;   in Loop: Header=BB260_3 Depth=1
	s_add_co_i32 s10, s10, 0x10000
	s_delay_alu instid0(SALU_CYCLE_1)
	s_cmp_lt_u32 s10, s33
	s_cbranch_scc0 .LBB260_65
.LBB260_3:                              ; =>This Loop Header: Depth=1
                                        ;     Child Loop BB260_11 Depth 2
                                        ;     Child Loop BB260_16 Depth 2
                                        ;       Child Loop BB260_22 Depth 3
                                        ;       Child Loop BB260_25 Depth 3
	;; [unrolled: 1-line block ×3, first 2 shown]
                                        ;     Child Loop BB260_44 Depth 2
                                        ;       Child Loop BB260_57 Depth 3
                                        ;       Child Loop BB260_60 Depth 3
	s_mov_b32 s11, s25
	s_wait_dscnt 0x0
	v_mov_b64_e32 v[2:3], 0
	s_mul_u64 s[6:7], s[14:15], s[10:11]
	s_delay_alu instid0(SALU_CYCLE_1) | instskip(NEXT) | instid1(SALU_CYCLE_1)
	s_lshl_b64 s[6:7], s[6:7], 3
	s_add_nc_u64 s[6:7], s[12:13], s[6:7]
	global_load_b64 v[36:37], v0, s[6:7]
	s_wait_loadcnt 0x0
	s_wait_xcnt 0x0
	v_cmp_eq_f64_e64 s6, 0, v[36:37]
	v_cmp_neq_f64_e64 s7, 0, v[36:37]
	s_and_b32 vcc_lo, exec_lo, s6
	s_cbranch_vccnz .LBB260_5
; %bb.4:                                ;   in Loop: Header=BB260_3 Depth=1
	s_lshl_b64 s[8:9], s[10:11], 3
	s_delay_alu instid0(SALU_CYCLE_1)
	s_add_nc_u64 s[8:9], s[16:17], s[8:9]
	global_load_b64 v[2:3], v0, s[8:9]
	s_wait_loadcnt 0x0
	v_add_nc_u64_e32 v[2:3], s[18:19], v[2:3]
.LBB260_5:                              ;   in Loop: Header=BB260_3 Depth=1
	s_and_not1_b32 vcc_lo, exec_lo, s7
	s_cbranch_vccnz .LBB260_8
; %bb.6:                                ;   in Loop: Header=BB260_3 Depth=1
	s_wait_xcnt 0x0
	s_lshl_b64 s[8:9], s[10:11], 3
	s_delay_alu instid0(SALU_CYCLE_1)
	s_add_nc_u64 s[8:9], s[20:21], s[8:9]
	global_load_b64 v[4:5], v0, s[8:9]
	s_wait_loadcnt 0x0
	v_add_nc_u64_e32 v[38:39], s[22:23], v[4:5]
	s_and_not1_b32 vcc_lo, exec_lo, s6
	s_mov_b32 s6, -1
	s_cbranch_vccz .LBB260_9
.LBB260_7:                              ;   in Loop: Header=BB260_3 Depth=1
	s_and_not1_b32 vcc_lo, exec_lo, s6
	s_cbranch_vccnz .LBB260_2
	s_branch .LBB260_13
.LBB260_8:                              ;   in Loop: Header=BB260_3 Depth=1
	v_mov_b64_e32 v[38:39], 0
	s_and_not1_b32 vcc_lo, exec_lo, s6
	s_mov_b32 s6, -1
	s_cbranch_vccnz .LBB260_7
.LBB260_9:                              ;   in Loop: Header=BB260_3 Depth=1
	s_wait_xcnt 0x0
	s_and_saveexec_b32 s8, s67
	s_cbranch_execz .LBB260_12
; %bb.10:                               ;   in Loop: Header=BB260_3 Depth=1
	s_mul_u64 s[6:7], s[44:45], s[10:11]
	s_mov_b32 s9, s27
	s_add_nc_u64 s[6:7], s[48:49], s[6:7]
.LBB260_11:                             ;   Parent Loop BB260_3 Depth=1
                                        ; =>  This Inner Loop Header: Depth=2
	s_add_co_i32 s9, s9, -1
	global_store_b64 v0, v[34:35], s[6:7]
	s_cmp_eq_u32 s9, 0
	s_wait_xcnt 0x0
	s_add_nc_u64 s[6:7], s[6:7], s[46:47]
	s_cbranch_scc0 .LBB260_11
.LBB260_12:                             ;   in Loop: Header=BB260_3 Depth=1
	s_or_b32 exec_lo, exec_lo, s8
	s_cbranch_execnz .LBB260_2
.LBB260_13:                             ;   in Loop: Header=BB260_3 Depth=1
	v_lshlrev_b64_e32 v[4:5], 3, v[24:25]
	s_mul_u64 s[54:55], s[40:41], s[10:11]
	v_lshl_add_u64 v[40:41], v[24:25], 3, v[2:3]
	v_lshl_add_u64 v[42:43], v[26:27], 3, v[38:39]
	;; [unrolled: 1-line block ×5, first 2 shown]
	v_add_nc_u64_e32 v[50:51], v[2:3], v[4:5]
	s_wait_xcnt 0x0
	v_cmp_gt_u32_e64 s9, 24, v52
	v_cmp_gt_u32_e64 s8, 28, v52
	;; [unrolled: 1-line block ×3, first 2 shown]
	v_cmp_ne_u32_e64 s6, 31, v52
	s_lshl_b64 s[54:55], s[54:55], 3
	s_and_not1_b32 vcc_lo, exec_lo, s70
	s_add_nc_u64 s[54:55], s[30:31], s[54:55]
	s_cbranch_vccnz .LBB260_40
; %bb.14:                               ;   in Loop: Header=BB260_3 Depth=1
	v_cndmask_b32_e64 v1, 0, 8, s9
	v_cndmask_b32_e64 v8, 0, 4, s8
	;; [unrolled: 1-line block ×3, first 2 shown]
	v_add_co_ci_u32_e64 v10, null, 0, v52, s6
	v_dual_mov_b32 v5, v0 :: v_dual_mov_b32 v6, v0
	s_delay_alu instid0(VALU_DEP_2)
	v_dual_mov_b32 v7, v0 :: v_dual_lshlrev_b32 v59, 2, v10
	v_add_lshl_u32 v56, v1, v52, 2
	v_dual_mov_b32 v1, v0 :: v_dual_mov_b32 v2, v0
	v_dual_mov_b32 v3, v0 :: v_dual_mov_b32 v4, v0
	v_add_lshl_u32 v57, v8, v52, 2
	v_add_lshl_u32 v58, v9, v52, 2
	v_mov_b64_e32 v[14:15], v[6:7]
	s_delay_alu instid0(VALU_DEP_4)
	v_mov_b64_e32 v[10:11], v[2:3]
	v_mov_b64_e32 v[12:13], v[4:5]
	v_mov_b64_e32 v[8:9], v[0:1]
	s_mov_b32 s56, 0
	s_mov_b64 s[58:59], s[52:53]
	s_mov_b64 s[60:61], s[50:51]
	;; [unrolled: 1-line block ×3, first 2 shown]
	s_mov_b32 s24, s56
	s_branch .LBB260_16
.LBB260_15:                             ;   in Loop: Header=BB260_16 Depth=2
	s_wait_xcnt 0x0
	s_or_b32 exec_lo, exec_lo, s6
	s_add_co_i32 s24, s24, 4
	s_add_co_i32 s56, s56, s38
	s_add_nc_u64 s[62:63], s[62:63], s[38:39]
	s_add_nc_u64 s[60:61], s[60:61], s[38:39]
	s_cmp_ge_i32 s24, s68
	s_add_nc_u64 s[58:59], s[58:59], s[38:39]
	s_cbranch_scc1 .LBB260_41
.LBB260_16:                             ;   Parent Loop BB260_3 Depth=1
                                        ; =>  This Loop Header: Depth=2
                                        ;       Child Loop BB260_22 Depth 3
                                        ;       Child Loop BB260_25 Depth 3
	;; [unrolled: 1-line block ×3, first 2 shown]
                                        ; implicit-def: $vgpr16_vgpr17_vgpr18_vgpr19_vgpr20_vgpr21_vgpr22_vgpr23
	s_and_saveexec_b32 s6, s4
	s_delay_alu instid0(SALU_CYCLE_1)
	s_xor_b32 s6, exec_lo, s6
	s_cbranch_execz .LBB260_18
; %bb.17:                               ;   in Loop: Header=BB260_16 Depth=2
	s_mul_i32 s8, s24, s28
	s_delay_alu instid0(SALU_CYCLE_1)
	s_ashr_i32 s9, s8, 31
	s_add_co_i32 s64, s8, s28
	v_lshl_add_u64 v[6:7], s[8:9], 3, v[40:41]
	s_ashr_i32 s65, s64, 31
	s_add_co_i32 s8, s64, s28
	v_lshl_add_u64 v[14:15], s[64:65], 3, v[40:41]
	s_add_co_i32 s64, s8, s28
	s_ashr_i32 s9, s8, 31
	s_ashr_i32 s65, s64, 31
	v_lshl_add_u64 v[16:17], s[8:9], 3, v[40:41]
	v_lshl_add_u64 v[18:19], s[64:65], 3, v[40:41]
	flat_load_b64 v[8:9], v[42:43]
	s_clause 0x3
	flat_load_b128 v[2:5], v[6:7]
	flat_load_b128 v[60:63], v[14:15]
	;; [unrolled: 1-line block ×4, first 2 shown]
	s_clause 0x1
	flat_load_b64 v[10:11], v[44:45]
	flat_load_b64 v[12:13], v[46:47]
	s_clause 0x3
	flat_load_b128 v[72:75], v[6:7] offset:16
	flat_load_b128 v[76:79], v[14:15] offset:16
	;; [unrolled: 1-line block ×4, first 2 shown]
	flat_load_b64 v[14:15], v[48:49]
	s_wait_loadcnt_dscnt 0xa0a
	s_wait_xcnt 0x2
	v_fma_f64 v[16:17], v[8:9], v[2:3], 0
	s_wait_loadcnt_dscnt 0x909
	s_wait_xcnt 0x1
	v_fma_f64 v[18:19], v[8:9], v[60:61], 0
	s_wait_loadcnt_dscnt 0x808
	v_fma_f64 v[20:21], v[8:9], v[64:65], 0
	s_wait_loadcnt_dscnt 0x707
	;; [unrolled: 2-line block ×3, first 2 shown]
	s_delay_alu instid0(VALU_DEP_4) | instskip(NEXT) | instid1(VALU_DEP_4)
	v_fmac_f64_e32 v[16:17], v[10:11], v[4:5]
	v_fmac_f64_e32 v[18:19], v[10:11], v[62:63]
	s_delay_alu instid0(VALU_DEP_4) | instskip(NEXT) | instid1(VALU_DEP_4)
	v_fmac_f64_e32 v[20:21], v[10:11], v[66:67]
	v_fmac_f64_e32 v[22:23], v[10:11], v[70:71]
	s_wait_loadcnt_dscnt 0x404
	s_delay_alu instid0(VALU_DEP_4) | instskip(SKIP_1) | instid1(VALU_DEP_4)
	v_fmac_f64_e32 v[16:17], v[12:13], v[72:73]
	s_wait_loadcnt_dscnt 0x303
	v_fmac_f64_e32 v[18:19], v[12:13], v[76:77]
	s_wait_loadcnt_dscnt 0x202
	s_delay_alu instid0(VALU_DEP_4) | instskip(SKIP_1) | instid1(VALU_DEP_4)
	v_fmac_f64_e32 v[20:21], v[12:13], v[80:81]
	s_wait_loadcnt_dscnt 0x101
	v_fmac_f64_e32 v[22:23], v[12:13], v[84:85]
	s_wait_loadcnt_dscnt 0x0
	s_delay_alu instid0(VALU_DEP_4) | instskip(NEXT) | instid1(VALU_DEP_4)
	v_fmac_f64_e32 v[16:17], v[14:15], v[74:75]
	v_fmac_f64_e32 v[18:19], v[14:15], v[78:79]
	s_delay_alu instid0(VALU_DEP_4) | instskip(NEXT) | instid1(VALU_DEP_4)
	v_fmac_f64_e32 v[20:21], v[14:15], v[82:83]
	v_fmac_f64_e32 v[22:23], v[14:15], v[86:87]
.LBB260_18:                             ;   in Loop: Header=BB260_16 Depth=2
	s_wait_xcnt 0x0
	s_and_not1_saveexec_b32 s11, s6
	s_cbranch_execz .LBB260_28
; %bb.19:                               ;   in Loop: Header=BB260_16 Depth=2
	v_dual_mov_b32 v5, v0 :: v_dual_mov_b32 v6, v0
	v_dual_mov_b32 v7, v0 :: v_dual_mov_b32 v1, v0
	;; [unrolled: 1-line block ×3, first 2 shown]
	v_mov_b32_e32 v4, v0
	s_delay_alu instid0(VALU_DEP_3) | instskip(NEXT) | instid1(VALU_DEP_4)
	v_mov_b64_e32 v[22:23], v[6:7]
	v_mov_b64_e32 v[16:17], v[0:1]
	s_delay_alu instid0(VALU_DEP_4) | instskip(NEXT) | instid1(VALU_DEP_4)
	v_mov_b64_e32 v[18:19], v[2:3]
	v_mov_b64_e32 v[20:21], v[4:5]
	s_and_saveexec_b32 s26, s5
	s_cbranch_execz .LBB260_27
; %bb.20:                               ;   in Loop: Header=BB260_16 Depth=2
	s_and_not1_b32 vcc_lo, exec_lo, s71
	s_cbranch_vccnz .LBB260_23
; %bb.21:                               ;   in Loop: Header=BB260_16 Depth=2
	v_mov_b32_e32 v1, v26
	s_mov_b64 s[64:65], 0
.LBB260_22:                             ;   Parent Loop BB260_3 Depth=1
                                        ;     Parent Loop BB260_16 Depth=2
                                        ; =>    This Inner Loop Header: Depth=3
	v_readfirstlane_b32 s6, v38
	v_readfirstlane_b32 s7, v39
	s_cmp_eq_u32 s64, 3
	s_cselect_b32 vcc_lo, -1, 0
	s_cmp_eq_u32 s64, 2
	flat_load_b64 v[2:3], v1, s[6:7] scale_offset
	s_wait_xcnt 0x0
	s_cselect_b32 s6, -1, 0
	s_cmp_eq_u32 s64, 1
	v_add_nc_u32_e32 v1, s66, v1
	s_cselect_b32 s7, -1, 0
	s_cmp_eq_u32 s64, 0
	s_add_nc_u64 s[64:65], s[64:65], 1
	s_cselect_b32 s8, -1, 0
	s_cmp_eq_u32 s69, s64
	s_wait_loadcnt_dscnt 0x0
	v_dual_cndmask_b32 v15, v15, v3 :: v_dual_cndmask_b32 v14, v14, v2
	v_dual_cndmask_b32 v13, v13, v3, s6 :: v_dual_cndmask_b32 v12, v12, v2, s6
	v_dual_cndmask_b32 v11, v11, v3, s7 :: v_dual_cndmask_b32 v10, v10, v2, s7
	;; [unrolled: 1-line block ×3, first 2 shown]
	s_cbranch_scc0 .LBB260_22
.LBB260_23:                             ;   in Loop: Header=BB260_16 Depth=2
	s_and_not1_b32 vcc_lo, exec_lo, s71
	s_cbranch_vccnz .LBB260_26
; %bb.24:                               ;   in Loop: Header=BB260_16 Depth=2
	s_ashr_i32 s57, s56, 31
	v_mov_b64_e32 v[16:17], 0
	v_mov_b64_e32 v[18:19], 0
	;; [unrolled: 1-line block ×4, first 2 shown]
	v_lshl_add_u64 v[2:3], s[56:57], 3, v[50:51]
	s_mov_b64 s[8:9], 0
.LBB260_25:                             ;   Parent Loop BB260_3 Depth=1
                                        ;     Parent Loop BB260_16 Depth=2
                                        ; =>    This Inner Loop Header: Depth=3
	s_delay_alu instid0(SALU_CYCLE_1)
	s_cmp_eq_u32 s8, 1
	s_cselect_b32 vcc_lo, -1, 0
	s_cmp_eq_u32 s8, 2
	v_dual_cndmask_b32 v1, v9, v11 :: v_dual_cndmask_b32 v64, v8, v10
	s_cselect_b32 s6, -1, 0
	s_cmp_eq_u32 s8, 3
	s_cselect_b32 s7, -1, 0
	s_add_co_i32 s64, s62, s8
	s_add_co_i32 s72, s60, s8
	;; [unrolled: 1-line block ×3, first 2 shown]
	s_ashr_i32 s65, s64, 31
	s_ashr_i32 s73, s72, 31
	;; [unrolled: 1-line block ×3, first 2 shown]
	s_wait_xcnt 0x2
	v_lshl_add_u64 v[4:5], s[64:65], 3, v[40:41]
	s_wait_xcnt 0x1
	v_lshl_add_u64 v[6:7], s[72:73], 3, v[40:41]
	;; [unrolled: 2-line block ×3, first 2 shown]
	flat_load_b64 v[62:63], v[2:3]
	s_clause 0x2
	flat_load_b64 v[4:5], v[4:5]
	flat_load_b64 v[6:7], v[6:7]
	;; [unrolled: 1-line block ×3, first 2 shown]
	v_dual_cndmask_b32 v1, v1, v13, s6 :: v_dual_cndmask_b32 v64, v64, v12, s6
	s_wait_xcnt 0x3
	v_add_nc_u64_e32 v[2:3], 8, v[2:3]
	s_add_nc_u64 s[8:9], s[8:9], 1
	s_delay_alu instid0(VALU_DEP_2) | instskip(SKIP_2) | instid1(VALU_DEP_1)
	v_dual_cndmask_b32 v65, v1, v15, s7 :: v_dual_cndmask_b32 v64, v64, v14, s7
	s_cmp_lg_u32 s69, s8
	s_wait_loadcnt_dscnt 0x303
	v_fmac_f64_e32 v[16:17], v[64:65], v[62:63]
	s_wait_loadcnt_dscnt 0x202
	v_fmac_f64_e32 v[18:19], v[64:65], v[4:5]
	;; [unrolled: 2-line block ×4, first 2 shown]
	s_cbranch_scc1 .LBB260_25
	s_branch .LBB260_27
.LBB260_26:                             ;   in Loop: Header=BB260_16 Depth=2
	v_dual_mov_b32 v5, v0 :: v_dual_mov_b32 v6, v0
	v_dual_mov_b32 v7, v0 :: v_dual_mov_b32 v1, v0
	;; [unrolled: 1-line block ×3, first 2 shown]
	v_mov_b32_e32 v4, v0
	s_delay_alu instid0(VALU_DEP_3) | instskip(NEXT) | instid1(VALU_DEP_4)
	v_mov_b64_e32 v[22:23], v[6:7]
	v_mov_b64_e32 v[16:17], v[0:1]
	s_delay_alu instid0(VALU_DEP_4) | instskip(NEXT) | instid1(VALU_DEP_4)
	v_mov_b64_e32 v[18:19], v[2:3]
	v_mov_b64_e32 v[20:21], v[4:5]
.LBB260_27:                             ;   in Loop: Header=BB260_16 Depth=2
	s_wait_xcnt 0x0
	s_or_b32 exec_lo, exec_lo, s26
.LBB260_28:                             ;   in Loop: Header=BB260_16 Depth=2
	s_delay_alu instid0(SALU_CYCLE_1)
	s_or_b32 exec_lo, exec_lo, s11
	s_mov_b64 s[6:7], 0
	s_branch .LBB260_30
.LBB260_29:                             ;   in Loop: Header=BB260_30 Depth=3
	s_or_b32 exec_lo, exec_lo, s8
	s_cmp_eq_u32 s6, 3
	s_cselect_b32 vcc_lo, -1, 0
	s_cmp_eq_u32 s6, 2
	s_wait_dscnt 0x0
	s_delay_alu instid0(VALU_DEP_1)
	v_dual_cndmask_b32 v23, v23, v3 :: v_dual_cndmask_b32 v22, v22, v2
	s_cselect_b32 vcc_lo, -1, 0
	s_cmp_eq_u32 s6, 1
	v_dual_cndmask_b32 v21, v21, v3 :: v_dual_cndmask_b32 v20, v20, v2
	s_cselect_b32 vcc_lo, -1, 0
	s_cmp_eq_u32 s6, 0
	v_dual_cndmask_b32 v19, v19, v3 :: v_dual_cndmask_b32 v18, v18, v2
	s_cselect_b32 vcc_lo, -1, 0
	s_add_nc_u64 s[6:7], s[6:7], 1
	v_dual_cndmask_b32 v17, v17, v3 :: v_dual_cndmask_b32 v16, v16, v2
	s_cmp_eq_u32 s6, 4
	s_cbranch_scc1 .LBB260_38
.LBB260_30:                             ;   Parent Loop BB260_3 Depth=1
                                        ;     Parent Loop BB260_16 Depth=2
                                        ; =>    This Inner Loop Header: Depth=3
	s_and_saveexec_b32 s8, s1
; %bb.31:                               ;   in Loop: Header=BB260_30 Depth=3
	ds_store_b64 v53, v[34:35]
; %bb.32:                               ;   in Loop: Header=BB260_30 Depth=3
	s_or_b32 exec_lo, exec_lo, s8
	s_cmp_eq_u32 s6, 1
	s_wait_storecnt_dscnt 0x0
	s_cselect_b32 vcc_lo, -1, 0
	s_cmp_eq_u32 s6, 2
	v_dual_cndmask_b32 v1, v17, v19 :: v_dual_cndmask_b32 v2, v16, v18
	s_cselect_b32 vcc_lo, -1, 0
	s_cmp_eq_u32 s6, 3
	s_barrier_signal -1
	s_delay_alu instid0(VALU_DEP_1) | instskip(SKIP_2) | instid1(VALU_DEP_1)
	v_dual_cndmask_b32 v1, v1, v21 :: v_dual_cndmask_b32 v2, v2, v20
	s_cselect_b32 vcc_lo, -1, 0
	s_barrier_wait -1
	v_dual_cndmask_b32 v3, v1, v23 :: v_dual_cndmask_b32 v2, v2, v22
	ds_bpermute_b32 v5, v55, v3
	ds_bpermute_b32 v4, v55, v2
	s_wait_dscnt 0x0
	v_add_f64_e32 v[2:3], v[2:3], v[4:5]
	ds_bpermute_b32 v4, v56, v2
	ds_bpermute_b32 v5, v56, v3
	s_wait_dscnt 0x0
	v_add_f64_e32 v[2:3], v[2:3], v[4:5]
	;; [unrolled: 4-line block ×4, first 2 shown]
	ds_bpermute_b32 v4, v59, v2
	ds_bpermute_b32 v5, v59, v3
	s_and_saveexec_b32 s8, s3
	s_cbranch_execz .LBB260_34
; %bb.33:                               ;   in Loop: Header=BB260_30 Depth=3
	s_wait_dscnt 0x0
	v_add_f64_e32 v[2:3], v[2:3], v[4:5]
	ds_store_b64 v54, v[2:3]
.LBB260_34:                             ;   in Loop: Header=BB260_30 Depth=3
	s_or_b32 exec_lo, exec_lo, s8
	v_mov_b64_e32 v[2:3], 0
	s_wait_dscnt 0x0
	s_barrier_signal -1
	s_barrier_wait -1
	s_and_saveexec_b32 s8, s2
; %bb.35:                               ;   in Loop: Header=BB260_30 Depth=3
	ds_load_b64 v[2:3], v53
; %bb.36:                               ;   in Loop: Header=BB260_30 Depth=3
	s_or_b32 exec_lo, exec_lo, s8
	s_and_saveexec_b32 s8, s1
	s_cbranch_execz .LBB260_29
; %bb.37:                               ;   in Loop: Header=BB260_30 Depth=3
	s_wait_dscnt 0x0
	ds_bpermute_b32 v4, v57, v2
	ds_bpermute_b32 v5, v57, v3
	s_wait_dscnt 0x0
	v_add_f64_e32 v[2:3], v[2:3], v[4:5]
	ds_bpermute_b32 v4, v58, v2
	ds_bpermute_b32 v5, v58, v3
	s_wait_dscnt 0x0
	v_add_f64_e32 v[2:3], v[2:3], v[4:5]
	;; [unrolled: 4-line block ×3, first 2 shown]
	s_branch .LBB260_29
.LBB260_38:                             ;   in Loop: Header=BB260_16 Depth=2
	s_and_saveexec_b32 s6, s0
	s_cbranch_execz .LBB260_15
; %bb.39:                               ;   in Loop: Header=BB260_16 Depth=2
	s_mul_i32 s7, s24, s34
	s_delay_alu instid0(SALU_CYCLE_1) | instskip(NEXT) | instid1(SALU_CYCLE_1)
	s_add_co_i32 s7, s7, s36
	v_dual_mul_f64 v[2:3], v[36:37], v[16:17] :: v_dual_mov_b32 v1, s7
	s_add_co_i32 s8, s7, s34
	s_delay_alu instid0(SALU_CYCLE_1) | instskip(SKIP_1) | instid1(SALU_CYCLE_1)
	v_dual_mul_f64 v[4:5], v[36:37], v[18:19] :: v_dual_mov_b32 v18, s8
	s_add_co_i32 s7, s8, s34
	v_dual_mul_f64 v[6:7], v[36:37], v[20:21] :: v_dual_mov_b32 v19, s7
	s_add_co_i32 s8, s7, s34
	s_delay_alu instid0(SALU_CYCLE_1)
	v_dual_mul_f64 v[16:17], v[36:37], v[22:23] :: v_dual_mov_b32 v20, s8
	s_clause 0x3
	global_store_b64 v1, v[2:3], s[54:55] scale_offset
	global_store_b64 v18, v[4:5], s[54:55] scale_offset
	;; [unrolled: 1-line block ×4, first 2 shown]
	s_branch .LBB260_15
.LBB260_40:                             ;   in Loop: Header=BB260_3 Depth=1
	v_dual_mov_b32 v5, v0 :: v_dual_mov_b32 v6, v0
	v_dual_mov_b32 v7, v0 :: v_dual_mov_b32 v1, v0
	;; [unrolled: 1-line block ×3, first 2 shown]
	v_mov_b32_e32 v4, v0
	s_delay_alu instid0(VALU_DEP_3) | instskip(NEXT) | instid1(VALU_DEP_4)
	v_mov_b64_e32 v[14:15], v[6:7]
	v_mov_b64_e32 v[8:9], v[0:1]
	s_mov_b32 s24, 0
	v_mov_b64_e32 v[10:11], v[2:3]
	v_mov_b64_e32 v[12:13], v[4:5]
.LBB260_41:                             ;   in Loop: Header=BB260_3 Depth=1
	s_cmp_ge_i32 s24, s27
	s_cbranch_scc1 .LBB260_2
; %bb.42:                               ;   in Loop: Header=BB260_3 Depth=1
	v_cmp_gt_u32_e32 vcc_lo, 24, v52
	s_add_nc_u64 s[54:55], s[54:55], s[42:43]
	s_mul_i32 s56, s28, s24
	v_cndmask_b32_e64 v1, 0, 8, vcc_lo
	v_cmp_gt_u32_e32 vcc_lo, 28, v52
	s_delay_alu instid0(VALU_DEP_2) | instskip(SKIP_2) | instid1(VALU_DEP_2)
	v_add_lshl_u32 v1, v1, v52, 2
	v_cndmask_b32_e64 v2, 0, 4, vcc_lo
	v_cmp_gt_u32_e32 vcc_lo, 30, v52
	v_add_lshl_u32 v6, v2, v52, 2
	v_cndmask_b32_e64 v3, 0, 2, vcc_lo
	v_cmp_ne_u32_e32 vcc_lo, 31, v52
	s_delay_alu instid0(VALU_DEP_2) | instskip(SKIP_1) | instid1(VALU_DEP_1)
	v_add_lshl_u32 v7, v3, v52, 2
	v_add_co_ci_u32_e64 v4, null, 0, v52, vcc_lo
	v_lshlrev_b32_e32 v16, 2, v4
	s_branch .LBB260_44
.LBB260_43:                             ;   in Loop: Header=BB260_44 Depth=2
	s_wait_xcnt 0x0
	s_or_b32 exec_lo, exec_lo, s6
	s_add_co_i32 s24, s24, 1
	s_add_co_i32 s56, s56, s28
	s_cmp_ge_i32 s24, s27
	s_cbranch_scc1 .LBB260_2
.LBB260_44:                             ;   Parent Loop BB260_3 Depth=1
                                        ; =>  This Loop Header: Depth=2
                                        ;       Child Loop BB260_57 Depth 3
                                        ;       Child Loop BB260_60 Depth 3
	s_wait_dscnt 0x0
	v_dual_mov_b32 v2, s25 :: v_dual_mov_b32 v3, s25
	s_and_saveexec_b32 s6, s4
	s_delay_alu instid0(SALU_CYCLE_1)
	s_xor_b32 s6, exec_lo, s6
	s_cbranch_execnz .LBB260_53
; %bb.45:                               ;   in Loop: Header=BB260_44 Depth=2
	s_and_not1_saveexec_b32 s9, s6
	s_cbranch_execnz .LBB260_54
.LBB260_46:                             ;   in Loop: Header=BB260_44 Depth=2
	s_or_b32 exec_lo, exec_lo, s9
	s_and_saveexec_b32 s6, s1
.LBB260_47:                             ;   in Loop: Header=BB260_44 Depth=2
	ds_store_b64 v53, v[34:35]
.LBB260_48:                             ;   in Loop: Header=BB260_44 Depth=2
	s_or_b32 exec_lo, exec_lo, s6
	ds_bpermute_b32 v4, v55, v2
	ds_bpermute_b32 v5, v55, v3
	s_wait_storecnt_dscnt 0x0
	s_barrier_signal -1
	s_barrier_wait -1
	v_add_f64_e32 v[2:3], v[2:3], v[4:5]
	ds_bpermute_b32 v4, v1, v2
	ds_bpermute_b32 v5, v1, v3
	s_wait_dscnt 0x0
	v_add_f64_e32 v[2:3], v[2:3], v[4:5]
	ds_bpermute_b32 v4, v6, v2
	ds_bpermute_b32 v5, v6, v3
	s_wait_dscnt 0x0
	v_add_f64_e32 v[2:3], v[2:3], v[4:5]
	ds_bpermute_b32 v4, v7, v2
	ds_bpermute_b32 v5, v7, v3
	s_wait_dscnt 0x0
	v_add_f64_e32 v[2:3], v[2:3], v[4:5]
	ds_bpermute_b32 v4, v16, v2
	ds_bpermute_b32 v5, v16, v3
	s_and_saveexec_b32 s6, s3
	s_cbranch_execz .LBB260_50
; %bb.49:                               ;   in Loop: Header=BB260_44 Depth=2
	s_wait_dscnt 0x0
	v_add_f64_e32 v[2:3], v[2:3], v[4:5]
	ds_store_b64 v54, v[2:3]
.LBB260_50:                             ;   in Loop: Header=BB260_44 Depth=2
	s_or_b32 exec_lo, exec_lo, s6
	v_mov_b64_e32 v[2:3], 0
	s_wait_dscnt 0x0
	s_barrier_signal -1
	s_barrier_wait -1
	s_and_saveexec_b32 s6, s2
	s_cbranch_execnz .LBB260_62
; %bb.51:                               ;   in Loop: Header=BB260_44 Depth=2
	s_or_b32 exec_lo, exec_lo, s6
	s_and_saveexec_b32 s6, s1
	s_cbranch_execnz .LBB260_63
.LBB260_52:                             ;   in Loop: Header=BB260_44 Depth=2
	s_or_b32 exec_lo, exec_lo, s6
	s_and_saveexec_b32 s6, s0
	s_cbranch_execz .LBB260_43
	s_branch .LBB260_64
.LBB260_53:                             ;   in Loop: Header=BB260_44 Depth=2
	s_mul_i32 s8, s24, s28
	s_delay_alu instid0(SALU_CYCLE_1) | instskip(NEXT) | instid1(SALU_CYCLE_1)
	s_ashr_i32 s9, s8, 31
	v_lshl_add_u64 v[12:13], s[8:9], 3, v[40:41]
	flat_load_b128 v[2:5], v[12:13]
	s_clause 0x1
	flat_load_b64 v[8:9], v[42:43]
	flat_load_b64 v[10:11], v[44:45]
	flat_load_b128 v[18:21], v[12:13] offset:16
	s_clause 0x1
	flat_load_b64 v[12:13], v[46:47]
	flat_load_b64 v[14:15], v[48:49]
	s_wait_loadcnt_dscnt 0x404
	v_fma_f64 v[2:3], v[8:9], v[2:3], 0
	s_wait_loadcnt_dscnt 0x303
	s_delay_alu instid0(VALU_DEP_1) | instskip(SKIP_1) | instid1(VALU_DEP_1)
	v_fmac_f64_e32 v[2:3], v[10:11], v[4:5]
	s_wait_loadcnt_dscnt 0x101
	v_fmac_f64_e32 v[2:3], v[12:13], v[18:19]
	s_wait_loadcnt_dscnt 0x0
	s_delay_alu instid0(VALU_DEP_1)
	v_fmac_f64_e32 v[2:3], v[14:15], v[20:21]
	s_wait_xcnt 0x0
	s_and_not1_saveexec_b32 s9, s6
	s_cbranch_execz .LBB260_46
.LBB260_54:                             ;   in Loop: Header=BB260_44 Depth=2
	s_and_saveexec_b32 s11, s5
	s_cbranch_execz .LBB260_61
; %bb.55:                               ;   in Loop: Header=BB260_44 Depth=2
	s_and_not1_b32 vcc_lo, exec_lo, s71
	s_cbranch_vccnz .LBB260_58
; %bb.56:                               ;   in Loop: Header=BB260_44 Depth=2
	v_mov_b32_e32 v4, v26
	s_mov_b64 s[58:59], 0
.LBB260_57:                             ;   Parent Loop BB260_3 Depth=1
                                        ;     Parent Loop BB260_44 Depth=2
                                        ; =>    This Inner Loop Header: Depth=3
	v_readfirstlane_b32 s6, v38
	v_readfirstlane_b32 s7, v39
	s_cmp_eq_u32 s58, 3
	s_cselect_b32 vcc_lo, -1, 0
	s_cmp_eq_u32 s58, 2
	flat_load_b64 v[18:19], v4, s[6:7] scale_offset
	s_wait_xcnt 0x0
	s_cselect_b32 s6, -1, 0
	s_cmp_eq_u32 s58, 1
	v_add_nc_u32_e32 v4, s66, v4
	s_cselect_b32 s7, -1, 0
	s_cmp_eq_u32 s58, 0
	s_add_nc_u64 s[58:59], s[58:59], 1
	s_cselect_b32 s8, -1, 0
	s_cmp_eq_u32 s69, s58
	s_wait_loadcnt_dscnt 0x0
	v_dual_cndmask_b32 v15, v15, v19 :: v_dual_cndmask_b32 v14, v14, v18
	v_dual_cndmask_b32 v13, v13, v19, s6 :: v_dual_cndmask_b32 v12, v12, v18, s6
	v_dual_cndmask_b32 v11, v11, v19, s7 :: v_dual_cndmask_b32 v10, v10, v18, s7
	v_dual_cndmask_b32 v9, v9, v19, s8 :: v_dual_cndmask_b32 v8, v8, v18, s8
	s_cbranch_scc0 .LBB260_57
.LBB260_58:                             ;   in Loop: Header=BB260_44 Depth=2
	s_and_not1_b32 vcc_lo, exec_lo, s71
	s_cbranch_vccnz .LBB260_61
; %bb.59:                               ;   in Loop: Header=BB260_44 Depth=2
	s_ashr_i32 s57, s56, 31
	s_mov_b64 s[6:7], 0
	v_lshl_add_u64 v[4:5], s[56:57], 3, v[50:51]
.LBB260_60:                             ;   Parent Loop BB260_3 Depth=1
                                        ;     Parent Loop BB260_44 Depth=2
                                        ; =>    This Inner Loop Header: Depth=3
	flat_load_b64 v[18:19], v[4:5]
	s_cmp_eq_u32 s6, 1
	s_wait_xcnt 0x0
	v_add_nc_u64_e32 v[4:5], 8, v[4:5]
	s_cselect_b32 vcc_lo, -1, 0
	s_cmp_eq_u32 s6, 2
	v_dual_cndmask_b32 v17, v9, v11 :: v_dual_cndmask_b32 v20, v8, v10
	s_cselect_b32 vcc_lo, -1, 0
	s_cmp_eq_u32 s6, 3
	s_add_nc_u64 s[6:7], s[6:7], 1
	s_delay_alu instid0(VALU_DEP_1) | instskip(SKIP_2) | instid1(VALU_DEP_1)
	v_dual_cndmask_b32 v17, v17, v13 :: v_dual_cndmask_b32 v20, v20, v12
	s_cselect_b32 vcc_lo, -1, 0
	s_cmp_lg_u32 s69, s6
	v_dual_cndmask_b32 v21, v17, v15 :: v_dual_cndmask_b32 v20, v20, v14
	s_wait_loadcnt_dscnt 0x0
	s_delay_alu instid0(VALU_DEP_1)
	v_fmac_f64_e32 v[2:3], v[20:21], v[18:19]
	s_cbranch_scc1 .LBB260_60
.LBB260_61:                             ;   in Loop: Header=BB260_44 Depth=2
	s_or_b32 exec_lo, exec_lo, s11
	s_delay_alu instid0(SALU_CYCLE_1)
	s_or_b32 exec_lo, exec_lo, s9
	s_and_saveexec_b32 s6, s1
	s_cbranch_execnz .LBB260_47
	s_branch .LBB260_48
.LBB260_62:                             ;   in Loop: Header=BB260_44 Depth=2
	ds_load_b64 v[2:3], v53
	s_or_b32 exec_lo, exec_lo, s6
	s_and_saveexec_b32 s6, s1
	s_cbranch_execz .LBB260_52
.LBB260_63:                             ;   in Loop: Header=BB260_44 Depth=2
	s_wait_dscnt 0x0
	ds_bpermute_b32 v4, v6, v2
	ds_bpermute_b32 v5, v6, v3
	s_wait_dscnt 0x0
	v_add_f64_e32 v[2:3], v[2:3], v[4:5]
	ds_bpermute_b32 v4, v7, v2
	ds_bpermute_b32 v5, v7, v3
	s_wait_dscnt 0x0
	v_add_f64_e32 v[2:3], v[2:3], v[4:5]
	;; [unrolled: 4-line block ×3, first 2 shown]
	s_or_b32 exec_lo, exec_lo, s6
	s_and_saveexec_b32 s6, s0
	s_cbranch_execz .LBB260_43
.LBB260_64:                             ;   in Loop: Header=BB260_44 Depth=2
	s_wait_dscnt 0x0
	s_delay_alu instid0(VALU_DEP_1) | instskip(SKIP_1) | instid1(SALU_CYCLE_1)
	v_mul_f64_e32 v[2:3], v[36:37], v[2:3]
	s_mul_u64 s[8:9], s[24:25], s[34:35]
	s_lshl_b64 s[8:9], s[8:9], 3
	s_delay_alu instid0(SALU_CYCLE_1)
	s_add_nc_u64 s[8:9], s[54:55], s[8:9]
	global_store_b64 v0, v[2:3], s[8:9]
	s_branch .LBB260_43
.LBB260_65:
	s_sendmsg sendmsg(MSG_DEALLOC_VGPRS)
	s_endpgm
	.section	.rodata,"a",@progbits
	.p2align	6, 0x0
	.amdhsa_kernel _ZL23rocblas_gemvt_sn_kernelILb0ELi256ELi4EiPKdS1_dEviiT4_lPKT3_lilS5_lilPT5_i
		.amdhsa_group_segment_fixed_size 256
		.amdhsa_private_segment_fixed_size 0
		.amdhsa_kernarg_size 360
		.amdhsa_user_sgpr_count 2
		.amdhsa_user_sgpr_dispatch_ptr 0
		.amdhsa_user_sgpr_queue_ptr 0
		.amdhsa_user_sgpr_kernarg_segment_ptr 1
		.amdhsa_user_sgpr_dispatch_id 0
		.amdhsa_user_sgpr_kernarg_preload_length 0
		.amdhsa_user_sgpr_kernarg_preload_offset 0
		.amdhsa_user_sgpr_private_segment_size 0
		.amdhsa_wavefront_size32 1
		.amdhsa_uses_dynamic_stack 0
		.amdhsa_enable_private_segment 0
		.amdhsa_system_sgpr_workgroup_id_x 1
		.amdhsa_system_sgpr_workgroup_id_y 0
		.amdhsa_system_sgpr_workgroup_id_z 1
		.amdhsa_system_sgpr_workgroup_info 0
		.amdhsa_system_vgpr_workitem_id 0
		.amdhsa_next_free_vgpr 88
		.amdhsa_next_free_sgpr 76
		.amdhsa_named_barrier_count 0
		.amdhsa_reserve_vcc 1
		.amdhsa_float_round_mode_32 0
		.amdhsa_float_round_mode_16_64 0
		.amdhsa_float_denorm_mode_32 3
		.amdhsa_float_denorm_mode_16_64 3
		.amdhsa_fp16_overflow 0
		.amdhsa_memory_ordered 1
		.amdhsa_forward_progress 1
		.amdhsa_inst_pref_size 29
		.amdhsa_round_robin_scheduling 0
		.amdhsa_exception_fp_ieee_invalid_op 0
		.amdhsa_exception_fp_denorm_src 0
		.amdhsa_exception_fp_ieee_div_zero 0
		.amdhsa_exception_fp_ieee_overflow 0
		.amdhsa_exception_fp_ieee_underflow 0
		.amdhsa_exception_fp_ieee_inexact 0
		.amdhsa_exception_int_div_zero 0
	.end_amdhsa_kernel
	.section	.text._ZL23rocblas_gemvt_sn_kernelILb0ELi256ELi4EiPKdS1_dEviiT4_lPKT3_lilS5_lilPT5_i,"axG",@progbits,_ZL23rocblas_gemvt_sn_kernelILb0ELi256ELi4EiPKdS1_dEviiT4_lPKT3_lilS5_lilPT5_i,comdat
.Lfunc_end260:
	.size	_ZL23rocblas_gemvt_sn_kernelILb0ELi256ELi4EiPKdS1_dEviiT4_lPKT3_lilS5_lilPT5_i, .Lfunc_end260-_ZL23rocblas_gemvt_sn_kernelILb0ELi256ELi4EiPKdS1_dEviiT4_lPKT3_lilS5_lilPT5_i
                                        ; -- End function
	.set _ZL23rocblas_gemvt_sn_kernelILb0ELi256ELi4EiPKdS1_dEviiT4_lPKT3_lilS5_lilPT5_i.num_vgpr, 88
	.set _ZL23rocblas_gemvt_sn_kernelILb0ELi256ELi4EiPKdS1_dEviiT4_lPKT3_lilS5_lilPT5_i.num_agpr, 0
	.set _ZL23rocblas_gemvt_sn_kernelILb0ELi256ELi4EiPKdS1_dEviiT4_lPKT3_lilS5_lilPT5_i.numbered_sgpr, 76
	.set _ZL23rocblas_gemvt_sn_kernelILb0ELi256ELi4EiPKdS1_dEviiT4_lPKT3_lilS5_lilPT5_i.num_named_barrier, 0
	.set _ZL23rocblas_gemvt_sn_kernelILb0ELi256ELi4EiPKdS1_dEviiT4_lPKT3_lilS5_lilPT5_i.private_seg_size, 0
	.set _ZL23rocblas_gemvt_sn_kernelILb0ELi256ELi4EiPKdS1_dEviiT4_lPKT3_lilS5_lilPT5_i.uses_vcc, 1
	.set _ZL23rocblas_gemvt_sn_kernelILb0ELi256ELi4EiPKdS1_dEviiT4_lPKT3_lilS5_lilPT5_i.uses_flat_scratch, 1
	.set _ZL23rocblas_gemvt_sn_kernelILb0ELi256ELi4EiPKdS1_dEviiT4_lPKT3_lilS5_lilPT5_i.has_dyn_sized_stack, 0
	.set _ZL23rocblas_gemvt_sn_kernelILb0ELi256ELi4EiPKdS1_dEviiT4_lPKT3_lilS5_lilPT5_i.has_recursion, 0
	.set _ZL23rocblas_gemvt_sn_kernelILb0ELi256ELi4EiPKdS1_dEviiT4_lPKT3_lilS5_lilPT5_i.has_indirect_call, 0
	.section	.AMDGPU.csdata,"",@progbits
; Kernel info:
; codeLenInByte = 3608
; TotalNumSgprs: 78
; NumVgprs: 88
; ScratchSize: 0
; MemoryBound: 1
; FloatMode: 240
; IeeeMode: 1
; LDSByteSize: 256 bytes/workgroup (compile time only)
; SGPRBlocks: 0
; VGPRBlocks: 5
; NumSGPRsForWavesPerEU: 78
; NumVGPRsForWavesPerEU: 88
; NamedBarCnt: 0
; Occupancy: 10
; WaveLimiterHint : 0
; COMPUTE_PGM_RSRC2:SCRATCH_EN: 0
; COMPUTE_PGM_RSRC2:USER_SGPR: 2
; COMPUTE_PGM_RSRC2:TRAP_HANDLER: 0
; COMPUTE_PGM_RSRC2:TGID_X_EN: 1
; COMPUTE_PGM_RSRC2:TGID_Y_EN: 0
; COMPUTE_PGM_RSRC2:TGID_Z_EN: 1
; COMPUTE_PGM_RSRC2:TIDIG_COMP_CNT: 0
	.section	.text._ZL23rocblas_gemvt_sn_kernelILb0ELi256ELi4ElPKdS1_dEviiT4_lPKT3_lilS5_lilPT5_i,"axG",@progbits,_ZL23rocblas_gemvt_sn_kernelILb0ELi256ELi4ElPKdS1_dEviiT4_lPKT3_lilS5_lilPT5_i,comdat
	.globl	_ZL23rocblas_gemvt_sn_kernelILb0ELi256ELi4ElPKdS1_dEviiT4_lPKT3_lilS5_lilPT5_i ; -- Begin function _ZL23rocblas_gemvt_sn_kernelILb0ELi256ELi4ElPKdS1_dEviiT4_lPKT3_lilS5_lilPT5_i
	.p2align	8
	.type	_ZL23rocblas_gemvt_sn_kernelILb0ELi256ELi4ElPKdS1_dEviiT4_lPKT3_lilS5_lilPT5_i,@function
_ZL23rocblas_gemvt_sn_kernelILb0ELi256ELi4ElPKdS1_dEviiT4_lPKT3_lilS5_lilPT5_i: ; @_ZL23rocblas_gemvt_sn_kernelILb0ELi256ELi4ElPKdS1_dEviiT4_lPKT3_lilS5_lilPT5_i
; %bb.0:
	s_load_b32 s33, s[0:1], 0x60
	s_bfe_u32 s2, ttmp6, 0x40014
	s_lshr_b32 s4, ttmp7, 16
	s_add_co_i32 s2, s2, 1
	s_bfe_u32 s5, ttmp6, 0x40008
	s_mul_i32 s2, s4, s2
	s_getreg_b32 s3, hwreg(HW_REG_IB_STS2, 6, 4)
	s_add_co_i32 s5, s5, s2
	s_cmp_eq_u32 s3, 0
	s_mov_b32 s25, 0
	s_cselect_b32 s10, s4, s5
	s_wait_kmcnt 0x0
	s_cmp_ge_u32 s10, s33
	s_cbranch_scc1 .LBB261_65
; %bb.1:
	s_clause 0x6
	s_load_b32 s26, s[0:1], 0x28
	s_load_b32 s4, s[0:1], 0x48
	s_load_b64 s[28:29], s[0:1], 0x0
	s_load_b256 s[12:19], s[0:1], 0x8
	s_load_b128 s[20:23], s[0:1], 0x38
	s_load_b64 s[30:31], s[0:1], 0x58
	s_load_b32 s34, s[0:1], 0x68
	s_wait_xcnt 0x0
	v_cmp_eq_u32_e64 s0, 0, v0
	s_mov_b32 s35, s25
	v_dual_lshrrev_b32 v3, 2, v0 :: v_dual_bitop2_b32 v1, 31, v0 bitop3:0x40
	v_cmp_gt_u32_e64 s1, 32, v0
	v_cmp_gt_u32_e64 s2, 8, v0
	s_delay_alu instid0(VALU_DEP_3) | instskip(SKIP_2) | instid1(VALU_DEP_2)
	v_dual_mov_b32 v2, 0 :: v_dual_lshlrev_b32 v61, 3, v1
	v_mbcnt_lo_u32_b32 v60, -1, 0
	v_mov_b64_e32 v[38:39], 0
	v_lshl_or_b32 v63, v60, 2, 64
	s_wait_kmcnt 0x0
	s_ashr_i32 s27, s26, 31
	s_ashr_i32 s5, s4, 31
	;; [unrolled: 1-line block ×3, first 2 shown]
	s_cmp_gt_i32 s29, 0
	s_mul_u64 s[38:39], s[26:27], 24
	s_cselect_b32 s6, -1, 0
	s_bfe_u32 s8, ttmp6, 0x4000c
	s_and_b32 s9, ttmp6, 15
	s_add_co_i32 s8, s8, 1
	s_and_b32 s60, s0, s6
	s_mul_i32 s8, ttmp9, s8
	s_mov_b32 s6, s29
	s_add_co_i32 s9, s9, s8
	s_cmp_eq_u32 s3, 0
	s_mul_u64 s[36:37], s[6:7], s[34:35]
	s_cselect_b32 s24, ttmp9, s9
	s_ashr_i32 s6, s28, 31
	s_lshl_b32 s3, s24, 10
	s_lshr_b32 s6, s6, 30
	v_lshl_or_b32 v0, v0, 2, s3
	v_and_b32_e32 v62, 56, v3
	s_add_co_i32 s6, s28, s6
	v_cmp_eq_u32_e64 s3, 0, v1
	s_and_b32 s6, s6, -4
	v_dual_add_nc_u32 v3, 4, v0 :: v_dual_bitop2_b32 v6, 2, v0 bitop3:0x54
	v_dual_ashrrev_i32 v1, 31, v0 :: v_dual_bitop2_b32 v4, 1, v0 bitop3:0x54
	s_sub_co_i32 s62, s28, s6
	s_delay_alu instid0(VALU_DEP_2) | instskip(NEXT) | instid1(VALU_DEP_2)
	v_dual_ashrrev_i32 v7, 31, v6 :: v_dual_bitop2_b32 v8, 3, v0 bitop3:0x54
	v_ashrrev_i32_e32 v5, 31, v4
	s_delay_alu instid0(VALU_DEP_3)
	v_mul_u64_e32 v[26:27], s[4:5], v[0:1]
	s_lshr_b32 s7, s7, 30
	v_lshlrev_b64_e32 v[34:35], 3, v[0:1]
	v_mul_u64_e32 v[30:31], s[4:5], v[6:7]
	v_mul_u64_e32 v[28:29], s[4:5], v[4:5]
	v_add_nc_u32_e32 v4, s62, v0
	v_ashrrev_i32_e32 v9, 31, v8
	s_add_co_i32 s7, s29, s7
	s_delay_alu instid0(SALU_CYCLE_1) | instskip(NEXT) | instid1(VALU_DEP_1)
	s_and_b32 s61, s7, -4
	v_mul_u64_e32 v[32:33], s[4:5], v[8:9]
	s_cmp_gt_i32 s61, 0
	s_cselect_b32 s63, -1, 0
	s_cmp_gt_i32 s62, 0
	s_cselect_b32 s64, -1, 0
	s_lshl_b64 s[46:47], s[4:5], 3
	v_cmp_ge_i32_e64 s4, s28, v3
	v_cmp_ge_i32_e64 s5, s28, v4
	s_lshl_b64 s[40:41], s[24:25], 3
	s_lshl_b64 s[42:43], s[36:37], 3
	s_lshl_b64 s[44:45], s[34:35], 3
	s_lshl_b64 s[48:49], s[26:27], 5
	s_lshl_b64 s[50:51], s[26:27], 4
	s_add_nc_u64 s[52:53], s[30:31], s[40:41]
	s_lshl_b64 s[54:55], s[26:27], 3
	s_lshl_b64 s[18:19], s[18:19], 3
	s_lshl_b64 s[22:23], s[22:23], 3
	v_lshlrev_b64_e32 v[36:37], 3, v[26:27]
	s_branch .LBB261_3
.LBB261_2:                              ;   in Loop: Header=BB261_3 Depth=1
	s_add_co_i32 s10, s10, 0x10000
	s_delay_alu instid0(SALU_CYCLE_1)
	s_cmp_lt_u32 s10, s33
	s_cbranch_scc0 .LBB261_65
.LBB261_3:                              ; =>This Loop Header: Depth=1
                                        ;     Child Loop BB261_11 Depth 2
                                        ;     Child Loop BB261_16 Depth 2
                                        ;       Child Loop BB261_22 Depth 3
                                        ;       Child Loop BB261_25 Depth 3
	;; [unrolled: 1-line block ×3, first 2 shown]
                                        ;     Child Loop BB261_44 Depth 2
                                        ;       Child Loop BB261_57 Depth 3
                                        ;       Child Loop BB261_60 Depth 3
	s_mov_b32 s11, s25
	v_mov_b64_e32 v[54:55], 0
	s_mul_u64 s[6:7], s[14:15], s[10:11]
	s_delay_alu instid0(SALU_CYCLE_1) | instskip(NEXT) | instid1(SALU_CYCLE_1)
	s_lshl_b64 s[6:7], s[6:7], 3
	s_add_nc_u64 s[6:7], s[12:13], s[6:7]
	global_load_b64 v[40:41], v2, s[6:7]
	s_wait_loadcnt 0x0
	s_wait_xcnt 0x0
	v_cmp_eq_f64_e64 s6, 0, v[40:41]
	v_cmp_neq_f64_e64 s7, 0, v[40:41]
	s_and_b32 vcc_lo, exec_lo, s6
	s_cbranch_vccnz .LBB261_5
; %bb.4:                                ;   in Loop: Header=BB261_3 Depth=1
	s_lshl_b64 s[8:9], s[10:11], 3
	s_delay_alu instid0(SALU_CYCLE_1)
	s_add_nc_u64 s[8:9], s[16:17], s[8:9]
	global_load_b64 v[4:5], v2, s[8:9]
	s_wait_loadcnt 0x0
	v_add_nc_u64_e32 v[54:55], s[18:19], v[4:5]
.LBB261_5:                              ;   in Loop: Header=BB261_3 Depth=1
	s_and_not1_b32 vcc_lo, exec_lo, s7
	s_cbranch_vccnz .LBB261_8
; %bb.6:                                ;   in Loop: Header=BB261_3 Depth=1
	s_wait_xcnt 0x0
	s_lshl_b64 s[8:9], s[10:11], 3
	s_delay_alu instid0(SALU_CYCLE_1)
	s_add_nc_u64 s[8:9], s[20:21], s[8:9]
	global_load_b64 v[4:5], v2, s[8:9]
	s_wait_loadcnt 0x0
	v_add_nc_u64_e32 v[10:11], s[22:23], v[4:5]
	s_and_not1_b32 vcc_lo, exec_lo, s6
	s_mov_b32 s6, -1
	s_cbranch_vccz .LBB261_9
.LBB261_7:                              ;   in Loop: Header=BB261_3 Depth=1
	s_and_not1_b32 vcc_lo, exec_lo, s6
	s_cbranch_vccnz .LBB261_2
	s_branch .LBB261_13
.LBB261_8:                              ;   in Loop: Header=BB261_3 Depth=1
	v_mov_b64_e32 v[10:11], 0
	s_and_not1_b32 vcc_lo, exec_lo, s6
	s_mov_b32 s6, -1
	s_cbranch_vccnz .LBB261_7
.LBB261_9:                              ;   in Loop: Header=BB261_3 Depth=1
	s_wait_xcnt 0x0
	s_and_saveexec_b32 s8, s60
	s_cbranch_execz .LBB261_12
; %bb.10:                               ;   in Loop: Header=BB261_3 Depth=1
	s_mul_u64 s[6:7], s[42:43], s[10:11]
	s_mov_b32 s9, s29
	s_add_nc_u64 s[6:7], s[52:53], s[6:7]
.LBB261_11:                             ;   Parent Loop BB261_3 Depth=1
                                        ; =>  This Inner Loop Header: Depth=2
	s_add_co_i32 s9, s9, -1
	global_store_b64 v2, v[38:39], s[6:7]
	s_cmp_eq_u32 s9, 0
	s_wait_xcnt 0x0
	s_add_nc_u64 s[6:7], s[6:7], s[44:45]
	s_cbranch_scc0 .LBB261_11
.LBB261_12:                             ;   in Loop: Header=BB261_3 Depth=1
	s_or_b32 exec_lo, exec_lo, s8
	s_cbranch_execnz .LBB261_2
.LBB261_13:                             ;   in Loop: Header=BB261_3 Depth=1
	s_mul_u64 s[6:7], s[36:37], s[10:11]
	v_add_nc_u64_e32 v[52:53], v[10:11], v[36:37]
	s_lshl_b64 s[56:57], s[6:7], 3
	v_lshl_add_u64 v[42:43], v[0:1], 3, v[54:55]
	v_lshl_add_u64 v[44:45], v[26:27], 3, v[10:11]
	;; [unrolled: 1-line block ×5, first 2 shown]
	s_wait_xcnt 0x0
	v_cmp_gt_u32_e64 s8, 24, v60
	v_cmp_gt_u32_e64 s6, 28, v60
	;; [unrolled: 1-line block ×3, first 2 shown]
	v_cmp_ne_u32_e64 s7, 31, v60
	s_add_nc_u64 s[56:57], s[30:31], s[56:57]
	s_and_not1_b32 vcc_lo, exec_lo, s63
	s_add_nc_u64 s[56:57], s[56:57], s[40:41]
	s_cbranch_vccnz .LBB261_40
; %bb.14:                               ;   in Loop: Header=BB261_3 Depth=1
	v_cndmask_b32_e64 v3, 0, 8, s8
	v_cndmask_b32_e64 v4, 0, 4, s6
	;; [unrolled: 1-line block ×3, first 2 shown]
	v_add_co_ci_u32_e64 v13, null, 0, v60, s7
	s_wait_dscnt 0x0
	v_dual_mov_b32 v7, v2 :: v_dual_mov_b32 v8, v2
	s_delay_alu instid0(VALU_DEP_2)
	v_dual_mov_b32 v9, v2 :: v_dual_lshlrev_b32 v67, 2, v13
	v_add_lshl_u32 v64, v3, v60, 2
	v_add_lshl_u32 v65, v4, v60, 2
	v_dual_mov_b32 v3, v2 :: v_dual_mov_b32 v4, v2
	v_dual_mov_b32 v5, v2 :: v_dual_mov_b32 v6, v2
	v_add_lshl_u32 v66, v12, v60, 2
	v_add_nc_u64_e32 v[56:57], v[10:11], v[36:37]
	v_mov_b64_e32 v[16:17], v[8:9]
	v_mov_b64_e32 v[58:59], v[42:43]
	;; [unrolled: 1-line block ×5, first 2 shown]
	s_mov_b32 s24, 0
	s_branch .LBB261_16
.LBB261_15:                             ;   in Loop: Header=BB261_16 Depth=2
	s_wait_xcnt 0x0
	s_or_b32 exec_lo, exec_lo, s6
	v_add_nc_u64_e32 v[58:59], s[48:49], v[58:59]
	s_add_co_i32 s24, s24, 4
	s_delay_alu instid0(SALU_CYCLE_1)
	s_cmp_ge_i32 s24, s61
	s_cbranch_scc1 .LBB261_41
.LBB261_16:                             ;   Parent Loop BB261_3 Depth=1
                                        ; =>  This Loop Header: Depth=2
                                        ;       Child Loop BB261_22 Depth 3
                                        ;       Child Loop BB261_25 Depth 3
	;; [unrolled: 1-line block ×3, first 2 shown]
                                        ; implicit-def: $vgpr18_vgpr19_vgpr20_vgpr21_vgpr22_vgpr23_vgpr24_vgpr25
	s_and_saveexec_b32 s6, s4
	s_delay_alu instid0(SALU_CYCLE_1)
	s_xor_b32 s6, exec_lo, s6
	s_cbranch_execz .LBB261_18
; %bb.17:                               ;   in Loop: Header=BB261_16 Depth=2
	s_or_b32 s8, s24, 1
	s_mov_b32 s9, s25
	s_mul_u64 s[58:59], s[24:25], s[26:27]
	s_mul_u64 s[8:9], s[8:9], s[26:27]
	v_lshl_add_u64 v[8:9], s[58:59], 3, v[42:43]
	v_lshl_add_u64 v[16:17], s[8:9], 3, v[42:43]
	s_or_b32 s8, s24, 2
	s_mov_b32 s9, s25
	s_or_b32 s58, s24, 3
	s_mov_b32 s59, s25
	s_mul_u64 s[8:9], s[8:9], s[26:27]
	s_mul_u64 s[58:59], s[58:59], s[26:27]
	v_lshl_add_u64 v[18:19], s[8:9], 3, v[42:43]
	v_lshl_add_u64 v[20:21], s[58:59], 3, v[42:43]
	flat_load_b64 v[10:11], v[44:45]
	s_clause 0x3
	flat_load_b128 v[4:7], v[8:9]
	flat_load_b128 v[68:71], v[16:17]
	flat_load_b128 v[72:75], v[18:19]
	flat_load_b128 v[76:79], v[20:21]
	s_clause 0x1
	flat_load_b64 v[12:13], v[46:47]
	flat_load_b64 v[14:15], v[48:49]
	s_clause 0x3
	flat_load_b128 v[80:83], v[8:9] offset:16
	flat_load_b128 v[84:87], v[16:17] offset:16
	;; [unrolled: 1-line block ×4, first 2 shown]
	flat_load_b64 v[16:17], v[50:51]
	s_wait_loadcnt_dscnt 0xa0a
	s_wait_xcnt 0x2
	v_fma_f64 v[18:19], v[10:11], v[4:5], 0
	s_wait_loadcnt_dscnt 0x909
	s_wait_xcnt 0x1
	v_fma_f64 v[20:21], v[10:11], v[68:69], 0
	s_wait_loadcnt_dscnt 0x808
	v_fma_f64 v[22:23], v[10:11], v[72:73], 0
	s_wait_loadcnt_dscnt 0x707
	;; [unrolled: 2-line block ×3, first 2 shown]
	s_delay_alu instid0(VALU_DEP_4) | instskip(NEXT) | instid1(VALU_DEP_4)
	v_fmac_f64_e32 v[18:19], v[12:13], v[6:7]
	v_fmac_f64_e32 v[20:21], v[12:13], v[70:71]
	s_delay_alu instid0(VALU_DEP_4) | instskip(NEXT) | instid1(VALU_DEP_4)
	v_fmac_f64_e32 v[22:23], v[12:13], v[74:75]
	v_fmac_f64_e32 v[24:25], v[12:13], v[78:79]
	s_wait_loadcnt_dscnt 0x404
	s_delay_alu instid0(VALU_DEP_4) | instskip(SKIP_1) | instid1(VALU_DEP_4)
	v_fmac_f64_e32 v[18:19], v[14:15], v[80:81]
	s_wait_loadcnt_dscnt 0x303
	v_fmac_f64_e32 v[20:21], v[14:15], v[84:85]
	s_wait_loadcnt_dscnt 0x202
	s_delay_alu instid0(VALU_DEP_4) | instskip(SKIP_1) | instid1(VALU_DEP_4)
	v_fmac_f64_e32 v[22:23], v[14:15], v[88:89]
	s_wait_loadcnt_dscnt 0x101
	v_fmac_f64_e32 v[24:25], v[14:15], v[92:93]
	s_wait_loadcnt_dscnt 0x0
	s_delay_alu instid0(VALU_DEP_4) | instskip(NEXT) | instid1(VALU_DEP_4)
	v_fmac_f64_e32 v[18:19], v[16:17], v[82:83]
	v_fmac_f64_e32 v[20:21], v[16:17], v[86:87]
	s_delay_alu instid0(VALU_DEP_4) | instskip(NEXT) | instid1(VALU_DEP_4)
	v_fmac_f64_e32 v[22:23], v[16:17], v[90:91]
	v_fmac_f64_e32 v[24:25], v[16:17], v[94:95]
.LBB261_18:                             ;   in Loop: Header=BB261_16 Depth=2
	s_wait_xcnt 0x0
	s_and_not1_saveexec_b32 s11, s6
	s_cbranch_execz .LBB261_28
; %bb.19:                               ;   in Loop: Header=BB261_16 Depth=2
	v_dual_mov_b32 v7, v2 :: v_dual_mov_b32 v8, v2
	v_dual_mov_b32 v9, v2 :: v_dual_mov_b32 v3, v2
	v_dual_mov_b32 v4, v2 :: v_dual_mov_b32 v5, v2
	v_mov_b32_e32 v6, v2
	s_delay_alu instid0(VALU_DEP_3) | instskip(NEXT) | instid1(VALU_DEP_4)
	v_mov_b64_e32 v[24:25], v[8:9]
	v_mov_b64_e32 v[18:19], v[2:3]
	s_delay_alu instid0(VALU_DEP_4) | instskip(NEXT) | instid1(VALU_DEP_4)
	v_mov_b64_e32 v[20:21], v[4:5]
	v_mov_b64_e32 v[22:23], v[6:7]
	s_and_saveexec_b32 s28, s5
	s_cbranch_execz .LBB261_27
; %bb.20:                               ;   in Loop: Header=BB261_16 Depth=2
	s_and_not1_b32 vcc_lo, exec_lo, s64
	s_cbranch_vccnz .LBB261_23
; %bb.21:                               ;   in Loop: Header=BB261_16 Depth=2
	v_mov_b64_e32 v[4:5], v[56:57]
	s_mov_b64 s[58:59], 0
.LBB261_22:                             ;   Parent Loop BB261_3 Depth=1
                                        ;     Parent Loop BB261_16 Depth=2
                                        ; =>    This Inner Loop Header: Depth=3
	flat_load_b64 v[6:7], v[4:5]
	s_cmp_eq_u32 s58, 3
	s_wait_xcnt 0x0
	v_add_nc_u64_e32 v[4:5], s[46:47], v[4:5]
	s_cselect_b32 vcc_lo, -1, 0
	s_cmp_eq_u32 s58, 2
	s_cselect_b32 s6, -1, 0
	s_cmp_eq_u32 s58, 1
	s_cselect_b32 s7, -1, 0
	s_cmp_eq_u32 s58, 0
	s_add_nc_u64 s[58:59], s[58:59], 1
	s_cselect_b32 s8, -1, 0
	s_cmp_eq_u32 s62, s58
	s_wait_loadcnt_dscnt 0x0
	v_dual_cndmask_b32 v17, v17, v7 :: v_dual_cndmask_b32 v16, v16, v6
	v_dual_cndmask_b32 v15, v15, v7, s6 :: v_dual_cndmask_b32 v14, v14, v6, s6
	v_dual_cndmask_b32 v13, v13, v7, s7 :: v_dual_cndmask_b32 v12, v12, v6, s7
	;; [unrolled: 1-line block ×3, first 2 shown]
	s_cbranch_scc0 .LBB261_22
.LBB261_23:                             ;   in Loop: Header=BB261_16 Depth=2
	s_and_not1_b32 vcc_lo, exec_lo, s64
	s_cbranch_vccnz .LBB261_26
; %bb.24:                               ;   in Loop: Header=BB261_16 Depth=2
	v_mov_b64_e32 v[18:19], 0
	v_mov_b64_e32 v[20:21], 0
	;; [unrolled: 1-line block ×5, first 2 shown]
	s_mov_b64 s[8:9], 0
.LBB261_25:                             ;   Parent Loop BB261_3 Depth=1
                                        ;     Parent Loop BB261_16 Depth=2
                                        ; =>    This Inner Loop Header: Depth=3
	s_wait_xcnt 0x2
	s_delay_alu instid0(VALU_DEP_1)
	v_add_nc_u64_e32 v[6:7], s[54:55], v[4:5]
	s_wait_xcnt 0x1
	v_add_nc_u64_e32 v[8:9], s[50:51], v[4:5]
	s_wait_xcnt 0x0
	v_add_nc_u64_e32 v[68:69], s[38:39], v[4:5]
	s_cmp_eq_u32 s8, 1
	s_clause 0x3
	flat_load_b64 v[70:71], v[4:5]
	flat_load_b64 v[6:7], v[6:7]
	;; [unrolled: 1-line block ×4, first 2 shown]
	s_cselect_b32 vcc_lo, -1, 0
	s_cmp_eq_u32 s8, 2
	v_dual_cndmask_b32 v3, v11, v13 :: v_dual_cndmask_b32 v72, v10, v12
	s_cselect_b32 vcc_lo, -1, 0
	s_cmp_eq_u32 s8, 3
	s_wait_xcnt 0x3
	v_add_nc_u64_e32 v[4:5], 8, v[4:5]
	v_dual_cndmask_b32 v3, v3, v15 :: v_dual_cndmask_b32 v72, v72, v14
	s_cselect_b32 s6, -1, 0
	s_add_nc_u64 s[8:9], s[8:9], 1
	s_delay_alu instid0(VALU_DEP_1) | instskip(SKIP_2) | instid1(VALU_DEP_1)
	v_dual_cndmask_b32 v73, v3, v17, s6 :: v_dual_cndmask_b32 v72, v72, v16, s6
	s_cmp_lg_u32 s62, s8
	s_wait_loadcnt_dscnt 0x303
	v_fmac_f64_e32 v[18:19], v[72:73], v[70:71]
	s_wait_loadcnt_dscnt 0x202
	v_fmac_f64_e32 v[20:21], v[72:73], v[6:7]
	s_wait_loadcnt_dscnt 0x101
	v_fmac_f64_e32 v[22:23], v[72:73], v[8:9]
	s_wait_loadcnt_dscnt 0x0
	v_fmac_f64_e32 v[24:25], v[72:73], v[68:69]
	s_cbranch_scc1 .LBB261_25
	s_branch .LBB261_27
.LBB261_26:                             ;   in Loop: Header=BB261_16 Depth=2
	v_dual_mov_b32 v7, v2 :: v_dual_mov_b32 v8, v2
	v_dual_mov_b32 v9, v2 :: v_dual_mov_b32 v3, v2
	;; [unrolled: 1-line block ×3, first 2 shown]
	v_mov_b32_e32 v6, v2
	s_delay_alu instid0(VALU_DEP_3) | instskip(NEXT) | instid1(VALU_DEP_4)
	v_mov_b64_e32 v[24:25], v[8:9]
	v_mov_b64_e32 v[18:19], v[2:3]
	s_delay_alu instid0(VALU_DEP_4) | instskip(NEXT) | instid1(VALU_DEP_4)
	v_mov_b64_e32 v[20:21], v[4:5]
	v_mov_b64_e32 v[22:23], v[6:7]
.LBB261_27:                             ;   in Loop: Header=BB261_16 Depth=2
	s_wait_xcnt 0x0
	s_or_b32 exec_lo, exec_lo, s28
.LBB261_28:                             ;   in Loop: Header=BB261_16 Depth=2
	s_delay_alu instid0(SALU_CYCLE_1)
	s_or_b32 exec_lo, exec_lo, s11
	s_mov_b64 s[6:7], 0
	s_branch .LBB261_30
.LBB261_29:                             ;   in Loop: Header=BB261_30 Depth=3
	s_or_b32 exec_lo, exec_lo, s8
	s_cmp_eq_u32 s6, 3
	s_cselect_b32 vcc_lo, -1, 0
	s_cmp_eq_u32 s6, 2
	s_wait_dscnt 0x0
	s_delay_alu instid0(VALU_DEP_1)
	v_dual_cndmask_b32 v25, v25, v5 :: v_dual_cndmask_b32 v24, v24, v4
	s_cselect_b32 vcc_lo, -1, 0
	s_cmp_eq_u32 s6, 1
	v_dual_cndmask_b32 v23, v23, v5 :: v_dual_cndmask_b32 v22, v22, v4
	s_cselect_b32 vcc_lo, -1, 0
	s_cmp_eq_u32 s6, 0
	v_dual_cndmask_b32 v21, v21, v5 :: v_dual_cndmask_b32 v20, v20, v4
	s_cselect_b32 vcc_lo, -1, 0
	s_add_nc_u64 s[6:7], s[6:7], 1
	v_dual_cndmask_b32 v19, v19, v5 :: v_dual_cndmask_b32 v18, v18, v4
	s_cmp_eq_u32 s6, 4
	s_cbranch_scc1 .LBB261_38
.LBB261_30:                             ;   Parent Loop BB261_3 Depth=1
                                        ;     Parent Loop BB261_16 Depth=2
                                        ; =>    This Inner Loop Header: Depth=3
	s_and_saveexec_b32 s8, s1
; %bb.31:                               ;   in Loop: Header=BB261_30 Depth=3
	ds_store_b64 v61, v[38:39]
; %bb.32:                               ;   in Loop: Header=BB261_30 Depth=3
	s_or_b32 exec_lo, exec_lo, s8
	s_cmp_eq_u32 s6, 1
	s_wait_storecnt_dscnt 0x0
	s_cselect_b32 vcc_lo, -1, 0
	s_cmp_eq_u32 s6, 2
	v_dual_cndmask_b32 v3, v19, v21 :: v_dual_cndmask_b32 v4, v18, v20
	s_cselect_b32 vcc_lo, -1, 0
	s_cmp_eq_u32 s6, 3
	s_barrier_signal -1
	s_delay_alu instid0(VALU_DEP_1) | instskip(SKIP_2) | instid1(VALU_DEP_1)
	v_dual_cndmask_b32 v3, v3, v23 :: v_dual_cndmask_b32 v4, v4, v22
	s_cselect_b32 vcc_lo, -1, 0
	s_barrier_wait -1
	v_dual_cndmask_b32 v5, v3, v25 :: v_dual_cndmask_b32 v4, v4, v24
	ds_bpermute_b32 v7, v63, v5
	ds_bpermute_b32 v6, v63, v4
	s_wait_dscnt 0x0
	v_add_f64_e32 v[4:5], v[4:5], v[6:7]
	ds_bpermute_b32 v6, v64, v4
	ds_bpermute_b32 v7, v64, v5
	s_wait_dscnt 0x0
	v_add_f64_e32 v[4:5], v[4:5], v[6:7]
	;; [unrolled: 4-line block ×4, first 2 shown]
	ds_bpermute_b32 v6, v67, v4
	ds_bpermute_b32 v7, v67, v5
	s_and_saveexec_b32 s8, s3
	s_cbranch_execz .LBB261_34
; %bb.33:                               ;   in Loop: Header=BB261_30 Depth=3
	s_wait_dscnt 0x0
	v_add_f64_e32 v[4:5], v[4:5], v[6:7]
	ds_store_b64 v62, v[4:5]
.LBB261_34:                             ;   in Loop: Header=BB261_30 Depth=3
	s_or_b32 exec_lo, exec_lo, s8
	v_mov_b64_e32 v[4:5], 0
	s_wait_dscnt 0x0
	s_barrier_signal -1
	s_barrier_wait -1
	s_and_saveexec_b32 s8, s2
; %bb.35:                               ;   in Loop: Header=BB261_30 Depth=3
	ds_load_b64 v[4:5], v61
; %bb.36:                               ;   in Loop: Header=BB261_30 Depth=3
	s_or_b32 exec_lo, exec_lo, s8
	s_and_saveexec_b32 s8, s1
	s_cbranch_execz .LBB261_29
; %bb.37:                               ;   in Loop: Header=BB261_30 Depth=3
	s_wait_dscnt 0x0
	ds_bpermute_b32 v6, v65, v4
	ds_bpermute_b32 v7, v65, v5
	s_wait_dscnt 0x0
	v_add_f64_e32 v[4:5], v[4:5], v[6:7]
	ds_bpermute_b32 v6, v66, v4
	ds_bpermute_b32 v7, v66, v5
	s_wait_dscnt 0x0
	v_add_f64_e32 v[4:5], v[4:5], v[6:7]
	;; [unrolled: 4-line block ×3, first 2 shown]
	s_branch .LBB261_29
.LBB261_38:                             ;   in Loop: Header=BB261_16 Depth=2
	s_and_saveexec_b32 s6, s0
	s_cbranch_execz .LBB261_15
; %bb.39:                               ;   in Loop: Header=BB261_16 Depth=2
	v_mul_f64_e32 v[4:5], v[40:41], v[18:19]
	v_mul_f64_e32 v[6:7], v[40:41], v[20:21]
	;; [unrolled: 1-line block ×4, first 2 shown]
	s_or_b32 s58, s24, 1
	s_mov_b32 s59, s25
	s_mul_u64 s[8:9], s[24:25], s[34:35]
	s_or_b32 s66, s24, 2
	s_mov_b32 s67, s25
	s_or_b32 s68, s24, 3
	s_mov_b32 s69, s25
	s_mul_u64 s[58:59], s[58:59], s[34:35]
	s_lshl_b64 s[8:9], s[8:9], 3
	s_mul_u64 s[66:67], s[66:67], s[34:35]
	s_mul_u64 s[68:69], s[68:69], s[34:35]
	s_lshl_b64 s[58:59], s[58:59], 3
	s_add_nc_u64 s[8:9], s[56:57], s[8:9]
	s_lshl_b64 s[66:67], s[66:67], 3
	s_lshl_b64 s[68:69], s[68:69], 3
	s_add_nc_u64 s[58:59], s[56:57], s[58:59]
	s_add_nc_u64 s[66:67], s[56:57], s[66:67]
	;; [unrolled: 1-line block ×3, first 2 shown]
	s_clause 0x3
	global_store_b64 v2, v[4:5], s[8:9]
	global_store_b64 v2, v[6:7], s[58:59]
	;; [unrolled: 1-line block ×4, first 2 shown]
	s_branch .LBB261_15
.LBB261_40:                             ;   in Loop: Header=BB261_3 Depth=1
	s_wait_dscnt 0x0
	v_dual_mov_b32 v7, v2 :: v_dual_mov_b32 v8, v2
	v_dual_mov_b32 v9, v2 :: v_dual_mov_b32 v3, v2
	;; [unrolled: 1-line block ×3, first 2 shown]
	v_mov_b32_e32 v6, v2
	s_delay_alu instid0(VALU_DEP_3) | instskip(NEXT) | instid1(VALU_DEP_4)
	v_mov_b64_e32 v[16:17], v[8:9]
	v_mov_b64_e32 v[10:11], v[2:3]
	s_mov_b32 s24, 0
	v_mov_b64_e32 v[12:13], v[4:5]
	v_mov_b64_e32 v[14:15], v[6:7]
.LBB261_41:                             ;   in Loop: Header=BB261_3 Depth=1
	s_cmp_ge_i32 s24, s29
	s_cbranch_scc1 .LBB261_2
; %bb.42:                               ;   in Loop: Header=BB261_3 Depth=1
	v_cmp_gt_u32_e32 vcc_lo, 24, v60
	v_add_nc_u64_e32 v[4:5], v[54:55], v[34:35]
	v_cndmask_b32_e64 v3, 0, 8, vcc_lo
	v_cmp_gt_u32_e32 vcc_lo, 28, v60
	s_delay_alu instid0(VALU_DEP_3) | instskip(NEXT) | instid1(VALU_DEP_3)
	v_mad_nc_u64_u32 v[4:5], s54, s24, v[4:5]
	v_add_lshl_u32 v3, v3, v60, 2
	v_cndmask_b32_e64 v6, 0, 4, vcc_lo
	v_cmp_gt_u32_e32 vcc_lo, 30, v60
	s_delay_alu instid0(VALU_DEP_2) | instskip(SKIP_3) | instid1(VALU_DEP_3)
	v_add_lshl_u32 v18, v6, v60, 2
	v_cndmask_b32_e64 v7, 0, 2, vcc_lo
	v_cmp_ne_u32_e32 vcc_lo, 31, v60
	v_mad_u32 v5, s55, s24, v5
	v_add_lshl_u32 v19, v7, v60, 2
	v_add_co_ci_u32_e64 v8, null, 0, v60, vcc_lo
	s_delay_alu instid0(VALU_DEP_1)
	v_lshlrev_b32_e32 v20, 2, v8
	s_branch .LBB261_44
.LBB261_43:                             ;   in Loop: Header=BB261_44 Depth=2
	s_wait_xcnt 0x0
	s_or_b32 exec_lo, exec_lo, s6
	v_add_nc_u64_e32 v[4:5], s[54:55], v[4:5]
	s_add_co_i32 s24, s24, 1
	s_delay_alu instid0(SALU_CYCLE_1)
	s_cmp_ge_i32 s24, s29
	s_cbranch_scc1 .LBB261_2
.LBB261_44:                             ;   Parent Loop BB261_3 Depth=1
                                        ; =>  This Loop Header: Depth=2
                                        ;       Child Loop BB261_57 Depth 3
                                        ;       Child Loop BB261_60 Depth 3
	s_wait_dscnt 0x0
	v_dual_mov_b32 v6, s25 :: v_dual_mov_b32 v7, s25
	s_and_saveexec_b32 s6, s4
	s_delay_alu instid0(SALU_CYCLE_1)
	s_xor_b32 s6, exec_lo, s6
	s_cbranch_execnz .LBB261_53
; %bb.45:                               ;   in Loop: Header=BB261_44 Depth=2
	s_and_not1_saveexec_b32 s9, s6
	s_cbranch_execnz .LBB261_54
.LBB261_46:                             ;   in Loop: Header=BB261_44 Depth=2
	s_or_b32 exec_lo, exec_lo, s9
	s_and_saveexec_b32 s6, s1
.LBB261_47:                             ;   in Loop: Header=BB261_44 Depth=2
	ds_store_b64 v61, v[38:39]
.LBB261_48:                             ;   in Loop: Header=BB261_44 Depth=2
	s_or_b32 exec_lo, exec_lo, s6
	ds_bpermute_b32 v8, v63, v6
	ds_bpermute_b32 v9, v63, v7
	s_wait_storecnt_dscnt 0x0
	s_barrier_signal -1
	s_barrier_wait -1
	v_add_f64_e32 v[6:7], v[6:7], v[8:9]
	ds_bpermute_b32 v8, v3, v6
	ds_bpermute_b32 v9, v3, v7
	s_wait_dscnt 0x0
	v_add_f64_e32 v[6:7], v[6:7], v[8:9]
	ds_bpermute_b32 v8, v18, v6
	ds_bpermute_b32 v9, v18, v7
	s_wait_dscnt 0x0
	;; [unrolled: 4-line block ×3, first 2 shown]
	v_add_f64_e32 v[6:7], v[6:7], v[8:9]
	ds_bpermute_b32 v8, v20, v6
	ds_bpermute_b32 v9, v20, v7
	s_and_saveexec_b32 s6, s3
	s_cbranch_execz .LBB261_50
; %bb.49:                               ;   in Loop: Header=BB261_44 Depth=2
	s_wait_dscnt 0x0
	v_add_f64_e32 v[6:7], v[6:7], v[8:9]
	ds_store_b64 v62, v[6:7]
.LBB261_50:                             ;   in Loop: Header=BB261_44 Depth=2
	s_or_b32 exec_lo, exec_lo, s6
	v_mov_b64_e32 v[6:7], 0
	s_wait_dscnt 0x0
	s_barrier_signal -1
	s_barrier_wait -1
	s_and_saveexec_b32 s6, s2
	s_cbranch_execnz .LBB261_62
; %bb.51:                               ;   in Loop: Header=BB261_44 Depth=2
	s_or_b32 exec_lo, exec_lo, s6
	s_and_saveexec_b32 s6, s1
	s_cbranch_execnz .LBB261_63
.LBB261_52:                             ;   in Loop: Header=BB261_44 Depth=2
	s_or_b32 exec_lo, exec_lo, s6
	s_and_saveexec_b32 s6, s0
	s_cbranch_execz .LBB261_43
	s_branch .LBB261_64
.LBB261_53:                             ;   in Loop: Header=BB261_44 Depth=2
	s_mul_u64 s[8:9], s[24:25], s[26:27]
	s_delay_alu instid0(SALU_CYCLE_1)
	v_lshl_add_u64 v[14:15], s[8:9], 3, v[42:43]
	flat_load_b128 v[6:9], v[14:15]
	s_clause 0x1
	flat_load_b64 v[10:11], v[44:45]
	flat_load_b64 v[12:13], v[46:47]
	flat_load_b128 v[22:25], v[14:15] offset:16
	s_clause 0x1
	flat_load_b64 v[14:15], v[48:49]
	flat_load_b64 v[16:17], v[50:51]
	s_wait_loadcnt_dscnt 0x404
	v_fma_f64 v[6:7], v[10:11], v[6:7], 0
	s_wait_loadcnt_dscnt 0x303
	s_delay_alu instid0(VALU_DEP_1) | instskip(SKIP_1) | instid1(VALU_DEP_1)
	v_fmac_f64_e32 v[6:7], v[12:13], v[8:9]
	s_wait_loadcnt_dscnt 0x101
	v_fmac_f64_e32 v[6:7], v[14:15], v[22:23]
	s_wait_loadcnt_dscnt 0x0
	s_delay_alu instid0(VALU_DEP_1)
	v_fmac_f64_e32 v[6:7], v[16:17], v[24:25]
	s_wait_xcnt 0x0
	s_and_not1_saveexec_b32 s9, s6
	s_cbranch_execz .LBB261_46
.LBB261_54:                             ;   in Loop: Header=BB261_44 Depth=2
	s_and_saveexec_b32 s11, s5
	s_cbranch_execz .LBB261_61
; %bb.55:                               ;   in Loop: Header=BB261_44 Depth=2
	s_and_not1_b32 vcc_lo, exec_lo, s64
	s_cbranch_vccnz .LBB261_58
; %bb.56:                               ;   in Loop: Header=BB261_44 Depth=2
	v_mov_b64_e32 v[8:9], v[52:53]
	s_mov_b64 s[58:59], 0
.LBB261_57:                             ;   Parent Loop BB261_3 Depth=1
                                        ;     Parent Loop BB261_44 Depth=2
                                        ; =>    This Inner Loop Header: Depth=3
	flat_load_b64 v[22:23], v[8:9]
	s_cmp_eq_u32 s58, 3
	s_wait_xcnt 0x0
	v_add_nc_u64_e32 v[8:9], s[46:47], v[8:9]
	s_cselect_b32 vcc_lo, -1, 0
	s_cmp_eq_u32 s58, 2
	s_cselect_b32 s6, -1, 0
	s_cmp_eq_u32 s58, 1
	s_cselect_b32 s7, -1, 0
	s_cmp_eq_u32 s58, 0
	s_add_nc_u64 s[58:59], s[58:59], 1
	s_cselect_b32 s8, -1, 0
	s_cmp_eq_u32 s62, s58
	s_wait_loadcnt_dscnt 0x0
	v_dual_cndmask_b32 v17, v17, v23 :: v_dual_cndmask_b32 v16, v16, v22
	v_dual_cndmask_b32 v15, v15, v23, s6 :: v_dual_cndmask_b32 v14, v14, v22, s6
	v_dual_cndmask_b32 v13, v13, v23, s7 :: v_dual_cndmask_b32 v12, v12, v22, s7
	;; [unrolled: 1-line block ×3, first 2 shown]
	s_cbranch_scc0 .LBB261_57
.LBB261_58:                             ;   in Loop: Header=BB261_44 Depth=2
	s_and_not1_b32 vcc_lo, exec_lo, s64
	s_cbranch_vccnz .LBB261_61
; %bb.59:                               ;   in Loop: Header=BB261_44 Depth=2
	v_mov_b64_e32 v[8:9], v[4:5]
	s_mov_b64 s[6:7], 0
.LBB261_60:                             ;   Parent Loop BB261_3 Depth=1
                                        ;     Parent Loop BB261_44 Depth=2
                                        ; =>    This Inner Loop Header: Depth=3
	flat_load_b64 v[22:23], v[8:9]
	s_cmp_eq_u32 s6, 1
	s_wait_xcnt 0x0
	v_add_nc_u64_e32 v[8:9], 8, v[8:9]
	s_cselect_b32 vcc_lo, -1, 0
	s_cmp_eq_u32 s6, 2
	v_dual_cndmask_b32 v21, v11, v13 :: v_dual_cndmask_b32 v24, v10, v12
	s_cselect_b32 vcc_lo, -1, 0
	s_cmp_eq_u32 s6, 3
	s_add_nc_u64 s[6:7], s[6:7], 1
	s_delay_alu instid0(VALU_DEP_1) | instskip(SKIP_2) | instid1(VALU_DEP_1)
	v_dual_cndmask_b32 v21, v21, v15 :: v_dual_cndmask_b32 v24, v24, v14
	s_cselect_b32 vcc_lo, -1, 0
	s_cmp_lg_u32 s62, s6
	v_dual_cndmask_b32 v25, v21, v17 :: v_dual_cndmask_b32 v24, v24, v16
	s_wait_loadcnt_dscnt 0x0
	s_delay_alu instid0(VALU_DEP_1)
	v_fmac_f64_e32 v[6:7], v[24:25], v[22:23]
	s_cbranch_scc1 .LBB261_60
.LBB261_61:                             ;   in Loop: Header=BB261_44 Depth=2
	s_or_b32 exec_lo, exec_lo, s11
	s_delay_alu instid0(SALU_CYCLE_1)
	s_or_b32 exec_lo, exec_lo, s9
	s_and_saveexec_b32 s6, s1
	s_cbranch_execnz .LBB261_47
	s_branch .LBB261_48
.LBB261_62:                             ;   in Loop: Header=BB261_44 Depth=2
	ds_load_b64 v[6:7], v61
	s_or_b32 exec_lo, exec_lo, s6
	s_and_saveexec_b32 s6, s1
	s_cbranch_execz .LBB261_52
.LBB261_63:                             ;   in Loop: Header=BB261_44 Depth=2
	s_wait_dscnt 0x0
	ds_bpermute_b32 v8, v18, v6
	ds_bpermute_b32 v9, v18, v7
	s_wait_dscnt 0x0
	v_add_f64_e32 v[6:7], v[6:7], v[8:9]
	ds_bpermute_b32 v8, v19, v6
	ds_bpermute_b32 v9, v19, v7
	s_wait_dscnt 0x0
	v_add_f64_e32 v[6:7], v[6:7], v[8:9]
	ds_bpermute_b32 v8, v20, v6
	ds_bpermute_b32 v9, v20, v7
	s_wait_dscnt 0x0
	v_add_f64_e32 v[6:7], v[6:7], v[8:9]
	s_or_b32 exec_lo, exec_lo, s6
	s_and_saveexec_b32 s6, s0
	s_cbranch_execz .LBB261_43
.LBB261_64:                             ;   in Loop: Header=BB261_44 Depth=2
	s_wait_dscnt 0x0
	s_delay_alu instid0(VALU_DEP_1) | instskip(SKIP_1) | instid1(SALU_CYCLE_1)
	v_mul_f64_e32 v[6:7], v[40:41], v[6:7]
	s_mul_u64 s[8:9], s[24:25], s[34:35]
	s_lshl_b64 s[8:9], s[8:9], 3
	s_delay_alu instid0(SALU_CYCLE_1)
	s_add_nc_u64 s[8:9], s[56:57], s[8:9]
	global_store_b64 v2, v[6:7], s[8:9]
	s_branch .LBB261_43
.LBB261_65:
	s_sendmsg sendmsg(MSG_DEALLOC_VGPRS)
	s_endpgm
	.section	.rodata,"a",@progbits
	.p2align	6, 0x0
	.amdhsa_kernel _ZL23rocblas_gemvt_sn_kernelILb0ELi256ELi4ElPKdS1_dEviiT4_lPKT3_lilS5_lilPT5_i
		.amdhsa_group_segment_fixed_size 256
		.amdhsa_private_segment_fixed_size 0
		.amdhsa_kernarg_size 360
		.amdhsa_user_sgpr_count 2
		.amdhsa_user_sgpr_dispatch_ptr 0
		.amdhsa_user_sgpr_queue_ptr 0
		.amdhsa_user_sgpr_kernarg_segment_ptr 1
		.amdhsa_user_sgpr_dispatch_id 0
		.amdhsa_user_sgpr_kernarg_preload_length 0
		.amdhsa_user_sgpr_kernarg_preload_offset 0
		.amdhsa_user_sgpr_private_segment_size 0
		.amdhsa_wavefront_size32 1
		.amdhsa_uses_dynamic_stack 0
		.amdhsa_enable_private_segment 0
		.amdhsa_system_sgpr_workgroup_id_x 1
		.amdhsa_system_sgpr_workgroup_id_y 0
		.amdhsa_system_sgpr_workgroup_id_z 1
		.amdhsa_system_sgpr_workgroup_info 0
		.amdhsa_system_vgpr_workitem_id 0
		.amdhsa_next_free_vgpr 96
		.amdhsa_next_free_sgpr 70
		.amdhsa_named_barrier_count 0
		.amdhsa_reserve_vcc 1
		.amdhsa_float_round_mode_32 0
		.amdhsa_float_round_mode_16_64 0
		.amdhsa_float_denorm_mode_32 3
		.amdhsa_float_denorm_mode_16_64 3
		.amdhsa_fp16_overflow 0
		.amdhsa_memory_ordered 1
		.amdhsa_forward_progress 1
		.amdhsa_inst_pref_size 28
		.amdhsa_round_robin_scheduling 0
		.amdhsa_exception_fp_ieee_invalid_op 0
		.amdhsa_exception_fp_denorm_src 0
		.amdhsa_exception_fp_ieee_div_zero 0
		.amdhsa_exception_fp_ieee_overflow 0
		.amdhsa_exception_fp_ieee_underflow 0
		.amdhsa_exception_fp_ieee_inexact 0
		.amdhsa_exception_int_div_zero 0
	.end_amdhsa_kernel
	.section	.text._ZL23rocblas_gemvt_sn_kernelILb0ELi256ELi4ElPKdS1_dEviiT4_lPKT3_lilS5_lilPT5_i,"axG",@progbits,_ZL23rocblas_gemvt_sn_kernelILb0ELi256ELi4ElPKdS1_dEviiT4_lPKT3_lilS5_lilPT5_i,comdat
.Lfunc_end261:
	.size	_ZL23rocblas_gemvt_sn_kernelILb0ELi256ELi4ElPKdS1_dEviiT4_lPKT3_lilS5_lilPT5_i, .Lfunc_end261-_ZL23rocblas_gemvt_sn_kernelILb0ELi256ELi4ElPKdS1_dEviiT4_lPKT3_lilS5_lilPT5_i
                                        ; -- End function
	.set _ZL23rocblas_gemvt_sn_kernelILb0ELi256ELi4ElPKdS1_dEviiT4_lPKT3_lilS5_lilPT5_i.num_vgpr, 96
	.set _ZL23rocblas_gemvt_sn_kernelILb0ELi256ELi4ElPKdS1_dEviiT4_lPKT3_lilS5_lilPT5_i.num_agpr, 0
	.set _ZL23rocblas_gemvt_sn_kernelILb0ELi256ELi4ElPKdS1_dEviiT4_lPKT3_lilS5_lilPT5_i.numbered_sgpr, 70
	.set _ZL23rocblas_gemvt_sn_kernelILb0ELi256ELi4ElPKdS1_dEviiT4_lPKT3_lilS5_lilPT5_i.num_named_barrier, 0
	.set _ZL23rocblas_gemvt_sn_kernelILb0ELi256ELi4ElPKdS1_dEviiT4_lPKT3_lilS5_lilPT5_i.private_seg_size, 0
	.set _ZL23rocblas_gemvt_sn_kernelILb0ELi256ELi4ElPKdS1_dEviiT4_lPKT3_lilS5_lilPT5_i.uses_vcc, 1
	.set _ZL23rocblas_gemvt_sn_kernelILb0ELi256ELi4ElPKdS1_dEviiT4_lPKT3_lilS5_lilPT5_i.uses_flat_scratch, 1
	.set _ZL23rocblas_gemvt_sn_kernelILb0ELi256ELi4ElPKdS1_dEviiT4_lPKT3_lilS5_lilPT5_i.has_dyn_sized_stack, 0
	.set _ZL23rocblas_gemvt_sn_kernelILb0ELi256ELi4ElPKdS1_dEviiT4_lPKT3_lilS5_lilPT5_i.has_recursion, 0
	.set _ZL23rocblas_gemvt_sn_kernelILb0ELi256ELi4ElPKdS1_dEviiT4_lPKT3_lilS5_lilPT5_i.has_indirect_call, 0
	.section	.AMDGPU.csdata,"",@progbits
; Kernel info:
; codeLenInByte = 3556
; TotalNumSgprs: 72
; NumVgprs: 96
; ScratchSize: 0
; MemoryBound: 1
; FloatMode: 240
; IeeeMode: 1
; LDSByteSize: 256 bytes/workgroup (compile time only)
; SGPRBlocks: 0
; VGPRBlocks: 5
; NumSGPRsForWavesPerEU: 72
; NumVGPRsForWavesPerEU: 96
; NamedBarCnt: 0
; Occupancy: 10
; WaveLimiterHint : 0
; COMPUTE_PGM_RSRC2:SCRATCH_EN: 0
; COMPUTE_PGM_RSRC2:USER_SGPR: 2
; COMPUTE_PGM_RSRC2:TRAP_HANDLER: 0
; COMPUTE_PGM_RSRC2:TGID_X_EN: 1
; COMPUTE_PGM_RSRC2:TGID_Y_EN: 0
; COMPUTE_PGM_RSRC2:TGID_Z_EN: 1
; COMPUTE_PGM_RSRC2:TIDIG_COMP_CNT: 0
	.section	.text._ZL23rocblas_gemvt_sn_reduceILi256ELi8EdPKdKPdEviT2_lPT3_lilPT1_i,"axG",@progbits,_ZL23rocblas_gemvt_sn_reduceILi256ELi8EdPKdKPdEviT2_lPT3_lilPT1_i,comdat
	.globl	_ZL23rocblas_gemvt_sn_reduceILi256ELi8EdPKdKPdEviT2_lPT3_lilPT1_i ; -- Begin function _ZL23rocblas_gemvt_sn_reduceILi256ELi8EdPKdKPdEviT2_lPT3_lilPT1_i
	.p2align	8
	.type	_ZL23rocblas_gemvt_sn_reduceILi256ELi8EdPKdKPdEviT2_lPT3_lilPT1_i,@function
_ZL23rocblas_gemvt_sn_reduceILi256ELi8EdPKdKPdEviT2_lPT3_lilPT1_i: ; @_ZL23rocblas_gemvt_sn_reduceILi256ELi8EdPKdKPdEviT2_lPT3_lilPT1_i
; %bb.0:
	s_load_b32 s28, s[0:1], 0x40
	s_bfe_u32 s2, ttmp6, 0x40014
	s_lshr_b32 s3, ttmp7, 16
	s_add_co_i32 s2, s2, 1
	s_bfe_u32 s5, ttmp6, 0x40008
	s_mul_i32 s4, s3, s2
	s_getreg_b32 s2, hwreg(HW_REG_IB_STS2, 6, 4)
	s_add_co_i32 s5, s5, s4
	s_cmp_eq_u32 s2, 0
	s_mov_b32 s7, 0
	s_cselect_b32 s6, s3, s5
	s_wait_kmcnt 0x0
	s_cmp_ge_u32 s6, s28
	s_cbranch_scc1 .LBB262_21
; %bb.1:
	s_clause 0x5
	s_load_b32 s16, s[0:1], 0x0
	s_load_b32 s29, s[0:1], 0x4c
	;; [unrolled: 1-line block ×4, first 2 shown]
	s_load_b64 s[18:19], s[0:1], 0x38
	s_load_b256 s[8:15], s[0:1], 0x8
	v_mbcnt_lo_u32_b32 v6, -1, 0
	s_wait_xcnt 0x0
	s_bfe_u32 s0, ttmp6, 0x40010
	v_dual_mov_b32 v3, 0 :: v_dual_lshlrev_b32 v14, 3, v0
	v_and_b32_e32 v1, 31, v0
	v_cmp_gt_u32_e32 vcc_lo, 24, v6
	s_and_b32 s1, ttmp7, 0xffff
	s_add_co_i32 s5, s0, 1
	s_bfe_u32 s4, ttmp6, 0x40004
	s_mul_i32 s5, s1, s5
	v_cndmask_b32_e64 v4, 0, 8, vcc_lo
	v_cmp_gt_u32_e32 vcc_lo, 28, v6
	s_add_co_i32 s4, s4, s5
	v_cmp_gt_u32_e64 s0, 32, v0
	v_mov_b32_e32 v5, v3
	v_add_lshl_u32 v17, v4, v6, 2
	v_cndmask_b32_e64 v7, 0, 4, vcc_lo
	v_cmp_gt_u32_e32 vcc_lo, 30, v6
	v_dual_lshlrev_b32 v4, 6, v0 :: v_dual_lshlrev_b32 v15, 3, v1
	s_wait_kmcnt 0x0
	s_ashr_i32 s17, s16, 31
	s_ashr_i32 s23, s22, 31
	s_cmp_eq_u32 s2, 0
	v_cndmask_b32_e64 v8, 0, 2, vcc_lo
	s_cselect_b32 s20, s1, s4
	s_lshr_b32 s1, s17, 29
	v_cmp_ne_u32_e32 vcc_lo, 31, v6
	v_add_nc_u64_e32 v[4:5], s[18:19], v[4:5]
	s_add_co_i32 s1, s16, s1
	v_add_lshl_u32 v18, v7, v6, 2
	s_and_b32 s30, s1, -8
	v_add_co_ci_u32_e64 v9, null, 0, v6, vcc_lo
	v_lshrrev_b32_e32 v7, 2, v0
	s_sub_co_i32 s2, s16, s30
	v_xad_u32 v2, v0, -1, s16
	s_and_b32 s24, s3, 0xffff
	v_cmp_gt_u32_e64 s2, s2, v0
	v_cmp_eq_u32_e64 s3, 0, v1
	v_cmp_gt_u32_e64 s4, 8, v0
	v_cmp_eq_u32_e64 s5, 0, v0
	v_add_nc_u64_e32 v[0:1], 56, v[4:5]
	v_mov_b64_e32 v[4:5], 0
	s_mov_b32 s21, s7
	v_cmp_gt_i32_e64 s1, s30, v14
	v_lshl_or_b32 v16, v6, 2, 64
	v_add_lshl_u32 v19, v8, v6, 2
	v_dual_lshlrev_b32 v20, 2, v9 :: v_dual_bitop2_b32 v21, 56, v7 bitop3:0x40
	s_mul_u64 s[26:27], s[22:23], s[20:21]
	s_mul_i32 s21, s6, s29
	s_lshl_b32 s31, s24, 3
	s_lshl_b64 s[22:23], s[16:17], 3
	s_add_co_i32 s21, s20, s21
	s_lshl_b32 s33, s29, 16
	s_lshl_b32 s24, s24, 6
	s_mov_b32 s25, s7
	s_lshl_b64 s[14:15], s[14:15], 3
	s_lshl_b64 s[26:27], s[26:27], 3
	s_branch .LBB262_4
.LBB262_2:                              ;   in Loop: Header=BB262_4 Depth=1
	s_wait_dscnt 0x0
	flat_store_b64 v[8:9], v[10:11]
.LBB262_3:                              ;   in Loop: Header=BB262_4 Depth=1
	s_wait_xcnt 0x0
	s_or_b32 exec_lo, exec_lo, s34
	s_add_co_i32 s6, s6, 0x10000
	s_add_co_i32 s21, s21, s33
	s_cmp_lt_u32 s6, s28
	s_cbranch_scc0 .LBB262_21
.LBB262_4:                              ; =>This Loop Header: Depth=1
                                        ;     Child Loop BB262_14 Depth 2
	s_wait_dscnt 0x0
	v_mov_b32_e32 v10, s6
	s_mul_u64 s[34:35], s[10:11], s[6:7]
	s_delay_alu instid0(SALU_CYCLE_1) | instskip(NEXT) | instid1(SALU_CYCLE_1)
	s_lshl_b64 s[34:35], s[34:35], 3
	s_add_nc_u64 s[34:35], s[8:9], s[34:35]
	global_load_b64 v[8:9], v10, s[12:13] scale_offset
	global_load_b64 v[6:7], v3, s[34:35]
	s_wait_xcnt 0x1
	v_mov_b64_e32 v[10:11], 0
	s_wait_xcnt 0x0
	s_and_saveexec_b32 s34, s1
	s_cbranch_execnz .LBB262_13
; %bb.5:                                ;   in Loop: Header=BB262_4 Depth=1
	s_or_b32 exec_lo, exec_lo, s34
	s_and_saveexec_b32 s34, s2
	s_cbranch_execnz .LBB262_16
.LBB262_6:                              ;   in Loop: Header=BB262_4 Depth=1
	s_or_b32 exec_lo, exec_lo, s34
	s_and_saveexec_b32 s34, s0
.LBB262_7:                              ;   in Loop: Header=BB262_4 Depth=1
	ds_store_b64 v15, v[4:5]
.LBB262_8:                              ;   in Loop: Header=BB262_4 Depth=1
	s_or_b32 exec_lo, exec_lo, s34
	ds_bpermute_b32 v12, v16, v10
	ds_bpermute_b32 v13, v16, v11
	s_wait_loadcnt_dscnt 0x0
	s_barrier_signal -1
	s_barrier_wait -1
	v_add_f64_e32 v[10:11], v[10:11], v[12:13]
	ds_bpermute_b32 v12, v17, v10
	ds_bpermute_b32 v13, v17, v11
	s_wait_dscnt 0x0
	v_add_f64_e32 v[10:11], v[10:11], v[12:13]
	ds_bpermute_b32 v12, v18, v10
	ds_bpermute_b32 v13, v18, v11
	s_wait_dscnt 0x0
	;; [unrolled: 4-line block ×3, first 2 shown]
	v_add_f64_e32 v[10:11], v[10:11], v[12:13]
	ds_bpermute_b32 v12, v20, v10
	ds_bpermute_b32 v13, v20, v11
	s_and_saveexec_b32 s34, s3
	s_cbranch_execz .LBB262_10
; %bb.9:                                ;   in Loop: Header=BB262_4 Depth=1
	s_wait_dscnt 0x0
	v_add_f64_e32 v[10:11], v[10:11], v[12:13]
	ds_store_b64 v21, v[10:11]
.LBB262_10:                             ;   in Loop: Header=BB262_4 Depth=1
	s_or_b32 exec_lo, exec_lo, s34
	v_mov_b64_e32 v[10:11], 0
	s_wait_dscnt 0x0
	s_barrier_signal -1
	s_barrier_wait -1
	s_and_saveexec_b32 s34, s4
	s_cbranch_execnz .LBB262_17
; %bb.11:                               ;   in Loop: Header=BB262_4 Depth=1
	s_or_b32 exec_lo, exec_lo, s34
	s_and_saveexec_b32 s34, s0
	s_cbranch_execnz .LBB262_18
.LBB262_12:                             ;   in Loop: Header=BB262_4 Depth=1
	s_or_b32 exec_lo, exec_lo, s34
	s_and_saveexec_b32 s34, s5
	s_cbranch_execz .LBB262_3
	s_branch .LBB262_19
.LBB262_13:                             ;   in Loop: Header=BB262_4 Depth=1
	v_mad_nc_u64_u32 v[12:13], s22, s21, v[0:1]
	v_mov_b64_e32 v[10:11], 0
	v_mov_b32_e32 v22, v14
	s_mov_b32 s35, 0
	s_delay_alu instid0(VALU_DEP_3)
	v_mad_u32 v13, s23, s21, v13
.LBB262_14:                             ;   Parent Loop BB262_4 Depth=1
                                        ; =>  This Inner Loop Header: Depth=2
	s_clause 0x3
	global_load_b128 v[24:27], v[12:13], off offset:-56
	global_load_b128 v[28:31], v[12:13], off offset:-40
	;; [unrolled: 1-line block ×4, first 2 shown]
	s_wait_xcnt 0x0
	v_add_nc_u64_e32 v[12:13], s[24:25], v[12:13]
	v_add_nc_u32_e32 v22, s31, v22
	s_delay_alu instid0(VALU_DEP_1) | instskip(SKIP_3) | instid1(VALU_DEP_1)
	v_cmp_le_i32_e32 vcc_lo, s30, v22
	s_or_b32 s35, vcc_lo, s35
	s_wait_loadcnt 0x3
	v_add_f64_e32 v[10:11], v[10:11], v[24:25]
	v_add_f64_e32 v[10:11], v[10:11], v[26:27]
	s_wait_loadcnt 0x2
	s_delay_alu instid0(VALU_DEP_1) | instskip(NEXT) | instid1(VALU_DEP_1)
	v_add_f64_e32 v[10:11], v[10:11], v[28:29]
	v_add_f64_e32 v[10:11], v[10:11], v[30:31]
	s_wait_loadcnt 0x1
	s_delay_alu instid0(VALU_DEP_1) | instskip(NEXT) | instid1(VALU_DEP_1)
	;; [unrolled: 4-line block ×3, first 2 shown]
	v_add_f64_e32 v[10:11], v[10:11], v[36:37]
	v_add_f64_e32 v[10:11], v[10:11], v[38:39]
	s_and_not1_b32 exec_lo, exec_lo, s35
	s_cbranch_execnz .LBB262_14
; %bb.15:                               ;   in Loop: Header=BB262_4 Depth=1
	s_or_b32 exec_lo, exec_lo, s35
	s_delay_alu instid0(SALU_CYCLE_1)
	s_or_b32 exec_lo, exec_lo, s34
	s_and_saveexec_b32 s34, s2
	s_cbranch_execz .LBB262_6
.LBB262_16:                             ;   in Loop: Header=BB262_4 Depth=1
	s_mul_i32 s35, s29, s6
	s_mov_b32 s37, s7
	s_add_co_i32 s36, s35, s20
	s_delay_alu instid0(SALU_CYCLE_1) | instskip(NEXT) | instid1(SALU_CYCLE_1)
	s_mul_u64 s[36:37], s[36:37], s[16:17]
	s_lshl_b64 s[36:37], s[36:37], 3
	s_delay_alu instid0(SALU_CYCLE_1) | instskip(NEXT) | instid1(SALU_CYCLE_1)
	s_add_nc_u64 s[36:37], s[18:19], s[36:37]
	v_lshl_add_u64 v[12:13], v[2:3], 3, s[36:37]
	global_load_b64 v[12:13], v[12:13], off
	s_wait_loadcnt 0x0
	v_add_f64_e32 v[10:11], v[10:11], v[12:13]
	s_wait_xcnt 0x0
	s_or_b32 exec_lo, exec_lo, s34
	s_and_saveexec_b32 s34, s0
	s_cbranch_execnz .LBB262_7
	s_branch .LBB262_8
.LBB262_17:                             ;   in Loop: Header=BB262_4 Depth=1
	ds_load_b64 v[10:11], v15
	s_or_b32 exec_lo, exec_lo, s34
	s_and_saveexec_b32 s34, s0
	s_cbranch_execz .LBB262_12
.LBB262_18:                             ;   in Loop: Header=BB262_4 Depth=1
	s_wait_dscnt 0x0
	ds_bpermute_b32 v12, v18, v10
	ds_bpermute_b32 v13, v18, v11
	s_wait_dscnt 0x0
	v_add_f64_e32 v[10:11], v[10:11], v[12:13]
	ds_bpermute_b32 v12, v19, v10
	ds_bpermute_b32 v13, v19, v11
	s_wait_dscnt 0x0
	v_add_f64_e32 v[10:11], v[10:11], v[12:13]
	;; [unrolled: 4-line block ×3, first 2 shown]
	s_or_b32 exec_lo, exec_lo, s34
	s_and_saveexec_b32 s34, s5
	s_cbranch_execz .LBB262_3
.LBB262_19:                             ;   in Loop: Header=BB262_4 Depth=1
	v_cmp_eq_f64_e32 vcc_lo, 0, v[6:7]
	v_add_nc_u64_e32 v[8:9], s[14:15], v[8:9]
	s_delay_alu instid0(VALU_DEP_1)
	v_add_nc_u64_e32 v[8:9], s[26:27], v[8:9]
	s_cbranch_vccnz .LBB262_2
; %bb.20:                               ;   in Loop: Header=BB262_4 Depth=1
	flat_load_b64 v[12:13], v[8:9]
	s_wait_loadcnt_dscnt 0x0
	v_fmac_f64_e32 v[10:11], v[6:7], v[12:13]
	s_branch .LBB262_2
.LBB262_21:
	s_endpgm
	.section	.rodata,"a",@progbits
	.p2align	6, 0x0
	.amdhsa_kernel _ZL23rocblas_gemvt_sn_reduceILi256ELi8EdPKdKPdEviT2_lPT3_lilPT1_i
		.amdhsa_group_segment_fixed_size 256
		.amdhsa_private_segment_fixed_size 0
		.amdhsa_kernarg_size 328
		.amdhsa_user_sgpr_count 2
		.amdhsa_user_sgpr_dispatch_ptr 0
		.amdhsa_user_sgpr_queue_ptr 0
		.amdhsa_user_sgpr_kernarg_segment_ptr 1
		.amdhsa_user_sgpr_dispatch_id 0
		.amdhsa_user_sgpr_kernarg_preload_length 0
		.amdhsa_user_sgpr_kernarg_preload_offset 0
		.amdhsa_user_sgpr_private_segment_size 0
		.amdhsa_wavefront_size32 1
		.amdhsa_uses_dynamic_stack 0
		.amdhsa_enable_private_segment 0
		.amdhsa_system_sgpr_workgroup_id_x 1
		.amdhsa_system_sgpr_workgroup_id_y 1
		.amdhsa_system_sgpr_workgroup_id_z 1
		.amdhsa_system_sgpr_workgroup_info 0
		.amdhsa_system_vgpr_workitem_id 0
		.amdhsa_next_free_vgpr 40
		.amdhsa_next_free_sgpr 38
		.amdhsa_named_barrier_count 0
		.amdhsa_reserve_vcc 1
		.amdhsa_float_round_mode_32 0
		.amdhsa_float_round_mode_16_64 0
		.amdhsa_float_denorm_mode_32 3
		.amdhsa_float_denorm_mode_16_64 3
		.amdhsa_fp16_overflow 0
		.amdhsa_memory_ordered 1
		.amdhsa_forward_progress 1
		.amdhsa_inst_pref_size 10
		.amdhsa_round_robin_scheduling 0
		.amdhsa_exception_fp_ieee_invalid_op 0
		.amdhsa_exception_fp_denorm_src 0
		.amdhsa_exception_fp_ieee_div_zero 0
		.amdhsa_exception_fp_ieee_overflow 0
		.amdhsa_exception_fp_ieee_underflow 0
		.amdhsa_exception_fp_ieee_inexact 0
		.amdhsa_exception_int_div_zero 0
	.end_amdhsa_kernel
	.section	.text._ZL23rocblas_gemvt_sn_reduceILi256ELi8EdPKdKPdEviT2_lPT3_lilPT1_i,"axG",@progbits,_ZL23rocblas_gemvt_sn_reduceILi256ELi8EdPKdKPdEviT2_lPT3_lilPT1_i,comdat
.Lfunc_end262:
	.size	_ZL23rocblas_gemvt_sn_reduceILi256ELi8EdPKdKPdEviT2_lPT3_lilPT1_i, .Lfunc_end262-_ZL23rocblas_gemvt_sn_reduceILi256ELi8EdPKdKPdEviT2_lPT3_lilPT1_i
                                        ; -- End function
	.set _ZL23rocblas_gemvt_sn_reduceILi256ELi8EdPKdKPdEviT2_lPT3_lilPT1_i.num_vgpr, 40
	.set _ZL23rocblas_gemvt_sn_reduceILi256ELi8EdPKdKPdEviT2_lPT3_lilPT1_i.num_agpr, 0
	.set _ZL23rocblas_gemvt_sn_reduceILi256ELi8EdPKdKPdEviT2_lPT3_lilPT1_i.numbered_sgpr, 38
	.set _ZL23rocblas_gemvt_sn_reduceILi256ELi8EdPKdKPdEviT2_lPT3_lilPT1_i.num_named_barrier, 0
	.set _ZL23rocblas_gemvt_sn_reduceILi256ELi8EdPKdKPdEviT2_lPT3_lilPT1_i.private_seg_size, 0
	.set _ZL23rocblas_gemvt_sn_reduceILi256ELi8EdPKdKPdEviT2_lPT3_lilPT1_i.uses_vcc, 1
	.set _ZL23rocblas_gemvt_sn_reduceILi256ELi8EdPKdKPdEviT2_lPT3_lilPT1_i.uses_flat_scratch, 0
	.set _ZL23rocblas_gemvt_sn_reduceILi256ELi8EdPKdKPdEviT2_lPT3_lilPT1_i.has_dyn_sized_stack, 0
	.set _ZL23rocblas_gemvt_sn_reduceILi256ELi8EdPKdKPdEviT2_lPT3_lilPT1_i.has_recursion, 0
	.set _ZL23rocblas_gemvt_sn_reduceILi256ELi8EdPKdKPdEviT2_lPT3_lilPT1_i.has_indirect_call, 0
	.section	.AMDGPU.csdata,"",@progbits
; Kernel info:
; codeLenInByte = 1228
; TotalNumSgprs: 40
; NumVgprs: 40
; ScratchSize: 0
; MemoryBound: 1
; FloatMode: 240
; IeeeMode: 1
; LDSByteSize: 256 bytes/workgroup (compile time only)
; SGPRBlocks: 0
; VGPRBlocks: 2
; NumSGPRsForWavesPerEU: 40
; NumVGPRsForWavesPerEU: 40
; NamedBarCnt: 0
; Occupancy: 16
; WaveLimiterHint : 1
; COMPUTE_PGM_RSRC2:SCRATCH_EN: 0
; COMPUTE_PGM_RSRC2:USER_SGPR: 2
; COMPUTE_PGM_RSRC2:TRAP_HANDLER: 0
; COMPUTE_PGM_RSRC2:TGID_X_EN: 1
; COMPUTE_PGM_RSRC2:TGID_Y_EN: 1
; COMPUTE_PGM_RSRC2:TGID_Z_EN: 1
; COMPUTE_PGM_RSRC2:TIDIG_COMP_CNT: 0
	.section	.text._ZL23rocblas_gemvt_sn_kernelILb0ELi256ELi4EiPKdddEviiT4_lPKT3_lilS5_lilPT5_i,"axG",@progbits,_ZL23rocblas_gemvt_sn_kernelILb0ELi256ELi4EiPKdddEviiT4_lPKT3_lilS5_lilPT5_i,comdat
	.globl	_ZL23rocblas_gemvt_sn_kernelILb0ELi256ELi4EiPKdddEviiT4_lPKT3_lilS5_lilPT5_i ; -- Begin function _ZL23rocblas_gemvt_sn_kernelILb0ELi256ELi4EiPKdddEviiT4_lPKT3_lilS5_lilPT5_i
	.p2align	8
	.type	_ZL23rocblas_gemvt_sn_kernelILb0ELi256ELi4EiPKdddEviiT4_lPKT3_lilS5_lilPT5_i,@function
_ZL23rocblas_gemvt_sn_kernelILb0ELi256ELi4EiPKdddEviiT4_lPKT3_lilS5_lilPT5_i: ; @_ZL23rocblas_gemvt_sn_kernelILb0ELi256ELi4EiPKdddEviiT4_lPKT3_lilS5_lilPT5_i
; %bb.0:
	s_load_b32 s33, s[0:1], 0x60
	s_bfe_u32 s2, ttmp6, 0x40014
	s_lshr_b32 s3, ttmp7, 16
	s_add_co_i32 s2, s2, 1
	s_bfe_u32 s5, ttmp6, 0x40008
	s_mul_i32 s2, s3, s2
	s_getreg_b32 s4, hwreg(HW_REG_IB_STS2, 6, 4)
	s_add_co_i32 s5, s5, s2
	s_cmp_eq_u32 s4, 0
	s_mov_b32 s25, 0
	s_cselect_b32 s10, s3, s5
	s_wait_kmcnt 0x0
	s_cmp_ge_u32 s10, s33
	s_cbranch_scc1 .LBB263_67
; %bb.1:
	s_clause 0x6
	s_load_b128 s[12:15], s[0:1], 0x0
	s_load_b128 s[16:19], s[0:1], 0x18
	s_load_b32 s26, s[0:1], 0x28
	s_load_b128 s[20:23], s[0:1], 0x38
	s_load_b32 s60, s[0:1], 0x48
	s_load_b64 s[28:29], s[0:1], 0x58
	s_load_b32 s30, s[0:1], 0x68
	s_wait_xcnt 0x0
	v_cmp_eq_u32_e64 s0, 0, v0
	s_mov_b32 s31, s25
	v_dual_lshrrev_b32 v3, 2, v0 :: v_dual_bitop2_b32 v1, 31, v0 bitop3:0x40
	v_cmp_gt_u32_e64 s1, 32, v0
	v_cmp_gt_u32_e64 s2, 8, v0
	v_mbcnt_lo_u32_b32 v52, -1, 0
	v_mov_b64_e32 v[34:35], 0
	v_dual_mov_b32 v2, 0 :: v_dual_lshlrev_b32 v50, 3, v1
	v_cmp_eq_u32_e64 s3, 0, v1
	s_delay_alu instid0(VALU_DEP_4)
	v_lshl_or_b32 v53, v52, 2, 64
	s_mov_b32 s35, s25
	s_wait_kmcnt 0x0
	s_ashr_i32 s5, s13, 31
	s_cmp_gt_i32 s13, 0
	v_cmp_eq_f64_e64 s62, s[14:15], 0
	s_cselect_b32 s6, -1, 0
	s_bfe_u32 s7, ttmp6, 0x4000c
	s_and_b32 s8, ttmp6, 15
	s_add_co_i32 s7, s7, 1
	s_and_b32 s61, s0, s6
	s_mul_i32 s7, ttmp9, s7
	s_mov_b32 s27, s25
	s_add_co_i32 s8, s8, s7
	s_cmp_eq_u32 s4, 0
	s_mov_b32 s4, s13
	s_cselect_b32 s34, ttmp9, s8
	s_ashr_i32 s7, s12, 31
	s_mul_u64 s[38:39], s[4:5], s[30:31]
	s_lshr_b32 s4, s7, 30
	s_lshl_b32 s6, s34, 10
	s_add_co_i32 s4, s12, s4
	v_lshl_or_b32 v0, v0, 2, s6
	s_and_b32 s4, s4, -4
	v_and_b32_e32 v51, 56, v3
	s_sub_co_i32 s64, s12, s4
	s_lshr_b32 s5, s5, 30
	v_dual_add_nc_u32 v3, 4, v0 :: v_dual_add_nc_u32 v4, s64, v0
	s_add_co_i32 s5, s13, s5
	v_mul_lo_u32 v26, s60, v0
	s_and_b32 s63, s5, -4
	s_delay_alu instid0(VALU_DEP_2)
	v_cmp_ge_i32_e64 s4, s12, v3
	v_cmp_ge_i32_e64 s5, s12, v4
	v_cmp_neq_f64_e64 s12, s[14:15], 0
	s_cmp_gt_i32 s63, 0
	v_ashrrev_i32_e32 v1, 31, v0
	s_cselect_b32 s65, -1, 0
	s_cmp_gt_i32 s64, 0
	s_mov_b32 s37, s25
	s_cselect_b32 s66, -1, 0
	v_dual_add_nc_u32 v28, s60, v26 :: v_dual_ashrrev_i32 v27, 31, v26
	s_lshl_b32 s24, s26, 1
	s_lshl_b64 s[40:41], s[30:31], 3
	s_mov_b64 s[42:43], s[24:25]
	s_delay_alu instid0(VALU_DEP_1) | instskip(SKIP_3) | instid1(VALU_DEP_1)
	v_dual_add_nc_u32 v30, s60, v28 :: v_dual_ashrrev_i32 v29, 31, v28
	s_mul_i32 s24, s26, 3
	s_lshl_b32 s36, s26, 2
	s_mov_b64 s[44:45], s[24:25]
	v_dual_add_nc_u32 v32, s60, v30 :: v_dual_ashrrev_i32 v31, 31, v30
	s_lshl_b64 s[18:19], s[18:19], 3
	s_lshl_b64 s[22:23], s[22:23], 3
	;; [unrolled: 1-line block ×3, first 2 shown]
	s_delay_alu instid0(VALU_DEP_1)
	v_ashrrev_i32_e32 v33, 31, v32
	s_branch .LBB263_3
.LBB263_2:                              ;   in Loop: Header=BB263_3 Depth=1
	s_add_co_i32 s10, s10, 0x10000
	s_delay_alu instid0(SALU_CYCLE_1)
	s_cmp_lt_u32 s10, s33
	s_cbranch_scc0 .LBB263_67
.LBB263_3:                              ; =>This Loop Header: Depth=1
                                        ;     Child Loop BB263_10 Depth 2
                                        ;     Child Loop BB263_16 Depth 2
                                        ;       Child Loop BB263_22 Depth 3
                                        ;       Child Loop BB263_25 Depth 3
	;; [unrolled: 1-line block ×3, first 2 shown]
                                        ;     Child Loop BB263_46 Depth 2
                                        ;       Child Loop BB263_59 Depth 3
                                        ;       Child Loop BB263_62 Depth 3
	s_mov_b32 s11, s25
	s_and_not1_b32 vcc_lo, exec_lo, s62
	s_mov_b32 s6, -1
	s_cbranch_vccz .LBB263_40
; %bb.4:                                ;   in Loop: Header=BB263_3 Depth=1
	v_mov_b64_e32 v[36:37], 0
	s_wait_dscnt 0x0
	v_mov_b64_e32 v[4:5], 0
	s_and_not1_b32 vcc_lo, exec_lo, s6
	s_cbranch_vccz .LBB263_41
.LBB263_5:                              ;   in Loop: Header=BB263_3 Depth=1
	s_and_not1_b32 vcc_lo, exec_lo, s12
	s_cbranch_vccnz .LBB263_7
.LBB263_6:                              ;   in Loop: Header=BB263_3 Depth=1
	s_wait_xcnt 0x0
	s_lshl_b64 s[6:7], s[10:11], 3
	s_delay_alu instid0(SALU_CYCLE_1)
	s_add_nc_u64 s[6:7], s[20:21], s[6:7]
	global_load_b64 v[6:7], v2, s[6:7]
	s_wait_loadcnt 0x0
	v_add_nc_u64_e32 v[36:37], s[22:23], v[6:7]
.LBB263_7:                              ;   in Loop: Header=BB263_3 Depth=1
	s_wait_xcnt 0x0
	s_mul_u64 s[6:7], s[38:39], s[10:11]
	s_and_not1_b32 vcc_lo, exec_lo, s62
	s_lshl_b64 s[6:7], s[6:7], 3
	s_delay_alu instid0(SALU_CYCLE_1)
	s_add_nc_u64 s[48:49], s[28:29], s[6:7]
	s_mov_b32 s6, -1
	s_cbranch_vccnz .LBB263_12
; %bb.8:                                ;   in Loop: Header=BB263_3 Depth=1
	s_and_saveexec_b32 s8, s61
	s_cbranch_execz .LBB263_11
; %bb.9:                                ;   in Loop: Header=BB263_3 Depth=1
	s_add_nc_u64 s[6:7], s[48:49], s[46:47]
	s_mov_b32 s9, s13
.LBB263_10:                             ;   Parent Loop BB263_3 Depth=1
                                        ; =>  This Inner Loop Header: Depth=2
	s_delay_alu instid0(SALU_CYCLE_1)
	s_add_co_i32 s9, s9, -1
	global_store_b64 v2, v[34:35], s[6:7]
	s_cmp_eq_u32 s9, 0
	s_wait_xcnt 0x0
	s_add_nc_u64 s[6:7], s[6:7], s[40:41]
	s_cbranch_scc0 .LBB263_10
.LBB263_11:                             ;   in Loop: Header=BB263_3 Depth=1
	s_or_b32 exec_lo, exec_lo, s8
	s_mov_b32 s6, 0
.LBB263_12:                             ;   in Loop: Header=BB263_3 Depth=1
	s_delay_alu instid0(SALU_CYCLE_1)
	s_and_not1_b32 vcc_lo, exec_lo, s6
	s_cbranch_vccnz .LBB263_2
; %bb.13:                               ;   in Loop: Header=BB263_3 Depth=1
	v_lshlrev_b64_e32 v[6:7], 3, v[0:1]
	v_lshl_add_u64 v[38:39], v[0:1], 3, v[4:5]
	v_lshl_add_u64 v[40:41], v[26:27], 3, v[36:37]
	;; [unrolled: 1-line block ×5, first 2 shown]
	v_cmp_gt_u32_e64 s9, 24, v52
	v_add_nc_u64_e32 v[48:49], v[4:5], v[6:7]
	v_cmp_gt_u32_e64 s8, 28, v52
	v_cmp_gt_u32_e64 s7, 30, v52
	v_cmp_ne_u32_e64 s6, 31, v52
	s_and_not1_b32 vcc_lo, exec_lo, s65
	s_cbranch_vccnz .LBB263_42
; %bb.14:                               ;   in Loop: Header=BB263_3 Depth=1
	v_cndmask_b32_e64 v3, 0, 8, s9
	v_cndmask_b32_e64 v10, 0, 4, s8
	;; [unrolled: 1-line block ×3, first 2 shown]
	v_add_co_ci_u32_e64 v12, null, 0, v52, s6
	v_dual_mov_b32 v7, v2 :: v_dual_mov_b32 v8, v2
	s_delay_alu instid0(VALU_DEP_2)
	v_dual_mov_b32 v9, v2 :: v_dual_lshlrev_b32 v57, 2, v12
	v_add_lshl_u32 v54, v3, v52, 2
	v_dual_mov_b32 v3, v2 :: v_dual_mov_b32 v4, v2
	v_dual_mov_b32 v5, v2 :: v_dual_mov_b32 v6, v2
	v_add_lshl_u32 v55, v10, v52, 2
	v_add_lshl_u32 v56, v11, v52, 2
	v_mov_b64_e32 v[16:17], v[8:9]
	s_delay_alu instid0(VALU_DEP_4)
	v_mov_b64_e32 v[12:13], v[4:5]
	v_mov_b64_e32 v[14:15], v[6:7]
	;; [unrolled: 1-line block ×3, first 2 shown]
	s_mov_b32 s50, 0
	s_mov_b64 s[52:53], s[44:45]
	s_mov_b64 s[54:55], s[42:43]
	;; [unrolled: 1-line block ×3, first 2 shown]
	s_mov_b32 s24, s50
	s_branch .LBB263_16
.LBB263_15:                             ;   in Loop: Header=BB263_16 Depth=2
	s_wait_xcnt 0x0
	s_or_b32 exec_lo, exec_lo, s6
	s_add_co_i32 s24, s24, 4
	s_add_co_i32 s50, s50, s36
	s_add_nc_u64 s[56:57], s[56:57], s[36:37]
	s_add_nc_u64 s[54:55], s[54:55], s[36:37]
	s_cmp_ge_i32 s24, s63
	s_add_nc_u64 s[52:53], s[52:53], s[36:37]
	s_cbranch_scc1 .LBB263_43
.LBB263_16:                             ;   Parent Loop BB263_3 Depth=1
                                        ; =>  This Loop Header: Depth=2
                                        ;       Child Loop BB263_22 Depth 3
                                        ;       Child Loop BB263_25 Depth 3
	;; [unrolled: 1-line block ×3, first 2 shown]
                                        ; implicit-def: $vgpr18_vgpr19_vgpr20_vgpr21_vgpr22_vgpr23_vgpr24_vgpr25
	s_and_saveexec_b32 s6, s4
	s_delay_alu instid0(SALU_CYCLE_1)
	s_xor_b32 s6, exec_lo, s6
	s_cbranch_execz .LBB263_18
; %bb.17:                               ;   in Loop: Header=BB263_16 Depth=2
	s_mul_i32 s8, s24, s26
	s_delay_alu instid0(SALU_CYCLE_1)
	s_ashr_i32 s9, s8, 31
	s_add_co_i32 s58, s8, s26
	v_lshl_add_u64 v[8:9], s[8:9], 3, v[38:39]
	s_ashr_i32 s59, s58, 31
	s_add_co_i32 s8, s58, s26
	v_lshl_add_u64 v[16:17], s[58:59], 3, v[38:39]
	s_add_co_i32 s58, s8, s26
	s_ashr_i32 s9, s8, 31
	s_ashr_i32 s59, s58, 31
	v_lshl_add_u64 v[18:19], s[8:9], 3, v[38:39]
	v_lshl_add_u64 v[20:21], s[58:59], 3, v[38:39]
	flat_load_b64 v[10:11], v[40:41]
	s_clause 0x3
	flat_load_b128 v[4:7], v[8:9]
	flat_load_b128 v[58:61], v[16:17]
	;; [unrolled: 1-line block ×4, first 2 shown]
	s_clause 0x1
	flat_load_b64 v[12:13], v[42:43]
	flat_load_b64 v[14:15], v[44:45]
	s_clause 0x3
	flat_load_b128 v[70:73], v[8:9] offset:16
	flat_load_b128 v[74:77], v[16:17] offset:16
	;; [unrolled: 1-line block ×4, first 2 shown]
	flat_load_b64 v[16:17], v[46:47]
	s_wait_loadcnt_dscnt 0xa0a
	s_wait_xcnt 0x2
	v_fma_f64 v[18:19], v[10:11], v[4:5], 0
	s_wait_loadcnt_dscnt 0x909
	s_wait_xcnt 0x1
	v_fma_f64 v[20:21], v[10:11], v[58:59], 0
	s_wait_loadcnt_dscnt 0x808
	v_fma_f64 v[22:23], v[10:11], v[62:63], 0
	s_wait_loadcnt_dscnt 0x707
	v_fma_f64 v[24:25], v[10:11], v[66:67], 0
	s_wait_loadcnt_dscnt 0x606
	s_delay_alu instid0(VALU_DEP_4) | instskip(NEXT) | instid1(VALU_DEP_4)
	v_fmac_f64_e32 v[18:19], v[12:13], v[6:7]
	v_fmac_f64_e32 v[20:21], v[12:13], v[60:61]
	s_delay_alu instid0(VALU_DEP_4) | instskip(NEXT) | instid1(VALU_DEP_4)
	v_fmac_f64_e32 v[22:23], v[12:13], v[64:65]
	v_fmac_f64_e32 v[24:25], v[12:13], v[68:69]
	s_wait_loadcnt_dscnt 0x404
	s_delay_alu instid0(VALU_DEP_4) | instskip(SKIP_1) | instid1(VALU_DEP_4)
	v_fmac_f64_e32 v[18:19], v[14:15], v[70:71]
	s_wait_loadcnt_dscnt 0x303
	v_fmac_f64_e32 v[20:21], v[14:15], v[74:75]
	s_wait_loadcnt_dscnt 0x202
	s_delay_alu instid0(VALU_DEP_4) | instskip(SKIP_1) | instid1(VALU_DEP_4)
	v_fmac_f64_e32 v[22:23], v[14:15], v[78:79]
	s_wait_loadcnt_dscnt 0x101
	v_fmac_f64_e32 v[24:25], v[14:15], v[82:83]
	s_wait_loadcnt_dscnt 0x0
	s_delay_alu instid0(VALU_DEP_4) | instskip(NEXT) | instid1(VALU_DEP_4)
	v_fmac_f64_e32 v[18:19], v[16:17], v[72:73]
	v_fmac_f64_e32 v[20:21], v[16:17], v[76:77]
	s_delay_alu instid0(VALU_DEP_4) | instskip(NEXT) | instid1(VALU_DEP_4)
	v_fmac_f64_e32 v[22:23], v[16:17], v[80:81]
	v_fmac_f64_e32 v[24:25], v[16:17], v[84:85]
.LBB263_18:                             ;   in Loop: Header=BB263_16 Depth=2
	s_wait_xcnt 0x0
	s_and_not1_saveexec_b32 s11, s6
	s_cbranch_execz .LBB263_28
; %bb.19:                               ;   in Loop: Header=BB263_16 Depth=2
	v_dual_mov_b32 v7, v2 :: v_dual_mov_b32 v8, v2
	v_dual_mov_b32 v9, v2 :: v_dual_mov_b32 v3, v2
	;; [unrolled: 1-line block ×3, first 2 shown]
	v_mov_b32_e32 v6, v2
	s_delay_alu instid0(VALU_DEP_3) | instskip(NEXT) | instid1(VALU_DEP_4)
	v_mov_b64_e32 v[24:25], v[8:9]
	v_mov_b64_e32 v[18:19], v[2:3]
	s_delay_alu instid0(VALU_DEP_4) | instskip(NEXT) | instid1(VALU_DEP_4)
	v_mov_b64_e32 v[20:21], v[4:5]
	v_mov_b64_e32 v[22:23], v[6:7]
	s_and_saveexec_b32 s35, s5
	s_cbranch_execz .LBB263_27
; %bb.20:                               ;   in Loop: Header=BB263_16 Depth=2
	s_and_not1_b32 vcc_lo, exec_lo, s66
	s_cbranch_vccnz .LBB263_23
; %bb.21:                               ;   in Loop: Header=BB263_16 Depth=2
	v_mov_b32_e32 v3, v26
	s_mov_b64 s[58:59], 0
.LBB263_22:                             ;   Parent Loop BB263_3 Depth=1
                                        ;     Parent Loop BB263_16 Depth=2
                                        ; =>    This Inner Loop Header: Depth=3
	v_readfirstlane_b32 s6, v36
	v_readfirstlane_b32 s7, v37
	s_cmp_eq_u32 s58, 3
	s_cselect_b32 vcc_lo, -1, 0
	s_cmp_eq_u32 s58, 2
	flat_load_b64 v[4:5], v3, s[6:7] scale_offset
	s_wait_xcnt 0x0
	s_cselect_b32 s6, -1, 0
	s_cmp_eq_u32 s58, 1
	v_add_nc_u32_e32 v3, s60, v3
	s_cselect_b32 s7, -1, 0
	s_cmp_eq_u32 s58, 0
	s_add_nc_u64 s[58:59], s[58:59], 1
	s_cselect_b32 s8, -1, 0
	s_cmp_eq_u32 s64, s58
	s_wait_loadcnt_dscnt 0x0
	v_dual_cndmask_b32 v17, v17, v5 :: v_dual_cndmask_b32 v16, v16, v4
	v_dual_cndmask_b32 v15, v15, v5, s6 :: v_dual_cndmask_b32 v14, v14, v4, s6
	v_dual_cndmask_b32 v13, v13, v5, s7 :: v_dual_cndmask_b32 v12, v12, v4, s7
	;; [unrolled: 1-line block ×3, first 2 shown]
	s_cbranch_scc0 .LBB263_22
.LBB263_23:                             ;   in Loop: Header=BB263_16 Depth=2
	s_and_not1_b32 vcc_lo, exec_lo, s66
	s_cbranch_vccnz .LBB263_26
; %bb.24:                               ;   in Loop: Header=BB263_16 Depth=2
	s_ashr_i32 s51, s50, 31
	v_mov_b64_e32 v[18:19], 0
	v_mov_b64_e32 v[20:21], 0
	;; [unrolled: 1-line block ×4, first 2 shown]
	v_lshl_add_u64 v[4:5], s[50:51], 3, v[48:49]
	s_mov_b64 s[8:9], 0
.LBB263_25:                             ;   Parent Loop BB263_3 Depth=1
                                        ;     Parent Loop BB263_16 Depth=2
                                        ; =>    This Inner Loop Header: Depth=3
	s_delay_alu instid0(SALU_CYCLE_1)
	s_cmp_eq_u32 s8, 1
	s_cselect_b32 vcc_lo, -1, 0
	s_cmp_eq_u32 s8, 2
	v_dual_cndmask_b32 v3, v11, v13 :: v_dual_cndmask_b32 v62, v10, v12
	s_cselect_b32 s6, -1, 0
	s_cmp_eq_u32 s8, 3
	s_cselect_b32 s7, -1, 0
	s_add_co_i32 s58, s56, s8
	s_add_co_i32 s68, s54, s8
	;; [unrolled: 1-line block ×3, first 2 shown]
	s_ashr_i32 s59, s58, 31
	s_ashr_i32 s69, s68, 31
	;; [unrolled: 1-line block ×3, first 2 shown]
	s_wait_xcnt 0x2
	v_lshl_add_u64 v[6:7], s[58:59], 3, v[38:39]
	s_wait_xcnt 0x1
	v_lshl_add_u64 v[8:9], s[68:69], 3, v[38:39]
	;; [unrolled: 2-line block ×3, first 2 shown]
	flat_load_b64 v[60:61], v[4:5]
	s_clause 0x2
	flat_load_b64 v[6:7], v[6:7]
	flat_load_b64 v[8:9], v[8:9]
	;; [unrolled: 1-line block ×3, first 2 shown]
	v_dual_cndmask_b32 v3, v3, v15, s6 :: v_dual_cndmask_b32 v62, v62, v14, s6
	s_wait_xcnt 0x3
	v_add_nc_u64_e32 v[4:5], 8, v[4:5]
	s_add_nc_u64 s[8:9], s[8:9], 1
	s_delay_alu instid0(VALU_DEP_2) | instskip(SKIP_2) | instid1(VALU_DEP_1)
	v_dual_cndmask_b32 v63, v3, v17, s7 :: v_dual_cndmask_b32 v62, v62, v16, s7
	s_cmp_lg_u32 s64, s8
	s_wait_loadcnt_dscnt 0x303
	v_fmac_f64_e32 v[18:19], v[62:63], v[60:61]
	s_wait_loadcnt_dscnt 0x202
	v_fmac_f64_e32 v[20:21], v[62:63], v[6:7]
	;; [unrolled: 2-line block ×4, first 2 shown]
	s_cbranch_scc1 .LBB263_25
	s_branch .LBB263_27
.LBB263_26:                             ;   in Loop: Header=BB263_16 Depth=2
	v_dual_mov_b32 v7, v2 :: v_dual_mov_b32 v8, v2
	v_dual_mov_b32 v9, v2 :: v_dual_mov_b32 v3, v2
	;; [unrolled: 1-line block ×3, first 2 shown]
	v_mov_b32_e32 v6, v2
	s_delay_alu instid0(VALU_DEP_3) | instskip(NEXT) | instid1(VALU_DEP_4)
	v_mov_b64_e32 v[24:25], v[8:9]
	v_mov_b64_e32 v[18:19], v[2:3]
	s_delay_alu instid0(VALU_DEP_4) | instskip(NEXT) | instid1(VALU_DEP_4)
	v_mov_b64_e32 v[20:21], v[4:5]
	v_mov_b64_e32 v[22:23], v[6:7]
.LBB263_27:                             ;   in Loop: Header=BB263_16 Depth=2
	s_wait_xcnt 0x0
	s_or_b32 exec_lo, exec_lo, s35
.LBB263_28:                             ;   in Loop: Header=BB263_16 Depth=2
	s_delay_alu instid0(SALU_CYCLE_1)
	s_or_b32 exec_lo, exec_lo, s11
	s_mov_b64 s[6:7], 0
	s_branch .LBB263_30
.LBB263_29:                             ;   in Loop: Header=BB263_30 Depth=3
	s_or_b32 exec_lo, exec_lo, s8
	s_cmp_eq_u32 s6, 3
	s_cselect_b32 vcc_lo, -1, 0
	s_cmp_eq_u32 s6, 2
	s_wait_dscnt 0x0
	s_delay_alu instid0(VALU_DEP_1)
	v_dual_cndmask_b32 v25, v25, v5 :: v_dual_cndmask_b32 v24, v24, v4
	s_cselect_b32 vcc_lo, -1, 0
	s_cmp_eq_u32 s6, 1
	v_dual_cndmask_b32 v23, v23, v5 :: v_dual_cndmask_b32 v22, v22, v4
	s_cselect_b32 vcc_lo, -1, 0
	s_cmp_eq_u32 s6, 0
	v_dual_cndmask_b32 v21, v21, v5 :: v_dual_cndmask_b32 v20, v20, v4
	s_cselect_b32 vcc_lo, -1, 0
	s_add_nc_u64 s[6:7], s[6:7], 1
	v_dual_cndmask_b32 v19, v19, v5 :: v_dual_cndmask_b32 v18, v18, v4
	s_cmp_eq_u32 s6, 4
	s_cbranch_scc1 .LBB263_38
.LBB263_30:                             ;   Parent Loop BB263_3 Depth=1
                                        ;     Parent Loop BB263_16 Depth=2
                                        ; =>    This Inner Loop Header: Depth=3
	s_and_saveexec_b32 s8, s1
; %bb.31:                               ;   in Loop: Header=BB263_30 Depth=3
	ds_store_b64 v50, v[34:35]
; %bb.32:                               ;   in Loop: Header=BB263_30 Depth=3
	s_or_b32 exec_lo, exec_lo, s8
	s_cmp_eq_u32 s6, 1
	s_wait_storecnt_dscnt 0x0
	s_cselect_b32 vcc_lo, -1, 0
	s_cmp_eq_u32 s6, 2
	v_dual_cndmask_b32 v3, v19, v21 :: v_dual_cndmask_b32 v4, v18, v20
	s_cselect_b32 vcc_lo, -1, 0
	s_cmp_eq_u32 s6, 3
	s_barrier_signal -1
	s_delay_alu instid0(VALU_DEP_1) | instskip(SKIP_2) | instid1(VALU_DEP_1)
	v_dual_cndmask_b32 v3, v3, v23 :: v_dual_cndmask_b32 v4, v4, v22
	s_cselect_b32 vcc_lo, -1, 0
	s_barrier_wait -1
	v_dual_cndmask_b32 v5, v3, v25 :: v_dual_cndmask_b32 v4, v4, v24
	ds_bpermute_b32 v7, v53, v5
	ds_bpermute_b32 v6, v53, v4
	s_wait_dscnt 0x0
	v_add_f64_e32 v[4:5], v[4:5], v[6:7]
	ds_bpermute_b32 v6, v54, v4
	ds_bpermute_b32 v7, v54, v5
	s_wait_dscnt 0x0
	v_add_f64_e32 v[4:5], v[4:5], v[6:7]
	;; [unrolled: 4-line block ×4, first 2 shown]
	ds_bpermute_b32 v6, v57, v4
	ds_bpermute_b32 v7, v57, v5
	s_and_saveexec_b32 s8, s3
	s_cbranch_execz .LBB263_34
; %bb.33:                               ;   in Loop: Header=BB263_30 Depth=3
	s_wait_dscnt 0x0
	v_add_f64_e32 v[4:5], v[4:5], v[6:7]
	ds_store_b64 v51, v[4:5]
.LBB263_34:                             ;   in Loop: Header=BB263_30 Depth=3
	s_or_b32 exec_lo, exec_lo, s8
	v_mov_b64_e32 v[4:5], 0
	s_wait_dscnt 0x0
	s_barrier_signal -1
	s_barrier_wait -1
	s_and_saveexec_b32 s8, s2
; %bb.35:                               ;   in Loop: Header=BB263_30 Depth=3
	ds_load_b64 v[4:5], v50
; %bb.36:                               ;   in Loop: Header=BB263_30 Depth=3
	s_or_b32 exec_lo, exec_lo, s8
	s_and_saveexec_b32 s8, s1
	s_cbranch_execz .LBB263_29
; %bb.37:                               ;   in Loop: Header=BB263_30 Depth=3
	s_wait_dscnt 0x0
	ds_bpermute_b32 v6, v55, v4
	ds_bpermute_b32 v7, v55, v5
	s_wait_dscnt 0x0
	v_add_f64_e32 v[4:5], v[4:5], v[6:7]
	ds_bpermute_b32 v6, v56, v4
	ds_bpermute_b32 v7, v56, v5
	s_wait_dscnt 0x0
	v_add_f64_e32 v[4:5], v[4:5], v[6:7]
	;; [unrolled: 4-line block ×3, first 2 shown]
	s_branch .LBB263_29
.LBB263_38:                             ;   in Loop: Header=BB263_16 Depth=2
	s_and_saveexec_b32 s6, s0
	s_cbranch_execz .LBB263_15
; %bb.39:                               ;   in Loop: Header=BB263_16 Depth=2
	s_mul_i32 s7, s24, s30
	s_delay_alu instid0(SALU_CYCLE_1) | instskip(NEXT) | instid1(SALU_CYCLE_1)
	s_add_co_i32 s7, s7, s34
	v_dual_mul_f64 v[4:5], s[14:15], v[18:19] :: v_dual_mov_b32 v3, s7
	s_add_co_i32 s8, s7, s30
	s_delay_alu instid0(SALU_CYCLE_1) | instskip(SKIP_1) | instid1(SALU_CYCLE_1)
	v_dual_mul_f64 v[6:7], s[14:15], v[20:21] :: v_dual_mov_b32 v20, s8
	s_add_co_i32 s7, s8, s30
	v_dual_mul_f64 v[8:9], s[14:15], v[22:23] :: v_dual_mov_b32 v21, s7
	s_add_co_i32 s8, s7, s30
	s_delay_alu instid0(SALU_CYCLE_1)
	v_dual_mul_f64 v[18:19], s[14:15], v[24:25] :: v_dual_mov_b32 v22, s8
	s_clause 0x3
	global_store_b64 v3, v[4:5], s[48:49] scale_offset
	global_store_b64 v20, v[6:7], s[48:49] scale_offset
	;; [unrolled: 1-line block ×4, first 2 shown]
	s_branch .LBB263_15
.LBB263_40:                             ;   in Loop: Header=BB263_3 Depth=1
	v_mov_b64_e32 v[36:37], 0
	s_wait_dscnt 0x0
	v_mov_b64_e32 v[4:5], 0
	s_cbranch_execnz .LBB263_5
.LBB263_41:                             ;   in Loop: Header=BB263_3 Depth=1
	s_lshl_b64 s[6:7], s[10:11], 3
	s_delay_alu instid0(SALU_CYCLE_1)
	s_add_nc_u64 s[6:7], s[16:17], s[6:7]
	global_load_b64 v[4:5], v2, s[6:7]
	s_wait_loadcnt 0x0
	v_add_nc_u64_e32 v[4:5], s[18:19], v[4:5]
	s_and_not1_b32 vcc_lo, exec_lo, s12
	s_cbranch_vccz .LBB263_6
	s_branch .LBB263_7
.LBB263_42:                             ;   in Loop: Header=BB263_3 Depth=1
	v_dual_mov_b32 v7, v2 :: v_dual_mov_b32 v8, v2
	v_dual_mov_b32 v9, v2 :: v_dual_mov_b32 v3, v2
	;; [unrolled: 1-line block ×3, first 2 shown]
	v_mov_b32_e32 v6, v2
	s_delay_alu instid0(VALU_DEP_3) | instskip(NEXT) | instid1(VALU_DEP_4)
	v_mov_b64_e32 v[16:17], v[8:9]
	v_mov_b64_e32 v[10:11], v[2:3]
	s_mov_b32 s24, 0
	v_mov_b64_e32 v[12:13], v[4:5]
	v_mov_b64_e32 v[14:15], v[6:7]
.LBB263_43:                             ;   in Loop: Header=BB263_3 Depth=1
	s_cmp_ge_i32 s24, s13
	s_cbranch_scc1 .LBB263_2
; %bb.44:                               ;   in Loop: Header=BB263_3 Depth=1
	v_cmp_gt_u32_e32 vcc_lo, 24, v52
	s_add_nc_u64 s[48:49], s[48:49], s[46:47]
	s_mul_i32 s50, s26, s24
	v_cndmask_b32_e64 v3, 0, 8, vcc_lo
	v_cmp_gt_u32_e32 vcc_lo, 28, v52
	s_delay_alu instid0(VALU_DEP_2) | instskip(SKIP_2) | instid1(VALU_DEP_2)
	v_add_lshl_u32 v3, v3, v52, 2
	v_cndmask_b32_e64 v4, 0, 4, vcc_lo
	v_cmp_gt_u32_e32 vcc_lo, 30, v52
	v_add_lshl_u32 v8, v4, v52, 2
	v_cndmask_b32_e64 v5, 0, 2, vcc_lo
	v_cmp_ne_u32_e32 vcc_lo, 31, v52
	s_delay_alu instid0(VALU_DEP_2) | instskip(SKIP_1) | instid1(VALU_DEP_1)
	v_add_lshl_u32 v9, v5, v52, 2
	v_add_co_ci_u32_e64 v6, null, 0, v52, vcc_lo
	v_lshlrev_b32_e32 v18, 2, v6
	s_branch .LBB263_46
.LBB263_45:                             ;   in Loop: Header=BB263_46 Depth=2
	s_wait_xcnt 0x0
	s_or_b32 exec_lo, exec_lo, s6
	s_add_co_i32 s24, s24, 1
	s_add_co_i32 s50, s50, s26
	s_cmp_ge_i32 s24, s13
	s_cbranch_scc1 .LBB263_2
.LBB263_46:                             ;   Parent Loop BB263_3 Depth=1
                                        ; =>  This Loop Header: Depth=2
                                        ;       Child Loop BB263_59 Depth 3
                                        ;       Child Loop BB263_62 Depth 3
	s_wait_dscnt 0x0
	v_dual_mov_b32 v4, s25 :: v_dual_mov_b32 v5, s25
	s_and_saveexec_b32 s6, s4
	s_delay_alu instid0(SALU_CYCLE_1)
	s_xor_b32 s6, exec_lo, s6
	s_cbranch_execnz .LBB263_55
; %bb.47:                               ;   in Loop: Header=BB263_46 Depth=2
	s_and_not1_saveexec_b32 s9, s6
	s_cbranch_execnz .LBB263_56
.LBB263_48:                             ;   in Loop: Header=BB263_46 Depth=2
	s_or_b32 exec_lo, exec_lo, s9
	s_and_saveexec_b32 s6, s1
.LBB263_49:                             ;   in Loop: Header=BB263_46 Depth=2
	ds_store_b64 v50, v[34:35]
.LBB263_50:                             ;   in Loop: Header=BB263_46 Depth=2
	s_or_b32 exec_lo, exec_lo, s6
	ds_bpermute_b32 v6, v53, v4
	ds_bpermute_b32 v7, v53, v5
	s_wait_storecnt_dscnt 0x0
	s_barrier_signal -1
	s_barrier_wait -1
	v_add_f64_e32 v[4:5], v[4:5], v[6:7]
	ds_bpermute_b32 v6, v3, v4
	ds_bpermute_b32 v7, v3, v5
	s_wait_dscnt 0x0
	v_add_f64_e32 v[4:5], v[4:5], v[6:7]
	ds_bpermute_b32 v6, v8, v4
	ds_bpermute_b32 v7, v8, v5
	s_wait_dscnt 0x0
	;; [unrolled: 4-line block ×3, first 2 shown]
	v_add_f64_e32 v[4:5], v[4:5], v[6:7]
	ds_bpermute_b32 v6, v18, v4
	ds_bpermute_b32 v7, v18, v5
	s_and_saveexec_b32 s6, s3
	s_cbranch_execz .LBB263_52
; %bb.51:                               ;   in Loop: Header=BB263_46 Depth=2
	s_wait_dscnt 0x0
	v_add_f64_e32 v[4:5], v[4:5], v[6:7]
	ds_store_b64 v51, v[4:5]
.LBB263_52:                             ;   in Loop: Header=BB263_46 Depth=2
	s_or_b32 exec_lo, exec_lo, s6
	v_mov_b64_e32 v[4:5], 0
	s_wait_dscnt 0x0
	s_barrier_signal -1
	s_barrier_wait -1
	s_and_saveexec_b32 s6, s2
	s_cbranch_execnz .LBB263_64
; %bb.53:                               ;   in Loop: Header=BB263_46 Depth=2
	s_or_b32 exec_lo, exec_lo, s6
	s_and_saveexec_b32 s6, s1
	s_cbranch_execnz .LBB263_65
.LBB263_54:                             ;   in Loop: Header=BB263_46 Depth=2
	s_or_b32 exec_lo, exec_lo, s6
	s_and_saveexec_b32 s6, s0
	s_cbranch_execz .LBB263_45
	s_branch .LBB263_66
.LBB263_55:                             ;   in Loop: Header=BB263_46 Depth=2
	s_mul_i32 s8, s24, s26
	s_delay_alu instid0(SALU_CYCLE_1) | instskip(NEXT) | instid1(SALU_CYCLE_1)
	s_ashr_i32 s9, s8, 31
	v_lshl_add_u64 v[24:25], s[8:9], 3, v[38:39]
	flat_load_b128 v[4:7], v[24:25]
	s_clause 0x1
	flat_load_b64 v[10:11], v[40:41]
	flat_load_b64 v[12:13], v[42:43]
	flat_load_b128 v[20:23], v[24:25] offset:16
	s_clause 0x1
	flat_load_b64 v[14:15], v[44:45]
	flat_load_b64 v[16:17], v[46:47]
	s_wait_loadcnt_dscnt 0x404
	v_fma_f64 v[4:5], v[10:11], v[4:5], 0
	s_wait_loadcnt_dscnt 0x303
	s_delay_alu instid0(VALU_DEP_1) | instskip(SKIP_1) | instid1(VALU_DEP_1)
	v_fmac_f64_e32 v[4:5], v[12:13], v[6:7]
	s_wait_loadcnt_dscnt 0x101
	v_fmac_f64_e32 v[4:5], v[14:15], v[20:21]
	s_wait_loadcnt_dscnt 0x0
	s_delay_alu instid0(VALU_DEP_1)
	v_fmac_f64_e32 v[4:5], v[16:17], v[22:23]
	s_wait_xcnt 0x0
	s_and_not1_saveexec_b32 s9, s6
	s_cbranch_execz .LBB263_48
.LBB263_56:                             ;   in Loop: Header=BB263_46 Depth=2
	s_and_saveexec_b32 s11, s5
	s_cbranch_execz .LBB263_63
; %bb.57:                               ;   in Loop: Header=BB263_46 Depth=2
	s_and_not1_b32 vcc_lo, exec_lo, s66
	s_cbranch_vccnz .LBB263_60
; %bb.58:                               ;   in Loop: Header=BB263_46 Depth=2
	v_mov_b32_e32 v6, v26
	s_mov_b64 s[52:53], 0
.LBB263_59:                             ;   Parent Loop BB263_3 Depth=1
                                        ;     Parent Loop BB263_46 Depth=2
                                        ; =>    This Inner Loop Header: Depth=3
	v_readfirstlane_b32 s6, v36
	v_readfirstlane_b32 s7, v37
	s_cmp_eq_u32 s52, 3
	s_cselect_b32 vcc_lo, -1, 0
	s_cmp_eq_u32 s52, 2
	flat_load_b64 v[20:21], v6, s[6:7] scale_offset
	s_wait_xcnt 0x0
	s_cselect_b32 s6, -1, 0
	s_cmp_eq_u32 s52, 1
	v_add_nc_u32_e32 v6, s60, v6
	s_cselect_b32 s7, -1, 0
	s_cmp_eq_u32 s52, 0
	s_add_nc_u64 s[52:53], s[52:53], 1
	s_cselect_b32 s8, -1, 0
	s_cmp_eq_u32 s64, s52
	s_wait_loadcnt_dscnt 0x0
	v_dual_cndmask_b32 v17, v17, v21 :: v_dual_cndmask_b32 v16, v16, v20
	v_dual_cndmask_b32 v15, v15, v21, s6 :: v_dual_cndmask_b32 v14, v14, v20, s6
	v_dual_cndmask_b32 v13, v13, v21, s7 :: v_dual_cndmask_b32 v12, v12, v20, s7
	;; [unrolled: 1-line block ×3, first 2 shown]
	s_cbranch_scc0 .LBB263_59
.LBB263_60:                             ;   in Loop: Header=BB263_46 Depth=2
	s_and_not1_b32 vcc_lo, exec_lo, s66
	s_cbranch_vccnz .LBB263_63
; %bb.61:                               ;   in Loop: Header=BB263_46 Depth=2
	s_ashr_i32 s51, s50, 31
	s_mov_b64 s[6:7], 0
	v_lshl_add_u64 v[6:7], s[50:51], 3, v[48:49]
.LBB263_62:                             ;   Parent Loop BB263_3 Depth=1
                                        ;     Parent Loop BB263_46 Depth=2
                                        ; =>    This Inner Loop Header: Depth=3
	flat_load_b64 v[20:21], v[6:7]
	s_cmp_eq_u32 s6, 1
	s_wait_xcnt 0x0
	v_add_nc_u64_e32 v[6:7], 8, v[6:7]
	s_cselect_b32 vcc_lo, -1, 0
	s_cmp_eq_u32 s6, 2
	v_dual_cndmask_b32 v19, v11, v13 :: v_dual_cndmask_b32 v22, v10, v12
	s_cselect_b32 vcc_lo, -1, 0
	s_cmp_eq_u32 s6, 3
	s_add_nc_u64 s[6:7], s[6:7], 1
	s_delay_alu instid0(VALU_DEP_1) | instskip(SKIP_2) | instid1(VALU_DEP_1)
	v_dual_cndmask_b32 v19, v19, v15 :: v_dual_cndmask_b32 v22, v22, v14
	s_cselect_b32 vcc_lo, -1, 0
	s_cmp_lg_u32 s64, s6
	v_dual_cndmask_b32 v23, v19, v17 :: v_dual_cndmask_b32 v22, v22, v16
	s_wait_loadcnt_dscnt 0x0
	s_delay_alu instid0(VALU_DEP_1)
	v_fmac_f64_e32 v[4:5], v[22:23], v[20:21]
	s_cbranch_scc1 .LBB263_62
.LBB263_63:                             ;   in Loop: Header=BB263_46 Depth=2
	s_or_b32 exec_lo, exec_lo, s11
	s_delay_alu instid0(SALU_CYCLE_1)
	s_or_b32 exec_lo, exec_lo, s9
	s_and_saveexec_b32 s6, s1
	s_cbranch_execnz .LBB263_49
	s_branch .LBB263_50
.LBB263_64:                             ;   in Loop: Header=BB263_46 Depth=2
	ds_load_b64 v[4:5], v50
	s_or_b32 exec_lo, exec_lo, s6
	s_and_saveexec_b32 s6, s1
	s_cbranch_execz .LBB263_54
.LBB263_65:                             ;   in Loop: Header=BB263_46 Depth=2
	s_wait_dscnt 0x0
	ds_bpermute_b32 v6, v8, v4
	ds_bpermute_b32 v7, v8, v5
	s_wait_dscnt 0x0
	v_add_f64_e32 v[4:5], v[4:5], v[6:7]
	ds_bpermute_b32 v6, v9, v4
	ds_bpermute_b32 v7, v9, v5
	s_wait_dscnt 0x0
	v_add_f64_e32 v[4:5], v[4:5], v[6:7]
	;; [unrolled: 4-line block ×3, first 2 shown]
	s_or_b32 exec_lo, exec_lo, s6
	s_and_saveexec_b32 s6, s0
	s_cbranch_execz .LBB263_45
.LBB263_66:                             ;   in Loop: Header=BB263_46 Depth=2
	s_wait_dscnt 0x0
	s_delay_alu instid0(VALU_DEP_1) | instskip(SKIP_1) | instid1(SALU_CYCLE_1)
	v_mul_f64_e32 v[4:5], s[14:15], v[4:5]
	s_mul_u64 s[8:9], s[24:25], s[30:31]
	s_lshl_b64 s[8:9], s[8:9], 3
	s_delay_alu instid0(SALU_CYCLE_1)
	s_add_nc_u64 s[8:9], s[48:49], s[8:9]
	global_store_b64 v2, v[4:5], s[8:9]
	s_branch .LBB263_45
.LBB263_67:
	s_sendmsg sendmsg(MSG_DEALLOC_VGPRS)
	s_endpgm
	.section	.rodata,"a",@progbits
	.p2align	6, 0x0
	.amdhsa_kernel _ZL23rocblas_gemvt_sn_kernelILb0ELi256ELi4EiPKdddEviiT4_lPKT3_lilS5_lilPT5_i
		.amdhsa_group_segment_fixed_size 256
		.amdhsa_private_segment_fixed_size 0
		.amdhsa_kernarg_size 360
		.amdhsa_user_sgpr_count 2
		.amdhsa_user_sgpr_dispatch_ptr 0
		.amdhsa_user_sgpr_queue_ptr 0
		.amdhsa_user_sgpr_kernarg_segment_ptr 1
		.amdhsa_user_sgpr_dispatch_id 0
		.amdhsa_user_sgpr_kernarg_preload_length 0
		.amdhsa_user_sgpr_kernarg_preload_offset 0
		.amdhsa_user_sgpr_private_segment_size 0
		.amdhsa_wavefront_size32 1
		.amdhsa_uses_dynamic_stack 0
		.amdhsa_enable_private_segment 0
		.amdhsa_system_sgpr_workgroup_id_x 1
		.amdhsa_system_sgpr_workgroup_id_y 0
		.amdhsa_system_sgpr_workgroup_id_z 1
		.amdhsa_system_sgpr_workgroup_info 0
		.amdhsa_system_vgpr_workitem_id 0
		.amdhsa_next_free_vgpr 86
		.amdhsa_next_free_sgpr 72
		.amdhsa_named_barrier_count 0
		.amdhsa_reserve_vcc 1
		.amdhsa_float_round_mode_32 0
		.amdhsa_float_round_mode_16_64 0
		.amdhsa_float_denorm_mode_32 3
		.amdhsa_float_denorm_mode_16_64 3
		.amdhsa_fp16_overflow 0
		.amdhsa_memory_ordered 1
		.amdhsa_forward_progress 1
		.amdhsa_inst_pref_size 29
		.amdhsa_round_robin_scheduling 0
		.amdhsa_exception_fp_ieee_invalid_op 0
		.amdhsa_exception_fp_denorm_src 0
		.amdhsa_exception_fp_ieee_div_zero 0
		.amdhsa_exception_fp_ieee_overflow 0
		.amdhsa_exception_fp_ieee_underflow 0
		.amdhsa_exception_fp_ieee_inexact 0
		.amdhsa_exception_int_div_zero 0
	.end_amdhsa_kernel
	.section	.text._ZL23rocblas_gemvt_sn_kernelILb0ELi256ELi4EiPKdddEviiT4_lPKT3_lilS5_lilPT5_i,"axG",@progbits,_ZL23rocblas_gemvt_sn_kernelILb0ELi256ELi4EiPKdddEviiT4_lPKT3_lilS5_lilPT5_i,comdat
.Lfunc_end263:
	.size	_ZL23rocblas_gemvt_sn_kernelILb0ELi256ELi4EiPKdddEviiT4_lPKT3_lilS5_lilPT5_i, .Lfunc_end263-_ZL23rocblas_gemvt_sn_kernelILb0ELi256ELi4EiPKdddEviiT4_lPKT3_lilS5_lilPT5_i
                                        ; -- End function
	.set _ZL23rocblas_gemvt_sn_kernelILb0ELi256ELi4EiPKdddEviiT4_lPKT3_lilS5_lilPT5_i.num_vgpr, 86
	.set _ZL23rocblas_gemvt_sn_kernelILb0ELi256ELi4EiPKdddEviiT4_lPKT3_lilS5_lilPT5_i.num_agpr, 0
	.set _ZL23rocblas_gemvt_sn_kernelILb0ELi256ELi4EiPKdddEviiT4_lPKT3_lilS5_lilPT5_i.numbered_sgpr, 72
	.set _ZL23rocblas_gemvt_sn_kernelILb0ELi256ELi4EiPKdddEviiT4_lPKT3_lilS5_lilPT5_i.num_named_barrier, 0
	.set _ZL23rocblas_gemvt_sn_kernelILb0ELi256ELi4EiPKdddEviiT4_lPKT3_lilS5_lilPT5_i.private_seg_size, 0
	.set _ZL23rocblas_gemvt_sn_kernelILb0ELi256ELi4EiPKdddEviiT4_lPKT3_lilS5_lilPT5_i.uses_vcc, 1
	.set _ZL23rocblas_gemvt_sn_kernelILb0ELi256ELi4EiPKdddEviiT4_lPKT3_lilS5_lilPT5_i.uses_flat_scratch, 1
	.set _ZL23rocblas_gemvt_sn_kernelILb0ELi256ELi4EiPKdddEviiT4_lPKT3_lilS5_lilPT5_i.has_dyn_sized_stack, 0
	.set _ZL23rocblas_gemvt_sn_kernelILb0ELi256ELi4EiPKdddEviiT4_lPKT3_lilS5_lilPT5_i.has_recursion, 0
	.set _ZL23rocblas_gemvt_sn_kernelILb0ELi256ELi4EiPKdddEviiT4_lPKT3_lilS5_lilPT5_i.has_indirect_call, 0
	.section	.AMDGPU.csdata,"",@progbits
; Kernel info:
; codeLenInByte = 3600
; TotalNumSgprs: 74
; NumVgprs: 86
; ScratchSize: 0
; MemoryBound: 1
; FloatMode: 240
; IeeeMode: 1
; LDSByteSize: 256 bytes/workgroup (compile time only)
; SGPRBlocks: 0
; VGPRBlocks: 5
; NumSGPRsForWavesPerEU: 74
; NumVGPRsForWavesPerEU: 86
; NamedBarCnt: 0
; Occupancy: 10
; WaveLimiterHint : 0
; COMPUTE_PGM_RSRC2:SCRATCH_EN: 0
; COMPUTE_PGM_RSRC2:USER_SGPR: 2
; COMPUTE_PGM_RSRC2:TRAP_HANDLER: 0
; COMPUTE_PGM_RSRC2:TGID_X_EN: 1
; COMPUTE_PGM_RSRC2:TGID_Y_EN: 0
; COMPUTE_PGM_RSRC2:TGID_Z_EN: 1
; COMPUTE_PGM_RSRC2:TIDIG_COMP_CNT: 0
	.section	.text._ZL23rocblas_gemvt_sn_kernelILb0ELi256ELi4ElPKdddEviiT4_lPKT3_lilS5_lilPT5_i,"axG",@progbits,_ZL23rocblas_gemvt_sn_kernelILb0ELi256ELi4ElPKdddEviiT4_lPKT3_lilS5_lilPT5_i,comdat
	.globl	_ZL23rocblas_gemvt_sn_kernelILb0ELi256ELi4ElPKdddEviiT4_lPKT3_lilS5_lilPT5_i ; -- Begin function _ZL23rocblas_gemvt_sn_kernelILb0ELi256ELi4ElPKdddEviiT4_lPKT3_lilS5_lilPT5_i
	.p2align	8
	.type	_ZL23rocblas_gemvt_sn_kernelILb0ELi256ELi4ElPKdddEviiT4_lPKT3_lilS5_lilPT5_i,@function
_ZL23rocblas_gemvt_sn_kernelILb0ELi256ELi4ElPKdddEviiT4_lPKT3_lilS5_lilPT5_i: ; @_ZL23rocblas_gemvt_sn_kernelILb0ELi256ELi4ElPKdddEviiT4_lPKT3_lilS5_lilPT5_i
; %bb.0:
	s_load_b32 s33, s[0:1], 0x60
	s_bfe_u32 s2, ttmp6, 0x40014
	s_lshr_b32 s4, ttmp7, 16
	s_add_co_i32 s2, s2, 1
	s_bfe_u32 s5, ttmp6, 0x40008
	s_mul_i32 s2, s4, s2
	s_getreg_b32 s3, hwreg(HW_REG_IB_STS2, 6, 4)
	s_add_co_i32 s5, s5, s2
	s_cmp_eq_u32 s3, 0
	s_mov_b32 s25, 0
	s_cselect_b32 s10, s4, s5
	s_wait_kmcnt 0x0
	s_cmp_ge_u32 s10, s33
	s_cbranch_scc1 .LBB264_67
; %bb.1:
	s_clause 0x6
	s_load_b32 s26, s[0:1], 0x28
	s_load_b32 s4, s[0:1], 0x48
	s_load_b128 s[12:15], s[0:1], 0x0
	s_load_b128 s[16:19], s[0:1], 0x18
	;; [unrolled: 1-line block ×3, first 2 shown]
	s_load_b64 s[28:29], s[0:1], 0x58
	s_load_b32 s30, s[0:1], 0x68
	s_wait_xcnt 0x0
	v_cmp_eq_u32_e64 s0, 0, v0
	s_mov_b32 s31, s25
	v_dual_lshrrev_b32 v3, 2, v0 :: v_dual_bitop2_b32 v1, 31, v0 bitop3:0x40
	v_cmp_gt_u32_e64 s1, 32, v0
	v_cmp_gt_u32_e64 s2, 8, v0
	s_delay_alu instid0(VALU_DEP_3) | instskip(SKIP_2) | instid1(VALU_DEP_2)
	v_dual_mov_b32 v2, 0 :: v_dual_lshlrev_b32 v59, 3, v1
	v_mbcnt_lo_u32_b32 v58, -1, 0
	v_mov_b64_e32 v[38:39], 0
	v_lshl_or_b32 v61, v58, 2, 64
	s_wait_kmcnt 0x0
	s_ashr_i32 s27, s26, 31
	s_ashr_i32 s5, s4, 31
	;; [unrolled: 1-line block ×3, first 2 shown]
	s_cmp_gt_i32 s13, 0
	v_cmp_eq_f64_e64 s55, s[14:15], 0
	s_cselect_b32 s6, -1, 0
	s_bfe_u32 s8, ttmp6, 0x4000c
	s_and_b32 s9, ttmp6, 15
	s_add_co_i32 s8, s8, 1
	s_and_b32 s54, s0, s6
	s_mul_i32 s8, ttmp9, s8
	s_mov_b32 s6, s13
	s_add_co_i32 s9, s9, s8
	s_cmp_eq_u32 s3, 0
	s_mul_u64 s[34:35], s[6:7], s[30:31]
	s_cselect_b32 s24, ttmp9, s9
	s_ashr_i32 s6, s12, 31
	s_lshl_b32 s3, s24, 10
	s_lshr_b32 s6, s6, 30
	v_lshl_or_b32 v0, v0, 2, s3
	v_and_b32_e32 v60, 56, v3
	s_add_co_i32 s6, s12, s6
	v_cmp_eq_u32_e64 s3, 0, v1
	s_and_b32 s6, s6, -4
	v_dual_add_nc_u32 v3, 4, v0 :: v_dual_bitop2_b32 v6, 2, v0 bitop3:0x54
	v_dual_ashrrev_i32 v1, 31, v0 :: v_dual_bitop2_b32 v4, 1, v0 bitop3:0x54
	s_sub_co_i32 s58, s12, s6
	s_delay_alu instid0(VALU_DEP_2) | instskip(NEXT) | instid1(VALU_DEP_2)
	v_dual_ashrrev_i32 v7, 31, v6 :: v_dual_bitop2_b32 v8, 3, v0 bitop3:0x54
	v_ashrrev_i32_e32 v5, 31, v4
	s_delay_alu instid0(VALU_DEP_3)
	v_mul_u64_e32 v[26:27], s[4:5], v[0:1]
	v_cmp_neq_f64_e64 s56, s[14:15], 0
	s_lshr_b32 s7, s7, 30
	v_mul_u64_e32 v[30:31], s[4:5], v[6:7]
	v_mul_u64_e32 v[28:29], s[4:5], v[4:5]
	v_add_nc_u32_e32 v4, s58, v0
	v_ashrrev_i32_e32 v9, 31, v8
	s_add_co_i32 s7, s13, s7
	v_lshlrev_b64_e32 v[34:35], 3, v[0:1]
	s_and_b32 s57, s7, -4
	s_mul_u64 s[36:37], s[26:27], 24
	v_mul_u64_e32 v[32:33], s[4:5], v[8:9]
	s_cmp_gt_i32 s57, 0
	s_cselect_b32 s59, -1, 0
	s_cmp_gt_i32 s58, 0
	s_cselect_b32 s60, -1, 0
	s_lshl_b64 s[40:41], s[4:5], 3
	v_cmp_ge_i32_e64 s4, s12, v3
	v_cmp_ge_i32_e64 s5, s12, v4
	s_lshl_b64 s[38:39], s[30:31], 3
	s_lshl_b64 s[42:43], s[26:27], 5
	;; [unrolled: 1-line block ×7, first 2 shown]
	v_lshlrev_b64_e32 v[36:37], 3, v[26:27]
	s_branch .LBB264_3
.LBB264_2:                              ;   in Loop: Header=BB264_3 Depth=1
	s_add_co_i32 s10, s10, 0x10000
	s_delay_alu instid0(SALU_CYCLE_1)
	s_cmp_lt_u32 s10, s33
	s_cbranch_scc0 .LBB264_67
.LBB264_3:                              ; =>This Loop Header: Depth=1
                                        ;     Child Loop BB264_10 Depth 2
                                        ;     Child Loop BB264_16 Depth 2
                                        ;       Child Loop BB264_22 Depth 3
                                        ;       Child Loop BB264_25 Depth 3
	;; [unrolled: 1-line block ×3, first 2 shown]
                                        ;     Child Loop BB264_46 Depth 2
                                        ;       Child Loop BB264_59 Depth 3
                                        ;       Child Loop BB264_62 Depth 3
	s_mov_b32 s11, s25
	s_and_not1_b32 vcc_lo, exec_lo, s55
	s_mov_b32 s6, -1
	s_cbranch_vccz .LBB264_40
; %bb.4:                                ;   in Loop: Header=BB264_3 Depth=1
	v_mov_b64_e32 v[10:11], 0
	v_mov_b64_e32 v[52:53], 0
	s_and_not1_b32 vcc_lo, exec_lo, s6
	s_cbranch_vccz .LBB264_41
.LBB264_5:                              ;   in Loop: Header=BB264_3 Depth=1
	s_and_not1_b32 vcc_lo, exec_lo, s56
	s_cbranch_vccnz .LBB264_7
.LBB264_6:                              ;   in Loop: Header=BB264_3 Depth=1
	s_wait_xcnt 0x0
	s_lshl_b64 s[6:7], s[10:11], 3
	s_delay_alu instid0(SALU_CYCLE_1)
	s_add_nc_u64 s[6:7], s[20:21], s[6:7]
	global_load_b64 v[4:5], v2, s[6:7]
	s_wait_loadcnt 0x0
	v_add_nc_u64_e32 v[10:11], s[22:23], v[4:5]
.LBB264_7:                              ;   in Loop: Header=BB264_3 Depth=1
	s_wait_xcnt 0x0
	s_mul_u64 s[6:7], s[34:35], s[10:11]
	s_and_not1_b32 vcc_lo, exec_lo, s55
	s_lshl_b64 s[6:7], s[6:7], 3
	s_delay_alu instid0(SALU_CYCLE_1)
	s_add_nc_u64 s[50:51], s[28:29], s[6:7]
	s_mov_b32 s6, -1
	s_cbranch_vccnz .LBB264_12
; %bb.8:                                ;   in Loop: Header=BB264_3 Depth=1
	s_and_saveexec_b32 s8, s54
	s_cbranch_execz .LBB264_11
; %bb.9:                                ;   in Loop: Header=BB264_3 Depth=1
	s_add_nc_u64 s[6:7], s[50:51], s[48:49]
	s_mov_b32 s9, s13
.LBB264_10:                             ;   Parent Loop BB264_3 Depth=1
                                        ; =>  This Inner Loop Header: Depth=2
	s_delay_alu instid0(SALU_CYCLE_1)
	s_add_co_i32 s9, s9, -1
	global_store_b64 v2, v[38:39], s[6:7]
	s_cmp_eq_u32 s9, 0
	s_wait_xcnt 0x0
	s_add_nc_u64 s[6:7], s[6:7], s[38:39]
	s_cbranch_scc0 .LBB264_10
.LBB264_11:                             ;   in Loop: Header=BB264_3 Depth=1
	s_or_b32 exec_lo, exec_lo, s8
	s_mov_b32 s6, 0
.LBB264_12:                             ;   in Loop: Header=BB264_3 Depth=1
	s_delay_alu instid0(SALU_CYCLE_1)
	s_and_not1_b32 vcc_lo, exec_lo, s6
	s_cbranch_vccnz .LBB264_2
; %bb.13:                               ;   in Loop: Header=BB264_3 Depth=1
	v_add_nc_u64_e32 v[50:51], v[10:11], v[36:37]
	v_lshl_add_u64 v[40:41], v[0:1], 3, v[52:53]
	v_lshl_add_u64 v[42:43], v[26:27], 3, v[10:11]
	;; [unrolled: 1-line block ×5, first 2 shown]
	v_cmp_gt_u32_e64 s8, 24, v58
	v_cmp_gt_u32_e64 s6, 28, v58
	;; [unrolled: 1-line block ×3, first 2 shown]
	v_cmp_ne_u32_e64 s7, 31, v58
	s_and_not1_b32 vcc_lo, exec_lo, s59
	s_add_nc_u64 s[50:51], s[50:51], s[48:49]
	s_cbranch_vccnz .LBB264_42
; %bb.14:                               ;   in Loop: Header=BB264_3 Depth=1
	v_cndmask_b32_e64 v3, 0, 8, s8
	v_cndmask_b32_e64 v4, 0, 4, s6
	;; [unrolled: 1-line block ×3, first 2 shown]
	v_add_co_ci_u32_e64 v13, null, 0, v58, s7
	s_wait_dscnt 0x0
	v_dual_mov_b32 v7, v2 :: v_dual_mov_b32 v8, v2
	s_delay_alu instid0(VALU_DEP_2)
	v_dual_mov_b32 v9, v2 :: v_dual_lshlrev_b32 v65, 2, v13
	v_add_lshl_u32 v62, v3, v58, 2
	v_add_lshl_u32 v63, v4, v58, 2
	v_dual_mov_b32 v3, v2 :: v_dual_mov_b32 v4, v2
	v_dual_mov_b32 v5, v2 :: v_dual_mov_b32 v6, v2
	v_add_lshl_u32 v64, v12, v58, 2
	v_add_nc_u64_e32 v[54:55], v[10:11], v[36:37]
	v_mov_b64_e32 v[16:17], v[8:9]
	v_mov_b64_e32 v[56:57], v[40:41]
	;; [unrolled: 1-line block ×5, first 2 shown]
	s_mov_b32 s24, 0
	s_branch .LBB264_16
.LBB264_15:                             ;   in Loop: Header=BB264_16 Depth=2
	s_wait_xcnt 0x0
	s_or_b32 exec_lo, exec_lo, s6
	v_add_nc_u64_e32 v[56:57], s[42:43], v[56:57]
	s_add_co_i32 s24, s24, 4
	s_delay_alu instid0(SALU_CYCLE_1)
	s_cmp_ge_i32 s24, s57
	s_cbranch_scc1 .LBB264_43
.LBB264_16:                             ;   Parent Loop BB264_3 Depth=1
                                        ; =>  This Loop Header: Depth=2
                                        ;       Child Loop BB264_22 Depth 3
                                        ;       Child Loop BB264_25 Depth 3
	;; [unrolled: 1-line block ×3, first 2 shown]
                                        ; implicit-def: $vgpr18_vgpr19_vgpr20_vgpr21_vgpr22_vgpr23_vgpr24_vgpr25
	s_and_saveexec_b32 s6, s4
	s_delay_alu instid0(SALU_CYCLE_1)
	s_xor_b32 s6, exec_lo, s6
	s_cbranch_execz .LBB264_18
; %bb.17:                               ;   in Loop: Header=BB264_16 Depth=2
	s_or_b32 s8, s24, 1
	s_mov_b32 s9, s25
	s_mul_u64 s[52:53], s[24:25], s[26:27]
	s_mul_u64 s[8:9], s[8:9], s[26:27]
	v_lshl_add_u64 v[8:9], s[52:53], 3, v[40:41]
	v_lshl_add_u64 v[16:17], s[8:9], 3, v[40:41]
	s_or_b32 s8, s24, 2
	s_mov_b32 s9, s25
	s_or_b32 s52, s24, 3
	s_mov_b32 s53, s25
	s_mul_u64 s[8:9], s[8:9], s[26:27]
	s_mul_u64 s[52:53], s[52:53], s[26:27]
	v_lshl_add_u64 v[18:19], s[8:9], 3, v[40:41]
	v_lshl_add_u64 v[20:21], s[52:53], 3, v[40:41]
	flat_load_b64 v[10:11], v[42:43]
	s_clause 0x3
	flat_load_b128 v[4:7], v[8:9]
	flat_load_b128 v[66:69], v[16:17]
	;; [unrolled: 1-line block ×4, first 2 shown]
	s_clause 0x1
	flat_load_b64 v[12:13], v[44:45]
	flat_load_b64 v[14:15], v[46:47]
	s_clause 0x3
	flat_load_b128 v[78:81], v[8:9] offset:16
	flat_load_b128 v[82:85], v[16:17] offset:16
	;; [unrolled: 1-line block ×4, first 2 shown]
	flat_load_b64 v[16:17], v[48:49]
	s_wait_loadcnt_dscnt 0xa0a
	s_wait_xcnt 0x2
	v_fma_f64 v[18:19], v[10:11], v[4:5], 0
	s_wait_loadcnt_dscnt 0x909
	s_wait_xcnt 0x1
	v_fma_f64 v[20:21], v[10:11], v[66:67], 0
	s_wait_loadcnt_dscnt 0x808
	v_fma_f64 v[22:23], v[10:11], v[70:71], 0
	s_wait_loadcnt_dscnt 0x707
	;; [unrolled: 2-line block ×3, first 2 shown]
	s_delay_alu instid0(VALU_DEP_4) | instskip(NEXT) | instid1(VALU_DEP_4)
	v_fmac_f64_e32 v[18:19], v[12:13], v[6:7]
	v_fmac_f64_e32 v[20:21], v[12:13], v[68:69]
	s_delay_alu instid0(VALU_DEP_4) | instskip(NEXT) | instid1(VALU_DEP_4)
	v_fmac_f64_e32 v[22:23], v[12:13], v[72:73]
	v_fmac_f64_e32 v[24:25], v[12:13], v[76:77]
	s_wait_loadcnt_dscnt 0x404
	s_delay_alu instid0(VALU_DEP_4) | instskip(SKIP_1) | instid1(VALU_DEP_4)
	v_fmac_f64_e32 v[18:19], v[14:15], v[78:79]
	s_wait_loadcnt_dscnt 0x303
	v_fmac_f64_e32 v[20:21], v[14:15], v[82:83]
	s_wait_loadcnt_dscnt 0x202
	s_delay_alu instid0(VALU_DEP_4) | instskip(SKIP_1) | instid1(VALU_DEP_4)
	v_fmac_f64_e32 v[22:23], v[14:15], v[86:87]
	s_wait_loadcnt_dscnt 0x101
	v_fmac_f64_e32 v[24:25], v[14:15], v[90:91]
	s_wait_loadcnt_dscnt 0x0
	s_delay_alu instid0(VALU_DEP_4) | instskip(NEXT) | instid1(VALU_DEP_4)
	v_fmac_f64_e32 v[18:19], v[16:17], v[80:81]
	v_fmac_f64_e32 v[20:21], v[16:17], v[84:85]
	s_delay_alu instid0(VALU_DEP_4) | instskip(NEXT) | instid1(VALU_DEP_4)
	v_fmac_f64_e32 v[22:23], v[16:17], v[88:89]
	v_fmac_f64_e32 v[24:25], v[16:17], v[92:93]
.LBB264_18:                             ;   in Loop: Header=BB264_16 Depth=2
	s_wait_xcnt 0x0
	s_and_not1_saveexec_b32 s11, s6
	s_cbranch_execz .LBB264_28
; %bb.19:                               ;   in Loop: Header=BB264_16 Depth=2
	v_dual_mov_b32 v7, v2 :: v_dual_mov_b32 v8, v2
	v_dual_mov_b32 v9, v2 :: v_dual_mov_b32 v3, v2
	;; [unrolled: 1-line block ×3, first 2 shown]
	v_mov_b32_e32 v6, v2
	s_delay_alu instid0(VALU_DEP_3) | instskip(NEXT) | instid1(VALU_DEP_4)
	v_mov_b64_e32 v[24:25], v[8:9]
	v_mov_b64_e32 v[18:19], v[2:3]
	s_delay_alu instid0(VALU_DEP_4) | instskip(NEXT) | instid1(VALU_DEP_4)
	v_mov_b64_e32 v[20:21], v[4:5]
	v_mov_b64_e32 v[22:23], v[6:7]
	s_and_saveexec_b32 s12, s5
	s_cbranch_execz .LBB264_27
; %bb.20:                               ;   in Loop: Header=BB264_16 Depth=2
	s_and_not1_b32 vcc_lo, exec_lo, s60
	s_cbranch_vccnz .LBB264_23
; %bb.21:                               ;   in Loop: Header=BB264_16 Depth=2
	v_mov_b64_e32 v[4:5], v[54:55]
	s_mov_b64 s[52:53], 0
.LBB264_22:                             ;   Parent Loop BB264_3 Depth=1
                                        ;     Parent Loop BB264_16 Depth=2
                                        ; =>    This Inner Loop Header: Depth=3
	flat_load_b64 v[6:7], v[4:5]
	s_cmp_eq_u32 s52, 3
	s_wait_xcnt 0x0
	v_add_nc_u64_e32 v[4:5], s[40:41], v[4:5]
	s_cselect_b32 vcc_lo, -1, 0
	s_cmp_eq_u32 s52, 2
	s_cselect_b32 s6, -1, 0
	s_cmp_eq_u32 s52, 1
	s_cselect_b32 s7, -1, 0
	s_cmp_eq_u32 s52, 0
	s_add_nc_u64 s[52:53], s[52:53], 1
	s_cselect_b32 s8, -1, 0
	s_cmp_eq_u32 s58, s52
	s_wait_loadcnt_dscnt 0x0
	v_dual_cndmask_b32 v17, v17, v7 :: v_dual_cndmask_b32 v16, v16, v6
	v_dual_cndmask_b32 v15, v15, v7, s6 :: v_dual_cndmask_b32 v14, v14, v6, s6
	v_dual_cndmask_b32 v13, v13, v7, s7 :: v_dual_cndmask_b32 v12, v12, v6, s7
	;; [unrolled: 1-line block ×3, first 2 shown]
	s_cbranch_scc0 .LBB264_22
.LBB264_23:                             ;   in Loop: Header=BB264_16 Depth=2
	s_and_not1_b32 vcc_lo, exec_lo, s60
	s_cbranch_vccnz .LBB264_26
; %bb.24:                               ;   in Loop: Header=BB264_16 Depth=2
	v_mov_b64_e32 v[18:19], 0
	v_mov_b64_e32 v[20:21], 0
	;; [unrolled: 1-line block ×5, first 2 shown]
	s_mov_b64 s[8:9], 0
.LBB264_25:                             ;   Parent Loop BB264_3 Depth=1
                                        ;     Parent Loop BB264_16 Depth=2
                                        ; =>    This Inner Loop Header: Depth=3
	s_wait_xcnt 0x2
	s_delay_alu instid0(VALU_DEP_1)
	v_add_nc_u64_e32 v[6:7], s[46:47], v[4:5]
	s_wait_xcnt 0x1
	v_add_nc_u64_e32 v[8:9], s[44:45], v[4:5]
	s_wait_xcnt 0x0
	v_add_nc_u64_e32 v[66:67], s[36:37], v[4:5]
	s_cmp_eq_u32 s8, 1
	s_clause 0x3
	flat_load_b64 v[68:69], v[4:5]
	flat_load_b64 v[6:7], v[6:7]
	;; [unrolled: 1-line block ×4, first 2 shown]
	s_cselect_b32 vcc_lo, -1, 0
	s_cmp_eq_u32 s8, 2
	v_dual_cndmask_b32 v3, v11, v13 :: v_dual_cndmask_b32 v70, v10, v12
	s_cselect_b32 vcc_lo, -1, 0
	s_cmp_eq_u32 s8, 3
	s_wait_xcnt 0x3
	v_add_nc_u64_e32 v[4:5], 8, v[4:5]
	v_dual_cndmask_b32 v3, v3, v15 :: v_dual_cndmask_b32 v70, v70, v14
	s_cselect_b32 s6, -1, 0
	s_add_nc_u64 s[8:9], s[8:9], 1
	s_delay_alu instid0(VALU_DEP_1) | instskip(SKIP_2) | instid1(VALU_DEP_1)
	v_dual_cndmask_b32 v71, v3, v17, s6 :: v_dual_cndmask_b32 v70, v70, v16, s6
	s_cmp_lg_u32 s58, s8
	s_wait_loadcnt_dscnt 0x303
	v_fmac_f64_e32 v[18:19], v[70:71], v[68:69]
	s_wait_loadcnt_dscnt 0x202
	v_fmac_f64_e32 v[20:21], v[70:71], v[6:7]
	;; [unrolled: 2-line block ×4, first 2 shown]
	s_cbranch_scc1 .LBB264_25
	s_branch .LBB264_27
.LBB264_26:                             ;   in Loop: Header=BB264_16 Depth=2
	v_dual_mov_b32 v7, v2 :: v_dual_mov_b32 v8, v2
	v_dual_mov_b32 v9, v2 :: v_dual_mov_b32 v3, v2
	;; [unrolled: 1-line block ×3, first 2 shown]
	v_mov_b32_e32 v6, v2
	s_delay_alu instid0(VALU_DEP_3) | instskip(NEXT) | instid1(VALU_DEP_4)
	v_mov_b64_e32 v[24:25], v[8:9]
	v_mov_b64_e32 v[18:19], v[2:3]
	s_delay_alu instid0(VALU_DEP_4) | instskip(NEXT) | instid1(VALU_DEP_4)
	v_mov_b64_e32 v[20:21], v[4:5]
	v_mov_b64_e32 v[22:23], v[6:7]
.LBB264_27:                             ;   in Loop: Header=BB264_16 Depth=2
	s_wait_xcnt 0x0
	s_or_b32 exec_lo, exec_lo, s12
.LBB264_28:                             ;   in Loop: Header=BB264_16 Depth=2
	s_delay_alu instid0(SALU_CYCLE_1)
	s_or_b32 exec_lo, exec_lo, s11
	s_mov_b64 s[6:7], 0
	s_branch .LBB264_30
.LBB264_29:                             ;   in Loop: Header=BB264_30 Depth=3
	s_or_b32 exec_lo, exec_lo, s8
	s_cmp_eq_u32 s6, 3
	s_cselect_b32 vcc_lo, -1, 0
	s_cmp_eq_u32 s6, 2
	s_wait_dscnt 0x0
	s_delay_alu instid0(VALU_DEP_1)
	v_dual_cndmask_b32 v25, v25, v5 :: v_dual_cndmask_b32 v24, v24, v4
	s_cselect_b32 vcc_lo, -1, 0
	s_cmp_eq_u32 s6, 1
	v_dual_cndmask_b32 v23, v23, v5 :: v_dual_cndmask_b32 v22, v22, v4
	s_cselect_b32 vcc_lo, -1, 0
	s_cmp_eq_u32 s6, 0
	v_dual_cndmask_b32 v21, v21, v5 :: v_dual_cndmask_b32 v20, v20, v4
	s_cselect_b32 vcc_lo, -1, 0
	s_add_nc_u64 s[6:7], s[6:7], 1
	v_dual_cndmask_b32 v19, v19, v5 :: v_dual_cndmask_b32 v18, v18, v4
	s_cmp_eq_u32 s6, 4
	s_cbranch_scc1 .LBB264_38
.LBB264_30:                             ;   Parent Loop BB264_3 Depth=1
                                        ;     Parent Loop BB264_16 Depth=2
                                        ; =>    This Inner Loop Header: Depth=3
	s_and_saveexec_b32 s8, s1
; %bb.31:                               ;   in Loop: Header=BB264_30 Depth=3
	ds_store_b64 v59, v[38:39]
; %bb.32:                               ;   in Loop: Header=BB264_30 Depth=3
	s_or_b32 exec_lo, exec_lo, s8
	s_cmp_eq_u32 s6, 1
	s_wait_storecnt_dscnt 0x0
	s_cselect_b32 vcc_lo, -1, 0
	s_cmp_eq_u32 s6, 2
	v_dual_cndmask_b32 v3, v19, v21 :: v_dual_cndmask_b32 v4, v18, v20
	s_cselect_b32 vcc_lo, -1, 0
	s_cmp_eq_u32 s6, 3
	s_barrier_signal -1
	s_delay_alu instid0(VALU_DEP_1) | instskip(SKIP_2) | instid1(VALU_DEP_1)
	v_dual_cndmask_b32 v3, v3, v23 :: v_dual_cndmask_b32 v4, v4, v22
	s_cselect_b32 vcc_lo, -1, 0
	s_barrier_wait -1
	v_dual_cndmask_b32 v5, v3, v25 :: v_dual_cndmask_b32 v4, v4, v24
	ds_bpermute_b32 v7, v61, v5
	ds_bpermute_b32 v6, v61, v4
	s_wait_dscnt 0x0
	v_add_f64_e32 v[4:5], v[4:5], v[6:7]
	ds_bpermute_b32 v6, v62, v4
	ds_bpermute_b32 v7, v62, v5
	s_wait_dscnt 0x0
	v_add_f64_e32 v[4:5], v[4:5], v[6:7]
	;; [unrolled: 4-line block ×4, first 2 shown]
	ds_bpermute_b32 v6, v65, v4
	ds_bpermute_b32 v7, v65, v5
	s_and_saveexec_b32 s8, s3
	s_cbranch_execz .LBB264_34
; %bb.33:                               ;   in Loop: Header=BB264_30 Depth=3
	s_wait_dscnt 0x0
	v_add_f64_e32 v[4:5], v[4:5], v[6:7]
	ds_store_b64 v60, v[4:5]
.LBB264_34:                             ;   in Loop: Header=BB264_30 Depth=3
	s_or_b32 exec_lo, exec_lo, s8
	v_mov_b64_e32 v[4:5], 0
	s_wait_dscnt 0x0
	s_barrier_signal -1
	s_barrier_wait -1
	s_and_saveexec_b32 s8, s2
; %bb.35:                               ;   in Loop: Header=BB264_30 Depth=3
	ds_load_b64 v[4:5], v59
; %bb.36:                               ;   in Loop: Header=BB264_30 Depth=3
	s_or_b32 exec_lo, exec_lo, s8
	s_and_saveexec_b32 s8, s1
	s_cbranch_execz .LBB264_29
; %bb.37:                               ;   in Loop: Header=BB264_30 Depth=3
	s_wait_dscnt 0x0
	ds_bpermute_b32 v6, v63, v4
	ds_bpermute_b32 v7, v63, v5
	s_wait_dscnt 0x0
	v_add_f64_e32 v[4:5], v[4:5], v[6:7]
	ds_bpermute_b32 v6, v64, v4
	ds_bpermute_b32 v7, v64, v5
	s_wait_dscnt 0x0
	v_add_f64_e32 v[4:5], v[4:5], v[6:7]
	;; [unrolled: 4-line block ×3, first 2 shown]
	s_branch .LBB264_29
.LBB264_38:                             ;   in Loop: Header=BB264_16 Depth=2
	s_and_saveexec_b32 s6, s0
	s_cbranch_execz .LBB264_15
; %bb.39:                               ;   in Loop: Header=BB264_16 Depth=2
	v_mul_f64_e32 v[4:5], s[14:15], v[18:19]
	v_mul_f64_e32 v[6:7], s[14:15], v[20:21]
	;; [unrolled: 1-line block ×4, first 2 shown]
	s_or_b32 s52, s24, 1
	s_mov_b32 s53, s25
	s_mul_u64 s[8:9], s[24:25], s[30:31]
	s_or_b32 s62, s24, 2
	s_mov_b32 s63, s25
	s_or_b32 s64, s24, 3
	s_mov_b32 s65, s25
	s_mul_u64 s[52:53], s[52:53], s[30:31]
	s_lshl_b64 s[8:9], s[8:9], 3
	s_mul_u64 s[62:63], s[62:63], s[30:31]
	s_mul_u64 s[64:65], s[64:65], s[30:31]
	s_lshl_b64 s[52:53], s[52:53], 3
	s_add_nc_u64 s[8:9], s[50:51], s[8:9]
	s_lshl_b64 s[62:63], s[62:63], 3
	s_lshl_b64 s[64:65], s[64:65], 3
	s_add_nc_u64 s[52:53], s[50:51], s[52:53]
	s_add_nc_u64 s[62:63], s[50:51], s[62:63]
	;; [unrolled: 1-line block ×3, first 2 shown]
	s_clause 0x3
	global_store_b64 v2, v[4:5], s[8:9]
	global_store_b64 v2, v[6:7], s[52:53]
	;; [unrolled: 1-line block ×4, first 2 shown]
	s_branch .LBB264_15
.LBB264_40:                             ;   in Loop: Header=BB264_3 Depth=1
	v_mov_b64_e32 v[10:11], 0
	v_mov_b64_e32 v[52:53], 0
	s_cbranch_execnz .LBB264_5
.LBB264_41:                             ;   in Loop: Header=BB264_3 Depth=1
	s_lshl_b64 s[6:7], s[10:11], 3
	s_delay_alu instid0(SALU_CYCLE_1)
	s_add_nc_u64 s[6:7], s[16:17], s[6:7]
	global_load_b64 v[4:5], v2, s[6:7]
	s_wait_loadcnt 0x0
	v_add_nc_u64_e32 v[52:53], s[18:19], v[4:5]
	s_and_not1_b32 vcc_lo, exec_lo, s56
	s_cbranch_vccz .LBB264_6
	s_branch .LBB264_7
.LBB264_42:                             ;   in Loop: Header=BB264_3 Depth=1
	s_wait_dscnt 0x0
	v_dual_mov_b32 v7, v2 :: v_dual_mov_b32 v8, v2
	v_dual_mov_b32 v9, v2 :: v_dual_mov_b32 v3, v2
	;; [unrolled: 1-line block ×3, first 2 shown]
	v_mov_b32_e32 v6, v2
	s_delay_alu instid0(VALU_DEP_3) | instskip(NEXT) | instid1(VALU_DEP_4)
	v_mov_b64_e32 v[16:17], v[8:9]
	v_mov_b64_e32 v[10:11], v[2:3]
	s_mov_b32 s24, 0
	v_mov_b64_e32 v[12:13], v[4:5]
	v_mov_b64_e32 v[14:15], v[6:7]
.LBB264_43:                             ;   in Loop: Header=BB264_3 Depth=1
	s_cmp_ge_i32 s24, s13
	s_cbranch_scc1 .LBB264_2
; %bb.44:                               ;   in Loop: Header=BB264_3 Depth=1
	v_cmp_gt_u32_e32 vcc_lo, 24, v58
	v_add_nc_u64_e32 v[4:5], v[52:53], v[34:35]
	v_cndmask_b32_e64 v3, 0, 8, vcc_lo
	v_cmp_gt_u32_e32 vcc_lo, 28, v58
	s_delay_alu instid0(VALU_DEP_3) | instskip(NEXT) | instid1(VALU_DEP_3)
	v_mad_nc_u64_u32 v[4:5], s46, s24, v[4:5]
	v_add_lshl_u32 v3, v3, v58, 2
	v_cndmask_b32_e64 v6, 0, 4, vcc_lo
	v_cmp_gt_u32_e32 vcc_lo, 30, v58
	s_delay_alu instid0(VALU_DEP_2) | instskip(SKIP_3) | instid1(VALU_DEP_3)
	v_add_lshl_u32 v18, v6, v58, 2
	v_cndmask_b32_e64 v7, 0, 2, vcc_lo
	v_cmp_ne_u32_e32 vcc_lo, 31, v58
	v_mad_u32 v5, s47, s24, v5
	v_add_lshl_u32 v19, v7, v58, 2
	v_add_co_ci_u32_e64 v8, null, 0, v58, vcc_lo
	s_delay_alu instid0(VALU_DEP_1)
	v_lshlrev_b32_e32 v20, 2, v8
	s_branch .LBB264_46
.LBB264_45:                             ;   in Loop: Header=BB264_46 Depth=2
	s_wait_xcnt 0x0
	s_or_b32 exec_lo, exec_lo, s6
	v_add_nc_u64_e32 v[4:5], s[46:47], v[4:5]
	s_add_co_i32 s24, s24, 1
	s_delay_alu instid0(SALU_CYCLE_1)
	s_cmp_ge_i32 s24, s13
	s_cbranch_scc1 .LBB264_2
.LBB264_46:                             ;   Parent Loop BB264_3 Depth=1
                                        ; =>  This Loop Header: Depth=2
                                        ;       Child Loop BB264_59 Depth 3
                                        ;       Child Loop BB264_62 Depth 3
	s_wait_dscnt 0x0
	v_dual_mov_b32 v6, s25 :: v_dual_mov_b32 v7, s25
	s_and_saveexec_b32 s6, s4
	s_delay_alu instid0(SALU_CYCLE_1)
	s_xor_b32 s6, exec_lo, s6
	s_cbranch_execnz .LBB264_55
; %bb.47:                               ;   in Loop: Header=BB264_46 Depth=2
	s_and_not1_saveexec_b32 s9, s6
	s_cbranch_execnz .LBB264_56
.LBB264_48:                             ;   in Loop: Header=BB264_46 Depth=2
	s_or_b32 exec_lo, exec_lo, s9
	s_and_saveexec_b32 s6, s1
.LBB264_49:                             ;   in Loop: Header=BB264_46 Depth=2
	ds_store_b64 v59, v[38:39]
.LBB264_50:                             ;   in Loop: Header=BB264_46 Depth=2
	s_or_b32 exec_lo, exec_lo, s6
	ds_bpermute_b32 v8, v61, v6
	ds_bpermute_b32 v9, v61, v7
	s_wait_storecnt_dscnt 0x0
	s_barrier_signal -1
	s_barrier_wait -1
	v_add_f64_e32 v[6:7], v[6:7], v[8:9]
	ds_bpermute_b32 v8, v3, v6
	ds_bpermute_b32 v9, v3, v7
	s_wait_dscnt 0x0
	v_add_f64_e32 v[6:7], v[6:7], v[8:9]
	ds_bpermute_b32 v8, v18, v6
	ds_bpermute_b32 v9, v18, v7
	s_wait_dscnt 0x0
	;; [unrolled: 4-line block ×3, first 2 shown]
	v_add_f64_e32 v[6:7], v[6:7], v[8:9]
	ds_bpermute_b32 v8, v20, v6
	ds_bpermute_b32 v9, v20, v7
	s_and_saveexec_b32 s6, s3
	s_cbranch_execz .LBB264_52
; %bb.51:                               ;   in Loop: Header=BB264_46 Depth=2
	s_wait_dscnt 0x0
	v_add_f64_e32 v[6:7], v[6:7], v[8:9]
	ds_store_b64 v60, v[6:7]
.LBB264_52:                             ;   in Loop: Header=BB264_46 Depth=2
	s_or_b32 exec_lo, exec_lo, s6
	v_mov_b64_e32 v[6:7], 0
	s_wait_dscnt 0x0
	s_barrier_signal -1
	s_barrier_wait -1
	s_and_saveexec_b32 s6, s2
	s_cbranch_execnz .LBB264_64
; %bb.53:                               ;   in Loop: Header=BB264_46 Depth=2
	s_or_b32 exec_lo, exec_lo, s6
	s_and_saveexec_b32 s6, s1
	s_cbranch_execnz .LBB264_65
.LBB264_54:                             ;   in Loop: Header=BB264_46 Depth=2
	s_or_b32 exec_lo, exec_lo, s6
	s_and_saveexec_b32 s6, s0
	s_cbranch_execz .LBB264_45
	s_branch .LBB264_66
.LBB264_55:                             ;   in Loop: Header=BB264_46 Depth=2
	s_mul_u64 s[8:9], s[24:25], s[26:27]
	s_delay_alu instid0(SALU_CYCLE_1)
	v_lshl_add_u64 v[14:15], s[8:9], 3, v[40:41]
	flat_load_b128 v[6:9], v[14:15]
	s_clause 0x1
	flat_load_b64 v[10:11], v[42:43]
	flat_load_b64 v[12:13], v[44:45]
	flat_load_b128 v[22:25], v[14:15] offset:16
	s_clause 0x1
	flat_load_b64 v[14:15], v[46:47]
	flat_load_b64 v[16:17], v[48:49]
	s_wait_loadcnt_dscnt 0x404
	v_fma_f64 v[6:7], v[10:11], v[6:7], 0
	s_wait_loadcnt_dscnt 0x303
	s_delay_alu instid0(VALU_DEP_1) | instskip(SKIP_1) | instid1(VALU_DEP_1)
	v_fmac_f64_e32 v[6:7], v[12:13], v[8:9]
	s_wait_loadcnt_dscnt 0x101
	v_fmac_f64_e32 v[6:7], v[14:15], v[22:23]
	s_wait_loadcnt_dscnt 0x0
	s_delay_alu instid0(VALU_DEP_1)
	v_fmac_f64_e32 v[6:7], v[16:17], v[24:25]
	s_wait_xcnt 0x0
	s_and_not1_saveexec_b32 s9, s6
	s_cbranch_execz .LBB264_48
.LBB264_56:                             ;   in Loop: Header=BB264_46 Depth=2
	s_and_saveexec_b32 s11, s5
	s_cbranch_execz .LBB264_63
; %bb.57:                               ;   in Loop: Header=BB264_46 Depth=2
	s_and_not1_b32 vcc_lo, exec_lo, s60
	s_cbranch_vccnz .LBB264_60
; %bb.58:                               ;   in Loop: Header=BB264_46 Depth=2
	v_mov_b64_e32 v[8:9], v[50:51]
	s_mov_b64 s[52:53], 0
.LBB264_59:                             ;   Parent Loop BB264_3 Depth=1
                                        ;     Parent Loop BB264_46 Depth=2
                                        ; =>    This Inner Loop Header: Depth=3
	flat_load_b64 v[22:23], v[8:9]
	s_cmp_eq_u32 s52, 3
	s_wait_xcnt 0x0
	v_add_nc_u64_e32 v[8:9], s[40:41], v[8:9]
	s_cselect_b32 vcc_lo, -1, 0
	s_cmp_eq_u32 s52, 2
	s_cselect_b32 s6, -1, 0
	s_cmp_eq_u32 s52, 1
	s_cselect_b32 s7, -1, 0
	s_cmp_eq_u32 s52, 0
	s_add_nc_u64 s[52:53], s[52:53], 1
	s_cselect_b32 s8, -1, 0
	s_cmp_eq_u32 s58, s52
	s_wait_loadcnt_dscnt 0x0
	v_dual_cndmask_b32 v17, v17, v23 :: v_dual_cndmask_b32 v16, v16, v22
	v_dual_cndmask_b32 v15, v15, v23, s6 :: v_dual_cndmask_b32 v14, v14, v22, s6
	v_dual_cndmask_b32 v13, v13, v23, s7 :: v_dual_cndmask_b32 v12, v12, v22, s7
	;; [unrolled: 1-line block ×3, first 2 shown]
	s_cbranch_scc0 .LBB264_59
.LBB264_60:                             ;   in Loop: Header=BB264_46 Depth=2
	s_and_not1_b32 vcc_lo, exec_lo, s60
	s_cbranch_vccnz .LBB264_63
; %bb.61:                               ;   in Loop: Header=BB264_46 Depth=2
	v_mov_b64_e32 v[8:9], v[4:5]
	s_mov_b64 s[6:7], 0
.LBB264_62:                             ;   Parent Loop BB264_3 Depth=1
                                        ;     Parent Loop BB264_46 Depth=2
                                        ; =>    This Inner Loop Header: Depth=3
	flat_load_b64 v[22:23], v[8:9]
	s_cmp_eq_u32 s6, 1
	s_wait_xcnt 0x0
	v_add_nc_u64_e32 v[8:9], 8, v[8:9]
	s_cselect_b32 vcc_lo, -1, 0
	s_cmp_eq_u32 s6, 2
	v_dual_cndmask_b32 v21, v11, v13 :: v_dual_cndmask_b32 v24, v10, v12
	s_cselect_b32 vcc_lo, -1, 0
	s_cmp_eq_u32 s6, 3
	s_add_nc_u64 s[6:7], s[6:7], 1
	s_delay_alu instid0(VALU_DEP_1) | instskip(SKIP_2) | instid1(VALU_DEP_1)
	v_dual_cndmask_b32 v21, v21, v15 :: v_dual_cndmask_b32 v24, v24, v14
	s_cselect_b32 vcc_lo, -1, 0
	s_cmp_lg_u32 s58, s6
	v_dual_cndmask_b32 v25, v21, v17 :: v_dual_cndmask_b32 v24, v24, v16
	s_wait_loadcnt_dscnt 0x0
	s_delay_alu instid0(VALU_DEP_1)
	v_fmac_f64_e32 v[6:7], v[24:25], v[22:23]
	s_cbranch_scc1 .LBB264_62
.LBB264_63:                             ;   in Loop: Header=BB264_46 Depth=2
	s_or_b32 exec_lo, exec_lo, s11
	s_delay_alu instid0(SALU_CYCLE_1)
	s_or_b32 exec_lo, exec_lo, s9
	s_and_saveexec_b32 s6, s1
	s_cbranch_execnz .LBB264_49
	s_branch .LBB264_50
.LBB264_64:                             ;   in Loop: Header=BB264_46 Depth=2
	ds_load_b64 v[6:7], v59
	s_or_b32 exec_lo, exec_lo, s6
	s_and_saveexec_b32 s6, s1
	s_cbranch_execz .LBB264_54
.LBB264_65:                             ;   in Loop: Header=BB264_46 Depth=2
	s_wait_dscnt 0x0
	ds_bpermute_b32 v8, v18, v6
	ds_bpermute_b32 v9, v18, v7
	s_wait_dscnt 0x0
	v_add_f64_e32 v[6:7], v[6:7], v[8:9]
	ds_bpermute_b32 v8, v19, v6
	ds_bpermute_b32 v9, v19, v7
	s_wait_dscnt 0x0
	v_add_f64_e32 v[6:7], v[6:7], v[8:9]
	ds_bpermute_b32 v8, v20, v6
	ds_bpermute_b32 v9, v20, v7
	s_wait_dscnt 0x0
	v_add_f64_e32 v[6:7], v[6:7], v[8:9]
	s_or_b32 exec_lo, exec_lo, s6
	s_and_saveexec_b32 s6, s0
	s_cbranch_execz .LBB264_45
.LBB264_66:                             ;   in Loop: Header=BB264_46 Depth=2
	s_wait_dscnt 0x0
	s_delay_alu instid0(VALU_DEP_1) | instskip(SKIP_1) | instid1(SALU_CYCLE_1)
	v_mul_f64_e32 v[6:7], s[14:15], v[6:7]
	s_mul_u64 s[8:9], s[24:25], s[30:31]
	s_lshl_b64 s[8:9], s[8:9], 3
	s_delay_alu instid0(SALU_CYCLE_1)
	s_add_nc_u64 s[8:9], s[50:51], s[8:9]
	global_store_b64 v2, v[6:7], s[8:9]
	s_branch .LBB264_45
.LBB264_67:
	s_sendmsg sendmsg(MSG_DEALLOC_VGPRS)
	s_endpgm
	.section	.rodata,"a",@progbits
	.p2align	6, 0x0
	.amdhsa_kernel _ZL23rocblas_gemvt_sn_kernelILb0ELi256ELi4ElPKdddEviiT4_lPKT3_lilS5_lilPT5_i
		.amdhsa_group_segment_fixed_size 256
		.amdhsa_private_segment_fixed_size 0
		.amdhsa_kernarg_size 360
		.amdhsa_user_sgpr_count 2
		.amdhsa_user_sgpr_dispatch_ptr 0
		.amdhsa_user_sgpr_queue_ptr 0
		.amdhsa_user_sgpr_kernarg_segment_ptr 1
		.amdhsa_user_sgpr_dispatch_id 0
		.amdhsa_user_sgpr_kernarg_preload_length 0
		.amdhsa_user_sgpr_kernarg_preload_offset 0
		.amdhsa_user_sgpr_private_segment_size 0
		.amdhsa_wavefront_size32 1
		.amdhsa_uses_dynamic_stack 0
		.amdhsa_enable_private_segment 0
		.amdhsa_system_sgpr_workgroup_id_x 1
		.amdhsa_system_sgpr_workgroup_id_y 0
		.amdhsa_system_sgpr_workgroup_id_z 1
		.amdhsa_system_sgpr_workgroup_info 0
		.amdhsa_system_vgpr_workitem_id 0
		.amdhsa_next_free_vgpr 94
		.amdhsa_next_free_sgpr 66
		.amdhsa_named_barrier_count 0
		.amdhsa_reserve_vcc 1
		.amdhsa_float_round_mode_32 0
		.amdhsa_float_round_mode_16_64 0
		.amdhsa_float_denorm_mode_32 3
		.amdhsa_float_denorm_mode_16_64 3
		.amdhsa_fp16_overflow 0
		.amdhsa_memory_ordered 1
		.amdhsa_forward_progress 1
		.amdhsa_inst_pref_size 28
		.amdhsa_round_robin_scheduling 0
		.amdhsa_exception_fp_ieee_invalid_op 0
		.amdhsa_exception_fp_denorm_src 0
		.amdhsa_exception_fp_ieee_div_zero 0
		.amdhsa_exception_fp_ieee_overflow 0
		.amdhsa_exception_fp_ieee_underflow 0
		.amdhsa_exception_fp_ieee_inexact 0
		.amdhsa_exception_int_div_zero 0
	.end_amdhsa_kernel
	.section	.text._ZL23rocblas_gemvt_sn_kernelILb0ELi256ELi4ElPKdddEviiT4_lPKT3_lilS5_lilPT5_i,"axG",@progbits,_ZL23rocblas_gemvt_sn_kernelILb0ELi256ELi4ElPKdddEviiT4_lPKT3_lilS5_lilPT5_i,comdat
.Lfunc_end264:
	.size	_ZL23rocblas_gemvt_sn_kernelILb0ELi256ELi4ElPKdddEviiT4_lPKT3_lilS5_lilPT5_i, .Lfunc_end264-_ZL23rocblas_gemvt_sn_kernelILb0ELi256ELi4ElPKdddEviiT4_lPKT3_lilS5_lilPT5_i
                                        ; -- End function
	.set _ZL23rocblas_gemvt_sn_kernelILb0ELi256ELi4ElPKdddEviiT4_lPKT3_lilS5_lilPT5_i.num_vgpr, 94
	.set _ZL23rocblas_gemvt_sn_kernelILb0ELi256ELi4ElPKdddEviiT4_lPKT3_lilS5_lilPT5_i.num_agpr, 0
	.set _ZL23rocblas_gemvt_sn_kernelILb0ELi256ELi4ElPKdddEviiT4_lPKT3_lilS5_lilPT5_i.numbered_sgpr, 66
	.set _ZL23rocblas_gemvt_sn_kernelILb0ELi256ELi4ElPKdddEviiT4_lPKT3_lilS5_lilPT5_i.num_named_barrier, 0
	.set _ZL23rocblas_gemvt_sn_kernelILb0ELi256ELi4ElPKdddEviiT4_lPKT3_lilS5_lilPT5_i.private_seg_size, 0
	.set _ZL23rocblas_gemvt_sn_kernelILb0ELi256ELi4ElPKdddEviiT4_lPKT3_lilS5_lilPT5_i.uses_vcc, 1
	.set _ZL23rocblas_gemvt_sn_kernelILb0ELi256ELi4ElPKdddEviiT4_lPKT3_lilS5_lilPT5_i.uses_flat_scratch, 1
	.set _ZL23rocblas_gemvt_sn_kernelILb0ELi256ELi4ElPKdddEviiT4_lPKT3_lilS5_lilPT5_i.has_dyn_sized_stack, 0
	.set _ZL23rocblas_gemvt_sn_kernelILb0ELi256ELi4ElPKdddEviiT4_lPKT3_lilS5_lilPT5_i.has_recursion, 0
	.set _ZL23rocblas_gemvt_sn_kernelILb0ELi256ELi4ElPKdddEviiT4_lPKT3_lilS5_lilPT5_i.has_indirect_call, 0
	.section	.AMDGPU.csdata,"",@progbits
; Kernel info:
; codeLenInByte = 3532
; TotalNumSgprs: 68
; NumVgprs: 94
; ScratchSize: 0
; MemoryBound: 1
; FloatMode: 240
; IeeeMode: 1
; LDSByteSize: 256 bytes/workgroup (compile time only)
; SGPRBlocks: 0
; VGPRBlocks: 5
; NumSGPRsForWavesPerEU: 68
; NumVGPRsForWavesPerEU: 94
; NamedBarCnt: 0
; Occupancy: 10
; WaveLimiterHint : 0
; COMPUTE_PGM_RSRC2:SCRATCH_EN: 0
; COMPUTE_PGM_RSRC2:USER_SGPR: 2
; COMPUTE_PGM_RSRC2:TRAP_HANDLER: 0
; COMPUTE_PGM_RSRC2:TGID_X_EN: 1
; COMPUTE_PGM_RSRC2:TGID_Y_EN: 0
; COMPUTE_PGM_RSRC2:TGID_Z_EN: 1
; COMPUTE_PGM_RSRC2:TIDIG_COMP_CNT: 0
	.section	.text._ZL23rocblas_gemvt_sn_reduceILi256ELi8EddKPdEviT2_lPT3_lilPT1_i,"axG",@progbits,_ZL23rocblas_gemvt_sn_reduceILi256ELi8EddKPdEviT2_lPT3_lilPT1_i,comdat
	.globl	_ZL23rocblas_gemvt_sn_reduceILi256ELi8EddKPdEviT2_lPT3_lilPT1_i ; -- Begin function _ZL23rocblas_gemvt_sn_reduceILi256ELi8EddKPdEviT2_lPT3_lilPT1_i
	.p2align	8
	.type	_ZL23rocblas_gemvt_sn_reduceILi256ELi8EddKPdEviT2_lPT3_lilPT1_i,@function
_ZL23rocblas_gemvt_sn_reduceILi256ELi8EddKPdEviT2_lPT3_lilPT1_i: ; @_ZL23rocblas_gemvt_sn_reduceILi256ELi8EddKPdEviT2_lPT3_lilPT1_i
; %bb.0:
	s_load_b32 s26, s[0:1], 0x40
	s_bfe_u32 s2, ttmp6, 0x40014
	s_lshr_b32 s3, ttmp7, 16
	s_add_co_i32 s2, s2, 1
	s_bfe_u32 s5, ttmp6, 0x40008
	s_mul_i32 s4, s3, s2
	s_getreg_b32 s2, hwreg(HW_REG_IB_STS2, 6, 4)
	s_add_co_i32 s5, s5, s4
	s_cmp_eq_u32 s2, 0
	s_mov_b32 s7, 0
	s_cselect_b32 s27, s3, s5
	s_wait_kmcnt 0x0
	s_cmp_ge_u32 s27, s26
	s_cbranch_scc1 .LBB265_21
; %bb.1:
	s_clause 0x6
	s_load_b32 s12, s[0:1], 0x0
	s_load_b32 s20, s[0:1], 0x28
	s_load_b128 s[8:11], s[0:1], 0x18
	s_load_b64 s[14:15], s[0:1], 0x8
	s_load_b64 s[16:17], s[0:1], 0x38
	s_load_b32 s28, s[0:1], 0x4c
	s_load_b32 s3, s[0:1], 0x54
	v_mbcnt_lo_u32_b32 v6, -1, 0
	s_wait_xcnt 0x0
	s_bfe_u32 s1, ttmp6, 0x40010
	v_dual_mov_b32 v3, 0 :: v_dual_lshlrev_b32 v12, 3, v0
	v_and_b32_e32 v1, 31, v0
	v_cmp_gt_u32_e32 vcc_lo, 24, v6
	s_and_b32 s0, ttmp7, 0xffff
	s_add_co_i32 s1, s1, 1
	s_bfe_u32 s4, ttmp6, 0x40004
	s_mul_i32 s1, s0, s1
	v_cndmask_b32_e64 v4, 0, 8, vcc_lo
	v_cmp_gt_u32_e32 vcc_lo, 28, v6
	s_add_co_i32 s4, s4, s1
	s_wait_kmcnt 0x0
	s_ashr_i32 s13, s12, 31
	v_mov_b32_e32 v5, v3
	v_add_lshl_u32 v15, v4, v6, 2
	v_cmp_neq_f64_e64 s31, s[14:15], 0
	v_cndmask_b32_e64 v7, 0, 4, vcc_lo
	v_cmp_gt_u32_e32 vcc_lo, 30, v6
	v_dual_lshlrev_b32 v4, 6, v0 :: v_dual_lshlrev_b32 v13, 3, v1
	s_ashr_i32 s21, s20, 31
	s_cmp_eq_u32 s2, 0
	v_cndmask_b32_e64 v8, 0, 2, vcc_lo
	s_cselect_b32 s18, s0, s4
	s_lshr_b32 s0, s13, 29
	v_cmp_ne_u32_e32 vcc_lo, 31, v6
	v_add_nc_u64_e32 v[4:5], s[16:17], v[4:5]
	s_add_co_i32 s0, s12, s0
	v_add_lshl_u32 v16, v7, v6, 2
	s_and_b32 s29, s0, -8
	v_add_co_ci_u32_e64 v9, null, 0, v6, vcc_lo
	v_lshrrev_b32_e32 v7, 2, v0
	s_sub_co_i32 s1, s12, s29
	v_xad_u32 v2, v0, -1, s12
	s_and_b32 s6, s3, 0xffff
	v_cmp_gt_u32_e64 s1, s1, v0
	v_cmp_gt_u32_e64 s2, 32, v0
	v_cmp_eq_u32_e64 s3, 0, v1
	v_cmp_gt_u32_e64 s4, 8, v0
	v_cmp_eq_u32_e64 s5, 0, v0
	v_add_nc_u64_e32 v[0:1], 56, v[4:5]
	v_mov_b64_e32 v[4:5], 0
	s_mov_b32 s19, s7
	v_cmp_gt_i32_e64 s0, s29, v12
	v_lshl_or_b32 v14, v6, 2, 64
	v_add_lshl_u32 v17, v8, v6, 2
	v_dual_lshlrev_b32 v18, 2, v9 :: v_dual_bitop2_b32 v19, 56, v7 bitop3:0x40
	s_mul_u64 s[24:25], s[20:21], s[18:19]
	s_mul_i32 s19, s27, s28
	s_lshl_b32 s30, s6, 3
	s_lshl_b64 s[20:21], s[12:13], 3
	s_add_co_i32 s19, s18, s19
	s_lshl_b32 s33, s28, 16
	s_lshl_b32 s22, s6, 6
	s_mov_b32 s23, s7
	s_lshl_b64 s[10:11], s[10:11], 3
	s_lshl_b64 s[24:25], s[24:25], 3
	s_branch .LBB265_4
.LBB265_2:                              ;   in Loop: Header=BB265_4 Depth=1
	s_wait_dscnt 0x0
	flat_store_b64 v[6:7], v[8:9]
.LBB265_3:                              ;   in Loop: Header=BB265_4 Depth=1
	s_wait_xcnt 0x0
	s_or_b32 exec_lo, exec_lo, s6
	s_add_co_i32 s27, s27, 0x10000
	s_add_co_i32 s19, s19, s33
	s_cmp_lt_u32 s27, s26
	s_cbranch_scc0 .LBB265_21
.LBB265_4:                              ; =>This Loop Header: Depth=1
                                        ;     Child Loop BB265_14 Depth 2
	v_mov_b32_e32 v6, s27
	s_wait_dscnt 0x0
	v_mov_b64_e32 v[8:9], 0
	global_load_b64 v[6:7], v6, s[8:9] scale_offset
	s_wait_xcnt 0x0
	s_and_saveexec_b32 s6, s0
	s_cbranch_execnz .LBB265_13
; %bb.5:                                ;   in Loop: Header=BB265_4 Depth=1
	s_or_b32 exec_lo, exec_lo, s6
	s_and_saveexec_b32 s34, s1
	s_cbranch_execnz .LBB265_16
.LBB265_6:                              ;   in Loop: Header=BB265_4 Depth=1
	s_or_b32 exec_lo, exec_lo, s34
	s_and_saveexec_b32 s6, s2
.LBB265_7:                              ;   in Loop: Header=BB265_4 Depth=1
	ds_store_b64 v13, v[4:5]
.LBB265_8:                              ;   in Loop: Header=BB265_4 Depth=1
	s_or_b32 exec_lo, exec_lo, s6
	ds_bpermute_b32 v10, v14, v8
	ds_bpermute_b32 v11, v14, v9
	s_wait_loadcnt_dscnt 0x0
	s_barrier_signal -1
	s_barrier_wait -1
	v_add_f64_e32 v[8:9], v[8:9], v[10:11]
	ds_bpermute_b32 v10, v15, v8
	ds_bpermute_b32 v11, v15, v9
	s_wait_dscnt 0x0
	v_add_f64_e32 v[8:9], v[8:9], v[10:11]
	ds_bpermute_b32 v10, v16, v8
	ds_bpermute_b32 v11, v16, v9
	s_wait_dscnt 0x0
	;; [unrolled: 4-line block ×3, first 2 shown]
	v_add_f64_e32 v[8:9], v[8:9], v[10:11]
	ds_bpermute_b32 v10, v18, v8
	ds_bpermute_b32 v11, v18, v9
	s_and_saveexec_b32 s6, s3
	s_cbranch_execz .LBB265_10
; %bb.9:                                ;   in Loop: Header=BB265_4 Depth=1
	s_wait_dscnt 0x0
	v_add_f64_e32 v[8:9], v[8:9], v[10:11]
	ds_store_b64 v19, v[8:9]
.LBB265_10:                             ;   in Loop: Header=BB265_4 Depth=1
	s_or_b32 exec_lo, exec_lo, s6
	v_mov_b64_e32 v[8:9], 0
	s_wait_dscnt 0x0
	s_barrier_signal -1
	s_barrier_wait -1
	s_and_saveexec_b32 s6, s4
	s_cbranch_execnz .LBB265_17
; %bb.11:                               ;   in Loop: Header=BB265_4 Depth=1
	s_or_b32 exec_lo, exec_lo, s6
	s_and_saveexec_b32 s6, s2
	s_cbranch_execnz .LBB265_18
.LBB265_12:                             ;   in Loop: Header=BB265_4 Depth=1
	s_or_b32 exec_lo, exec_lo, s6
	s_and_saveexec_b32 s6, s5
	s_cbranch_execz .LBB265_3
	s_branch .LBB265_19
.LBB265_13:                             ;   in Loop: Header=BB265_4 Depth=1
	v_mad_nc_u64_u32 v[10:11], s20, s19, v[0:1]
	v_mov_b64_e32 v[8:9], 0
	v_mov_b32_e32 v20, v12
	s_mov_b32 s34, 0
	s_delay_alu instid0(VALU_DEP_3)
	v_mad_u32 v11, s21, s19, v11
.LBB265_14:                             ;   Parent Loop BB265_4 Depth=1
                                        ; =>  This Inner Loop Header: Depth=2
	s_clause 0x3
	global_load_b128 v[22:25], v[10:11], off offset:-56
	global_load_b128 v[26:29], v[10:11], off offset:-40
	global_load_b128 v[30:33], v[10:11], off offset:-24
	global_load_b128 v[34:37], v[10:11], off offset:-8
	s_wait_xcnt 0x0
	v_add_nc_u64_e32 v[10:11], s[22:23], v[10:11]
	v_add_nc_u32_e32 v20, s30, v20
	s_delay_alu instid0(VALU_DEP_1) | instskip(SKIP_3) | instid1(VALU_DEP_1)
	v_cmp_le_i32_e32 vcc_lo, s29, v20
	s_or_b32 s34, vcc_lo, s34
	s_wait_loadcnt 0x3
	v_add_f64_e32 v[8:9], v[8:9], v[22:23]
	v_add_f64_e32 v[8:9], v[8:9], v[24:25]
	s_wait_loadcnt 0x2
	s_delay_alu instid0(VALU_DEP_1) | instskip(NEXT) | instid1(VALU_DEP_1)
	v_add_f64_e32 v[8:9], v[8:9], v[26:27]
	v_add_f64_e32 v[8:9], v[8:9], v[28:29]
	s_wait_loadcnt 0x1
	s_delay_alu instid0(VALU_DEP_1) | instskip(NEXT) | instid1(VALU_DEP_1)
	;; [unrolled: 4-line block ×3, first 2 shown]
	v_add_f64_e32 v[8:9], v[8:9], v[34:35]
	v_add_f64_e32 v[8:9], v[8:9], v[36:37]
	s_and_not1_b32 exec_lo, exec_lo, s34
	s_cbranch_execnz .LBB265_14
; %bb.15:                               ;   in Loop: Header=BB265_4 Depth=1
	s_or_b32 exec_lo, exec_lo, s34
	s_delay_alu instid0(SALU_CYCLE_1)
	s_or_b32 exec_lo, exec_lo, s6
	s_and_saveexec_b32 s34, s1
	s_cbranch_execz .LBB265_6
.LBB265_16:                             ;   in Loop: Header=BB265_4 Depth=1
	s_mul_i32 s6, s28, s27
	s_delay_alu instid0(SALU_CYCLE_1) | instskip(NEXT) | instid1(SALU_CYCLE_1)
	s_add_co_i32 s6, s6, s18
	s_mul_u64 s[36:37], s[6:7], s[12:13]
	s_delay_alu instid0(SALU_CYCLE_1) | instskip(NEXT) | instid1(SALU_CYCLE_1)
	s_lshl_b64 s[36:37], s[36:37], 3
	s_add_nc_u64 s[36:37], s[16:17], s[36:37]
	s_delay_alu instid0(SALU_CYCLE_1)
	v_lshl_add_u64 v[10:11], v[2:3], 3, s[36:37]
	global_load_b64 v[10:11], v[10:11], off
	s_wait_loadcnt 0x0
	v_add_f64_e32 v[8:9], v[8:9], v[10:11]
	s_wait_xcnt 0x0
	s_or_b32 exec_lo, exec_lo, s34
	s_and_saveexec_b32 s6, s2
	s_cbranch_execnz .LBB265_7
	s_branch .LBB265_8
.LBB265_17:                             ;   in Loop: Header=BB265_4 Depth=1
	ds_load_b64 v[8:9], v13
	s_or_b32 exec_lo, exec_lo, s6
	s_and_saveexec_b32 s6, s2
	s_cbranch_execz .LBB265_12
.LBB265_18:                             ;   in Loop: Header=BB265_4 Depth=1
	s_wait_dscnt 0x0
	ds_bpermute_b32 v10, v16, v8
	ds_bpermute_b32 v11, v16, v9
	s_wait_dscnt 0x0
	v_add_f64_e32 v[8:9], v[8:9], v[10:11]
	ds_bpermute_b32 v10, v17, v8
	ds_bpermute_b32 v11, v17, v9
	s_wait_dscnt 0x0
	v_add_f64_e32 v[8:9], v[8:9], v[10:11]
	;; [unrolled: 4-line block ×3, first 2 shown]
	s_or_b32 exec_lo, exec_lo, s6
	s_and_saveexec_b32 s6, s5
	s_cbranch_execz .LBB265_3
.LBB265_19:                             ;   in Loop: Header=BB265_4 Depth=1
	v_add_nc_u64_e32 v[6:7], s[10:11], v[6:7]
	s_and_not1_b32 vcc_lo, exec_lo, s31
	s_delay_alu instid0(VALU_DEP_1)
	v_add_nc_u64_e32 v[6:7], s[24:25], v[6:7]
	s_cbranch_vccnz .LBB265_2
; %bb.20:                               ;   in Loop: Header=BB265_4 Depth=1
	flat_load_b64 v[10:11], v[6:7]
	s_wait_loadcnt_dscnt 0x0
	v_fmac_f64_e32 v[8:9], s[14:15], v[10:11]
	s_branch .LBB265_2
.LBB265_21:
	s_endpgm
	.section	.rodata,"a",@progbits
	.p2align	6, 0x0
	.amdhsa_kernel _ZL23rocblas_gemvt_sn_reduceILi256ELi8EddKPdEviT2_lPT3_lilPT1_i
		.amdhsa_group_segment_fixed_size 256
		.amdhsa_private_segment_fixed_size 0
		.amdhsa_kernarg_size 328
		.amdhsa_user_sgpr_count 2
		.amdhsa_user_sgpr_dispatch_ptr 0
		.amdhsa_user_sgpr_queue_ptr 0
		.amdhsa_user_sgpr_kernarg_segment_ptr 1
		.amdhsa_user_sgpr_dispatch_id 0
		.amdhsa_user_sgpr_kernarg_preload_length 0
		.amdhsa_user_sgpr_kernarg_preload_offset 0
		.amdhsa_user_sgpr_private_segment_size 0
		.amdhsa_wavefront_size32 1
		.amdhsa_uses_dynamic_stack 0
		.amdhsa_enable_private_segment 0
		.amdhsa_system_sgpr_workgroup_id_x 1
		.amdhsa_system_sgpr_workgroup_id_y 1
		.amdhsa_system_sgpr_workgroup_id_z 1
		.amdhsa_system_sgpr_workgroup_info 0
		.amdhsa_system_vgpr_workitem_id 0
		.amdhsa_next_free_vgpr 38
		.amdhsa_next_free_sgpr 38
		.amdhsa_named_barrier_count 0
		.amdhsa_reserve_vcc 1
		.amdhsa_float_round_mode_32 0
		.amdhsa_float_round_mode_16_64 0
		.amdhsa_float_denorm_mode_32 3
		.amdhsa_float_denorm_mode_16_64 3
		.amdhsa_fp16_overflow 0
		.amdhsa_memory_ordered 1
		.amdhsa_forward_progress 1
		.amdhsa_inst_pref_size 10
		.amdhsa_round_robin_scheduling 0
		.amdhsa_exception_fp_ieee_invalid_op 0
		.amdhsa_exception_fp_denorm_src 0
		.amdhsa_exception_fp_ieee_div_zero 0
		.amdhsa_exception_fp_ieee_overflow 0
		.amdhsa_exception_fp_ieee_underflow 0
		.amdhsa_exception_fp_ieee_inexact 0
		.amdhsa_exception_int_div_zero 0
	.end_amdhsa_kernel
	.section	.text._ZL23rocblas_gemvt_sn_reduceILi256ELi8EddKPdEviT2_lPT3_lilPT1_i,"axG",@progbits,_ZL23rocblas_gemvt_sn_reduceILi256ELi8EddKPdEviT2_lPT3_lilPT1_i,comdat
.Lfunc_end265:
	.size	_ZL23rocblas_gemvt_sn_reduceILi256ELi8EddKPdEviT2_lPT3_lilPT1_i, .Lfunc_end265-_ZL23rocblas_gemvt_sn_reduceILi256ELi8EddKPdEviT2_lPT3_lilPT1_i
                                        ; -- End function
	.set _ZL23rocblas_gemvt_sn_reduceILi256ELi8EddKPdEviT2_lPT3_lilPT1_i.num_vgpr, 38
	.set _ZL23rocblas_gemvt_sn_reduceILi256ELi8EddKPdEviT2_lPT3_lilPT1_i.num_agpr, 0
	.set _ZL23rocblas_gemvt_sn_reduceILi256ELi8EddKPdEviT2_lPT3_lilPT1_i.numbered_sgpr, 38
	.set _ZL23rocblas_gemvt_sn_reduceILi256ELi8EddKPdEviT2_lPT3_lilPT1_i.num_named_barrier, 0
	.set _ZL23rocblas_gemvt_sn_reduceILi256ELi8EddKPdEviT2_lPT3_lilPT1_i.private_seg_size, 0
	.set _ZL23rocblas_gemvt_sn_reduceILi256ELi8EddKPdEviT2_lPT3_lilPT1_i.uses_vcc, 1
	.set _ZL23rocblas_gemvt_sn_reduceILi256ELi8EddKPdEviT2_lPT3_lilPT1_i.uses_flat_scratch, 0
	.set _ZL23rocblas_gemvt_sn_reduceILi256ELi8EddKPdEviT2_lPT3_lilPT1_i.has_dyn_sized_stack, 0
	.set _ZL23rocblas_gemvt_sn_reduceILi256ELi8EddKPdEviT2_lPT3_lilPT1_i.has_recursion, 0
	.set _ZL23rocblas_gemvt_sn_reduceILi256ELi8EddKPdEviT2_lPT3_lilPT1_i.has_indirect_call, 0
	.section	.AMDGPU.csdata,"",@progbits
; Kernel info:
; codeLenInByte = 1212
; TotalNumSgprs: 40
; NumVgprs: 38
; ScratchSize: 0
; MemoryBound: 1
; FloatMode: 240
; IeeeMode: 1
; LDSByteSize: 256 bytes/workgroup (compile time only)
; SGPRBlocks: 0
; VGPRBlocks: 2
; NumSGPRsForWavesPerEU: 40
; NumVGPRsForWavesPerEU: 38
; NamedBarCnt: 0
; Occupancy: 16
; WaveLimiterHint : 1
; COMPUTE_PGM_RSRC2:SCRATCH_EN: 0
; COMPUTE_PGM_RSRC2:USER_SGPR: 2
; COMPUTE_PGM_RSRC2:TRAP_HANDLER: 0
; COMPUTE_PGM_RSRC2:TGID_X_EN: 1
; COMPUTE_PGM_RSRC2:TGID_Y_EN: 1
; COMPUTE_PGM_RSRC2:TGID_Z_EN: 1
; COMPUTE_PGM_RSRC2:TIDIG_COMP_CNT: 0
	.section	.text._ZL36rocblas_gemvt_double_buffered_kernelILb0ELi128ELi4ELi16EPKdS1_KPdEviiT4_lPKT3_lilS7_lilPT5_lili,"axG",@progbits,_ZL36rocblas_gemvt_double_buffered_kernelILb0ELi128ELi4ELi16EPKdS1_KPdEviiT4_lPKT3_lilS7_lilPT5_lili,comdat
	.globl	_ZL36rocblas_gemvt_double_buffered_kernelILb0ELi128ELi4ELi16EPKdS1_KPdEviiT4_lPKT3_lilS7_lilPT5_lili ; -- Begin function _ZL36rocblas_gemvt_double_buffered_kernelILb0ELi128ELi4ELi16EPKdS1_KPdEviiT4_lPKT3_lilS7_lilPT5_lili
	.p2align	8
	.type	_ZL36rocblas_gemvt_double_buffered_kernelILb0ELi128ELi4ELi16EPKdS1_KPdEviiT4_lPKT3_lilS7_lilPT5_lili,@function
_ZL36rocblas_gemvt_double_buffered_kernelILb0ELi128ELi4ELi16EPKdS1_KPdEviiT4_lPKT3_lilS7_lilPT5_lili: ; @_ZL36rocblas_gemvt_double_buffered_kernelILb0ELi128ELi4ELi16EPKdS1_KPdEviiT4_lPKT3_lilS7_lilPT5_lili
; %bb.0:
	s_load_b32 s33, s[0:1], 0x78
	s_bfe_u32 s2, ttmp6, 0x40014
	s_lshr_b32 s3, ttmp7, 16
	s_add_co_i32 s2, s2, 1
	s_bfe_u32 s4, ttmp6, 0x40008
	s_mul_i32 s2, s3, s2
	s_getreg_b32 s23, hwreg(HW_REG_IB_STS2, 6, 4)
	s_add_co_i32 s4, s4, s2
	s_cmp_eq_u32 s23, 0
	s_cselect_b32 s2, s3, s4
	s_mov_b32 s3, 0
	s_wait_kmcnt 0x0
	s_cmp_ge_u32 s2, s33
	s_cbranch_scc1 .LBB266_15
; %bb.1:
	s_clause 0x6
	s_load_b32 s22, s[0:1], 0x0
	s_load_b32 s30, s[0:1], 0x28
	s_load_b128 s[12:15], s[0:1], 0x38
	s_load_b32 s20, s[0:1], 0x48
	s_load_b128 s[16:19], s[0:1], 0x58
	s_load_b32 s34, s[0:1], 0x68
	s_load_b256 s[4:11], s[0:1], 0x8
	v_and_b32_e32 v8, 0x3ff, v0
	v_bfe_u32 v1, v0, 10, 10
	s_bfe_u32 s24, ttmp6, 0x4000c
	s_and_b32 s21, ttmp6, 15
	s_add_co_i32 s24, s24, 1
	s_bfe_u32 s26, ttmp6, 0x40010
	v_lshl_add_u32 v4, v1, 7, v8
	s_mul_i32 s24, ttmp9, s24
	s_and_b32 s25, ttmp7, 0xffff
	s_add_co_i32 s24, s21, s24
	s_add_co_i32 s26, s26, 1
	v_dual_lshrrev_b32 v5, 2, v4 :: v_dual_mov_b32 v3, 0
	s_wait_kmcnt 0x0
	s_ashr_i32 s21, s22, 31
	s_bfe_u32 s27, ttmp6, 0x40004
	s_lshr_b32 s28, s21, 25
	s_mul_i32 s26, s25, s26
	s_add_co_i32 s22, s22, s28
	v_and_b32_e32 v6, 0x7ff0, v5
	v_and_b32_e32 v2, 63, v0
	s_ashr_i32 s31, s30, 31
	s_ashr_i32 s21, s20, 31
	;; [unrolled: 1-line block ×4, first 2 shown]
	s_add_co_i32 s27, s27, s26
	s_cmp_eq_u32 s23, 0
	v_lshlrev_b32_e32 v40, 9, v6
	s_cselect_b32 s42, s25, s27
	s_cselect_b32 s23, ttmp9, s24
	s_add_nc_u64 s[24:25], s[0:1], 0x80
	v_mad_nc_i64_i32 v[10:11], s30, v6, v[2:3]
	v_lshlrev_b32_e32 v2, 3, v2
	v_lshl_or_b32 v41, v5, 9, 0x1e00
	v_dual_add_nc_u32 v5, 1, v8 :: v_dual_add_nc_u32 v6, 2, v8
	v_cmp_eq_u32_e64 s0, 0, v1
	v_dual_add_nc_u32 v1, 3, v8 :: v_dual_lshlrev_b32 v42, 9, v8
	s_delay_alu instid0(VALU_DEP_3) | instskip(SKIP_2) | instid1(VALU_DEP_4)
	v_and_b32_e32 v5, 63, v5
	v_bitop3_b32 v0, v0, 32, 63 bitop3:0x6c
	v_dual_add_nc_u32 v7, 4, v8 :: v_dual_bitop2_b32 v6, 63, v6 bitop3:0x40
	v_dual_add_nc_u32 v9, 5, v8 :: v_dual_bitop2_b32 v1, 63, v1 bitop3:0x40
	s_delay_alu instid0(VALU_DEP_4) | instskip(NEXT) | instid1(VALU_DEP_4)
	v_lshl_or_b32 v5, v5, 3, v42
	v_lshl_or_b32 v0, v0, 3, v42
	scratch_store_b64 off, v[10:11], off    ; 8-byte Folded Spill
	v_lshl_or_b32 v1, v1, 3, v42
	v_lshlrev_b32_e32 v4, 1, v4
	s_clause 0x1
	scratch_store_b32 off, v5, off offset:8
	scratch_store_b32 off, v0, off offset:132
	s_wait_xcnt 0x1
	v_lshl_or_b32 v5, v6, 3, v42
	scratch_store_b32 off, v1, off offset:16 ; 4-byte Folded Spill
	s_wait_xcnt 0x0
	v_dual_add_nc_u32 v0, 33, v8 :: v_dual_bitop2_b32 v1, 63, v9 bitop3:0x40
	v_add_nc_u32_e32 v6, 6, v8
	v_and_b32_e32 v4, 0x3ff80, v4
	s_lshl_b32 s40, s23, 7
	s_delay_alu instid0(VALU_DEP_3)
	v_lshl_or_b32 v1, v1, 3, v42
	scratch_store_b32 off, v5, off offset:12 ; 4-byte Folded Spill
	s_wait_xcnt 0x0
	v_and_b32_e32 v5, 63, v7
	v_and_b32_e32 v0, 63, v0
	v_add_nc_u32_e32 v7, 7, v8
	s_ashr_i32 s41, s40, 31
	s_lshl_b64 s[10:11], s[10:11], 3
	v_lshl_or_b32 v5, v5, 3, v42
	v_lshl_or_b32 v0, v0, 3, v42
	scratch_store_b32 off, v1, off offset:24 ; 4-byte Folded Spill
	s_wait_xcnt 0x0
	v_and_b32_e32 v1, 63, v6
	v_dual_add_nc_u32 v7, 8, v8 :: v_dual_bitop2_b32 v6, 63, v7 bitop3:0x40
	v_dual_add_nc_u32 v9, 9, v8 :: v_dual_add_nc_u32 v16, 10, v8
	s_delay_alu instid0(VALU_DEP_3)
	v_lshl_or_b32 v1, v1, 3, v42
	scratch_store_b32 off, v5, off offset:20 ; 4-byte Folded Spill
	s_wait_xcnt 0x0
	v_dual_mov_b32 v5, v3 :: v_dual_bitop2_b32 v9, 63, v9 bitop3:0x40
	v_add_nc_u32_e32 v17, 11, v8
	scratch_store_b32 off, v1, off offset:28 ; 4-byte Folded Spill
	s_wait_xcnt 0x0
	v_lshl_or_b32 v1, v6, 3, v42
	v_lshl_add_u64 v[4:5], s[40:41], 3, v[4:5]
	v_add_nc_u32_e32 v46, 12, v8
	scratch_store_b32 off, v0, off offset:136 ; 4-byte Folded Spill
	v_or_b32_e32 v233, v42, v2
	scratch_store_b32 off, v1, off offset:32 ; 4-byte Folded Spill
	s_wait_xcnt 0x0
	v_and_b32_e32 v1, 63, v7
	v_mul_lo_u32 v5, v5, s30
	v_mad_nc_u64_u32 v[6:7], v4, s30, s[10:11]
	v_or_b32_e32 v20, 8, v4
	v_or_b32_e32 v36, 0x48, v4
	v_lshl_or_b32 v1, v1, 3, v42
	v_or_b32_e32 v37, 0x50, v4
	v_or_b32_e32 v43, 0x60, v4
	;; [unrolled: 1-line block ×3, first 2 shown]
	v_mad_nc_u64_u32 v[26:27], v36, s30, s[10:11]
	v_or_b32_e32 v35, 64, v4
	scratch_store_b32 off, v1, off offset:36 ; 4-byte Folded Spill
	s_wait_xcnt 0x0
	v_lshl_or_b32 v1, v9, 3, v42
	v_add_nc_u32_e32 v7, v5, v7
	v_mad_nc_u64_u32 v[10:11], v20, s30, s[10:11]
	v_or_b32_e32 v21, 16, v4
	v_and_b32_e32 v9, 63, v17
	v_mad_nc_u64_u32 v[32:33], v43, s30, s[10:11]
	v_or_b32_e32 v44, 0x68, v4
	v_or_b32_e32 v45, 0x70, v4
	v_add_nc_u32_e32 v27, v5, v27
	v_mad_nc_u64_u32 v[24:25], v35, s30, s[10:11]
	v_or_b32_e32 v34, 56, v4
	v_lshl_or_b32 v9, v9, 3, v42
	scratch_store_b32 off, v1, off offset:40 ; 4-byte Folded Spill
	v_add_nc_u32_e32 v11, v5, v11
	v_mad_nc_u64_u32 v[12:13], v21, s30, s[10:11]
	v_dual_add_nc_u32 v33, v5, v33 :: v_dual_bitop2_b32 v22, 24, v4 bitop3:0x54
	v_mad_u32 v27, v36, s31, v27
	s_delay_alu instid0(VALU_DEP_4)
	v_mad_u32 v11, v20, s31, v11
	v_mad_u32 v7, v4, s31, v7
	v_add_nc_u32_e32 v25, v5, v25
	v_mad_u32 v33, v43, s31, v33
	s_mul_u64 s[36:37], s[30:31], s[40:41]
	s_mul_u64 s[38:39], s[34:35], s[40:41]
	;; [unrolled: 1-line block ×3, first 2 shown]
	v_add_nc_u32_e32 v13, v5, v13
	v_mad_nc_u64_u32 v[14:15], v22, s30, s[10:11]
	s_wait_xcnt 0x0
	v_and_b32_e32 v1, 63, v16
	v_mad_u32 v25, v35, s31, v25
	v_add_nc_u64_e32 v[10:11], 0x400, v[10:11]
	v_mad_u32 v13, v21, s31, v13
	v_add_nc_u64_e32 v[26:27], 0x400, v[26:27]
	v_add_nc_u64_e32 v[32:33], 0x400, v[32:33]
	s_lshl_b64 s[28:29], s[20:21], 10
	s_mov_b32 s23, s3
	s_lshl_b64 s[14:15], s[14:15], 3
	s_lshl_b64 s[36:37], s[36:37], 3
	v_add_nc_u32_e32 v15, v5, v15
	v_lshl_or_b32 v1, v1, 3, v42
	v_add_nc_u64_e32 v[24:25], 0x400, v[24:25]
	s_lshl_b64 s[18:19], s[18:19], 3
	v_add_nc_u64_e32 v[12:13], 0x400, v[12:13]
	v_mad_u32 v15, v22, s31, v15
	v_mad_nc_u64_u32 v[22:23], v34, s30, s[10:11]
	v_or_b32_e32 v30, 48, v4
	scratch_store_b32 off, v1, off offset:44 ; 4-byte Folded Spill
	s_wait_xcnt 0x0
	v_and_b32_e32 v1, 63, v46
	s_lshl_b64 s[38:39], s[38:39], 3
	v_dual_add_nc_u32 v235, v2, v41 :: v_dual_add_nc_u32 v48, -1, v8
	v_add_nc_u32_e32 v234, v2, v40
	s_delay_alu instid0(VALU_DEP_3)
	v_lshl_or_b32 v1, v1, 3, v42
	scratch_store_b32 off, v9, off offset:48 ; 4-byte Folded Spill
	v_add_nc_u64_e32 v[14:15], 0x400, v[14:15]
	v_add_nc_u32_e32 v23, v5, v23
	v_mad_nc_u64_u32 v[20:21], v30, s30, s[10:11]
	v_or_b32_e32 v29, 40, v4
	scratch_store_b32 off, v1, off offset:52 ; 4-byte Folded Spill
	v_and_b32_e32 v48, 63, v48
	v_mad_u32 v23, v34, s31, v23
	v_mad_nc_u64_u32 v[34:35], v44, s30, s[10:11]
	s_delay_alu instid0(VALU_DEP_3)
	v_lshl_or_b32 v232, v48, 3, v42
	v_add_nc_u32_e32 v21, v5, v21
	v_mad_nc_u64_u32 v[18:19], v29, s30, s[10:11]
	v_or_b32_e32 v28, 32, v4
	v_or_b32_e32 v4, 0x78, v4
	v_add_nc_u64_e32 v[22:23], 0x400, v[22:23]
	v_mad_u32 v21, v30, s31, v21
	v_mad_nc_u64_u32 v[30:31], v38, s30, s[10:11]
	v_add_nc_u32_e32 v35, v5, v35
	v_add_nc_u32_e32 v19, v5, v19
	v_mad_nc_u64_u32 v[16:17], v28, s30, s[10:11]
	s_delay_alu instid0(VALU_DEP_3) | instskip(SKIP_4) | instid1(VALU_DEP_1)
	v_mad_u32 v35, v44, s31, v35
	v_add_nc_u32_e32 v44, 16, v8
	v_add_nc_u64_e32 v[20:21], 0x400, v[20:21]
	v_mad_u32 v19, v29, s31, v19
	v_add_nc_u32_e32 v31, v5, v31
	v_mad_u32 v31, v38, s31, v31
	v_add_nc_u32_e32 v17, v5, v17
	v_mad_nc_u64_u32 v[38:39], v4, s30, s[10:11]
	v_add_nc_u64_e32 v[34:35], 0x400, v[34:35]
	v_add_nc_u64_e32 v[18:19], 0x400, v[18:19]
	s_delay_alu instid0(VALU_DEP_4) | instskip(SKIP_2) | instid1(VALU_DEP_3)
	v_mad_u32 v17, v28, s31, v17
	v_mad_nc_u64_u32 v[28:29], v37, s30, s[10:11]
	v_add_nc_u64_e32 v[30:31], 0x400, v[30:31]
	v_add_nc_u64_e32 v[16:17], 0x400, v[16:17]
	s_delay_alu instid0(VALU_DEP_3) | instskip(NEXT) | instid1(VALU_DEP_1)
	v_add_nc_u32_e32 v29, v5, v29
	v_mad_u32 v29, v37, s31, v29
	v_mad_nc_u64_u32 v[36:37], v45, s30, s[10:11]
	v_add_nc_u32_e32 v43, 13, v8
	s_delay_alu instid0(VALU_DEP_3) | instskip(SKIP_1) | instid1(VALU_DEP_2)
	v_add_nc_u64_e32 v[28:29], 0x400, v[28:29]
	s_wait_xcnt 0x0
	v_dual_add_nc_u32 v9, v5, v37 :: v_dual_bitop2_b32 v1, 63, v43 bitop3:0x40
	v_dual_add_nc_u32 v43, 14, v8 :: v_dual_add_nc_u32 v5, v5, v39
	s_delay_alu instid0(VALU_DEP_2) | instskip(NEXT) | instid1(VALU_DEP_3)
	v_mad_u32 v37, v45, s31, v9
	v_lshl_or_b32 v1, v1, 3, v42
	v_add_nc_u32_e32 v9, 15, v8
	s_delay_alu instid0(VALU_DEP_4)
	v_mad_u32 v39, v4, s31, v5
	v_add_nc_u32_e32 v4, 17, v8
	s_lshl_b64 s[30:31], s[30:31], 3
	scratch_store_b32 off, v1, off offset:56 ; 4-byte Folded Spill
	s_wait_xcnt 0x0
	v_dual_add_nc_u32 v43, 18, v8 :: v_dual_bitop2_b32 v1, 63, v43 bitop3:0x40
	v_and_b32_e32 v5, 63, v9
	v_and_b32_e32 v9, 63, v44
	v_and_b32_e32 v4, 63, v4
	s_delay_alu instid0(VALU_DEP_4) | instskip(SKIP_4) | instid1(VALU_DEP_4)
	v_lshl_or_b32 v1, v1, 3, v42
	v_and_b32_e32 v43, 63, v43
	v_cvt_f64_i32_e32 v[44:45], s42
	v_add_nc_u64_e32 v[36:37], 0x400, v[36:37]
	v_add_nc_u64_e32 v[38:39], 0x400, v[38:39]
	v_lshl_or_b32 v43, v43, 3, v42
	scratch_store_b32 off, v1, off offset:60 ; 4-byte Folded Spill
	s_wait_xcnt 0x0
	v_lshl_or_b32 v1, v5, 3, v42
	v_add_nc_u32_e32 v5, 21, v8
	scratch_store_b32 off, v43, off offset:76 ; 4-byte Folded Spill
	s_wait_xcnt 0x0
	v_dual_add_nc_u32 v43, 27, v8 :: v_dual_bitop2_b32 v5, 63, v5 bitop3:0x40
	s_delay_alu instid0(VALU_DEP_1) | instskip(NEXT) | instid1(VALU_DEP_1)
	v_and_b32_e32 v43, 63, v43
	v_lshl_or_b32 v43, v43, 3, v42
	scratch_store_b32 off, v1, off offset:64 ; 4-byte Folded Spill
	s_wait_xcnt 0x0
	v_lshl_or_b32 v1, v9, 3, v42
	scratch_store_b32 off, v1, off offset:68 ; 4-byte Folded Spill
	s_wait_xcnt 0x0
	v_lshl_or_b32 v1, v4, 3, v42
	v_add_nc_u32_e32 v4, 20, v8
	scratch_store_b32 off, v1, off offset:72 ; 4-byte Folded Spill
	s_wait_xcnt 0x0
	v_dual_add_nc_u32 v1, 19, v8 :: v_dual_add_nc_u32 v9, 22, v8
	v_and_b32_e32 v4, 63, v4
	s_delay_alu instid0(VALU_DEP_2) | instskip(NEXT) | instid1(VALU_DEP_3)
	v_and_b32_e32 v1, 63, v1
	v_and_b32_e32 v9, 63, v9
	s_delay_alu instid0(VALU_DEP_2)
	v_lshl_or_b32 v1, v1, 3, v42
	scratch_store_b32 off, v1, off offset:80 ; 4-byte Folded Spill
	s_wait_xcnt 0x0
	v_lshl_or_b32 v1, v4, 3, v42
	v_add_nc_u32_e32 v4, 24, v8
	scratch_store_b32 off, v1, off offset:84 ; 4-byte Folded Spill
	s_wait_xcnt 0x0
	v_lshl_or_b32 v1, v5, 3, v42
	v_add_nc_u32_e32 v5, 25, v8
	v_and_b32_e32 v4, 63, v4
	scratch_store_b32 off, v1, off offset:88 ; 4-byte Folded Spill
	s_wait_xcnt 0x0
	v_lshl_or_b32 v1, v9, 3, v42
	v_and_b32_e32 v5, 63, v5
	scratch_store_b32 off, v1, off offset:92 ; 4-byte Folded Spill
	s_wait_xcnt 0x0
	v_dual_add_nc_u32 v1, 23, v8 :: v_dual_add_nc_u32 v9, 26, v8
	s_delay_alu instid0(VALU_DEP_1) | instskip(NEXT) | instid1(VALU_DEP_2)
	v_and_b32_e32 v1, 63, v1
	v_and_b32_e32 v9, 63, v9
	s_delay_alu instid0(VALU_DEP_2)
	v_lshl_or_b32 v1, v1, 3, v42
	scratch_store_b32 off, v1, off offset:96 ; 4-byte Folded Spill
	s_wait_xcnt 0x0
	v_lshl_or_b32 v1, v4, 3, v42
	v_add_nc_u32_e32 v4, 29, v8
	scratch_store_b32 off, v1, off offset:100 ; 4-byte Folded Spill
	s_wait_xcnt 0x0
	v_lshl_or_b32 v1, v5, 3, v42
	v_add_nc_u32_e32 v5, 30, v8
	v_and_b32_e32 v4, 63, v4
	scratch_store_b32 off, v1, off offset:104 ; 4-byte Folded Spill
	s_wait_xcnt 0x0
	v_lshl_or_b32 v1, v9, 3, v42
	v_dual_add_nc_u32 v9, 31, v8 :: v_dual_bitop2_b32 v5, 63, v5 bitop3:0x40
	scratch_store_b32 off, v1, off offset:108 ; 4-byte Folded Spill
	s_wait_xcnt 0x0
	v_dual_add_nc_u32 v1, 28, v8 :: v_dual_bitop2_b32 v9, 63, v9 bitop3:0x40
	s_delay_alu instid0(VALU_DEP_1) | instskip(NEXT) | instid1(VALU_DEP_1)
	v_and_b32_e32 v1, 63, v1
	v_lshl_or_b32 v1, v1, 3, v42
	scratch_store_b32 off, v43, off offset:112 ; 4-byte Folded Spill
	s_wait_xcnt 0x0
	v_add_nc_u32_e32 v43, 57, v8
	scratch_store_b32 off, v1, off offset:116 ; 4-byte Folded Spill
	s_wait_xcnt 0x0
	v_lshl_or_b32 v1, v4, 3, v42
	v_dual_add_nc_u32 v4, 35, v8 :: v_dual_bitop2_b32 v43, 63, v43 bitop3:0x40
	scratch_store_b32 off, v1, off offset:120 ; 4-byte Folded Spill
	s_wait_xcnt 0x0
	v_lshl_or_b32 v1, v5, 3, v42
	v_add_nc_u32_e32 v5, 36, v8
	v_and_b32_e32 v4, 63, v4
	v_lshl_or_b32 v226, v43, 3, v42
	v_add_nc_u32_e32 v43, 61, v8
	scratch_store_b32 off, v1, off offset:124 ; 4-byte Folded Spill
	s_wait_xcnt 0x0
	v_lshl_or_b32 v1, v9, 3, v42
	v_dual_add_nc_u32 v9, 37, v8 :: v_dual_bitop2_b32 v5, 63, v5 bitop3:0x40
	v_lshl_or_b32 v248, v4, 3, v42
	v_add_nc_u32_e32 v4, 40, v8
	scratch_store_b32 off, v1, off offset:128 ; 4-byte Folded Spill
	s_wait_xcnt 0x0
	v_dual_add_nc_u32 v1, 34, v8 :: v_dual_bitop2_b32 v9, 63, v9 bitop3:0x40
	v_and_b32_e32 v43, 63, v43
	v_and_b32_e32 v4, 63, v4
	s_delay_alu instid0(VALU_DEP_3) | instskip(NEXT) | instid1(VALU_DEP_4)
	v_and_b32_e32 v1, 63, v1
	v_lshl_or_b32 v250, v9, 3, v42
	v_add_nc_u32_e32 v9, 42, v8
	s_delay_alu instid0(VALU_DEP_4)
	v_lshl_or_b32 v253, v4, 3, v42
	v_add_nc_u32_e32 v4, 45, v8
	v_lshl_or_b32 v0, v1, 3, v42
	v_add_nc_u32_e32 v1, 39, v8
	v_lshl_or_b32 v249, v5, 3, v42
	v_dual_add_nc_u32 v5, 41, v8 :: v_dual_bitop2_b32 v9, 63, v9 bitop3:0x40
	scratch_store_b32 off, v0, off offset:140 ; 4-byte Folded Spill
	s_wait_xcnt 0x0
	v_dual_add_nc_u32 v0, 38, v8 :: v_dual_bitop2_b32 v1, 63, v1 bitop3:0x40
	v_and_b32_e32 v5, 63, v5
	v_lshl_or_b32 v255, v9, 3, v42
	v_add_nc_u32_e32 v9, 47, v8
	s_delay_alu instid0(VALU_DEP_4) | instskip(SKIP_1) | instid1(VALU_DEP_3)
	v_and_b32_e32 v0, 63, v0
	v_and_b32_e32 v4, 63, v4
	;; [unrolled: 1-line block ×3, first 2 shown]
	s_delay_alu instid0(VALU_DEP_3)
	v_lshl_or_b32 v251, v0, 3, v42
	v_add_nc_u32_e32 v0, 43, v8
	v_lshl_or_b32 v252, v1, 3, v42
	v_add_nc_u32_e32 v1, 44, v8
	;; [unrolled: 2-line block ×3, first 2 shown]
	v_and_b32_e32 v0, 63, v0
	v_lshl_or_b32 v216, v4, 3, v42
	v_dual_add_nc_u32 v4, 50, v8 :: v_dual_bitop2_b32 v1, 63, v1 bitop3:0x40
	s_delay_alu instid0(VALU_DEP_4) | instskip(NEXT) | instid1(VALU_DEP_4)
	v_and_b32_e32 v5, 63, v5
	v_lshl_or_b32 v214, v0, 3, v42
	v_lshl_or_b32 v218, v9, 3, v42
	v_add_nc_u32_e32 v0, 48, v8
	v_lshl_or_b32 v215, v1, 3, v42
	v_add_nc_u32_e32 v1, 49, v8
	v_lshl_or_b32 v217, v5, 3, v42
	v_dual_add_nc_u32 v5, 51, v8 :: v_dual_add_nc_u32 v9, 52, v8
	v_and_b32_e32 v0, 63, v0
	s_delay_alu instid0(VALU_DEP_4) | instskip(SKIP_1) | instid1(VALU_DEP_4)
	v_and_b32_e32 v1, 63, v1
	v_and_b32_e32 v4, 63, v4
	v_and_b32_e32 v5, 63, v5
	v_and_b32_e32 v9, 63, v9
	v_lshl_or_b32 v219, v0, 3, v42
	v_add_nc_u32_e32 v0, 53, v8
	v_lshl_or_b32 v220, v1, 3, v42
	v_lshl_or_b32 v221, v4, 3, v42
	v_add_nc_u32_e32 v1, 54, v8
	v_lshl_or_b32 v222, v5, 3, v42
	v_add_nc_u32_e32 v5, 55, v8
	;; [unrolled: 2-line block ×3, first 2 shown]
	v_and_b32_e32 v0, 63, v0
	v_and_b32_e32 v1, 63, v1
	;; [unrolled: 1-line block ×3, first 2 shown]
	s_delay_alu instid0(VALU_DEP_4) | instskip(NEXT) | instid1(VALU_DEP_4)
	v_and_b32_e32 v9, 63, v9
	v_lshl_or_b32 v5, v0, 3, v42
	v_add_nc_u32_e32 v0, 58, v8
	v_lshl_or_b32 v223, v1, 3, v42
	v_add_nc_u32_e32 v1, 59, v8
	;; [unrolled: 2-line block ×3, first 2 shown]
	v_lshl_or_b32 v224, v46, 3, v42
	v_and_b32_e32 v0, 63, v0
	v_dual_add_nc_u32 v1, 62, v8 :: v_dual_bitop2_b32 v46, 63, v1 bitop3:0x40
	s_delay_alu instid0(VALU_DEP_4) | instskip(NEXT) | instid1(VALU_DEP_3)
	v_dual_mov_b32 v9, v3 :: v_dual_bitop2_b32 v47, 63, v9 bitop3:0x40
	v_lshl_or_b32 v227, v0, 3, v42
	s_delay_alu instid0(VALU_DEP_3) | instskip(NEXT) | instid1(VALU_DEP_4)
	v_lshl_or_b32 v228, v46, 3, v42
	v_and_b32_e32 v49, 63, v1
	s_delay_alu instid0(VALU_DEP_4)
	v_lshl_or_b32 v229, v47, 3, v42
	v_mul_u64_e32 v[0:1], s[34:35], v[8:9]
	v_max_num_f64_e32 v[8:9], v[44:45], v[44:45]
	v_lshl_or_b32 v230, v43, 3, v42
	v_lshl_or_b32 v231, v49, 3, v42
	s_sub_nc_u64 s[34:35], 0, s[30:31]
	s_branch .LBB266_4
.LBB266_2:                              ;   in Loop: Header=BB266_4 Depth=1
	s_wait_xcnt 0x0
	s_or_b32 exec_lo, exec_lo, s1
.LBB266_3:                              ;   in Loop: Header=BB266_4 Depth=1
	s_add_co_i32 s2, s2, 0x10000
	s_delay_alu instid0(SALU_CYCLE_1)
	s_cmp_lt_u32 s2, s33
	s_cbranch_scc0 .LBB266_15
.LBB266_4:                              ; =>This Loop Header: Depth=1
                                        ;     Child Loop BB266_8 Depth 2
	s_wait_xcnt 0x0
	s_mul_u64 s[40:41], s[6:7], s[2:3]
	s_delay_alu instid0(SALU_CYCLE_1) | instskip(NEXT) | instid1(SALU_CYCLE_1)
	s_lshl_b64 s[40:41], s[40:41], 3
	s_add_nc_u64 s[40:41], s[4:5], s[40:41]
	global_load_b64 v[40:41], v3, s[40:41]
	s_wait_loadcnt 0x0
	v_cmp_eq_f64_e32 vcc_lo, 0, v[40:41]
	s_cbranch_vccnz .LBB266_3
; %bb.5:                                ;   in Loop: Header=BB266_4 Depth=1
	s_load_b32 s1, s[24:25], 0x4
	s_wait_kmcnt 0x0
	s_cvt_f32_u32 s40, s1
	s_sub_co_i32 s41, 0, s1
	s_delay_alu instid0(SALU_CYCLE_2) | instskip(SKIP_1) | instid1(TRANS32_DEP_1)
	v_rcp_iflag_f32_e32 v42, s40
	v_nop
	v_readfirstlane_b32 s40, v42
	s_mul_f32 s40, s40, 0x4f7ffffe
	s_delay_alu instid0(SALU_CYCLE_3) | instskip(NEXT) | instid1(SALU_CYCLE_3)
	s_cvt_u32_f32 s40, s40
	s_mul_i32 s41, s41, s40
	s_delay_alu instid0(SALU_CYCLE_1) | instskip(NEXT) | instid1(SALU_CYCLE_1)
	s_mul_hi_u32 s41, s40, s41
	s_add_co_i32 s40, s40, s41
	s_mov_b32 s41, s3
	s_delay_alu instid0(SALU_CYCLE_1) | instskip(NEXT) | instid1(SALU_CYCLE_1)
	s_mul_u64 s[40:41], s[22:23], s[40:41]
	s_mul_i32 s40, s41, s1
	s_add_co_i32 s43, s41, 1
	s_sub_co_i32 s40, s22, s40
	s_delay_alu instid0(SALU_CYCLE_1)
	s_sub_co_i32 s44, s40, s1
	s_cmp_ge_u32 s40, s1
	s_cselect_b32 s41, s43, s41
	s_cselect_b32 s40, s44, s40
	s_add_co_i32 s43, s41, 1
	s_cmp_ge_u32 s40, s1
	s_cselect_b32 s43, s43, s41
	s_delay_alu instid0(SALU_CYCLE_1) | instskip(NEXT) | instid1(SALU_CYCLE_1)
	s_mul_i32 s1, s43, s1
	s_sub_co_i32 s44, s22, s1
	s_delay_alu instid0(SALU_CYCLE_1) | instskip(SKIP_1) | instid1(SALU_CYCLE_1)
	s_cmp_lt_u32 s42, s44
	s_cselect_b32 s1, -1, 0
	s_cmp_lg_u32 s1, 0
	s_add_co_ci_u32 s1, s43, 0
	s_delay_alu instid0(SALU_CYCLE_1)
	s_cmp_eq_u32 s1, 0
	s_cbranch_scc1 .LBB266_3
; %bb.6:                                ;   in Loop: Header=BB266_4 Depth=1
	s_lshl_b64 s[40:41], s[2:3], 3
	s_cmp_lt_i32 s1, 1
	s_add_nc_u64 s[46:47], s[16:17], s[40:41]
	global_load_b64 v[42:43], v3, s[46:47]
	s_cbranch_scc1 .LBB266_12
; %bb.7:                                ;   in Loop: Header=BB266_4 Depth=1
	s_wait_xcnt 0x0
	s_add_nc_u64 s[46:47], s[8:9], s[40:41]
	v_cvt_f64_u32_e32 v[44:45], s44
	global_load_b64 v[50:51], v3, s[46:47]
	s_mul_i32 s43, s43, s42
	s_add_nc_u64 s[40:41], s[12:13], s[40:41]
	v_cvt_f64_u32_e32 v[46:47], s43
	global_load_b64 v[112:113], v3, s[40:41]
	s_wait_xcnt 0x0
	s_add_co_i32 s40, s1, -1
	s_mov_b32 s41, 0
	v_min_num_f64_e32 v[44:45], v[8:9], v[44:45]
	s_delay_alu instid0(VALU_DEP_1) | instskip(NEXT) | instid1(VALU_DEP_1)
	v_add_f64_e32 v[44:45], v[44:45], v[46:47]
	v_cvt_i32_f64_e32 v44, v[44:45]
	s_delay_alu instid0(VALU_DEP_1) | instskip(NEXT) | instid1(VALU_DEP_1)
	v_lshlrev_b32_e32 v44, 7, v44
	v_ashrrev_i32_e32 v45, 31, v44
	s_delay_alu instid0(VALU_DEP_1)
	v_lshlrev_b64_e32 v[52:53], 3, v[44:45]
	s_wait_loadcnt 0x1
	v_add_nc_u64_e32 v[46:47], s[10:11], v[50:51]
	v_add_nc_u64_e32 v[96:97], v[50:51], v[28:29]
	;; [unrolled: 1-line block ×6, first 2 shown]
	s_wait_loadcnt 0x0
	v_add_nc_u64_e32 v[112:113], s[14:15], v[112:113]
	v_add_nc_u64_e32 v[44:45], s[36:37], v[46:47]
	scratch_load_b64 v[46:47], off, off     ; 8-byte Folded Reload
	v_add_nc_u64_e32 v[96:97], v[96:97], v[52:53]
	v_add_nc_u64_e32 v[98:99], v[98:99], v[52:53]
	;; [unrolled: 1-line block ×6, first 2 shown]
	s_wait_loadcnt 0x0
	s_delay_alu instid0(VALU_DEP_1) | instskip(NEXT) | instid1(VALU_DEP_1)
	v_lshl_add_u64 v[44:45], v[46:47], 3, v[44:45]
	v_lshl_add_u64 v[46:47], s[26:27], 3, v[44:45]
	s_delay_alu instid0(VALU_DEP_1) | instskip(NEXT) | instid1(VALU_DEP_1)
	v_add_nc_u64_e32 v[48:49], s[34:35], v[46:47]
	v_add_nc_u64_e32 v[54:55], s[34:35], v[48:49]
	s_delay_alu instid0(VALU_DEP_1) | instskip(NEXT) | instid1(VALU_DEP_1)
	v_add_nc_u64_e32 v[56:57], s[34:35], v[54:55]
	v_add_nc_u64_e32 v[58:59], s[34:35], v[56:57]
	;; [unrolled: 3-line block ×3, first 2 shown]
	s_delay_alu instid0(VALU_DEP_1)
	v_add_nc_u64_e32 v[64:65], s[34:35], v[62:63]
	s_clause 0x5
	flat_load_b64 v[146:147], v[44:45]
	flat_load_b64 v[148:149], v[48:49]
	;; [unrolled: 1-line block ×8, first 2 shown]
	s_wait_xcnt 0x4
	v_add_nc_u64_e32 v[56:57], v[50:51], v[6:7]
	s_wait_xcnt 0x3
	v_add_nc_u64_e32 v[58:59], v[50:51], v[10:11]
	;; [unrolled: 2-line block ×4, first 2 shown]
	v_or_b32_e32 v54, 0x200, v2
	v_add_nc_u64_e32 v[66:67], s[34:35], v[64:65]
	s_wait_xcnt 0x0
	v_add_nc_u64_e32 v[64:65], v[50:51], v[16:17]
	v_mov_b32_e32 v55, v53
	v_add_nc_u64_e32 v[78:79], v[58:59], v[52:53]
	v_or_b32_e32 v54, v54, v52
	v_add_nc_u64_e32 v[80:81], v[60:61], v[52:53]
	v_add_nc_u64_e32 v[82:83], v[62:63], v[52:53]
	;; [unrolled: 1-line block ×4, first 2 shown]
	v_mul_u64_e32 v[108:109], s[20:21], v[54:55]
	v_mov_b64_e32 v[48:49], 0
	v_mov_b64_e32 v[62:63], 0
	v_mov_b64_e32 v[64:65], 0
	v_mov_b64_e32 v[58:59], 0
	v_add_nc_u64_e32 v[70:71], s[34:35], v[68:69]
	v_mov_b64_e32 v[60:61], 0
	v_mov_b64_e32 v[54:55], 0
	s_delay_alu instid0(VALU_DEP_3) | instskip(NEXT) | instid1(VALU_DEP_1)
	v_add_nc_u64_e32 v[72:73], s[34:35], v[70:71]
	v_add_nc_u64_e32 v[74:75], s[34:35], v[72:73]
	s_delay_alu instid0(VALU_DEP_1) | instskip(NEXT) | instid1(VALU_DEP_1)
	v_add_nc_u64_e32 v[76:77], s[34:35], v[74:75]
	v_add_nc_u64_e32 v[44:45], s[34:35], v[76:77]
	flat_load_b64 v[162:163], v[66:67]
	flat_load_b64 v[164:165], v[68:69]
	;; [unrolled: 1-line block ×8, first 2 shown]
	s_wait_xcnt 0x7
	v_add_nc_u64_e32 v[66:67], v[50:51], v[18:19]
	s_wait_xcnt 0x6
	v_add_nc_u64_e32 v[68:69], v[50:51], v[20:21]
	;; [unrolled: 2-line block ×5, first 2 shown]
	v_add_nc_u64_e32 v[50:51], v[50:51], v[38:39]
	s_wait_xcnt 0x2
	v_add_nc_u64_e32 v[76:77], v[56:57], v[52:53]
	v_add_nc_u64_e32 v[86:87], v[66:67], v[52:53]
	;; [unrolled: 1-line block ×7, first 2 shown]
	v_or_b32_e32 v52, v2, v52
	s_wait_xcnt 0x0
	v_mov_b64_e32 v[46:47], 0
	v_mov_b64_e32 v[44:45], 0
	;; [unrolled: 1-line block ×4, first 2 shown]
	v_mul_u64_e32 v[110:111], s[20:21], v[52:53]
	v_mov_b64_e32 v[74:75], 0
	v_mov_b64_e32 v[66:67], 0
	;; [unrolled: 1-line block ×6, first 2 shown]
	s_wait_loadcnt_dscnt 0xf0f
	v_mov_b64_e32 v[114:115], v[146:147]
	s_wait_loadcnt_dscnt 0xe0e
	v_mov_b64_e32 v[142:143], v[148:149]
	;; [unrolled: 2-line block ×16, first 2 shown]
.LBB266_8:                              ;   Parent Loop BB266_4 Depth=1
                                        ; =>  This Inner Loop Header: Depth=2
	v_add_nc_u64_e32 v[212:213], v[76:77], v[2:3]
	v_add_nc_u64_e32 v[244:245], v[112:113], v[110:111]
	s_cmp_lg_u32 s40, s41
	s_delay_alu instid0(VALU_DEP_2) | instskip(NEXT) | instid1(VALU_DEP_1)
	v_add_nc_u64_e32 v[178:179], 0x200, v[212:213]
	v_add_nc_u64_e32 v[178:179], s[30:31], v[178:179]
	s_delay_alu instid0(VALU_DEP_1) | instskip(NEXT) | instid1(VALU_DEP_1)
	v_add_nc_u64_e32 v[180:181], s[30:31], v[178:179]
	v_add_nc_u64_e32 v[182:183], s[30:31], v[180:181]
	s_delay_alu instid0(VALU_DEP_1) | instskip(NEXT) | instid1(VALU_DEP_1)
	;; [unrolled: 3-line block ×3, first 2 shown]
	v_add_nc_u64_e32 v[188:189], s[30:31], v[186:187]
	v_add_nc_u64_e32 v[190:191], s[30:31], v[188:189]
	s_delay_alu instid0(VALU_DEP_1)
	v_add_nc_u64_e32 v[192:193], s[30:31], v[190:191]
	s_clause 0x8
	flat_load_b64 v[208:209], v[212:213] offset:512
	flat_load_b64 v[206:207], v[178:179]
	flat_load_b64 v[202:203], v[180:181]
	;; [unrolled: 1-line block ×8, first 2 shown]
	v_add_nc_u64_e32 v[210:211], s[30:31], v[192:193]
	s_delay_alu instid0(VALU_DEP_1) | instskip(NEXT) | instid1(VALU_DEP_1)
	v_add_nc_u64_e32 v[236:237], s[30:31], v[210:211]
	v_add_nc_u64_e32 v[238:239], s[30:31], v[236:237]
	s_delay_alu instid0(VALU_DEP_1) | instskip(NEXT) | instid1(VALU_DEP_1)
	v_add_nc_u64_e32 v[240:241], s[30:31], v[238:239]
	;; [unrolled: 3-line block ×3, first 2 shown]
	v_add_nc_u64_e32 v[178:179], s[30:31], v[246:247]
	flat_load_b64 v[192:193], v[210:211]
	flat_load_b64 v[188:189], v[236:237]
	;; [unrolled: 1-line block ×8, first 2 shown]
	s_cbranch_scc0 .LBB266_10
; %bb.9:                                ;   in Loop: Header=BB266_8 Depth=2
	v_add_nc_u64_e32 v[116:117], v[78:79], v[2:3]
	v_add_nc_u64_e32 v[118:119], v[80:81], v[2:3]
	;; [unrolled: 1-line block ×15, first 2 shown]
	flat_load_b64 v[114:115], v[212:213] offset:1024
	flat_load_b64 v[116:117], v[116:117]
	flat_load_b64 v[118:119], v[118:119]
	;; [unrolled: 1-line block ×15, first 2 shown]
.LBB266_10:                             ;   in Loop: Header=BB266_8 Depth=2
	s_wait_loadcnt_dscnt 0x0
	v_fmac_f64_e32 v[46:47], v[146:147], v[210:211]
	v_add_nc_u64_e32 v[146:147], v[112:113], v[108:109]
	v_fmac_f64_e32 v[48:49], v[174:175], v[210:211]
	v_fmac_f64_e32 v[44:45], v[172:173], v[210:211]
	;; [unrolled: 1-line block ×6, first 2 shown]
	flat_load_b64 v[146:147], v[146:147]
	v_fmac_f64_e32 v[74:75], v[162:163], v[210:211]
	v_fmac_f64_e32 v[66:67], v[160:161], v[210:211]
	;; [unrolled: 1-line block ×9, first 2 shown]
	v_add_nc_u64_e32 v[76:77], 0x400, v[76:77]
	v_add_nc_u64_e32 v[78:79], 0x400, v[78:79]
	;; [unrolled: 1-line block ×17, first 2 shown]
	s_add_co_i32 s41, s41, 1
	s_delay_alu instid0(SALU_CYCLE_1)
	s_cmp_ge_i32 s41, s1
	s_wait_loadcnt_dscnt 0x0
	v_fmac_f64_e32 v[46:47], v[208:209], v[146:147]
	v_fmac_f64_e32 v[48:49], v[206:207], v[146:147]
	;; [unrolled: 1-line block ×16, first 2 shown]
	s_cbranch_scc1 .LBB266_13
; %bb.11:                               ;   in Loop: Header=BB266_8 Depth=2
	s_wait_xcnt 0x0
	v_mov_b64_e32 v[146:147], v[114:115]
	v_mov_b64_e32 v[174:175], v[116:117]
	;; [unrolled: 1-line block ×16, first 2 shown]
	s_branch .LBB266_8
.LBB266_12:                             ;   in Loop: Header=BB266_4 Depth=1
	v_mov_b64_e32 v[50:51], 0
	v_mov_b64_e32 v[52:53], 0
	;; [unrolled: 1-line block ×16, first 2 shown]
.LBB266_13:                             ;   in Loop: Header=BB266_4 Depth=1
	ds_store_2addr_stride64_b64 v234, v[46:47], v[48:49] offset1:1
	ds_store_2addr_stride64_b64 v234, v[44:45], v[70:71] offset0:2 offset1:3
	ds_store_2addr_stride64_b64 v234, v[62:63], v[64:65] offset0:4 offset1:5
	;; [unrolled: 1-line block ×6, first 2 shown]
	ds_store_b64 v234, v[52:53] offset:7168
	ds_store_b64 v235, v[50:51]
	s_wait_storecnt 0x0
	s_wait_loadcnt_dscnt 0x0
	s_barrier_signal -1
	s_barrier_wait -1
	s_wait_xcnt 0x0
	s_and_saveexec_b32 s1, s0
	s_cbranch_execz .LBB266_2
; %bb.14:                               ;   in Loop: Header=BB266_4 Depth=1
	s_clause 0x3
	scratch_load_b32 v46, off, off offset:8
	scratch_load_b32 v48, off, off offset:12
	;; [unrolled: 1-line block ×4, first 2 shown]
	ds_load_b64 v[44:45], v233
	v_add_nc_u64_e32 v[42:43], s[18:19], v[42:43]
	s_delay_alu instid0(VALU_DEP_1) | instskip(NEXT) | instid1(VALU_DEP_1)
	v_add_nc_u64_e32 v[42:43], s[38:39], v[42:43]
	v_lshl_add_u64 v[42:43], v[0:1], 3, v[42:43]
	s_wait_dscnt 0x0
	v_add_f64_e32 v[44:45], 0, v[44:45]
	s_wait_loadcnt 0x3
	ds_load_b64 v[46:47], v46
	s_wait_loadcnt 0x2
	ds_load_b64 v[48:49], v48
	;; [unrolled: 2-line block ×4, first 2 shown]
	s_wait_dscnt 0x3
	v_add_f64_e32 v[44:45], v[44:45], v[46:47]
	scratch_load_b32 v46, off, off offset:20 ; 4-byte Folded Reload
	s_wait_dscnt 0x2
	v_add_f64_e32 v[44:45], v[44:45], v[48:49]
	scratch_load_b32 v48, off, off offset:24 ; 4-byte Folded Reload
	;; [unrolled: 3-line block ×3, first 2 shown]
	s_wait_loadcnt 0x2
	ds_load_b64 v[46:47], v46
	s_wait_loadcnt 0x1
	ds_load_b64 v[48:49], v48
	;; [unrolled: 2-line block ×3, first 2 shown]
	s_wait_dscnt 0x2
	v_add_f64_e32 v[44:45], v[44:45], v[46:47]
	scratch_load_b32 v46, off, off offset:36 ; 4-byte Folded Reload
	s_wait_dscnt 0x1
	v_add_f64_e32 v[44:45], v[44:45], v[48:49]
	scratch_load_b32 v48, off, off offset:40 ; 4-byte Folded Reload
	;; [unrolled: 3-line block ×3, first 2 shown]
	v_add_f64_e32 v[44:45], v[44:45], v[52:53]
	scratch_load_b32 v52, off, off offset:48 ; 4-byte Folded Reload
	s_wait_loadcnt 0x3
	ds_load_b64 v[46:47], v46
	s_wait_loadcnt 0x2
	ds_load_b64 v[48:49], v48
	s_wait_loadcnt 0x1
	ds_load_b64 v[50:51], v50
	s_wait_loadcnt 0x0
	ds_load_b64 v[52:53], v52
	s_wait_dscnt 0x3
	v_add_f64_e32 v[44:45], v[44:45], v[46:47]
	scratch_load_b32 v46, off, off offset:52 ; 4-byte Folded Reload
	s_wait_dscnt 0x2
	v_add_f64_e32 v[44:45], v[44:45], v[48:49]
	scratch_load_b32 v48, off, off offset:56 ; 4-byte Folded Reload
	s_wait_dscnt 0x1
	v_add_f64_e32 v[44:45], v[44:45], v[50:51]
	scratch_load_b32 v50, off, off offset:60 ; 4-byte Folded Reload
	s_wait_dscnt 0x0
	v_add_f64_e32 v[44:45], v[44:45], v[52:53]
	scratch_load_b32 v52, off, off offset:64 ; 4-byte Folded Reload
	s_wait_loadcnt 0x3
	ds_load_b64 v[46:47], v46
	s_wait_loadcnt 0x2
	ds_load_b64 v[48:49], v48
	s_wait_loadcnt 0x1
	ds_load_b64 v[50:51], v50
	s_wait_loadcnt 0x0
	ds_load_b64 v[52:53], v52
	s_wait_dscnt 0x3
	v_add_f64_e32 v[44:45], v[44:45], v[46:47]
	scratch_load_b32 v46, off, off offset:68 ; 4-byte Folded Reload
	s_wait_dscnt 0x2
	v_add_f64_e32 v[44:45], v[44:45], v[48:49]
	scratch_load_b32 v48, off, off offset:72 ; 4-byte Folded Reload
	s_wait_dscnt 0x1
	v_add_f64_e32 v[44:45], v[44:45], v[50:51]
	scratch_load_b32 v50, off, off offset:76 ; 4-byte Folded Reload
	s_wait_dscnt 0x0
	;; [unrolled: 20-line block ×5, first 2 shown]
	v_add_f64_e32 v[44:45], v[44:45], v[52:53]
	scratch_load_b32 v52, off, off offset:128 ; 4-byte Folded Reload
	s_wait_loadcnt 0x3
	ds_load_b64 v[46:47], v46
	s_wait_loadcnt 0x2
	ds_load_b64 v[48:49], v48
	;; [unrolled: 2-line block ×3, first 2 shown]
	s_wait_dscnt 0x2
	v_add_f64_e32 v[44:45], v[44:45], v[46:47]
	scratch_load_b32 v46, off, off offset:132 ; 4-byte Folded Reload
	s_wait_loadcnt 0x1
	ds_load_b64 v[52:53], v52
	s_wait_dscnt 0x2
	v_add_f64_e32 v[44:45], v[44:45], v[48:49]
	scratch_load_b32 v48, off, off offset:136 ; 4-byte Folded Reload
	s_wait_dscnt 0x1
	v_add_f64_e32 v[44:45], v[44:45], v[50:51]
	scratch_load_b32 v50, off, off offset:140 ; 4-byte Folded Reload
	s_wait_loadcnt 0x2
	ds_load_b64 v[46:47], v46
	s_wait_loadcnt 0x1
	ds_load_b64 v[48:49], v48
	s_wait_dscnt 0x2
	v_add_f64_e32 v[44:45], v[44:45], v[52:53]
	s_wait_loadcnt 0x0
	ds_load_b64 v[50:51], v50
	ds_load_b64 v[52:53], v248
	s_wait_dscnt 0x3
	v_add_f64_e32 v[44:45], v[44:45], v[46:47]
	s_wait_dscnt 0x2
	s_delay_alu instid0(VALU_DEP_1) | instskip(SKIP_1) | instid1(VALU_DEP_1)
	v_add_f64_e32 v[44:45], v[44:45], v[48:49]
	s_wait_dscnt 0x1
	v_add_f64_e32 v[44:45], v[44:45], v[50:51]
	s_wait_dscnt 0x0
	s_delay_alu instid0(VALU_DEP_1)
	v_add_f64_e32 v[44:45], v[44:45], v[52:53]
	ds_load_b64 v[46:47], v249
	ds_load_b64 v[48:49], v250
	ds_load_b64 v[50:51], v251
	ds_load_b64 v[52:53], v252
	s_wait_dscnt 0x3
	v_add_f64_e32 v[44:45], v[44:45], v[46:47]
	s_wait_dscnt 0x2
	s_delay_alu instid0(VALU_DEP_1) | instskip(SKIP_1) | instid1(VALU_DEP_1)
	v_add_f64_e32 v[44:45], v[44:45], v[48:49]
	s_wait_dscnt 0x1
	v_add_f64_e32 v[44:45], v[44:45], v[50:51]
	s_wait_dscnt 0x0
	s_delay_alu instid0(VALU_DEP_1)
	v_add_f64_e32 v[44:45], v[44:45], v[52:53]
	ds_load_b64 v[46:47], v253
	ds_load_b64 v[48:49], v254
	;; [unrolled: 14-line block ×7, first 2 shown]
	ds_load_b64 v[50:51], v231
	ds_load_b64 v[52:53], v232
	s_wait_dscnt 0x3
	v_add_f64_e32 v[44:45], v[44:45], v[46:47]
	s_wait_dscnt 0x2
	s_delay_alu instid0(VALU_DEP_1) | instskip(SKIP_1) | instid1(VALU_DEP_1)
	v_add_f64_e32 v[44:45], v[44:45], v[48:49]
	s_wait_dscnt 0x1
	v_add_f64_e32 v[44:45], v[44:45], v[50:51]
	s_wait_dscnt 0x0
	s_delay_alu instid0(VALU_DEP_1) | instskip(NEXT) | instid1(VALU_DEP_1)
	v_add_f64_e32 v[44:45], v[44:45], v[52:53]
	v_mul_f64_e32 v[40:41], v[40:41], v[44:45]
	flat_atomic_add_f64 v[42:43], v[40:41] scope:SCOPE_DEV
	s_branch .LBB266_2
.LBB266_15:
	s_sendmsg sendmsg(MSG_DEALLOC_VGPRS)
	s_endpgm
	.section	.rodata,"a",@progbits
	.p2align	6, 0x0
	.amdhsa_kernel _ZL36rocblas_gemvt_double_buffered_kernelILb0ELi128ELi4ELi16EPKdS1_KPdEviiT4_lPKT3_lilS7_lilPT5_lili
		.amdhsa_group_segment_fixed_size 65536
		.amdhsa_private_segment_fixed_size 148
		.amdhsa_kernarg_size 384
		.amdhsa_user_sgpr_count 2
		.amdhsa_user_sgpr_dispatch_ptr 0
		.amdhsa_user_sgpr_queue_ptr 0
		.amdhsa_user_sgpr_kernarg_segment_ptr 1
		.amdhsa_user_sgpr_dispatch_id 0
		.amdhsa_user_sgpr_kernarg_preload_length 0
		.amdhsa_user_sgpr_kernarg_preload_offset 0
		.amdhsa_user_sgpr_private_segment_size 0
		.amdhsa_wavefront_size32 1
		.amdhsa_uses_dynamic_stack 0
		.amdhsa_enable_private_segment 1
		.amdhsa_system_sgpr_workgroup_id_x 1
		.amdhsa_system_sgpr_workgroup_id_y 1
		.amdhsa_system_sgpr_workgroup_id_z 1
		.amdhsa_system_sgpr_workgroup_info 0
		.amdhsa_system_vgpr_workitem_id 1
		.amdhsa_next_free_vgpr 256
		.amdhsa_next_free_sgpr 48
		.amdhsa_named_barrier_count 0
		.amdhsa_reserve_vcc 1
		.amdhsa_float_round_mode_32 0
		.amdhsa_float_round_mode_16_64 0
		.amdhsa_float_denorm_mode_32 3
		.amdhsa_float_denorm_mode_16_64 3
		.amdhsa_fp16_overflow 0
		.amdhsa_memory_ordered 1
		.amdhsa_forward_progress 1
		.amdhsa_inst_pref_size 52
		.amdhsa_round_robin_scheduling 0
		.amdhsa_exception_fp_ieee_invalid_op 0
		.amdhsa_exception_fp_denorm_src 0
		.amdhsa_exception_fp_ieee_div_zero 0
		.amdhsa_exception_fp_ieee_overflow 0
		.amdhsa_exception_fp_ieee_underflow 0
		.amdhsa_exception_fp_ieee_inexact 0
		.amdhsa_exception_int_div_zero 0
	.end_amdhsa_kernel
	.section	.text._ZL36rocblas_gemvt_double_buffered_kernelILb0ELi128ELi4ELi16EPKdS1_KPdEviiT4_lPKT3_lilS7_lilPT5_lili,"axG",@progbits,_ZL36rocblas_gemvt_double_buffered_kernelILb0ELi128ELi4ELi16EPKdS1_KPdEviiT4_lPKT3_lilS7_lilPT5_lili,comdat
.Lfunc_end266:
	.size	_ZL36rocblas_gemvt_double_buffered_kernelILb0ELi128ELi4ELi16EPKdS1_KPdEviiT4_lPKT3_lilS7_lilPT5_lili, .Lfunc_end266-_ZL36rocblas_gemvt_double_buffered_kernelILb0ELi128ELi4ELi16EPKdS1_KPdEviiT4_lPKT3_lilS7_lilPT5_lili
                                        ; -- End function
	.set _ZL36rocblas_gemvt_double_buffered_kernelILb0ELi128ELi4ELi16EPKdS1_KPdEviiT4_lPKT3_lilS7_lilPT5_lili.num_vgpr, 256
	.set _ZL36rocblas_gemvt_double_buffered_kernelILb0ELi128ELi4ELi16EPKdS1_KPdEviiT4_lPKT3_lilS7_lilPT5_lili.num_agpr, 0
	.set _ZL36rocblas_gemvt_double_buffered_kernelILb0ELi128ELi4ELi16EPKdS1_KPdEviiT4_lPKT3_lilS7_lilPT5_lili.numbered_sgpr, 48
	.set _ZL36rocblas_gemvt_double_buffered_kernelILb0ELi128ELi4ELi16EPKdS1_KPdEviiT4_lPKT3_lilS7_lilPT5_lili.num_named_barrier, 0
	.set _ZL36rocblas_gemvt_double_buffered_kernelILb0ELi128ELi4ELi16EPKdS1_KPdEviiT4_lPKT3_lilS7_lilPT5_lili.private_seg_size, 148
	.set _ZL36rocblas_gemvt_double_buffered_kernelILb0ELi128ELi4ELi16EPKdS1_KPdEviiT4_lPKT3_lilS7_lilPT5_lili.uses_vcc, 1
	.set _ZL36rocblas_gemvt_double_buffered_kernelILb0ELi128ELi4ELi16EPKdS1_KPdEviiT4_lPKT3_lilS7_lilPT5_lili.uses_flat_scratch, 1
	.set _ZL36rocblas_gemvt_double_buffered_kernelILb0ELi128ELi4ELi16EPKdS1_KPdEviiT4_lPKT3_lilS7_lilPT5_lili.has_dyn_sized_stack, 0
	.set _ZL36rocblas_gemvt_double_buffered_kernelILb0ELi128ELi4ELi16EPKdS1_KPdEviiT4_lPKT3_lilS7_lilPT5_lili.has_recursion, 0
	.set _ZL36rocblas_gemvt_double_buffered_kernelILb0ELi128ELi4ELi16EPKdS1_KPdEviiT4_lPKT3_lilS7_lilPT5_lili.has_indirect_call, 0
	.section	.AMDGPU.csdata,"",@progbits
; Kernel info:
; codeLenInByte = 6648
; TotalNumSgprs: 50
; NumVgprs: 256
; ScratchSize: 148
; MemoryBound: 0
; FloatMode: 240
; IeeeMode: 1
; LDSByteSize: 65536 bytes/workgroup (compile time only)
; SGPRBlocks: 0
; VGPRBlocks: 15
; NumSGPRsForWavesPerEU: 50
; NumVGPRsForWavesPerEU: 256
; NamedBarCnt: 0
; Occupancy: 4
; WaveLimiterHint : 1
; COMPUTE_PGM_RSRC2:SCRATCH_EN: 1
; COMPUTE_PGM_RSRC2:USER_SGPR: 2
; COMPUTE_PGM_RSRC2:TRAP_HANDLER: 0
; COMPUTE_PGM_RSRC2:TGID_X_EN: 1
; COMPUTE_PGM_RSRC2:TGID_Y_EN: 1
; COMPUTE_PGM_RSRC2:TGID_Z_EN: 1
; COMPUTE_PGM_RSRC2:TIDIG_COMP_CNT: 1
	.section	.text._ZL36rocblas_gemvt_double_buffered_kernelILb0ELi128ELi4ELi16EPKddKPdEviiT4_lPKT3_lilS7_lilPT5_lili,"axG",@progbits,_ZL36rocblas_gemvt_double_buffered_kernelILb0ELi128ELi4ELi16EPKddKPdEviiT4_lPKT3_lilS7_lilPT5_lili,comdat
	.globl	_ZL36rocblas_gemvt_double_buffered_kernelILb0ELi128ELi4ELi16EPKddKPdEviiT4_lPKT3_lilS7_lilPT5_lili ; -- Begin function _ZL36rocblas_gemvt_double_buffered_kernelILb0ELi128ELi4ELi16EPKddKPdEviiT4_lPKT3_lilS7_lilPT5_lili
	.p2align	8
	.type	_ZL36rocblas_gemvt_double_buffered_kernelILb0ELi128ELi4ELi16EPKddKPdEviiT4_lPKT3_lilS7_lilPT5_lili,@function
_ZL36rocblas_gemvt_double_buffered_kernelILb0ELi128ELi4ELi16EPKddKPdEviiT4_lPKT3_lilS7_lilPT5_lili: ; @_ZL36rocblas_gemvt_double_buffered_kernelILb0ELi128ELi4ELi16EPKddKPdEviiT4_lPKT3_lilS7_lilPT5_lili
; %bb.0:
	s_load_b32 s33, s[0:1], 0x78
	s_bfe_u32 s2, ttmp6, 0x40014
	s_lshr_b32 s4, ttmp7, 16
	s_add_co_i32 s2, s2, 1
	s_bfe_u32 s5, ttmp6, 0x40008
	s_mul_i32 s2, s4, s2
	s_getreg_b32 s3, hwreg(HW_REG_IB_STS2, 6, 4)
	s_add_co_i32 s5, s5, s2
	s_cmp_eq_u32 s3, 0
	s_mov_b32 s17, 0
	s_cselect_b32 s2, s4, s5
	s_wait_kmcnt 0x0
	s_cmp_ge_u32 s2, s33
	s_cbranch_scc1 .LBB267_15
; %bb.1:
	s_clause 0x7
	s_load_b32 s16, s[0:1], 0x0
	s_load_b32 s30, s[0:1], 0x28
	s_load_b128 s[4:7], s[0:1], 0x18
	s_load_b32 s18, s[0:1], 0x48
	s_load_b128 s[8:11], s[0:1], 0x38
	;; [unrolled: 2-line block ×3, first 2 shown]
	s_load_b64 s[20:21], s[0:1], 0x8
	v_and_b32_e32 v8, 0x3ff, v0
	v_bfe_u32 v1, v0, 10, 10
	s_bfe_u32 s19, ttmp6, 0x4000c
	s_bfe_u32 s22, ttmp6, 0x40010
	s_add_co_i32 s19, s19, 1
	s_and_b32 s24, ttmp7, 0xffff
	v_lshl_add_u32 v4, v1, 7, v8
	s_add_co_i32 s22, s22, 1
	s_mul_i32 s26, ttmp9, s19
	s_mul_i32 s27, s24, s22
	s_and_b32 s23, ttmp6, 15
	v_dual_lshrrev_b32 v5, 2, v4 :: v_dual_mov_b32 v3, 0
	s_wait_kmcnt 0x0
	s_ashr_i32 s19, s16, 31
	s_bfe_u32 s25, ttmp6, 0x40004
	s_lshr_b32 s22, s19, 25
	s_ashr_i32 s31, s30, 31
	s_add_co_i32 s16, s16, s22
	s_ashr_i32 s19, s18, 31
	s_ashr_i32 s35, s34, 31
	;; [unrolled: 1-line block ×3, first 2 shown]
	s_add_co_i32 s23, s23, s26
	s_add_co_i32 s25, s25, s27
	s_cmp_eq_u32 s3, 0
	v_and_b32_e32 v6, 0x7ff0, v5
	v_and_b32_e32 v2, 63, v0
	s_cselect_b32 s42, s24, s25
	s_add_nc_u64 s[24:25], s[0:1], 0x80
	v_cmp_eq_u32_e64 s0, 0, v1
	v_dual_add_nc_u32 v1, 1, v8 :: v_dual_lshlrev_b32 v40, 9, v6
	v_mad_nc_i64_i32 v[10:11], s30, v6, v[2:3]
	v_dual_lshlrev_b32 v2, 3, v2 :: v_dual_lshlrev_b32 v42, 9, v8
	v_lshl_or_b32 v41, v5, 9, 0x1e00
	v_dual_add_nc_u32 v5, 2, v8 :: v_dual_add_nc_u32 v9, 5, v8
	v_dual_add_nc_u32 v6, 3, v8 :: v_dual_bitop2_b32 v1, 63, v1 bitop3:0x40
	s_delay_alu instid0(VALU_DEP_2) | instskip(SKIP_1) | instid1(VALU_DEP_3)
	v_dual_add_nc_u32 v7, 4, v8 :: v_dual_bitop2_b32 v5, 63, v5 bitop3:0x40
	v_bitop3_b32 v0, v0, 32, 63 bitop3:0x6c
	v_lshl_or_b32 v1, v1, 3, v42
	scratch_store_b64 off, v[10:11], off    ; 8-byte Folded Spill
	v_and_b32_e32 v6, 63, v6
	v_and_b32_e32 v7, 63, v7
	v_lshl_or_b32 v0, v0, 3, v42
	scratch_store_b32 off, v1, off offset:8 ; 4-byte Folded Spill
	s_wait_xcnt 0x0
	v_lshl_or_b32 v1, v5, 3, v42
	v_dual_add_nc_u32 v10, 9, v8 :: v_dual_bitop2_b32 v9, 63, v9 bitop3:0x40
	s_cselect_b32 s3, ttmp9, s23
	v_mov_b32_e32 v5, v3
	scratch_store_b32 off, v1, off offset:12 ; 4-byte Folded Spill
	s_wait_xcnt 0x0
	v_lshl_or_b32 v1, v6, 3, v42
	v_add_nc_u32_e32 v6, 6, v8
	s_lshl_b32 s40, s3, 7
	s_lshl_b64 s[6:7], s[6:7], 3
	s_ashr_i32 s41, s40, 31
	scratch_store_b32 off, v1, off offset:16 ; 4-byte Folded Spill
	s_wait_xcnt 0x0
	v_lshl_or_b32 v1, v7, 3, v42
	v_dual_add_nc_u32 v7, 7, v8 :: v_dual_add_nc_u32 v14, 11, v8
	scratch_store_b32 off, v0, off offset:132 ; 4-byte Folded Spill
	v_cmp_neq_f64_e64 s1, s[20:21], 0
	scratch_store_b32 off, v1, off offset:20 ; 4-byte Folded Spill
	s_wait_xcnt 0x0
	v_lshl_or_b32 v1, v9, 3, v42
	v_dual_add_nc_u32 v9, 8, v8 :: v_dual_bitop2_b32 v229, v42, v2 bitop3:0x54
	s_mul_u64 s[36:37], s[30:31], s[40:41]
	s_mul_u64 s[38:39], s[34:35], s[40:41]
	scratch_store_b32 off, v1, off offset:24 ; 4-byte Folded Spill
	s_wait_xcnt 0x0
	v_lshlrev_b32_e32 v1, 1, v4
	s_mul_u64 s[26:27], s[30:31], 15
	s_lshl_b64 s[28:29], s[18:19], 10
	s_mov_b32 s23, s17
	s_lshl_b64 s[10:11], s[10:11], 3
	v_and_b32_e32 v4, 0x3ff80, v1
	v_and_b32_e32 v1, 63, v6
	;; [unrolled: 1-line block ×3, first 2 shown]
	s_lshl_b64 s[36:37], s[36:37], 3
	s_lshl_b64 s[14:15], s[14:15], 3
	v_lshl_add_u64 v[4:5], s[40:41], 3, v[4:5]
	v_lshl_or_b32 v1, v1, 3, v42
	s_lshl_b64 s[38:39], s[38:39], 3
	v_dual_add_nc_u32 v44, 12, v8 :: v_dual_add_nc_u32 v231, v2, v41
	s_delay_alu instid0(VALU_DEP_3)
	v_mul_lo_u32 v5, v5, s30
	v_or_b32_e32 v26, 40, v4
	v_or_b32_e32 v32, 56, v4
	v_and_b32_e32 v7, 63, v9
	scratch_store_b32 off, v1, off offset:28 ; 4-byte Folded Spill
	s_wait_xcnt 0x0
	v_lshl_or_b32 v1, v6, 3, v42
	v_mad_nc_u64_u32 v[18:19], v26, s30, s[6:7]
	v_or_b32_e32 v25, 32, v4
	v_mad_nc_u64_u32 v[22:23], v32, s30, s[6:7]
	v_and_b32_e32 v43, 63, v14
	scratch_store_b32 off, v1, off offset:32 ; 4-byte Folded Spill
	s_wait_xcnt 0x0
	v_lshl_or_b32 v1, v7, 3, v42
	v_mad_nc_u64_u32 v[6:7], v4, s30, s[6:7]
	v_or_b32_e32 v36, 0x50, v4
	v_or_b32_e32 v35, 0x48, v4
	v_or_b32_e32 v37, 0x58, v4
	scratch_store_b32 off, v1, off offset:36 ; 4-byte Folded Spill
	v_add_nc_u32_e32 v19, v5, v19
	v_mad_nc_u64_u32 v[16:17], v25, s30, s[6:7]
	v_or_b32_e32 v24, 24, v4
	v_mad_nc_u64_u32 v[28:29], v36, s30, s[6:7]
	v_dual_add_nc_u32 v23, v5, v23 :: v_dual_bitop2_b32 v34, 64, v4 bitop3:0x54
	v_add_nc_u32_e32 v7, v5, v7
	v_or_b32_e32 v38, 0x60, v4
	v_mad_nc_u64_u32 v[30:31], v37, s30, s[6:7]
	v_or_b32_e32 v45, 0x68, v4
	v_or_b32_e32 v46, 0x70, v4
	v_mad_u32 v7, v4, s31, v7
	v_add_nc_u32_e32 v17, v5, v17
	v_mad_nc_u64_u32 v[14:15], v24, s30, s[6:7]
	v_or_b32_e32 v20, 16, v4
	v_add_nc_u32_e32 v0, 35, v8
	v_add_nc_u32_e32 v230, v2, v40
	v_mad_u32 v17, v25, s31, v17
	s_delay_alu instid0(VALU_DEP_3) | instskip(SKIP_2) | instid1(VALU_DEP_3)
	v_dual_add_nc_u32 v15, v5, v15 :: v_dual_bitop2_b32 v0, 63, v0 bitop3:0x40
	v_mad_nc_u64_u32 v[12:13], v20, s30, s[6:7]
	v_and_b32_e32 v9, 63, v10
	v_lshl_or_b32 v246, v0, 3, v42
	v_add_nc_u32_e32 v0, 40, v8
	v_mad_u32 v15, v24, s31, v15
	v_mad_nc_u64_u32 v[24:25], v34, s30, s[6:7]
	v_add_nc_u64_e32 v[16:17], 0x400, v[16:17]
	s_delay_alu instid0(VALU_DEP_4) | instskip(SKIP_3) | instid1(VALU_DEP_3)
	v_dual_add_nc_u32 v13, v5, v13 :: v_dual_bitop2_b32 v0, 63, v0 bitop3:0x40
	s_wait_xcnt 0x0
	v_lshl_or_b32 v1, v9, 3, v42
	v_add_nc_u32_e32 v9, 10, v8
	v_lshl_or_b32 v251, v0, 3, v42
	v_add_nc_u32_e32 v0, 45, v8
	v_mad_u32 v13, v20, s31, v13
	v_add_nc_u64_e32 v[14:15], 0x400, v[14:15]
	v_and_b32_e32 v9, 63, v9
	s_delay_alu instid0(VALU_DEP_4) | instskip(NEXT) | instid1(VALU_DEP_2)
	v_and_b32_e32 v0, 63, v0
	v_lshl_or_b32 v9, v9, 3, v42
	scratch_store_b32 off, v1, off offset:40 ; 4-byte Folded Spill
	s_wait_xcnt 0x0
	v_or_b32_e32 v1, 8, v4
	v_lshl_or_b32 v212, v0, 3, v42
	v_add_nc_u32_e32 v0, 50, v8
	v_add_nc_u64_e32 v[12:13], 0x400, v[12:13]
	s_delay_alu instid0(VALU_DEP_4) | instskip(NEXT) | instid1(VALU_DEP_3)
	v_mad_nc_u64_u32 v[10:11], v1, s30, s[6:7]
	v_and_b32_e32 v0, 63, v0
	s_delay_alu instid0(VALU_DEP_1) | instskip(NEXT) | instid1(VALU_DEP_3)
	v_lshl_or_b32 v217, v0, 3, v42
	v_dual_add_nc_u32 v0, 55, v8 :: v_dual_add_nc_u32 v11, v5, v11
	s_delay_alu instid0(VALU_DEP_1) | instskip(NEXT) | instid1(VALU_DEP_2)
	v_and_b32_e32 v0, 63, v0
	v_mad_u32 v11, v1, s31, v11
	v_or_b32_e32 v1, 48, v4
	v_or_b32_e32 v4, 0x78, v4
	s_delay_alu instid0(VALU_DEP_2) | instskip(NEXT) | instid1(VALU_DEP_4)
	v_mad_nc_u64_u32 v[20:21], v1, s30, s[6:7]
	v_add_nc_u64_e32 v[10:11], 0x400, v[10:11]
	s_delay_alu instid0(VALU_DEP_2) | instskip(SKIP_2) | instid1(VALU_DEP_2)
	v_add_nc_u32_e32 v21, v5, v21
	v_mad_u32 v19, v26, s31, v19
	v_mad_nc_u64_u32 v[26:27], v35, s30, s[6:7]
	v_add_nc_u64_e32 v[18:19], 0x400, v[18:19]
	s_delay_alu instid0(VALU_DEP_2)
	v_add_nc_u32_e32 v27, v5, v27
	v_mad_u32 v21, v1, s31, v21
	v_add_nc_u32_e32 v1, v5, v25
	v_mad_u32 v23, v32, s31, v23
	v_mad_nc_u64_u32 v[32:33], v38, s30, s[6:7]
	v_mad_u32 v27, v35, s31, v27
	v_add_nc_u32_e32 v31, v5, v31
	v_mad_u32 v25, v34, s31, v1
	v_mad_nc_u64_u32 v[34:35], v45, s30, s[6:7]
	v_dual_add_nc_u32 v1, v5, v29 :: v_dual_add_nc_u32 v47, 13, v8
	v_add_nc_u64_e32 v[20:21], 0x400, v[20:21]
	s_delay_alu instid0(VALU_DEP_2)
	v_mad_u32 v29, v36, s31, v1
	v_add_nc_u32_e32 v1, v5, v33
	v_mad_u32 v31, v37, s31, v31
	v_mad_nc_u64_u32 v[36:37], v46, s30, s[6:7]
	v_add_nc_u64_e32 v[22:23], 0x400, v[22:23]
	v_add_nc_u64_e32 v[24:25], 0x400, v[24:25]
	v_mad_u32 v33, v38, s31, v1
	v_add_nc_u32_e32 v1, v5, v35
	v_mad_nc_u64_u32 v[38:39], v4, s30, s[6:7]
	v_add_nc_u64_e32 v[26:27], 0x400, v[26:27]
	v_add_nc_u64_e32 v[28:29], 0x400, v[28:29]
	s_delay_alu instid0(VALU_DEP_4) | instskip(SKIP_3) | instid1(VALU_DEP_3)
	v_mad_u32 v35, v45, s31, v1
	v_dual_add_nc_u32 v1, 14, v8 :: v_dual_add_nc_u32 v37, v5, v37
	v_add_nc_u64_e32 v[30:31], 0x400, v[30:31]
	v_add_nc_u64_e32 v[32:33], 0x400, v[32:33]
	v_dual_add_nc_u32 v5, v5, v39 :: v_dual_bitop2_b32 v1, 63, v1 bitop3:0x40
	s_delay_alu instid0(VALU_DEP_4) | instskip(NEXT) | instid1(VALU_DEP_2)
	v_mad_u32 v37, v46, s31, v37
	v_lshl_or_b32 v1, v1, 3, v42
	scratch_store_b32 off, v9, off offset:44 ; 4-byte Folded Spill
	s_wait_xcnt 0x0
	v_lshl_or_b32 v9, v43, 3, v42
	v_and_b32_e32 v43, 63, v47
	v_mad_u32 v39, v4, s31, v5
	v_dual_add_nc_u32 v4, 17, v8 :: v_dual_add_nc_u32 v5, 18, v8
	scratch_store_b32 off, v1, off offset:60 ; 4-byte Folded Spill
	s_wait_xcnt 0x0
	v_add_nc_u32_e32 v1, 19, v8
	v_add_nc_u64_e32 v[34:35], 0x400, v[34:35]
	v_and_b32_e32 v4, 63, v4
	v_and_b32_e32 v5, 63, v5
	v_add_nc_u64_e32 v[36:37], 0x400, v[36:37]
	v_and_b32_e32 v1, 63, v1
	s_lshl_b64 s[30:31], s[30:31], 3
	v_lshl_or_b32 v4, v4, 3, v42
	scratch_store_b32 off, v9, off offset:48 ; 4-byte Folded Spill
	s_wait_xcnt 0x0
	v_and_b32_e32 v9, 63, v44
	v_cvt_f64_i32_e32 v[44:45], s42
	v_add_nc_u64_e32 v[38:39], 0x400, v[38:39]
	scratch_store_b32 off, v4, off offset:72 ; 4-byte Folded Spill
	s_wait_xcnt 0x0
	v_lshl_or_b32 v4, v5, 3, v42
	v_lshl_or_b32 v9, v9, 3, v42
	v_add_nc_u32_e32 v5, 22, v8
	v_lshl_or_b32 v1, v1, 3, v42
	s_clause 0x1
	scratch_store_b32 off, v4, off offset:76
	scratch_store_b32 off, v9, off offset:52
	s_wait_xcnt 0x0
	v_lshl_or_b32 v9, v43, 3, v42
	v_add_nc_u32_e32 v43, 16, v8
	scratch_store_b32 off, v1, off offset:80 ; 4-byte Folded Spill
	s_wait_xcnt 0x0
	v_dual_add_nc_u32 v1, 20, v8 :: v_dual_add_nc_u32 v4, 21, v8
	scratch_store_b32 off, v9, off offset:56 ; 4-byte Folded Spill
	s_wait_xcnt 0x0
	v_dual_add_nc_u32 v9, 15, v8 :: v_dual_bitop2_b32 v43, 63, v43 bitop3:0x40
	v_and_b32_e32 v1, 63, v1
	v_and_b32_e32 v4, 63, v4
	;; [unrolled: 1-line block ×3, first 2 shown]
	s_delay_alu instid0(VALU_DEP_4) | instskip(NEXT) | instid1(VALU_DEP_4)
	v_and_b32_e32 v9, 63, v9
	v_lshl_or_b32 v1, v1, 3, v42
	s_delay_alu instid0(VALU_DEP_2)
	v_lshl_or_b32 v9, v9, 3, v42
	scratch_store_b32 off, v1, off offset:84 ; 4-byte Folded Spill
	s_wait_xcnt 0x0
	v_lshl_or_b32 v1, v4, 3, v42
	v_add_nc_u32_e32 v4, 26, v8
	scratch_store_b32 off, v9, off offset:64 ; 4-byte Folded Spill
	s_wait_xcnt 0x0
	v_lshl_or_b32 v9, v43, 3, v42
	v_add_nc_u32_e32 v43, 24, v8
	;; [unrolled: 4-line block ×3, first 2 shown]
	scratch_store_b32 off, v9, off offset:68 ; 4-byte Folded Spill
	s_wait_xcnt 0x0
	v_dual_add_nc_u32 v9, 23, v8 :: v_dual_bitop2_b32 v43, 63, v43 bitop3:0x40
	scratch_store_b32 off, v1, off offset:92 ; 4-byte Folded Spill
	v_and_b32_e32 v4, 63, v4
	v_and_b32_e32 v5, 63, v5
	;; [unrolled: 1-line block ×3, first 2 shown]
	s_wait_xcnt 0x0
	s_delay_alu instid0(VALU_DEP_1)
	v_lshl_or_b32 v1, v9, 3, v42
	v_add_nc_u32_e32 v9, 28, v8
	scratch_store_b32 off, v1, off offset:96 ; 4-byte Folded Spill
	s_wait_xcnt 0x0
	v_lshl_or_b32 v1, v43, 3, v42
	v_dual_add_nc_u32 v43, 29, v8 :: v_dual_bitop2_b32 v9, 63, v9 bitop3:0x40
	scratch_store_b32 off, v1, off offset:100 ; 4-byte Folded Spill
	s_wait_xcnt 0x0
	v_dual_add_nc_u32 v1, 25, v8 :: v_dual_bitop2_b32 v43, 63, v43 bitop3:0x40
	s_delay_alu instid0(VALU_DEP_1) | instskip(NEXT) | instid1(VALU_DEP_1)
	v_and_b32_e32 v1, 63, v1
	v_lshl_or_b32 v1, v1, 3, v42
	scratch_store_b32 off, v1, off offset:104 ; 4-byte Folded Spill
	s_wait_xcnt 0x0
	v_lshl_or_b32 v1, v4, 3, v42
	v_add_nc_u32_e32 v4, 31, v8
	scratch_store_b32 off, v1, off offset:108 ; 4-byte Folded Spill
	s_wait_xcnt 0x0
	v_lshl_or_b32 v1, v5, 3, v42
	v_lshl_or_b32 v5, v43, 3, v42
	v_and_b32_e32 v4, 63, v4
	v_add_nc_u32_e32 v43, 59, v8
	scratch_store_b32 off, v1, off offset:112 ; 4-byte Folded Spill
	s_wait_xcnt 0x0
	v_lshl_or_b32 v1, v9, 3, v42
	v_dual_add_nc_u32 v9, 34, v8 :: v_dual_bitop2_b32 v43, 63, v43 bitop3:0x40
	scratch_store_b32 off, v1, off offset:116 ; 4-byte Folded Spill
	s_wait_xcnt 0x0
	v_dual_add_nc_u32 v1, 30, v8 :: v_dual_bitop2_b32 v9, 63, v9 bitop3:0x40
	s_delay_alu instid0(VALU_DEP_1) | instskip(NEXT) | instid1(VALU_DEP_1)
	v_and_b32_e32 v1, 63, v1
	v_lshl_or_b32 v1, v1, 3, v42
	scratch_store_b32 off, v5, off offset:120 ; 4-byte Folded Spill
	s_wait_xcnt 0x0
	v_add_nc_u32_e32 v5, 33, v8
	scratch_store_b32 off, v1, off offset:124 ; 4-byte Folded Spill
	s_wait_xcnt 0x0
	v_lshl_or_b32 v1, v4, 3, v42
	v_dual_add_nc_u32 v4, 37, v8 :: v_dual_bitop2_b32 v5, 63, v5 bitop3:0x40
	v_lshl_or_b32 v245, v9, 3, v42
	v_add_nc_u32_e32 v9, 39, v8
	scratch_store_b32 off, v1, off offset:128 ; 4-byte Folded Spill
	s_wait_xcnt 0x0
	v_add_nc_u32_e32 v1, 36, v8
	v_lshl_or_b32 v244, v5, 3, v42
	v_add_nc_u32_e32 v5, 38, v8
	v_and_b32_e32 v4, 63, v4
	v_and_b32_e32 v9, 63, v9
	;; [unrolled: 1-line block ×3, first 2 shown]
	s_delay_alu instid0(VALU_DEP_4) | instskip(NEXT) | instid1(VALU_DEP_4)
	v_and_b32_e32 v5, 63, v5
	v_lshl_or_b32 v248, v4, 3, v42
	v_add_nc_u32_e32 v4, 42, v8
	s_delay_alu instid0(VALU_DEP_4)
	v_lshl_or_b32 v247, v1, 3, v42
	v_lshl_or_b32 v250, v9, 3, v42
	v_add_nc_u32_e32 v1, 41, v8
	v_lshl_or_b32 v249, v5, 3, v42
	v_dual_add_nc_u32 v5, 43, v8 :: v_dual_add_nc_u32 v9, 44, v8
	v_and_b32_e32 v4, 63, v4
	s_delay_alu instid0(VALU_DEP_4) | instskip(NEXT) | instid1(VALU_DEP_3)
	v_and_b32_e32 v1, 63, v1
	v_and_b32_e32 v5, 63, v5
	s_delay_alu instid0(VALU_DEP_4) | instskip(NEXT) | instid1(VALU_DEP_4)
	v_and_b32_e32 v9, 63, v9
	v_lshl_or_b32 v253, v4, 3, v42
	s_delay_alu instid0(VALU_DEP_4)
	v_lshl_or_b32 v252, v1, 3, v42
	v_add_nc_u32_e32 v1, 46, v8
	v_lshl_or_b32 v254, v5, 3, v42
	v_add_nc_u32_e32 v4, 47, v8
	v_lshl_or_b32 v255, v9, 3, v42
	v_dual_add_nc_u32 v5, 48, v8 :: v_dual_add_nc_u32 v9, 49, v8
	v_and_b32_e32 v1, 63, v1
	s_delay_alu instid0(VALU_DEP_4) | instskip(NEXT) | instid1(VALU_DEP_3)
	v_and_b32_e32 v4, 63, v4
	v_and_b32_e32 v5, 63, v5
	s_delay_alu instid0(VALU_DEP_4) | instskip(NEXT) | instid1(VALU_DEP_4)
	v_and_b32_e32 v9, 63, v9
	v_lshl_or_b32 v213, v1, 3, v42
	s_delay_alu instid0(VALU_DEP_4)
	v_lshl_or_b32 v214, v4, 3, v42
	v_add_nc_u32_e32 v1, 51, v8
	v_lshl_or_b32 v215, v5, 3, v42
	v_add_nc_u32_e32 v4, 52, v8
	v_lshl_or_b32 v216, v9, 3, v42
	v_dual_add_nc_u32 v5, 53, v8 :: v_dual_add_nc_u32 v9, 54, v8
	v_and_b32_e32 v1, 63, v1
	s_delay_alu instid0(VALU_DEP_4) | instskip(NEXT) | instid1(VALU_DEP_3)
	v_and_b32_e32 v4, 63, v4
	v_and_b32_e32 v5, 63, v5
	s_delay_alu instid0(VALU_DEP_4) | instskip(NEXT) | instid1(VALU_DEP_4)
	v_and_b32_e32 v9, 63, v9
	v_lshl_or_b32 v218, v1, 3, v42
	s_delay_alu instid0(VALU_DEP_4) | instskip(SKIP_4) | instid1(VALU_DEP_4)
	v_lshl_or_b32 v219, v4, 3, v42
	v_add_nc_u32_e32 v1, 56, v8
	v_lshl_or_b32 v220, v5, 3, v42
	v_add_nc_u32_e32 v5, 57, v8
	v_lshl_or_b32 v4, v9, 3, v42
	v_dual_add_nc_u32 v9, 58, v8 :: v_dual_bitop2_b32 v1, 63, v1 bitop3:0x40
	s_delay_alu instid0(VALU_DEP_3) | instskip(SKIP_1) | instid1(VALU_DEP_3)
	v_and_b32_e32 v46, 63, v5
	v_lshl_or_b32 v5, v0, 3, v42
	v_dual_add_nc_u32 v0, 60, v8 :: v_dual_bitop2_b32 v9, 63, v9 bitop3:0x40
	s_delay_alu instid0(VALU_DEP_4)
	v_lshl_or_b32 v221, v1, 3, v42
	v_add_nc_u32_e32 v1, 61, v8
	v_lshl_or_b32 v222, v46, 3, v42
	v_add_nc_u32_e32 v46, -1, v8
	v_lshl_or_b32 v224, v43, 3, v42
	v_add_nc_u32_e32 v43, 62, v8
	v_lshl_or_b32 v223, v9, 3, v42
	v_dual_mov_b32 v9, v3 :: v_dual_bitop2_b32 v0, 63, v0 bitop3:0x40
	v_and_b32_e32 v47, 63, v1
	s_delay_alu instid0(VALU_DEP_4) | instskip(SKIP_1) | instid1(VALU_DEP_4)
	v_and_b32_e32 v43, 63, v43
	v_and_b32_e32 v46, 63, v46
	v_lshl_or_b32 v225, v0, 3, v42
	v_mul_u64_e32 v[0:1], s[34:35], v[8:9]
	v_max_num_f64_e32 v[8:9], v[44:45], v[44:45]
	v_lshl_or_b32 v226, v47, 3, v42
	v_lshl_or_b32 v227, v43, 3, v42
	;; [unrolled: 1-line block ×3, first 2 shown]
	s_sub_nc_u64 s[34:35], 0, s[30:31]
	s_branch .LBB267_4
.LBB267_2:                              ;   in Loop: Header=BB267_4 Depth=1
	s_wait_xcnt 0x0
	s_or_b32 exec_lo, exec_lo, s3
.LBB267_3:                              ;   in Loop: Header=BB267_4 Depth=1
	s_add_co_i32 s2, s2, 0x10000
	s_delay_alu instid0(SALU_CYCLE_1)
	s_cmp_lt_u32 s2, s33
	s_cbranch_scc0 .LBB267_15
.LBB267_4:                              ; =>This Loop Header: Depth=1
                                        ;     Child Loop BB267_8 Depth 2
	s_and_not1_b32 vcc_lo, exec_lo, s1
	s_cbranch_vccnz .LBB267_3
; %bb.5:                                ;   in Loop: Header=BB267_4 Depth=1
	s_load_b32 s3, s[24:25], 0x4
	s_wait_kmcnt 0x0
	s_cvt_f32_u32 s16, s3
	s_sub_co_i32 s40, 0, s3
	s_delay_alu instid0(SALU_CYCLE_2) | instskip(SKIP_1) | instid1(TRANS32_DEP_1)
	v_rcp_iflag_f32_e32 v40, s16
	v_nop
	v_readfirstlane_b32 s16, v40
	s_mul_f32 s16, s16, 0x4f7ffffe
	s_delay_alu instid0(SALU_CYCLE_3) | instskip(NEXT) | instid1(SALU_CYCLE_3)
	s_cvt_u32_f32 s16, s16
	s_mul_i32 s40, s40, s16
	s_delay_alu instid0(SALU_CYCLE_1) | instskip(NEXT) | instid1(SALU_CYCLE_1)
	s_mul_hi_u32 s40, s16, s40
	s_add_co_i32 s16, s16, s40
	s_delay_alu instid0(SALU_CYCLE_1) | instskip(NEXT) | instid1(SALU_CYCLE_1)
	s_mul_u64 s[40:41], s[22:23], s[16:17]
	s_mul_i32 s16, s41, s3
	s_add_co_i32 s40, s41, 1
	s_sub_co_i32 s16, s22, s16
	s_delay_alu instid0(SALU_CYCLE_1)
	s_sub_co_i32 s43, s16, s3
	s_cmp_ge_u32 s16, s3
	s_cselect_b32 s40, s40, s41
	s_cselect_b32 s16, s43, s16
	s_add_co_i32 s41, s40, 1
	s_cmp_ge_u32 s16, s3
	s_cselect_b32 s40, s41, s40
	s_delay_alu instid0(SALU_CYCLE_1) | instskip(NEXT) | instid1(SALU_CYCLE_1)
	s_mul_i32 s3, s40, s3
	s_sub_co_i32 s41, s22, s3
	s_delay_alu instid0(SALU_CYCLE_1) | instskip(SKIP_1) | instid1(SALU_CYCLE_1)
	s_cmp_lt_u32 s42, s41
	s_cselect_b32 s3, -1, 0
	s_cmp_lg_u32 s3, 0
	s_add_co_ci_u32 s16, s40, 0
	s_delay_alu instid0(SALU_CYCLE_1)
	s_cmp_eq_u32 s16, 0
	s_cbranch_scc1 .LBB267_3
; %bb.6:                                ;   in Loop: Header=BB267_4 Depth=1
	v_mov_b32_e32 v40, s2
	s_cmp_lt_i32 s16, 1
	global_load_b64 v[40:41], v40, s[12:13] scale_offset
	s_cbranch_scc1 .LBB267_12
; %bb.7:                                ;   in Loop: Header=BB267_4 Depth=1
	s_mov_b32 s3, s17
	v_cvt_f64_u32_e32 v[42:43], s41
	s_lshl_b64 s[44:45], s[2:3], 3
	s_mul_i32 s40, s40, s42
	s_add_nc_u64 s[46:47], s[4:5], s[44:45]
	v_cvt_f64_u32_e32 v[44:45], s40
	global_load_b64 v[48:49], v3, s[46:47]
	s_add_nc_u64 s[40:41], s[8:9], s[44:45]
	s_add_co_i32 s3, s16, -1
	global_load_b64 v[110:111], v3, s[40:41]
	s_wait_xcnt 0x0
	s_mov_b32 s40, 0
	v_min_num_f64_e32 v[42:43], v[8:9], v[42:43]
	s_delay_alu instid0(VALU_DEP_1) | instskip(NEXT) | instid1(VALU_DEP_1)
	v_add_f64_e32 v[42:43], v[42:43], v[44:45]
	v_cvt_i32_f64_e32 v42, v[42:43]
	s_delay_alu instid0(VALU_DEP_1) | instskip(NEXT) | instid1(VALU_DEP_1)
	v_lshlrev_b32_e32 v42, 7, v42
	v_ashrrev_i32_e32 v43, 31, v42
	s_delay_alu instid0(VALU_DEP_1)
	v_lshlrev_b64_e32 v[50:51], 3, v[42:43]
	s_wait_loadcnt 0x1
	v_add_nc_u64_e32 v[44:45], s[6:7], v[48:49]
	v_add_nc_u64_e32 v[94:95], v[48:49], v[28:29]
	;; [unrolled: 1-line block ×6, first 2 shown]
	s_wait_loadcnt 0x0
	v_add_nc_u64_e32 v[110:111], s[10:11], v[110:111]
	v_add_nc_u64_e32 v[42:43], s[36:37], v[44:45]
	scratch_load_b64 v[44:45], off, off     ; 8-byte Folded Reload
	v_add_nc_u64_e32 v[94:95], v[94:95], v[50:51]
	v_add_nc_u64_e32 v[96:97], v[96:97], v[50:51]
	;; [unrolled: 1-line block ×6, first 2 shown]
	s_wait_loadcnt 0x0
	s_delay_alu instid0(VALU_DEP_1) | instskip(NEXT) | instid1(VALU_DEP_1)
	v_lshl_add_u64 v[42:43], v[44:45], 3, v[42:43]
	v_lshl_add_u64 v[44:45], s[26:27], 3, v[42:43]
	s_delay_alu instid0(VALU_DEP_1) | instskip(NEXT) | instid1(VALU_DEP_1)
	v_add_nc_u64_e32 v[46:47], s[34:35], v[44:45]
	v_add_nc_u64_e32 v[52:53], s[34:35], v[46:47]
	s_delay_alu instid0(VALU_DEP_1) | instskip(NEXT) | instid1(VALU_DEP_1)
	v_add_nc_u64_e32 v[54:55], s[34:35], v[52:53]
	v_add_nc_u64_e32 v[56:57], s[34:35], v[54:55]
	;; [unrolled: 3-line block ×3, first 2 shown]
	s_delay_alu instid0(VALU_DEP_1)
	v_add_nc_u64_e32 v[62:63], s[34:35], v[60:61]
	s_clause 0x5
	flat_load_b64 v[144:145], v[42:43]
	flat_load_b64 v[146:147], v[46:47]
	;; [unrolled: 1-line block ×8, first 2 shown]
	s_wait_xcnt 0x4
	v_add_nc_u64_e32 v[54:55], v[48:49], v[6:7]
	s_wait_xcnt 0x3
	v_add_nc_u64_e32 v[56:57], v[48:49], v[10:11]
	;; [unrolled: 2-line block ×4, first 2 shown]
	v_or_b32_e32 v52, 0x200, v2
	v_add_nc_u64_e32 v[64:65], s[34:35], v[62:63]
	s_wait_xcnt 0x0
	v_add_nc_u64_e32 v[62:63], v[48:49], v[16:17]
	v_mov_b32_e32 v53, v51
	v_add_nc_u64_e32 v[76:77], v[56:57], v[50:51]
	v_or_b32_e32 v52, v52, v50
	v_add_nc_u64_e32 v[78:79], v[58:59], v[50:51]
	v_add_nc_u64_e32 v[80:81], v[60:61], v[50:51]
	;; [unrolled: 1-line block ×4, first 2 shown]
	v_mul_u64_e32 v[106:107], s[18:19], v[52:53]
	v_mov_b64_e32 v[46:47], 0
	v_mov_b64_e32 v[60:61], 0
	v_mov_b64_e32 v[62:63], 0
	v_mov_b64_e32 v[56:57], 0
	v_add_nc_u64_e32 v[68:69], s[34:35], v[66:67]
	v_mov_b64_e32 v[58:59], 0
	v_mov_b64_e32 v[52:53], 0
	s_delay_alu instid0(VALU_DEP_3) | instskip(NEXT) | instid1(VALU_DEP_1)
	v_add_nc_u64_e32 v[70:71], s[34:35], v[68:69]
	v_add_nc_u64_e32 v[72:73], s[34:35], v[70:71]
	s_delay_alu instid0(VALU_DEP_1) | instskip(NEXT) | instid1(VALU_DEP_1)
	v_add_nc_u64_e32 v[74:75], s[34:35], v[72:73]
	v_add_nc_u64_e32 v[42:43], s[34:35], v[74:75]
	flat_load_b64 v[160:161], v[64:65]
	flat_load_b64 v[162:163], v[66:67]
	flat_load_b64 v[164:165], v[68:69]
	flat_load_b64 v[166:167], v[70:71]
	flat_load_b64 v[168:169], v[72:73]
	flat_load_b64 v[170:171], v[74:75]
	flat_load_b64 v[172:173], v[42:43]
	flat_load_b64 v[174:175], v[44:45]
	s_wait_xcnt 0x7
	v_add_nc_u64_e32 v[64:65], v[48:49], v[18:19]
	s_wait_xcnt 0x6
	v_add_nc_u64_e32 v[66:67], v[48:49], v[20:21]
	;; [unrolled: 2-line block ×5, first 2 shown]
	v_add_nc_u64_e32 v[48:49], v[48:49], v[38:39]
	s_wait_xcnt 0x2
	v_add_nc_u64_e32 v[74:75], v[54:55], v[50:51]
	v_add_nc_u64_e32 v[84:85], v[64:65], v[50:51]
	;; [unrolled: 1-line block ×7, first 2 shown]
	v_or_b32_e32 v50, v2, v50
	s_wait_xcnt 0x0
	v_mov_b64_e32 v[44:45], 0
	v_mov_b64_e32 v[42:43], 0
	v_mov_b64_e32 v[68:69], 0
	v_mov_b64_e32 v[70:71], 0
	v_mul_u64_e32 v[108:109], s[18:19], v[50:51]
	v_mov_b64_e32 v[72:73], 0
	v_mov_b64_e32 v[64:65], 0
	v_mov_b64_e32 v[66:67], 0
	v_mov_b64_e32 v[54:55], 0
	v_mov_b64_e32 v[50:51], 0
	v_mov_b64_e32 v[48:49], 0
	s_wait_loadcnt_dscnt 0xf0f
	v_mov_b64_e32 v[112:113], v[144:145]
	s_wait_loadcnt_dscnt 0xe0e
	v_mov_b64_e32 v[140:141], v[146:147]
	;; [unrolled: 2-line block ×16, first 2 shown]
.LBB267_8:                              ;   Parent Loop BB267_4 Depth=1
                                        ; =>  This Inner Loop Header: Depth=2
	v_add_nc_u64_e32 v[210:211], v[74:75], v[2:3]
	v_add_nc_u64_e32 v[240:241], v[110:111], v[108:109]
	s_cmp_lg_u32 s3, s40
	s_delay_alu instid0(VALU_DEP_2) | instskip(NEXT) | instid1(VALU_DEP_1)
	v_add_nc_u64_e32 v[176:177], 0x200, v[210:211]
	v_add_nc_u64_e32 v[176:177], s[30:31], v[176:177]
	s_delay_alu instid0(VALU_DEP_1) | instskip(NEXT) | instid1(VALU_DEP_1)
	v_add_nc_u64_e32 v[178:179], s[30:31], v[176:177]
	v_add_nc_u64_e32 v[180:181], s[30:31], v[178:179]
	s_delay_alu instid0(VALU_DEP_1) | instskip(NEXT) | instid1(VALU_DEP_1)
	;; [unrolled: 3-line block ×3, first 2 shown]
	v_add_nc_u64_e32 v[186:187], s[30:31], v[184:185]
	v_add_nc_u64_e32 v[188:189], s[30:31], v[186:187]
	s_delay_alu instid0(VALU_DEP_1)
	v_add_nc_u64_e32 v[190:191], s[30:31], v[188:189]
	s_clause 0x8
	flat_load_b64 v[206:207], v[210:211] offset:512
	flat_load_b64 v[204:205], v[176:177]
	flat_load_b64 v[200:201], v[178:179]
	;; [unrolled: 1-line block ×8, first 2 shown]
	v_add_nc_u64_e32 v[208:209], s[30:31], v[190:191]
	s_delay_alu instid0(VALU_DEP_1) | instskip(NEXT) | instid1(VALU_DEP_1)
	v_add_nc_u64_e32 v[232:233], s[30:31], v[208:209]
	v_add_nc_u64_e32 v[234:235], s[30:31], v[232:233]
	s_delay_alu instid0(VALU_DEP_1) | instskip(NEXT) | instid1(VALU_DEP_1)
	v_add_nc_u64_e32 v[236:237], s[30:31], v[234:235]
	;; [unrolled: 3-line block ×3, first 2 shown]
	v_add_nc_u64_e32 v[176:177], s[30:31], v[242:243]
	flat_load_b64 v[190:191], v[208:209]
	flat_load_b64 v[186:187], v[232:233]
	;; [unrolled: 1-line block ×8, first 2 shown]
	s_cbranch_scc0 .LBB267_10
; %bb.9:                                ;   in Loop: Header=BB267_8 Depth=2
	v_add_nc_u64_e32 v[114:115], v[76:77], v[2:3]
	v_add_nc_u64_e32 v[116:117], v[78:79], v[2:3]
	;; [unrolled: 1-line block ×15, first 2 shown]
	flat_load_b64 v[112:113], v[210:211] offset:1024
	flat_load_b64 v[114:115], v[114:115]
	flat_load_b64 v[116:117], v[116:117]
	;; [unrolled: 1-line block ×15, first 2 shown]
.LBB267_10:                             ;   in Loop: Header=BB267_8 Depth=2
	s_wait_loadcnt_dscnt 0x0
	v_fmac_f64_e32 v[44:45], v[144:145], v[208:209]
	v_add_nc_u64_e32 v[144:145], v[110:111], v[106:107]
	v_fmac_f64_e32 v[46:47], v[172:173], v[208:209]
	v_fmac_f64_e32 v[42:43], v[170:171], v[208:209]
	;; [unrolled: 1-line block ×6, first 2 shown]
	flat_load_b64 v[144:145], v[144:145]
	v_fmac_f64_e32 v[72:73], v[160:161], v[208:209]
	v_fmac_f64_e32 v[64:65], v[158:159], v[208:209]
	;; [unrolled: 1-line block ×9, first 2 shown]
	v_add_nc_u64_e32 v[74:75], 0x400, v[74:75]
	v_add_nc_u64_e32 v[76:77], 0x400, v[76:77]
	;; [unrolled: 1-line block ×17, first 2 shown]
	s_add_co_i32 s40, s40, 1
	s_delay_alu instid0(SALU_CYCLE_1)
	s_cmp_ge_i32 s40, s16
	s_wait_loadcnt_dscnt 0x0
	v_fmac_f64_e32 v[44:45], v[206:207], v[144:145]
	v_fmac_f64_e32 v[46:47], v[204:205], v[144:145]
	;; [unrolled: 1-line block ×16, first 2 shown]
	s_cbranch_scc1 .LBB267_13
; %bb.11:                               ;   in Loop: Header=BB267_8 Depth=2
	s_wait_xcnt 0x0
	v_mov_b64_e32 v[144:145], v[112:113]
	v_mov_b64_e32 v[172:173], v[114:115]
	;; [unrolled: 1-line block ×16, first 2 shown]
	s_branch .LBB267_8
.LBB267_12:                             ;   in Loop: Header=BB267_4 Depth=1
	v_mov_b64_e32 v[48:49], 0
	v_mov_b64_e32 v[50:51], 0
	;; [unrolled: 1-line block ×16, first 2 shown]
.LBB267_13:                             ;   in Loop: Header=BB267_4 Depth=1
	ds_store_2addr_stride64_b64 v230, v[44:45], v[46:47] offset1:1
	ds_store_2addr_stride64_b64 v230, v[42:43], v[68:69] offset0:2 offset1:3
	ds_store_2addr_stride64_b64 v230, v[60:61], v[62:63] offset0:4 offset1:5
	;; [unrolled: 1-line block ×6, first 2 shown]
	ds_store_b64 v230, v[50:51] offset:7168
	ds_store_b64 v231, v[48:49]
	s_wait_storecnt 0x0
	s_wait_loadcnt_dscnt 0x0
	s_barrier_signal -1
	s_barrier_wait -1
	s_wait_xcnt 0x0
	s_and_saveexec_b32 s3, s0
	s_cbranch_execz .LBB267_2
; %bb.14:                               ;   in Loop: Header=BB267_4 Depth=1
	s_clause 0x3
	scratch_load_b32 v44, off, off offset:8
	scratch_load_b32 v46, off, off offset:12
	;; [unrolled: 1-line block ×4, first 2 shown]
	ds_load_b64 v[42:43], v229
	v_add_nc_u64_e32 v[40:41], s[14:15], v[40:41]
	s_delay_alu instid0(VALU_DEP_1) | instskip(NEXT) | instid1(VALU_DEP_1)
	v_add_nc_u64_e32 v[40:41], s[38:39], v[40:41]
	v_lshl_add_u64 v[40:41], v[0:1], 3, v[40:41]
	s_wait_dscnt 0x0
	v_add_f64_e32 v[42:43], 0, v[42:43]
	s_wait_loadcnt 0x3
	ds_load_b64 v[44:45], v44
	s_wait_loadcnt 0x2
	ds_load_b64 v[46:47], v46
	;; [unrolled: 2-line block ×4, first 2 shown]
	s_wait_dscnt 0x3
	v_add_f64_e32 v[42:43], v[42:43], v[44:45]
	scratch_load_b32 v44, off, off offset:20 ; 4-byte Folded Reload
	s_wait_dscnt 0x2
	v_add_f64_e32 v[42:43], v[42:43], v[46:47]
	scratch_load_b32 v46, off, off offset:24 ; 4-byte Folded Reload
	;; [unrolled: 3-line block ×3, first 2 shown]
	s_wait_loadcnt 0x2
	ds_load_b64 v[44:45], v44
	s_wait_loadcnt 0x1
	ds_load_b64 v[46:47], v46
	;; [unrolled: 2-line block ×3, first 2 shown]
	s_wait_dscnt 0x2
	v_add_f64_e32 v[42:43], v[42:43], v[44:45]
	scratch_load_b32 v44, off, off offset:36 ; 4-byte Folded Reload
	s_wait_dscnt 0x1
	v_add_f64_e32 v[42:43], v[42:43], v[46:47]
	scratch_load_b32 v46, off, off offset:40 ; 4-byte Folded Reload
	;; [unrolled: 3-line block ×3, first 2 shown]
	v_add_f64_e32 v[42:43], v[42:43], v[50:51]
	scratch_load_b32 v50, off, off offset:48 ; 4-byte Folded Reload
	s_wait_loadcnt 0x3
	ds_load_b64 v[44:45], v44
	s_wait_loadcnt 0x2
	ds_load_b64 v[46:47], v46
	s_wait_loadcnt 0x1
	ds_load_b64 v[48:49], v48
	s_wait_loadcnt 0x0
	ds_load_b64 v[50:51], v50
	s_wait_dscnt 0x3
	v_add_f64_e32 v[42:43], v[42:43], v[44:45]
	scratch_load_b32 v44, off, off offset:52 ; 4-byte Folded Reload
	s_wait_dscnt 0x2
	v_add_f64_e32 v[42:43], v[42:43], v[46:47]
	scratch_load_b32 v46, off, off offset:56 ; 4-byte Folded Reload
	s_wait_dscnt 0x1
	v_add_f64_e32 v[42:43], v[42:43], v[48:49]
	scratch_load_b32 v48, off, off offset:60 ; 4-byte Folded Reload
	s_wait_dscnt 0x0
	v_add_f64_e32 v[42:43], v[42:43], v[50:51]
	scratch_load_b32 v50, off, off offset:64 ; 4-byte Folded Reload
	s_wait_loadcnt 0x3
	ds_load_b64 v[44:45], v44
	s_wait_loadcnt 0x2
	ds_load_b64 v[46:47], v46
	s_wait_loadcnt 0x1
	ds_load_b64 v[48:49], v48
	s_wait_loadcnt 0x0
	ds_load_b64 v[50:51], v50
	s_wait_dscnt 0x3
	v_add_f64_e32 v[42:43], v[42:43], v[44:45]
	scratch_load_b32 v44, off, off offset:68 ; 4-byte Folded Reload
	s_wait_dscnt 0x2
	v_add_f64_e32 v[42:43], v[42:43], v[46:47]
	scratch_load_b32 v46, off, off offset:72 ; 4-byte Folded Reload
	s_wait_dscnt 0x1
	v_add_f64_e32 v[42:43], v[42:43], v[48:49]
	scratch_load_b32 v48, off, off offset:76 ; 4-byte Folded Reload
	s_wait_dscnt 0x0
	;; [unrolled: 20-line block ×5, first 2 shown]
	v_add_f64_e32 v[42:43], v[42:43], v[50:51]
	scratch_load_b32 v50, off, off offset:128 ; 4-byte Folded Reload
	s_wait_loadcnt 0x3
	ds_load_b64 v[44:45], v44
	s_wait_loadcnt 0x2
	ds_load_b64 v[46:47], v46
	;; [unrolled: 2-line block ×4, first 2 shown]
	s_wait_dscnt 0x3
	v_add_f64_e32 v[42:43], v[42:43], v[44:45]
	scratch_load_b32 v44, off, off offset:132 ; 4-byte Folded Reload
	s_wait_dscnt 0x2
	v_add_f64_e32 v[42:43], v[42:43], v[46:47]
	s_wait_dscnt 0x1
	s_delay_alu instid0(VALU_DEP_1) | instskip(SKIP_1) | instid1(VALU_DEP_1)
	v_add_f64_e32 v[42:43], v[42:43], v[48:49]
	s_wait_dscnt 0x0
	v_add_f64_e32 v[42:43], v[42:43], v[50:51]
	s_wait_loadcnt 0x0
	ds_load_b64 v[44:45], v44
	ds_load_b64 v[46:47], v244
	ds_load_b64 v[48:49], v245
	ds_load_b64 v[50:51], v246
	s_wait_dscnt 0x3
	v_add_f64_e32 v[42:43], v[42:43], v[44:45]
	s_wait_dscnt 0x2
	s_delay_alu instid0(VALU_DEP_1) | instskip(SKIP_1) | instid1(VALU_DEP_1)
	v_add_f64_e32 v[42:43], v[42:43], v[46:47]
	s_wait_dscnt 0x1
	v_add_f64_e32 v[42:43], v[42:43], v[48:49]
	s_wait_dscnt 0x0
	s_delay_alu instid0(VALU_DEP_1)
	v_add_f64_e32 v[42:43], v[42:43], v[50:51]
	ds_load_b64 v[44:45], v247
	ds_load_b64 v[46:47], v248
	ds_load_b64 v[48:49], v249
	ds_load_b64 v[50:51], v250
	s_wait_dscnt 0x3
	v_add_f64_e32 v[42:43], v[42:43], v[44:45]
	s_wait_dscnt 0x2
	s_delay_alu instid0(VALU_DEP_1) | instskip(SKIP_1) | instid1(VALU_DEP_1)
	v_add_f64_e32 v[42:43], v[42:43], v[46:47]
	s_wait_dscnt 0x1
	v_add_f64_e32 v[42:43], v[42:43], v[48:49]
	s_wait_dscnt 0x0
	s_delay_alu instid0(VALU_DEP_1)
	v_add_f64_e32 v[42:43], v[42:43], v[50:51]
	ds_load_b64 v[44:45], v251
	ds_load_b64 v[46:47], v252
	ds_load_b64 v[48:49], v253
	ds_load_b64 v[50:51], v254
	s_wait_dscnt 0x3
	v_add_f64_e32 v[42:43], v[42:43], v[44:45]
	s_wait_dscnt 0x2
	s_delay_alu instid0(VALU_DEP_1) | instskip(SKIP_1) | instid1(VALU_DEP_1)
	v_add_f64_e32 v[42:43], v[42:43], v[46:47]
	s_wait_dscnt 0x1
	v_add_f64_e32 v[42:43], v[42:43], v[48:49]
	s_wait_dscnt 0x0
	s_delay_alu instid0(VALU_DEP_1)
	v_add_f64_e32 v[42:43], v[42:43], v[50:51]
	ds_load_b64 v[44:45], v255
	ds_load_b64 v[46:47], v212
	ds_load_b64 v[48:49], v213
	ds_load_b64 v[50:51], v214
	s_wait_dscnt 0x3
	v_add_f64_e32 v[42:43], v[42:43], v[44:45]
	s_wait_dscnt 0x2
	s_delay_alu instid0(VALU_DEP_1) | instskip(SKIP_1) | instid1(VALU_DEP_1)
	v_add_f64_e32 v[42:43], v[42:43], v[46:47]
	s_wait_dscnt 0x1
	v_add_f64_e32 v[42:43], v[42:43], v[48:49]
	s_wait_dscnt 0x0
	s_delay_alu instid0(VALU_DEP_1)
	v_add_f64_e32 v[42:43], v[42:43], v[50:51]
	ds_load_b64 v[44:45], v215
	ds_load_b64 v[46:47], v216
	ds_load_b64 v[48:49], v217
	ds_load_b64 v[50:51], v218
	s_wait_dscnt 0x3
	v_add_f64_e32 v[42:43], v[42:43], v[44:45]
	s_wait_dscnt 0x2
	s_delay_alu instid0(VALU_DEP_1) | instskip(SKIP_1) | instid1(VALU_DEP_1)
	v_add_f64_e32 v[42:43], v[42:43], v[46:47]
	s_wait_dscnt 0x1
	v_add_f64_e32 v[42:43], v[42:43], v[48:49]
	s_wait_dscnt 0x0
	s_delay_alu instid0(VALU_DEP_1)
	v_add_f64_e32 v[42:43], v[42:43], v[50:51]
	ds_load_b64 v[44:45], v219
	ds_load_b64 v[46:47], v220
	ds_load_b64 v[48:49], v4
	ds_load_b64 v[50:51], v5
	s_wait_dscnt 0x3
	v_add_f64_e32 v[42:43], v[42:43], v[44:45]
	s_wait_dscnt 0x2
	s_delay_alu instid0(VALU_DEP_1) | instskip(SKIP_1) | instid1(VALU_DEP_1)
	v_add_f64_e32 v[42:43], v[42:43], v[46:47]
	s_wait_dscnt 0x1
	v_add_f64_e32 v[42:43], v[42:43], v[48:49]
	s_wait_dscnt 0x0
	s_delay_alu instid0(VALU_DEP_1)
	v_add_f64_e32 v[42:43], v[42:43], v[50:51]
	ds_load_b64 v[44:45], v221
	ds_load_b64 v[46:47], v222
	ds_load_b64 v[48:49], v223
	ds_load_b64 v[50:51], v224
	s_wait_dscnt 0x3
	v_add_f64_e32 v[42:43], v[42:43], v[44:45]
	s_wait_dscnt 0x2
	s_delay_alu instid0(VALU_DEP_1) | instskip(SKIP_1) | instid1(VALU_DEP_1)
	v_add_f64_e32 v[42:43], v[42:43], v[46:47]
	s_wait_dscnt 0x1
	v_add_f64_e32 v[42:43], v[42:43], v[48:49]
	s_wait_dscnt 0x0
	s_delay_alu instid0(VALU_DEP_1)
	v_add_f64_e32 v[42:43], v[42:43], v[50:51]
	ds_load_b64 v[44:45], v225
	ds_load_b64 v[46:47], v226
	;; [unrolled: 1-line block ×4, first 2 shown]
	s_wait_dscnt 0x3
	v_add_f64_e32 v[42:43], v[42:43], v[44:45]
	s_wait_dscnt 0x2
	s_delay_alu instid0(VALU_DEP_1) | instskip(SKIP_1) | instid1(VALU_DEP_1)
	v_add_f64_e32 v[42:43], v[42:43], v[46:47]
	s_wait_dscnt 0x1
	v_add_f64_e32 v[42:43], v[42:43], v[48:49]
	s_wait_dscnt 0x0
	s_delay_alu instid0(VALU_DEP_1) | instskip(NEXT) | instid1(VALU_DEP_1)
	v_add_f64_e32 v[42:43], v[42:43], v[50:51]
	v_mul_f64_e32 v[42:43], s[20:21], v[42:43]
	flat_atomic_add_f64 v[40:41], v[42:43] scope:SCOPE_DEV
	s_branch .LBB267_2
.LBB267_15:
	s_sendmsg sendmsg(MSG_DEALLOC_VGPRS)
	s_endpgm
	.section	.rodata,"a",@progbits
	.p2align	6, 0x0
	.amdhsa_kernel _ZL36rocblas_gemvt_double_buffered_kernelILb0ELi128ELi4ELi16EPKddKPdEviiT4_lPKT3_lilS7_lilPT5_lili
		.amdhsa_group_segment_fixed_size 65536
		.amdhsa_private_segment_fixed_size 140
		.amdhsa_kernarg_size 384
		.amdhsa_user_sgpr_count 2
		.amdhsa_user_sgpr_dispatch_ptr 0
		.amdhsa_user_sgpr_queue_ptr 0
		.amdhsa_user_sgpr_kernarg_segment_ptr 1
		.amdhsa_user_sgpr_dispatch_id 0
		.amdhsa_user_sgpr_kernarg_preload_length 0
		.amdhsa_user_sgpr_kernarg_preload_offset 0
		.amdhsa_user_sgpr_private_segment_size 0
		.amdhsa_wavefront_size32 1
		.amdhsa_uses_dynamic_stack 0
		.amdhsa_enable_private_segment 1
		.amdhsa_system_sgpr_workgroup_id_x 1
		.amdhsa_system_sgpr_workgroup_id_y 1
		.amdhsa_system_sgpr_workgroup_id_z 1
		.amdhsa_system_sgpr_workgroup_info 0
		.amdhsa_system_vgpr_workitem_id 1
		.amdhsa_next_free_vgpr 256
		.amdhsa_next_free_sgpr 48
		.amdhsa_named_barrier_count 0
		.amdhsa_reserve_vcc 1
		.amdhsa_float_round_mode_32 0
		.amdhsa_float_round_mode_16_64 0
		.amdhsa_float_denorm_mode_32 3
		.amdhsa_float_denorm_mode_16_64 3
		.amdhsa_fp16_overflow 0
		.amdhsa_memory_ordered 1
		.amdhsa_forward_progress 1
		.amdhsa_inst_pref_size 52
		.amdhsa_round_robin_scheduling 0
		.amdhsa_exception_fp_ieee_invalid_op 0
		.amdhsa_exception_fp_denorm_src 0
		.amdhsa_exception_fp_ieee_div_zero 0
		.amdhsa_exception_fp_ieee_overflow 0
		.amdhsa_exception_fp_ieee_underflow 0
		.amdhsa_exception_fp_ieee_inexact 0
		.amdhsa_exception_int_div_zero 0
	.end_amdhsa_kernel
	.section	.text._ZL36rocblas_gemvt_double_buffered_kernelILb0ELi128ELi4ELi16EPKddKPdEviiT4_lPKT3_lilS7_lilPT5_lili,"axG",@progbits,_ZL36rocblas_gemvt_double_buffered_kernelILb0ELi128ELi4ELi16EPKddKPdEviiT4_lPKT3_lilS7_lilPT5_lili,comdat
.Lfunc_end267:
	.size	_ZL36rocblas_gemvt_double_buffered_kernelILb0ELi128ELi4ELi16EPKddKPdEviiT4_lPKT3_lilS7_lilPT5_lili, .Lfunc_end267-_ZL36rocblas_gemvt_double_buffered_kernelILb0ELi128ELi4ELi16EPKddKPdEviiT4_lPKT3_lilS7_lilPT5_lili
                                        ; -- End function
	.set _ZL36rocblas_gemvt_double_buffered_kernelILb0ELi128ELi4ELi16EPKddKPdEviiT4_lPKT3_lilS7_lilPT5_lili.num_vgpr, 256
	.set _ZL36rocblas_gemvt_double_buffered_kernelILb0ELi128ELi4ELi16EPKddKPdEviiT4_lPKT3_lilS7_lilPT5_lili.num_agpr, 0
	.set _ZL36rocblas_gemvt_double_buffered_kernelILb0ELi128ELi4ELi16EPKddKPdEviiT4_lPKT3_lilS7_lilPT5_lili.numbered_sgpr, 48
	.set _ZL36rocblas_gemvt_double_buffered_kernelILb0ELi128ELi4ELi16EPKddKPdEviiT4_lPKT3_lilS7_lilPT5_lili.num_named_barrier, 0
	.set _ZL36rocblas_gemvt_double_buffered_kernelILb0ELi128ELi4ELi16EPKddKPdEviiT4_lPKT3_lilS7_lilPT5_lili.private_seg_size, 140
	.set _ZL36rocblas_gemvt_double_buffered_kernelILb0ELi128ELi4ELi16EPKddKPdEviiT4_lPKT3_lilS7_lilPT5_lili.uses_vcc, 1
	.set _ZL36rocblas_gemvt_double_buffered_kernelILb0ELi128ELi4ELi16EPKddKPdEviiT4_lPKT3_lilS7_lilPT5_lili.uses_flat_scratch, 1
	.set _ZL36rocblas_gemvt_double_buffered_kernelILb0ELi128ELi4ELi16EPKddKPdEviiT4_lPKT3_lilS7_lilPT5_lili.has_dyn_sized_stack, 0
	.set _ZL36rocblas_gemvt_double_buffered_kernelILb0ELi128ELi4ELi16EPKddKPdEviiT4_lPKT3_lilS7_lilPT5_lili.has_recursion, 0
	.set _ZL36rocblas_gemvt_double_buffered_kernelILb0ELi128ELi4ELi16EPKddKPdEviiT4_lPKT3_lilS7_lilPT5_lili.has_indirect_call, 0
	.section	.AMDGPU.csdata,"",@progbits
; Kernel info:
; codeLenInByte = 6596
; TotalNumSgprs: 50
; NumVgprs: 256
; ScratchSize: 140
; MemoryBound: 0
; FloatMode: 240
; IeeeMode: 1
; LDSByteSize: 65536 bytes/workgroup (compile time only)
; SGPRBlocks: 0
; VGPRBlocks: 15
; NumSGPRsForWavesPerEU: 50
; NumVGPRsForWavesPerEU: 256
; NamedBarCnt: 0
; Occupancy: 4
; WaveLimiterHint : 1
; COMPUTE_PGM_RSRC2:SCRATCH_EN: 1
; COMPUTE_PGM_RSRC2:USER_SGPR: 2
; COMPUTE_PGM_RSRC2:TRAP_HANDLER: 0
; COMPUTE_PGM_RSRC2:TGID_X_EN: 1
; COMPUTE_PGM_RSRC2:TGID_Y_EN: 1
; COMPUTE_PGM_RSRC2:TGID_Z_EN: 1
; COMPUTE_PGM_RSRC2:TIDIG_COMP_CNT: 1
	.section	.text._ZL32rocblas_gemvt_warp_reduce_kernelILb0ELi256EiPKdS1_KPdEviiT3_lPKT2_lT1_lS7_lS8_lS4_lPT4_lS8_li,"axG",@progbits,_ZL32rocblas_gemvt_warp_reduce_kernelILb0ELi256EiPKdS1_KPdEviiT3_lPKT2_lT1_lS7_lS8_lS4_lPT4_lS8_li,comdat
	.globl	_ZL32rocblas_gemvt_warp_reduce_kernelILb0ELi256EiPKdS1_KPdEviiT3_lPKT2_lT1_lS7_lS8_lS4_lPT4_lS8_li ; -- Begin function _ZL32rocblas_gemvt_warp_reduce_kernelILb0ELi256EiPKdS1_KPdEviiT3_lPKT2_lT1_lS7_lS8_lS4_lPT4_lS8_li
	.p2align	8
	.type	_ZL32rocblas_gemvt_warp_reduce_kernelILb0ELi256EiPKdS1_KPdEviiT3_lPKT2_lT1_lS7_lS8_lS4_lPT4_lS8_li,@function
_ZL32rocblas_gemvt_warp_reduce_kernelILb0ELi256EiPKdS1_KPdEviiT3_lPKT2_lT1_lS7_lS8_lS4_lPT4_lS8_li: ; @_ZL32rocblas_gemvt_warp_reduce_kernelILb0ELi256EiPKdS1_KPdEviiT3_lPKT2_lT1_lS7_lS8_lS4_lPT4_lS8_li
; %bb.0:
	s_load_b32 s33, s[0:1], 0x88
	s_bfe_u32 s2, ttmp6, 0x40014
	s_lshr_b32 s3, ttmp7, 16
	s_add_co_i32 s2, s2, 1
	s_bfe_u32 s5, ttmp6, 0x40008
	s_mul_i32 s4, s3, s2
	s_getreg_b32 s2, hwreg(HW_REG_IB_STS2, 6, 4)
	s_add_co_i32 s5, s5, s4
	s_cmp_eq_u32 s2, 0
	s_mov_b32 s29, 0
	s_cselect_b32 s28, s3, s5
	s_wait_kmcnt 0x0
	s_cmp_ge_u32 s28, s33
	s_cbranch_scc1 .LBB268_37
; %bb.1:
	s_clause 0x6
	s_load_b32 s5, s[0:1], 0x0
	s_load_b256 s[8:15], s[0:1], 0x8
	s_load_b32 s4, s[0:1], 0x28
	s_load_b128 s[24:27], s[0:1], 0x38
	s_load_b32 s7, s[0:1], 0x48
	s_load_b256 s[16:23], s[0:1], 0x58
	s_load_b32 s6, s[0:1], 0x78
	s_wait_xcnt 0x0
	s_bfe_u32 s1, ttmp6, 0x4000c
	s_and_b32 s3, ttmp6, 15
	s_add_co_i32 s30, s1, 1
	v_dual_mov_b32 v3, 0 :: v_dual_bitop2_b32 v2, 31, v0 bitop3:0x40
	s_mul_i32 s30, ttmp9, s30
	v_lshrrev_b32_e32 v6, 2, v0
	s_add_co_i32 s3, s3, s30
	s_cmp_eq_u32 s2, 0
	v_lshlrev_b32_e32 v22, 3, v2
	s_cselect_b32 s31, ttmp9, s3
	v_and_b32_e32 v23, 56, v6
	v_mbcnt_lo_u32_b32 v1, -1, 0
	s_wait_kmcnt 0x0
	s_ashr_i32 s3, s5, 31
	v_cmp_gt_i32_e32 vcc_lo, s5, v0
	s_lshr_b32 s3, s3, 24
	v_mov_b64_e32 v[4:5], 0
	s_add_co_i32 s3, s5, s3
	v_mul_lo_u32 v24, v0, s7
	s_and_b32 s30, s3, 0xffffff00
	v_cmp_eq_u32_e64 s3, 0, v2
	v_dual_cndmask_b32 v2, 0, v0, vcc_lo :: v_dual_bitop2_b32 v7, s30, v0 bitop3:0x54
	s_mul_i32 s6, s6, s31
	v_cmp_eq_u32_e64 s0, 0, v0
	v_cmp_gt_u32_e64 s1, 32, v0
	s_delay_alu instid0(VALU_DEP_3)
	v_mul_lo_u32 v6, s7, v7
	v_cmp_gt_u32_e64 s2, 8, v0
	s_mul_i32 s34, s4, s31
	v_lshlrev_b32_e32 v2, 3, v2
	v_cmp_gt_i32_e64 s4, s30, v0
	v_cmp_gt_i32_e64 s5, s5, v7
	v_lshl_or_b32 v25, v1, 2, 64
	s_lshl_b32 s38, s7, 8
	s_ashr_i32 s7, s6, 31
	s_lshl_b64 s[14:15], s[14:15], 3
	s_ashr_i32 s35, s34, 31
	v_ashrrev_i32_e32 v7, 31, v6
	s_ashr_i32 s31, s30, 31
	s_lshl_b64 s[26:27], s[26:27], 3
	s_lshl_b64 s[22:23], s[22:23], 3
	;; [unrolled: 1-line block ×3, first 2 shown]
	s_branch .LBB268_4
.LBB268_2:                              ;   in Loop: Header=BB268_4 Depth=1
	s_wait_xcnt 0x0
	s_or_b32 exec_lo, exec_lo, s7
.LBB268_3:                              ;   in Loop: Header=BB268_4 Depth=1
	s_add_co_i32 s28, s28, 0x10000
	s_delay_alu instid0(SALU_CYCLE_1)
	s_cmp_lt_u32 s28, s33
	s_cbranch_scc0 .LBB268_37
.LBB268_4:                              ; =>This Loop Header: Depth=1
                                        ;     Child Loop BB268_26 Depth 2
	s_mul_u64 s[6:7], s[10:11], s[28:29]
	s_wait_xcnt 0x0
	s_mul_u64 s[40:41], s[18:19], s[28:29]
	s_lshl_b64 s[6:7], s[6:7], 3
	s_lshl_b64 s[40:41], s[40:41], 3
	s_add_nc_u64 s[6:7], s[8:9], s[6:7]
	s_add_nc_u64 s[40:41], s[16:17], s[40:41]
	s_clause 0x1
	global_load_b64 v[10:11], v3, s[6:7]
	global_load_b64 v[8:9], v3, s[40:41]
	s_wait_loadcnt 0x1
	s_wait_xcnt 0x1
	v_cmp_eq_f64_e64 s6, 0, v[10:11]
	s_wait_loadcnt 0x0
	v_cmp_eq_f64_e32 vcc_lo, 1.0, v[8:9]
	s_and_b32 s7, s6, vcc_lo
	s_delay_alu instid0(SALU_CYCLE_1)
	s_and_b32 vcc_lo, exec_lo, s7
	s_cbranch_vccnz .LBB268_3
; %bb.5:                                ;   in Loop: Header=BB268_4 Depth=1
	v_cmp_neq_f64_e64 s7, 0, v[10:11]
	s_wait_dscnt 0x0
	v_mov_b64_e32 v[14:15], 0
	v_mov_b64_e32 v[16:17], 0
	s_and_b32 vcc_lo, exec_lo, s6
	s_cbranch_vccnz .LBB268_7
; %bb.6:                                ;   in Loop: Header=BB268_4 Depth=1
	s_wait_xcnt 0x0
	s_lshl_b64 s[40:41], s[28:29], 3
	s_delay_alu instid0(SALU_CYCLE_1)
	s_add_nc_u64 s[40:41], s[12:13], s[40:41]
	global_load_b64 v[12:13], v3, s[40:41]
	s_wait_loadcnt 0x0
	v_add_nc_u64_e32 v[16:17], s[14:15], v[12:13]
.LBB268_7:                              ;   in Loop: Header=BB268_4 Depth=1
	s_and_not1_b32 vcc_lo, exec_lo, s7
	s_cbranch_vccnz .LBB268_9
; %bb.8:                                ;   in Loop: Header=BB268_4 Depth=1
	s_wait_xcnt 0x0
	s_lshl_b64 s[40:41], s[28:29], 3
	s_delay_alu instid0(SALU_CYCLE_1)
	s_add_nc_u64 s[40:41], s[24:25], s[40:41]
	global_load_b64 v[12:13], v3, s[40:41]
	s_wait_loadcnt 0x0
	v_add_nc_u64_e32 v[14:15], s[26:27], v[12:13]
.LBB268_9:                              ;   in Loop: Header=BB268_4 Depth=1
	s_wait_xcnt 0x0
	s_lshl_b64 s[40:41], s[28:29], 3
	s_and_not1_b32 vcc_lo, exec_lo, s6
	s_add_nc_u64 s[40:41], s[20:21], s[40:41]
	global_load_b64 v[12:13], v3, s[40:41]
	s_wait_loadcnt 0x0
	v_add_nc_u64_e32 v[12:13], s[22:23], v[12:13]
	s_cbranch_vccnz .LBB268_14
; %bb.10:                               ;   in Loop: Header=BB268_4 Depth=1
	s_mov_b32 s7, 0
	s_mov_b32 s6, 0
                                        ; implicit-def: $vgpr18_vgpr19
	s_wait_xcnt 0x0
	s_and_saveexec_b32 s39, s0
	s_cbranch_execz .LBB268_15
; %bb.11:                               ;   in Loop: Header=BB268_4 Depth=1
	v_cmp_eq_f64_e32 vcc_lo, 0, v[8:9]
	v_mov_b64_e32 v[18:19], 0
	s_cbranch_vccnz .LBB268_13
; %bb.12:                               ;   in Loop: Header=BB268_4 Depth=1
	v_add_nc_u64_e32 v[18:19], s[36:37], v[12:13]
	flat_load_b64 v[18:19], v[18:19]
	s_wait_loadcnt_dscnt 0x0
	s_wait_xcnt 0x0
	v_mul_f64_e32 v[18:19], v[8:9], v[18:19]
.LBB268_13:                             ;   in Loop: Header=BB268_4 Depth=1
	s_mov_b32 s6, exec_lo
	s_or_b32 exec_lo, exec_lo, s39
	s_delay_alu instid0(SALU_CYCLE_1)
	s_and_b32 vcc_lo, exec_lo, s7
	s_cbranch_vccnz .LBB268_16
	s_branch .LBB268_35
.LBB268_14:                             ;   in Loop: Header=BB268_4 Depth=1
	s_mov_b32 s6, 0
                                        ; implicit-def: $vgpr18_vgpr19
	s_cbranch_execnz .LBB268_16
	s_branch .LBB268_35
.LBB268_15:                             ;   in Loop: Header=BB268_4 Depth=1
	s_or_b32 exec_lo, exec_lo, s39
	s_delay_alu instid0(SALU_CYCLE_1)
	s_and_b32 vcc_lo, exec_lo, s7
	s_cbranch_vccz .LBB268_35
.LBB268_16:                             ;   in Loop: Header=BB268_4 Depth=1
	v_add_nc_u64_e32 v[18:19], v[16:17], v[2:3]
	v_mov_b64_e32 v[16:17], 0
	s_delay_alu instid0(VALU_DEP_2)
	v_lshl_add_u64 v[18:19], s[34:35], 3, v[18:19]
	s_wait_xcnt 0x0
	s_and_saveexec_b32 s7, s4
	s_cbranch_execnz .LBB268_25
; %bb.17:                               ;   in Loop: Header=BB268_4 Depth=1
	s_or_b32 exec_lo, exec_lo, s7
	s_and_saveexec_b32 s7, s5
	s_cbranch_execnz .LBB268_28
.LBB268_18:                             ;   in Loop: Header=BB268_4 Depth=1
	s_or_b32 exec_lo, exec_lo, s7
	s_and_saveexec_b32 s7, s1
.LBB268_19:                             ;   in Loop: Header=BB268_4 Depth=1
	ds_store_b64 v22, v[4:5]
.LBB268_20:                             ;   in Loop: Header=BB268_4 Depth=1
	s_or_b32 exec_lo, exec_lo, s7
	ds_bpermute_b32 v14, v25, v16
	ds_bpermute_b32 v15, v25, v17
	v_cmp_gt_u32_e32 vcc_lo, 24, v1
	s_wait_dscnt 0x0
	s_barrier_signal -1
	s_barrier_wait -1
	v_add_f64_e32 v[14:15], v[16:17], v[14:15]
	v_cndmask_b32_e64 v16, 0, 8, vcc_lo
	v_cmp_gt_u32_e32 vcc_lo, 28, v1
	s_delay_alu instid0(VALU_DEP_2)
	v_add_lshl_u32 v17, v16, v1, 2
	ds_bpermute_b32 v16, v17, v14
	ds_bpermute_b32 v17, v17, v15
	s_wait_dscnt 0x0
	v_add_f64_e32 v[14:15], v[14:15], v[16:17]
	v_cndmask_b32_e64 v16, 0, 4, vcc_lo
	v_cmp_gt_u32_e32 vcc_lo, 30, v1
	s_delay_alu instid0(VALU_DEP_2)
	v_add_lshl_u32 v18, v16, v1, 2
	ds_bpermute_b32 v16, v18, v14
	ds_bpermute_b32 v17, v18, v15
	s_wait_dscnt 0x0
	v_add_f64_e32 v[14:15], v[14:15], v[16:17]
	v_cndmask_b32_e64 v16, 0, 2, vcc_lo
	v_cmp_ne_u32_e32 vcc_lo, 31, v1
	s_delay_alu instid0(VALU_DEP_2)
	v_add_lshl_u32 v19, v16, v1, 2
	ds_bpermute_b32 v16, v19, v14
	ds_bpermute_b32 v17, v19, v15
	s_wait_dscnt 0x0
	v_add_f64_e32 v[14:15], v[14:15], v[16:17]
	v_add_co_ci_u32_e64 v16, null, 0, v1, vcc_lo
	s_delay_alu instid0(VALU_DEP_1)
	v_lshlrev_b32_e32 v20, 2, v16
	ds_bpermute_b32 v16, v20, v14
	ds_bpermute_b32 v17, v20, v15
	s_and_saveexec_b32 s7, s3
	s_cbranch_execz .LBB268_22
; %bb.21:                               ;   in Loop: Header=BB268_4 Depth=1
	s_wait_dscnt 0x0
	v_add_f64_e32 v[14:15], v[14:15], v[16:17]
	ds_store_b64 v23, v[14:15]
.LBB268_22:                             ;   in Loop: Header=BB268_4 Depth=1
	s_or_b32 exec_lo, exec_lo, s7
	v_mov_b64_e32 v[14:15], 0
	s_wait_dscnt 0x0
	s_barrier_signal -1
	s_barrier_wait -1
	s_and_saveexec_b32 s7, s2
	s_cbranch_execnz .LBB268_29
; %bb.23:                               ;   in Loop: Header=BB268_4 Depth=1
	s_or_b32 exec_lo, exec_lo, s7
	s_and_saveexec_b32 s7, s1
	s_cbranch_execnz .LBB268_30
.LBB268_24:                             ;   in Loop: Header=BB268_4 Depth=1
	s_or_b32 exec_lo, exec_lo, s7
                                        ; implicit-def: $vgpr18_vgpr19
	s_and_saveexec_b32 s7, s0
	s_cbranch_execnz .LBB268_31
	s_branch .LBB268_34
.LBB268_25:                             ;   in Loop: Header=BB268_4 Depth=1
	v_mov_b64_e32 v[16:17], 0
	v_mov_b64_e32 v[20:21], v[18:19]
	v_dual_mov_b32 v26, v24 :: v_dual_mov_b32 v27, v0
	s_mov_b32 s39, 0
.LBB268_26:                             ;   Parent Loop BB268_4 Depth=1
                                        ; =>  This Inner Loop Header: Depth=2
	v_readfirstlane_b32 s40, v14
	v_readfirstlane_b32 s41, v15
	s_delay_alu instid0(VALU_DEP_3)
	v_add_nc_u32_e32 v27, 0x100, v27
	flat_load_b64 v[28:29], v[20:21]
	flat_load_b64 v[30:31], v26, s[40:41] scale_offset
	s_wait_xcnt 0x1
	v_add_nc_u64_e32 v[20:21], 0x800, v[20:21]
	v_cmp_le_i32_e32 vcc_lo, s30, v27
	s_wait_xcnt 0x0
	v_add_nc_u32_e32 v26, s38, v26
	s_or_b32 s39, vcc_lo, s39
	s_wait_loadcnt_dscnt 0x0
	v_fmac_f64_e32 v[16:17], v[28:29], v[30:31]
	s_and_not1_b32 exec_lo, exec_lo, s39
	s_cbranch_execnz .LBB268_26
; %bb.27:                               ;   in Loop: Header=BB268_4 Depth=1
	s_or_b32 exec_lo, exec_lo, s39
	s_delay_alu instid0(SALU_CYCLE_1)
	s_or_b32 exec_lo, exec_lo, s7
	s_and_saveexec_b32 s7, s5
	s_cbranch_execz .LBB268_18
.LBB268_28:                             ;   in Loop: Header=BB268_4 Depth=1
	v_lshl_add_u64 v[18:19], s[30:31], 3, v[18:19]
	v_lshl_add_u64 v[14:15], v[6:7], 3, v[14:15]
	flat_load_b64 v[20:21], v[18:19]
	flat_load_b64 v[26:27], v[14:15]
	s_wait_loadcnt_dscnt 0x0
	v_fmac_f64_e32 v[16:17], v[20:21], v[26:27]
	s_wait_xcnt 0x0
	s_or_b32 exec_lo, exec_lo, s7
	s_and_saveexec_b32 s7, s1
	s_cbranch_execnz .LBB268_19
	s_branch .LBB268_20
.LBB268_29:                             ;   in Loop: Header=BB268_4 Depth=1
	ds_load_b64 v[14:15], v22
	s_or_b32 exec_lo, exec_lo, s7
	s_and_saveexec_b32 s7, s1
	s_cbranch_execz .LBB268_24
.LBB268_30:                             ;   in Loop: Header=BB268_4 Depth=1
	s_wait_dscnt 0x0
	ds_bpermute_b32 v16, v18, v14
	ds_bpermute_b32 v17, v18, v15
	s_wait_dscnt 0x0
	v_add_f64_e32 v[14:15], v[14:15], v[16:17]
	ds_bpermute_b32 v16, v19, v14
	ds_bpermute_b32 v17, v19, v15
	s_wait_dscnt 0x0
	v_add_f64_e32 v[14:15], v[14:15], v[16:17]
	;; [unrolled: 4-line block ×3, first 2 shown]
	s_or_b32 exec_lo, exec_lo, s7
                                        ; implicit-def: $vgpr18_vgpr19
	s_and_saveexec_b32 s7, s0
	s_cbranch_execz .LBB268_34
.LBB268_31:                             ;   in Loop: Header=BB268_4 Depth=1
	v_cmp_eq_f64_e32 vcc_lo, 0, v[8:9]
	s_wait_dscnt 0x0
	s_delay_alu instid0(VALU_DEP_2)
	v_mul_f64_e32 v[18:19], v[10:11], v[14:15]
	s_cbranch_vccnz .LBB268_33
; %bb.32:                               ;   in Loop: Header=BB268_4 Depth=1
	v_add_nc_u64_e32 v[10:11], s[36:37], v[12:13]
	flat_load_b64 v[10:11], v[10:11]
	s_wait_loadcnt_dscnt 0x0
	v_fmac_f64_e32 v[18:19], v[8:9], v[10:11]
.LBB268_33:                             ;   in Loop: Header=BB268_4 Depth=1
	s_or_b32 s6, s6, exec_lo
.LBB268_34:                             ;   in Loop: Header=BB268_4 Depth=1
	s_wait_xcnt 0x0
	s_or_b32 exec_lo, exec_lo, s7
.LBB268_35:                             ;   in Loop: Header=BB268_4 Depth=1
	s_wait_xcnt 0x0
	s_and_saveexec_b32 s7, s6
	s_cbranch_execz .LBB268_2
; %bb.36:                               ;   in Loop: Header=BB268_4 Depth=1
	v_add_nc_u64_e32 v[8:9], s[36:37], v[12:13]
	flat_store_b64 v[8:9], v[18:19]
	s_branch .LBB268_2
.LBB268_37:
	s_endpgm
	.section	.rodata,"a",@progbits
	.p2align	6, 0x0
	.amdhsa_kernel _ZL32rocblas_gemvt_warp_reduce_kernelILb0ELi256EiPKdS1_KPdEviiT3_lPKT2_lT1_lS7_lS8_lS4_lPT4_lS8_li
		.amdhsa_group_segment_fixed_size 256
		.amdhsa_private_segment_fixed_size 0
		.amdhsa_kernarg_size 140
		.amdhsa_user_sgpr_count 2
		.amdhsa_user_sgpr_dispatch_ptr 0
		.amdhsa_user_sgpr_queue_ptr 0
		.amdhsa_user_sgpr_kernarg_segment_ptr 1
		.amdhsa_user_sgpr_dispatch_id 0
		.amdhsa_user_sgpr_kernarg_preload_length 0
		.amdhsa_user_sgpr_kernarg_preload_offset 0
		.amdhsa_user_sgpr_private_segment_size 0
		.amdhsa_wavefront_size32 1
		.amdhsa_uses_dynamic_stack 0
		.amdhsa_enable_private_segment 0
		.amdhsa_system_sgpr_workgroup_id_x 1
		.amdhsa_system_sgpr_workgroup_id_y 0
		.amdhsa_system_sgpr_workgroup_id_z 1
		.amdhsa_system_sgpr_workgroup_info 0
		.amdhsa_system_vgpr_workitem_id 0
		.amdhsa_next_free_vgpr 32
		.amdhsa_next_free_sgpr 42
		.amdhsa_named_barrier_count 0
		.amdhsa_reserve_vcc 1
		.amdhsa_float_round_mode_32 0
		.amdhsa_float_round_mode_16_64 0
		.amdhsa_float_denorm_mode_32 3
		.amdhsa_float_denorm_mode_16_64 3
		.amdhsa_fp16_overflow 0
		.amdhsa_memory_ordered 1
		.amdhsa_forward_progress 1
		.amdhsa_inst_pref_size 12
		.amdhsa_round_robin_scheduling 0
		.amdhsa_exception_fp_ieee_invalid_op 0
		.amdhsa_exception_fp_denorm_src 0
		.amdhsa_exception_fp_ieee_div_zero 0
		.amdhsa_exception_fp_ieee_overflow 0
		.amdhsa_exception_fp_ieee_underflow 0
		.amdhsa_exception_fp_ieee_inexact 0
		.amdhsa_exception_int_div_zero 0
	.end_amdhsa_kernel
	.section	.text._ZL32rocblas_gemvt_warp_reduce_kernelILb0ELi256EiPKdS1_KPdEviiT3_lPKT2_lT1_lS7_lS8_lS4_lPT4_lS8_li,"axG",@progbits,_ZL32rocblas_gemvt_warp_reduce_kernelILb0ELi256EiPKdS1_KPdEviiT3_lPKT2_lT1_lS7_lS8_lS4_lPT4_lS8_li,comdat
.Lfunc_end268:
	.size	_ZL32rocblas_gemvt_warp_reduce_kernelILb0ELi256EiPKdS1_KPdEviiT3_lPKT2_lT1_lS7_lS8_lS4_lPT4_lS8_li, .Lfunc_end268-_ZL32rocblas_gemvt_warp_reduce_kernelILb0ELi256EiPKdS1_KPdEviiT3_lPKT2_lT1_lS7_lS8_lS4_lPT4_lS8_li
                                        ; -- End function
	.set _ZL32rocblas_gemvt_warp_reduce_kernelILb0ELi256EiPKdS1_KPdEviiT3_lPKT2_lT1_lS7_lS8_lS4_lPT4_lS8_li.num_vgpr, 32
	.set _ZL32rocblas_gemvt_warp_reduce_kernelILb0ELi256EiPKdS1_KPdEviiT3_lPKT2_lT1_lS7_lS8_lS4_lPT4_lS8_li.num_agpr, 0
	.set _ZL32rocblas_gemvt_warp_reduce_kernelILb0ELi256EiPKdS1_KPdEviiT3_lPKT2_lT1_lS7_lS8_lS4_lPT4_lS8_li.numbered_sgpr, 42
	.set _ZL32rocblas_gemvt_warp_reduce_kernelILb0ELi256EiPKdS1_KPdEviiT3_lPKT2_lT1_lS7_lS8_lS4_lPT4_lS8_li.num_named_barrier, 0
	.set _ZL32rocblas_gemvt_warp_reduce_kernelILb0ELi256EiPKdS1_KPdEviiT3_lPKT2_lT1_lS7_lS8_lS4_lPT4_lS8_li.private_seg_size, 0
	.set _ZL32rocblas_gemvt_warp_reduce_kernelILb0ELi256EiPKdS1_KPdEviiT3_lPKT2_lT1_lS7_lS8_lS4_lPT4_lS8_li.uses_vcc, 1
	.set _ZL32rocblas_gemvt_warp_reduce_kernelILb0ELi256EiPKdS1_KPdEviiT3_lPKT2_lT1_lS7_lS8_lS4_lPT4_lS8_li.uses_flat_scratch, 0
	.set _ZL32rocblas_gemvt_warp_reduce_kernelILb0ELi256EiPKdS1_KPdEviiT3_lPKT2_lT1_lS7_lS8_lS4_lPT4_lS8_li.has_dyn_sized_stack, 0
	.set _ZL32rocblas_gemvt_warp_reduce_kernelILb0ELi256EiPKdS1_KPdEviiT3_lPKT2_lT1_lS7_lS8_lS4_lPT4_lS8_li.has_recursion, 0
	.set _ZL32rocblas_gemvt_warp_reduce_kernelILb0ELi256EiPKdS1_KPdEviiT3_lPKT2_lT1_lS7_lS8_lS4_lPT4_lS8_li.has_indirect_call, 0
	.section	.AMDGPU.csdata,"",@progbits
; Kernel info:
; codeLenInByte = 1504
; TotalNumSgprs: 44
; NumVgprs: 32
; ScratchSize: 0
; MemoryBound: 1
; FloatMode: 240
; IeeeMode: 1
; LDSByteSize: 256 bytes/workgroup (compile time only)
; SGPRBlocks: 0
; VGPRBlocks: 1
; NumSGPRsForWavesPerEU: 44
; NumVGPRsForWavesPerEU: 32
; NamedBarCnt: 0
; Occupancy: 16
; WaveLimiterHint : 1
; COMPUTE_PGM_RSRC2:SCRATCH_EN: 0
; COMPUTE_PGM_RSRC2:USER_SGPR: 2
; COMPUTE_PGM_RSRC2:TRAP_HANDLER: 0
; COMPUTE_PGM_RSRC2:TGID_X_EN: 1
; COMPUTE_PGM_RSRC2:TGID_Y_EN: 0
; COMPUTE_PGM_RSRC2:TGID_Z_EN: 1
; COMPUTE_PGM_RSRC2:TIDIG_COMP_CNT: 0
	.section	.text._ZL32rocblas_gemvt_warp_reduce_kernelILb0ELi256ElPKdS1_KPdEviiT3_lPKT2_lT1_lS7_lS8_lS4_lPT4_lS8_li,"axG",@progbits,_ZL32rocblas_gemvt_warp_reduce_kernelILb0ELi256ElPKdS1_KPdEviiT3_lPKT2_lT1_lS7_lS8_lS4_lPT4_lS8_li,comdat
	.globl	_ZL32rocblas_gemvt_warp_reduce_kernelILb0ELi256ElPKdS1_KPdEviiT3_lPKT2_lT1_lS7_lS8_lS4_lPT4_lS8_li ; -- Begin function _ZL32rocblas_gemvt_warp_reduce_kernelILb0ELi256ElPKdS1_KPdEviiT3_lPKT2_lT1_lS7_lS8_lS4_lPT4_lS8_li
	.p2align	8
	.type	_ZL32rocblas_gemvt_warp_reduce_kernelILb0ELi256ElPKdS1_KPdEviiT3_lPKT2_lT1_lS7_lS8_lS4_lPT4_lS8_li,@function
_ZL32rocblas_gemvt_warp_reduce_kernelILb0ELi256ElPKdS1_KPdEviiT3_lPKT2_lT1_lS7_lS8_lS4_lPT4_lS8_li: ; @_ZL32rocblas_gemvt_warp_reduce_kernelILb0ELi256ElPKdS1_KPdEviiT3_lPKT2_lT1_lS7_lS8_lS4_lPT4_lS8_li
; %bb.0:
	s_load_b32 s33, s[0:1], 0x88
	s_bfe_u32 s2, ttmp6, 0x40014
	s_lshr_b32 s3, ttmp7, 16
	s_add_co_i32 s2, s2, 1
	s_bfe_u32 s5, ttmp6, 0x40008
	s_mul_i32 s4, s3, s2
	s_getreg_b32 s2, hwreg(HW_REG_IB_STS2, 6, 4)
	s_add_co_i32 s5, s5, s4
	s_cmp_eq_u32 s2, 0
	s_mov_b32 s29, 0
	s_cselect_b32 s28, s3, s5
	s_wait_kmcnt 0x0
	s_cmp_ge_u32 s28, s33
	s_cbranch_scc1 .LBB269_37
; %bb.1:
	s_clause 0x1
	s_load_b32 s31, s[0:1], 0x0
	s_load_b64 s[6:7], s[0:1], 0x48
	s_bfe_u32 s3, ttmp6, 0x4000c
	s_and_b32 s4, ttmp6, 15
	s_add_co_i32 s3, s3, 1
	s_clause 0x2
	s_load_b256 s[8:15], s[0:1], 0x8
	s_load_b128 s[24:27], s[0:1], 0x38
	s_load_b256 s[16:23], s[0:1], 0x58
	s_mul_i32 s3, ttmp9, s3
	v_mbcnt_lo_u32_b32 v27, -1, 0
	s_add_co_i32 s4, s4, s3
	s_cmp_eq_u32 s2, 0
	s_load_b64 s[34:35], s[0:1], 0x78
	s_cselect_b32 s2, ttmp9, s4
	s_load_b64 s[4:5], s[0:1], 0x28
	s_wait_xcnt 0x0
	v_cmp_eq_u32_e64 s0, 0, v0
	v_lshl_or_b32 v28, v27, 2, 64
	s_wait_kmcnt 0x0
	s_ashr_i32 s3, s31, 31
	v_cmp_gt_i32_e32 vcc_lo, s31, v0
	s_lshr_b32 s3, s3, 24
	s_lshl_b64 s[36:37], s[6:7], 11
	s_add_co_i32 s3, s31, s3
	s_lshl_b64 s[14:15], s[14:15], 3
	s_and_b32 s30, s3, 0xffffff00
	s_delay_alu instid0(SALU_CYCLE_1) | instskip(SKIP_3) | instid1(VALU_DEP_2)
	v_dual_mov_b32 v3, 0 :: v_dual_bitop2_b32 v8, s30, v0 bitop3:0x54
	s_ashr_i32 s3, s2, 31
	v_cndmask_b32_e32 v2, 0, v0, vcc_lo
	s_mul_u64 s[38:39], s[34:35], s[2:3]
	v_dual_mov_b32 v1, v3 :: v_dual_ashrrev_i32 v9, 31, v8
	s_mul_u64 s[34:35], s[4:5], s[2:3]
	v_cmp_gt_i32_e64 s2, s31, v8
	v_cmp_gt_i32_e64 s1, s30, v0
	s_delay_alu instid0(VALU_DEP_3) | instskip(SKIP_4) | instid1(VALU_DEP_3)
	v_mul_u64_e32 v[6:7], s[6:7], v[0:1]
	v_mul_u64_e32 v[4:5], s[6:7], v[8:9]
	v_dual_lshrrev_b32 v8, 2, v0 :: v_dual_bitop2_b32 v9, 31, v0 bitop3:0x40
	v_cmp_gt_u32_e64 s3, 32, v0
	v_cmp_gt_u32_e64 s5, 8, v0
	v_dual_lshlrev_b32 v2, 3, v2 :: v_dual_lshlrev_b32 v1, 3, v9
	v_cmp_eq_u32_e64 s4, 0, v9
	v_and_b32_e32 v26, 56, v8
	v_mov_b64_e32 v[8:9], 0
	s_ashr_i32 s31, s30, 31
	s_lshl_b64 s[26:27], s[26:27], 3
	s_lshl_b64 s[22:23], s[22:23], 3
	;; [unrolled: 1-line block ×3, first 2 shown]
	v_lshlrev_b64_e32 v[6:7], 3, v[6:7]
	s_branch .LBB269_4
.LBB269_2:                              ;   in Loop: Header=BB269_4 Depth=1
	s_wait_xcnt 0x0
	s_or_b32 exec_lo, exec_lo, s7
.LBB269_3:                              ;   in Loop: Header=BB269_4 Depth=1
	s_add_co_i32 s28, s28, 0x10000
	s_delay_alu instid0(SALU_CYCLE_1)
	s_cmp_lt_u32 s28, s33
	s_cbranch_scc0 .LBB269_37
.LBB269_4:                              ; =>This Loop Header: Depth=1
                                        ;     Child Loop BB269_26 Depth 2
	s_mul_u64 s[6:7], s[10:11], s[28:29]
	s_wait_xcnt 0x0
	s_mul_u64 s[40:41], s[18:19], s[28:29]
	s_lshl_b64 s[6:7], s[6:7], 3
	s_lshl_b64 s[40:41], s[40:41], 3
	s_add_nc_u64 s[6:7], s[8:9], s[6:7]
	s_add_nc_u64 s[40:41], s[16:17], s[40:41]
	s_clause 0x1
	global_load_b64 v[12:13], v3, s[6:7]
	global_load_b64 v[10:11], v3, s[40:41]
	s_wait_loadcnt 0x1
	s_wait_xcnt 0x1
	v_cmp_eq_f64_e64 s6, 0, v[12:13]
	s_wait_loadcnt 0x0
	v_cmp_eq_f64_e32 vcc_lo, 1.0, v[10:11]
	s_and_b32 s7, s6, vcc_lo
	s_delay_alu instid0(SALU_CYCLE_1)
	s_and_b32 vcc_lo, exec_lo, s7
	s_cbranch_vccnz .LBB269_3
; %bb.5:                                ;   in Loop: Header=BB269_4 Depth=1
	v_cmp_neq_f64_e64 s7, 0, v[12:13]
	s_wait_dscnt 0x0
	v_mov_b64_e32 v[16:17], 0
	v_mov_b64_e32 v[18:19], 0
	s_and_b32 vcc_lo, exec_lo, s6
	s_cbranch_vccnz .LBB269_7
; %bb.6:                                ;   in Loop: Header=BB269_4 Depth=1
	s_wait_xcnt 0x0
	s_lshl_b64 s[40:41], s[28:29], 3
	s_delay_alu instid0(SALU_CYCLE_1)
	s_add_nc_u64 s[40:41], s[12:13], s[40:41]
	global_load_b64 v[14:15], v3, s[40:41]
	s_wait_loadcnt 0x0
	v_add_nc_u64_e32 v[18:19], s[14:15], v[14:15]
.LBB269_7:                              ;   in Loop: Header=BB269_4 Depth=1
	s_and_not1_b32 vcc_lo, exec_lo, s7
	s_cbranch_vccnz .LBB269_9
; %bb.8:                                ;   in Loop: Header=BB269_4 Depth=1
	s_wait_xcnt 0x0
	s_lshl_b64 s[40:41], s[28:29], 3
	s_delay_alu instid0(SALU_CYCLE_1)
	s_add_nc_u64 s[40:41], s[24:25], s[40:41]
	global_load_b64 v[14:15], v3, s[40:41]
	s_wait_loadcnt 0x0
	v_add_nc_u64_e32 v[16:17], s[26:27], v[14:15]
.LBB269_9:                              ;   in Loop: Header=BB269_4 Depth=1
	s_wait_xcnt 0x0
	s_lshl_b64 s[40:41], s[28:29], 3
	s_and_not1_b32 vcc_lo, exec_lo, s6
	s_add_nc_u64 s[40:41], s[20:21], s[40:41]
	global_load_b64 v[14:15], v3, s[40:41]
	s_wait_loadcnt 0x0
	v_add_nc_u64_e32 v[14:15], s[22:23], v[14:15]
	s_cbranch_vccnz .LBB269_14
; %bb.10:                               ;   in Loop: Header=BB269_4 Depth=1
	s_mov_b32 s7, 0
	s_mov_b32 s6, 0
                                        ; implicit-def: $vgpr20_vgpr21
	s_wait_xcnt 0x0
	s_and_saveexec_b32 s40, s0
	s_cbranch_execz .LBB269_15
; %bb.11:                               ;   in Loop: Header=BB269_4 Depth=1
	v_cmp_eq_f64_e32 vcc_lo, 0, v[10:11]
	v_mov_b64_e32 v[20:21], 0
	s_cbranch_vccnz .LBB269_13
; %bb.12:                               ;   in Loop: Header=BB269_4 Depth=1
	v_add_nc_u64_e32 v[20:21], s[38:39], v[14:15]
	flat_load_b64 v[20:21], v[20:21]
	s_wait_loadcnt_dscnt 0x0
	s_wait_xcnt 0x0
	v_mul_f64_e32 v[20:21], v[10:11], v[20:21]
.LBB269_13:                             ;   in Loop: Header=BB269_4 Depth=1
	s_mov_b32 s6, exec_lo
	s_or_b32 exec_lo, exec_lo, s40
	s_delay_alu instid0(SALU_CYCLE_1)
	s_and_b32 vcc_lo, exec_lo, s7
	s_cbranch_vccnz .LBB269_16
	s_branch .LBB269_35
.LBB269_14:                             ;   in Loop: Header=BB269_4 Depth=1
	s_mov_b32 s6, 0
                                        ; implicit-def: $vgpr20_vgpr21
	s_cbranch_execnz .LBB269_16
	s_branch .LBB269_35
.LBB269_15:                             ;   in Loop: Header=BB269_4 Depth=1
	s_or_b32 exec_lo, exec_lo, s40
	s_delay_alu instid0(SALU_CYCLE_1)
	s_and_b32 vcc_lo, exec_lo, s7
	s_cbranch_vccz .LBB269_35
.LBB269_16:                             ;   in Loop: Header=BB269_4 Depth=1
	v_add_nc_u64_e32 v[20:21], v[18:19], v[2:3]
	v_mov_b64_e32 v[18:19], 0
	s_delay_alu instid0(VALU_DEP_2)
	v_lshl_add_u64 v[20:21], s[34:35], 3, v[20:21]
	s_wait_xcnt 0x0
	s_and_saveexec_b32 s7, s1
	s_cbranch_execnz .LBB269_25
; %bb.17:                               ;   in Loop: Header=BB269_4 Depth=1
	s_or_b32 exec_lo, exec_lo, s7
	s_and_saveexec_b32 s7, s2
	s_cbranch_execnz .LBB269_28
.LBB269_18:                             ;   in Loop: Header=BB269_4 Depth=1
	s_or_b32 exec_lo, exec_lo, s7
	s_and_saveexec_b32 s7, s3
.LBB269_19:                             ;   in Loop: Header=BB269_4 Depth=1
	ds_store_b64 v1, v[8:9]
.LBB269_20:                             ;   in Loop: Header=BB269_4 Depth=1
	s_or_b32 exec_lo, exec_lo, s7
	ds_bpermute_b32 v16, v28, v18
	ds_bpermute_b32 v17, v28, v19
	v_cmp_gt_u32_e32 vcc_lo, 24, v27
	s_wait_dscnt 0x0
	s_barrier_signal -1
	s_barrier_wait -1
	v_add_f64_e32 v[16:17], v[18:19], v[16:17]
	v_cndmask_b32_e64 v18, 0, 8, vcc_lo
	v_cmp_gt_u32_e32 vcc_lo, 28, v27
	s_delay_alu instid0(VALU_DEP_2)
	v_add_lshl_u32 v19, v18, v27, 2
	ds_bpermute_b32 v18, v19, v16
	ds_bpermute_b32 v19, v19, v17
	s_wait_dscnt 0x0
	v_add_f64_e32 v[16:17], v[16:17], v[18:19]
	v_cndmask_b32_e64 v18, 0, 4, vcc_lo
	v_cmp_gt_u32_e32 vcc_lo, 30, v27
	s_delay_alu instid0(VALU_DEP_2)
	v_add_lshl_u32 v20, v18, v27, 2
	ds_bpermute_b32 v18, v20, v16
	ds_bpermute_b32 v19, v20, v17
	s_wait_dscnt 0x0
	v_add_f64_e32 v[16:17], v[16:17], v[18:19]
	v_cndmask_b32_e64 v18, 0, 2, vcc_lo
	v_cmp_ne_u32_e32 vcc_lo, 31, v27
	s_delay_alu instid0(VALU_DEP_2)
	v_add_lshl_u32 v21, v18, v27, 2
	ds_bpermute_b32 v18, v21, v16
	ds_bpermute_b32 v19, v21, v17
	s_wait_dscnt 0x0
	v_add_f64_e32 v[16:17], v[16:17], v[18:19]
	v_add_co_ci_u32_e64 v18, null, 0, v27, vcc_lo
	s_delay_alu instid0(VALU_DEP_1)
	v_lshlrev_b32_e32 v22, 2, v18
	ds_bpermute_b32 v18, v22, v16
	ds_bpermute_b32 v19, v22, v17
	s_and_saveexec_b32 s7, s4
	s_cbranch_execz .LBB269_22
; %bb.21:                               ;   in Loop: Header=BB269_4 Depth=1
	s_wait_dscnt 0x0
	v_add_f64_e32 v[16:17], v[16:17], v[18:19]
	ds_store_b64 v26, v[16:17]
.LBB269_22:                             ;   in Loop: Header=BB269_4 Depth=1
	s_or_b32 exec_lo, exec_lo, s7
	v_mov_b64_e32 v[16:17], 0
	s_wait_dscnt 0x0
	s_barrier_signal -1
	s_barrier_wait -1
	s_and_saveexec_b32 s7, s5
	s_cbranch_execnz .LBB269_29
; %bb.23:                               ;   in Loop: Header=BB269_4 Depth=1
	s_or_b32 exec_lo, exec_lo, s7
	s_and_saveexec_b32 s7, s3
	s_cbranch_execnz .LBB269_30
.LBB269_24:                             ;   in Loop: Header=BB269_4 Depth=1
	s_or_b32 exec_lo, exec_lo, s7
                                        ; implicit-def: $vgpr20_vgpr21
	s_and_saveexec_b32 s7, s0
	s_cbranch_execnz .LBB269_31
	s_branch .LBB269_34
.LBB269_25:                             ;   in Loop: Header=BB269_4 Depth=1
	v_add_nc_u64_e32 v[22:23], v[16:17], v[6:7]
	v_mov_b64_e32 v[18:19], 0
	v_mov_b64_e32 v[24:25], v[20:21]
	v_mov_b32_e32 v29, v0
	s_mov_b32 s40, 0
.LBB269_26:                             ;   Parent Loop BB269_4 Depth=1
                                        ; =>  This Inner Loop Header: Depth=2
	flat_load_b64 v[30:31], v[24:25]
	flat_load_b64 v[32:33], v[22:23]
	v_add_nc_u32_e32 v29, 0x100, v29
	s_wait_xcnt 0x1
	v_add_nc_u64_e32 v[24:25], 0x800, v[24:25]
	s_wait_xcnt 0x0
	v_add_nc_u64_e32 v[22:23], s[36:37], v[22:23]
	v_cmp_le_i32_e32 vcc_lo, s30, v29
	s_or_b32 s40, vcc_lo, s40
	s_wait_loadcnt_dscnt 0x0
	v_fmac_f64_e32 v[18:19], v[30:31], v[32:33]
	s_and_not1_b32 exec_lo, exec_lo, s40
	s_cbranch_execnz .LBB269_26
; %bb.27:                               ;   in Loop: Header=BB269_4 Depth=1
	s_or_b32 exec_lo, exec_lo, s40
	s_delay_alu instid0(SALU_CYCLE_1)
	s_or_b32 exec_lo, exec_lo, s7
	s_and_saveexec_b32 s7, s2
	s_cbranch_execz .LBB269_18
.LBB269_28:                             ;   in Loop: Header=BB269_4 Depth=1
	v_lshl_add_u64 v[20:21], s[30:31], 3, v[20:21]
	v_lshl_add_u64 v[16:17], v[4:5], 3, v[16:17]
	flat_load_b64 v[22:23], v[20:21]
	flat_load_b64 v[24:25], v[16:17]
	s_wait_loadcnt_dscnt 0x0
	v_fmac_f64_e32 v[18:19], v[22:23], v[24:25]
	s_wait_xcnt 0x0
	s_or_b32 exec_lo, exec_lo, s7
	s_and_saveexec_b32 s7, s3
	s_cbranch_execnz .LBB269_19
	s_branch .LBB269_20
.LBB269_29:                             ;   in Loop: Header=BB269_4 Depth=1
	ds_load_b64 v[16:17], v1
	s_or_b32 exec_lo, exec_lo, s7
	s_and_saveexec_b32 s7, s3
	s_cbranch_execz .LBB269_24
.LBB269_30:                             ;   in Loop: Header=BB269_4 Depth=1
	s_wait_dscnt 0x0
	ds_bpermute_b32 v18, v20, v16
	ds_bpermute_b32 v19, v20, v17
	s_wait_dscnt 0x0
	v_add_f64_e32 v[16:17], v[16:17], v[18:19]
	ds_bpermute_b32 v18, v21, v16
	ds_bpermute_b32 v19, v21, v17
	s_wait_dscnt 0x0
	v_add_f64_e32 v[16:17], v[16:17], v[18:19]
	;; [unrolled: 4-line block ×3, first 2 shown]
	s_or_b32 exec_lo, exec_lo, s7
                                        ; implicit-def: $vgpr20_vgpr21
	s_and_saveexec_b32 s7, s0
	s_cbranch_execz .LBB269_34
.LBB269_31:                             ;   in Loop: Header=BB269_4 Depth=1
	v_cmp_eq_f64_e32 vcc_lo, 0, v[10:11]
	s_wait_dscnt 0x0
	s_delay_alu instid0(VALU_DEP_2)
	v_mul_f64_e32 v[20:21], v[12:13], v[16:17]
	s_cbranch_vccnz .LBB269_33
; %bb.32:                               ;   in Loop: Header=BB269_4 Depth=1
	v_add_nc_u64_e32 v[12:13], s[38:39], v[14:15]
	flat_load_b64 v[12:13], v[12:13]
	s_wait_loadcnt_dscnt 0x0
	v_fmac_f64_e32 v[20:21], v[10:11], v[12:13]
.LBB269_33:                             ;   in Loop: Header=BB269_4 Depth=1
	s_or_b32 s6, s6, exec_lo
.LBB269_34:                             ;   in Loop: Header=BB269_4 Depth=1
	s_wait_xcnt 0x0
	s_or_b32 exec_lo, exec_lo, s7
.LBB269_35:                             ;   in Loop: Header=BB269_4 Depth=1
	s_wait_xcnt 0x0
	s_and_saveexec_b32 s7, s6
	s_cbranch_execz .LBB269_2
; %bb.36:                               ;   in Loop: Header=BB269_4 Depth=1
	v_add_nc_u64_e32 v[10:11], s[38:39], v[14:15]
	flat_store_b64 v[10:11], v[20:21]
	s_branch .LBB269_2
.LBB269_37:
	s_endpgm
	.section	.rodata,"a",@progbits
	.p2align	6, 0x0
	.amdhsa_kernel _ZL32rocblas_gemvt_warp_reduce_kernelILb0ELi256ElPKdS1_KPdEviiT3_lPKT2_lT1_lS7_lS8_lS4_lPT4_lS8_li
		.amdhsa_group_segment_fixed_size 256
		.amdhsa_private_segment_fixed_size 0
		.amdhsa_kernarg_size 140
		.amdhsa_user_sgpr_count 2
		.amdhsa_user_sgpr_dispatch_ptr 0
		.amdhsa_user_sgpr_queue_ptr 0
		.amdhsa_user_sgpr_kernarg_segment_ptr 1
		.amdhsa_user_sgpr_dispatch_id 0
		.amdhsa_user_sgpr_kernarg_preload_length 0
		.amdhsa_user_sgpr_kernarg_preload_offset 0
		.amdhsa_user_sgpr_private_segment_size 0
		.amdhsa_wavefront_size32 1
		.amdhsa_uses_dynamic_stack 0
		.amdhsa_enable_private_segment 0
		.amdhsa_system_sgpr_workgroup_id_x 1
		.amdhsa_system_sgpr_workgroup_id_y 0
		.amdhsa_system_sgpr_workgroup_id_z 1
		.amdhsa_system_sgpr_workgroup_info 0
		.amdhsa_system_vgpr_workitem_id 0
		.amdhsa_next_free_vgpr 34
		.amdhsa_next_free_sgpr 42
		.amdhsa_named_barrier_count 0
		.amdhsa_reserve_vcc 1
		.amdhsa_float_round_mode_32 0
		.amdhsa_float_round_mode_16_64 0
		.amdhsa_float_denorm_mode_32 3
		.amdhsa_float_denorm_mode_16_64 3
		.amdhsa_fp16_overflow 0
		.amdhsa_memory_ordered 1
		.amdhsa_forward_progress 1
		.amdhsa_inst_pref_size 12
		.amdhsa_round_robin_scheduling 0
		.amdhsa_exception_fp_ieee_invalid_op 0
		.amdhsa_exception_fp_denorm_src 0
		.amdhsa_exception_fp_ieee_div_zero 0
		.amdhsa_exception_fp_ieee_overflow 0
		.amdhsa_exception_fp_ieee_underflow 0
		.amdhsa_exception_fp_ieee_inexact 0
		.amdhsa_exception_int_div_zero 0
	.end_amdhsa_kernel
	.section	.text._ZL32rocblas_gemvt_warp_reduce_kernelILb0ELi256ElPKdS1_KPdEviiT3_lPKT2_lT1_lS7_lS8_lS4_lPT4_lS8_li,"axG",@progbits,_ZL32rocblas_gemvt_warp_reduce_kernelILb0ELi256ElPKdS1_KPdEviiT3_lPKT2_lT1_lS7_lS8_lS4_lPT4_lS8_li,comdat
.Lfunc_end269:
	.size	_ZL32rocblas_gemvt_warp_reduce_kernelILb0ELi256ElPKdS1_KPdEviiT3_lPKT2_lT1_lS7_lS8_lS4_lPT4_lS8_li, .Lfunc_end269-_ZL32rocblas_gemvt_warp_reduce_kernelILb0ELi256ElPKdS1_KPdEviiT3_lPKT2_lT1_lS7_lS8_lS4_lPT4_lS8_li
                                        ; -- End function
	.set _ZL32rocblas_gemvt_warp_reduce_kernelILb0ELi256ElPKdS1_KPdEviiT3_lPKT2_lT1_lS7_lS8_lS4_lPT4_lS8_li.num_vgpr, 34
	.set _ZL32rocblas_gemvt_warp_reduce_kernelILb0ELi256ElPKdS1_KPdEviiT3_lPKT2_lT1_lS7_lS8_lS4_lPT4_lS8_li.num_agpr, 0
	.set _ZL32rocblas_gemvt_warp_reduce_kernelILb0ELi256ElPKdS1_KPdEviiT3_lPKT2_lT1_lS7_lS8_lS4_lPT4_lS8_li.numbered_sgpr, 42
	.set _ZL32rocblas_gemvt_warp_reduce_kernelILb0ELi256ElPKdS1_KPdEviiT3_lPKT2_lT1_lS7_lS8_lS4_lPT4_lS8_li.num_named_barrier, 0
	.set _ZL32rocblas_gemvt_warp_reduce_kernelILb0ELi256ElPKdS1_KPdEviiT3_lPKT2_lT1_lS7_lS8_lS4_lPT4_lS8_li.private_seg_size, 0
	.set _ZL32rocblas_gemvt_warp_reduce_kernelILb0ELi256ElPKdS1_KPdEviiT3_lPKT2_lT1_lS7_lS8_lS4_lPT4_lS8_li.uses_vcc, 1
	.set _ZL32rocblas_gemvt_warp_reduce_kernelILb0ELi256ElPKdS1_KPdEviiT3_lPKT2_lT1_lS7_lS8_lS4_lPT4_lS8_li.uses_flat_scratch, 0
	.set _ZL32rocblas_gemvt_warp_reduce_kernelILb0ELi256ElPKdS1_KPdEviiT3_lPKT2_lT1_lS7_lS8_lS4_lPT4_lS8_li.has_dyn_sized_stack, 0
	.set _ZL32rocblas_gemvt_warp_reduce_kernelILb0ELi256ElPKdS1_KPdEviiT3_lPKT2_lT1_lS7_lS8_lS4_lPT4_lS8_li.has_recursion, 0
	.set _ZL32rocblas_gemvt_warp_reduce_kernelILb0ELi256ElPKdS1_KPdEviiT3_lPKT2_lT1_lS7_lS8_lS4_lPT4_lS8_li.has_indirect_call, 0
	.section	.AMDGPU.csdata,"",@progbits
; Kernel info:
; codeLenInByte = 1504
; TotalNumSgprs: 44
; NumVgprs: 34
; ScratchSize: 0
; MemoryBound: 1
; FloatMode: 240
; IeeeMode: 1
; LDSByteSize: 256 bytes/workgroup (compile time only)
; SGPRBlocks: 0
; VGPRBlocks: 2
; NumSGPRsForWavesPerEU: 44
; NumVGPRsForWavesPerEU: 34
; NamedBarCnt: 0
; Occupancy: 16
; WaveLimiterHint : 1
; COMPUTE_PGM_RSRC2:SCRATCH_EN: 0
; COMPUTE_PGM_RSRC2:USER_SGPR: 2
; COMPUTE_PGM_RSRC2:TRAP_HANDLER: 0
; COMPUTE_PGM_RSRC2:TGID_X_EN: 1
; COMPUTE_PGM_RSRC2:TGID_Y_EN: 0
; COMPUTE_PGM_RSRC2:TGID_Z_EN: 1
; COMPUTE_PGM_RSRC2:TIDIG_COMP_CNT: 0
	.section	.text._ZL32rocblas_gemvt_warp_reduce_kernelILb0ELi256EiPKddKPdEviiT3_lPKT2_lT1_lS7_lS8_lS4_lPT4_lS8_li,"axG",@progbits,_ZL32rocblas_gemvt_warp_reduce_kernelILb0ELi256EiPKddKPdEviiT3_lPKT2_lT1_lS7_lS8_lS4_lPT4_lS8_li,comdat
	.globl	_ZL32rocblas_gemvt_warp_reduce_kernelILb0ELi256EiPKddKPdEviiT3_lPKT2_lT1_lS7_lS8_lS4_lPT4_lS8_li ; -- Begin function _ZL32rocblas_gemvt_warp_reduce_kernelILb0ELi256EiPKddKPdEviiT3_lPKT2_lT1_lS7_lS8_lS4_lPT4_lS8_li
	.p2align	8
	.type	_ZL32rocblas_gemvt_warp_reduce_kernelILb0ELi256EiPKddKPdEviiT3_lPKT2_lT1_lS7_lS8_lS4_lPT4_lS8_li,@function
_ZL32rocblas_gemvt_warp_reduce_kernelILb0ELi256EiPKddKPdEviiT3_lPKT2_lT1_lS7_lS8_lS4_lPT4_lS8_li: ; @_ZL32rocblas_gemvt_warp_reduce_kernelILb0ELi256EiPKddKPdEviiT3_lPKT2_lT1_lS7_lS8_lS4_lPT4_lS8_li
; %bb.0:
	s_load_b32 s30, s[0:1], 0x88
	s_bfe_u32 s2, ttmp6, 0x40014
	s_lshr_b32 s4, ttmp7, 16
	s_add_co_i32 s2, s2, 1
	s_bfe_u32 s5, ttmp6, 0x40008
	s_mul_i32 s2, s4, s2
	s_getreg_b32 s3, hwreg(HW_REG_IB_STS2, 6, 4)
	s_add_co_i32 s5, s5, s2
	s_cmp_eq_u32 s3, 0
	s_mov_b32 s7, 0
	s_cselect_b32 s6, s4, s5
	s_wait_kmcnt 0x0
	s_cmp_ge_u32 s6, s30
	s_cbranch_scc1 .LBB270_40
; %bb.1:
	s_clause 0x8
	s_load_b64 s[20:21], s[0:1], 0x58
	s_load_b64 s[22:23], s[0:1], 0x8
	s_load_b128 s[8:11], s[0:1], 0x68
	s_load_b32 s36, s[0:1], 0x0
	s_load_b128 s[12:15], s[0:1], 0x18
	s_load_b32 s25, s[0:1], 0x28
	;; [unrolled: 2-line block ×3, first 2 shown]
	s_load_b32 s27, s[0:1], 0x78
	s_bfe_u32 s28, ttmp6, 0x4000c
	s_and_b32 s24, ttmp6, 15
	s_add_co_i32 s28, s28, 1
	v_dual_mov_b32 v3, 0 :: v_dual_bitop2_b32 v2, 31, v0 bitop3:0x40
	s_mul_i32 s28, ttmp9, s28
	v_lshrrev_b32_e32 v6, 2, v0
	s_add_co_i32 s24, s24, s28
	v_mbcnt_lo_u32_b32 v1, -1, 0
	v_lshlrev_b32_e32 v19, 3, v2
	v_mov_b64_e32 v[4:5], 0
	s_wait_xcnt 0x0
	v_cmp_eq_u32_e64 s0, 0, v0
	v_cmp_gt_u32_e64 s1, 32, v0
	v_cmp_gt_u32_e64 s2, 8, v0
	s_wait_kmcnt 0x0
	v_cmp_gt_i32_e32 vcc_lo, s36, v0
	v_and_b32_e32 v20, 56, v6
	v_cmp_neq_f64_e64 s4, s[20:21], 1.0
	v_cmp_neq_f64_e64 s5, s[22:23], 0
	v_cmp_eq_f64_e64 s33, s[22:23], 0
	v_cmp_neq_f64_e64 s34, s[20:21], 0
	v_mul_lo_u32 v21, v0, s26
	v_lshl_or_b32 v22, v1, 2, 64
	s_or_b32 s31, s5, s4
	s_cmp_eq_u32 s3, 0
	v_cndmask_b32_e64 v18, 0, 1, s5
	s_cselect_b32 s4, ttmp9, s24
	s_ashr_i32 s5, s36, 31
	v_cmp_eq_u32_e64 s3, 0, v2
	s_lshr_b32 s5, s5, 24
	v_cndmask_b32_e32 v2, 0, v0, vcc_lo
	s_add_co_i32 s5, s36, s5
	s_mul_i32 s28, s27, s4
	s_and_b32 s24, s5, 0xffffff00
	s_lshl_b32 s35, s26, 8
	v_dual_lshlrev_b32 v2, 3, v2 :: v_dual_bitop2_b32 v7, s24, v0 bitop3:0x54
	s_ashr_i32 s29, s28, 31
	s_lshl_b64 s[14:15], s[14:15], 3
	s_lshl_b64 s[18:19], s[18:19], 3
	s_delay_alu instid0(VALU_DEP_1)
	v_mul_lo_u32 v6, s26, v7
	s_mul_i32 s26, s25, s4
	v_cmp_gt_i32_e64 s4, s24, v0
	v_cmp_gt_i32_e64 s5, s36, v7
	s_ashr_i32 s27, s26, 31
	s_ashr_i32 s25, s24, 31
	s_lshl_b64 s[10:11], s[10:11], 3
	s_lshl_b64 s[28:29], s[28:29], 3
	v_ashrrev_i32_e32 v7, 31, v6
	s_branch .LBB270_4
.LBB270_2:                              ;   in Loop: Header=BB270_4 Depth=1
	s_wait_xcnt 0x0
	s_or_b32 exec_lo, exec_lo, s37
.LBB270_3:                              ;   in Loop: Header=BB270_4 Depth=1
	s_add_co_i32 s6, s6, 0x10000
	s_delay_alu instid0(SALU_CYCLE_1)
	s_cmp_lt_u32 s6, s30
	s_cbranch_scc0 .LBB270_40
.LBB270_4:                              ; =>This Loop Header: Depth=1
                                        ;     Child Loop BB270_29 Depth 2
	s_and_not1_b32 vcc_lo, exec_lo, s31
	s_cbranch_vccnz .LBB270_3
; %bb.5:                                ;   in Loop: Header=BB270_4 Depth=1
	s_and_not1_b32 vcc_lo, exec_lo, s33
	s_cbranch_vccnz .LBB270_7
; %bb.6:                                ;   in Loop: Header=BB270_4 Depth=1
	s_wait_dscnt 0x0
	v_mov_b64_e32 v[10:11], 0
	v_mov_b64_e32 v[12:13], 0
	s_cbranch_execz .LBB270_8
	s_branch .LBB270_9
.LBB270_7:                              ;   in Loop: Header=BB270_4 Depth=1
	s_wait_dscnt 0x0
	v_mov_b64_e32 v[10:11], 0
	v_mov_b64_e32 v[12:13], 0
.LBB270_8:                              ;   in Loop: Header=BB270_4 Depth=1
	s_lshl_b64 s[36:37], s[6:7], 3
	s_delay_alu instid0(SALU_CYCLE_1)
	s_add_nc_u64 s[36:37], s[12:13], s[36:37]
	global_load_b64 v[8:9], v3, s[36:37]
	s_wait_loadcnt 0x0
	v_add_nc_u64_e32 v[12:13], s[14:15], v[8:9]
.LBB270_9:                              ;   in Loop: Header=BB270_4 Depth=1
	v_cmp_ne_u32_e32 vcc_lo, 1, v18
	s_cbranch_vccnz .LBB270_11
; %bb.10:                               ;   in Loop: Header=BB270_4 Depth=1
	s_wait_xcnt 0x0
	s_lshl_b64 s[36:37], s[6:7], 3
	s_delay_alu instid0(SALU_CYCLE_1)
	s_add_nc_u64 s[36:37], s[16:17], s[36:37]
	global_load_b64 v[8:9], v3, s[36:37]
	s_wait_loadcnt 0x0
	v_add_nc_u64_e32 v[10:11], s[18:19], v[8:9]
.LBB270_11:                             ;   in Loop: Header=BB270_4 Depth=1
	s_wait_xcnt 0x0
	s_lshl_b64 s[36:37], s[6:7], 3
	s_and_not1_b32 vcc_lo, exec_lo, s33
	s_add_nc_u64 s[36:37], s[8:9], s[36:37]
	global_load_b64 v[8:9], v3, s[36:37]
	s_wait_loadcnt 0x0
	v_add_nc_u64_e32 v[8:9], s[10:11], v[8:9]
	s_cbranch_vccnz .LBB270_15
; %bb.12:                               ;   in Loop: Header=BB270_4 Depth=1
	s_wait_xcnt 0x0
	s_mov_b32 s37, 0
	s_mov_b32 s36, 0
                                        ; implicit-def: $vgpr14_vgpr15
	s_and_saveexec_b32 s38, s0
	s_cbranch_execz .LBB270_16
; %bb.13:                               ;   in Loop: Header=BB270_4 Depth=1
	s_and_not1_b32 vcc_lo, exec_lo, s34
	s_cbranch_vccnz .LBB270_17
; %bb.14:                               ;   in Loop: Header=BB270_4 Depth=1
	v_add_nc_u64_e32 v[14:15], s[28:29], v[8:9]
	flat_load_b64 v[14:15], v[14:15]
	s_wait_loadcnt_dscnt 0x0
	s_wait_xcnt 0x0
	v_mul_f64_e32 v[14:15], s[20:21], v[14:15]
	s_branch .LBB270_18
.LBB270_15:                             ;   in Loop: Header=BB270_4 Depth=1
	s_wait_xcnt 0x0
	s_mov_b32 s36, 0
                                        ; implicit-def: $vgpr14_vgpr15
	s_cbranch_execnz .LBB270_19
	s_branch .LBB270_38
.LBB270_16:                             ;   in Loop: Header=BB270_4 Depth=1
	s_or_b32 exec_lo, exec_lo, s38
	s_delay_alu instid0(SALU_CYCLE_1)
	s_and_b32 vcc_lo, exec_lo, s37
	s_cbranch_vccnz .LBB270_19
	s_branch .LBB270_38
.LBB270_17:                             ;   in Loop: Header=BB270_4 Depth=1
	v_mov_b64_e32 v[14:15], 0
.LBB270_18:                             ;   in Loop: Header=BB270_4 Depth=1
	s_mov_b32 s36, exec_lo
	s_or_b32 exec_lo, exec_lo, s38
	s_delay_alu instid0(SALU_CYCLE_1)
	s_and_b32 vcc_lo, exec_lo, s37
	s_cbranch_vccz .LBB270_38
.LBB270_19:                             ;   in Loop: Header=BB270_4 Depth=1
	v_add_nc_u64_e32 v[14:15], v[12:13], v[2:3]
	v_mov_b64_e32 v[12:13], 0
	s_delay_alu instid0(VALU_DEP_2)
	v_lshl_add_u64 v[14:15], s[26:27], 3, v[14:15]
	s_and_saveexec_b32 s37, s4
	s_cbranch_execnz .LBB270_28
; %bb.20:                               ;   in Loop: Header=BB270_4 Depth=1
	s_or_b32 exec_lo, exec_lo, s37
	s_and_saveexec_b32 s37, s5
	s_cbranch_execnz .LBB270_31
.LBB270_21:                             ;   in Loop: Header=BB270_4 Depth=1
	s_or_b32 exec_lo, exec_lo, s37
	s_and_saveexec_b32 s37, s1
.LBB270_22:                             ;   in Loop: Header=BB270_4 Depth=1
	ds_store_b64 v19, v[4:5]
.LBB270_23:                             ;   in Loop: Header=BB270_4 Depth=1
	s_or_b32 exec_lo, exec_lo, s37
	ds_bpermute_b32 v10, v22, v12
	ds_bpermute_b32 v11, v22, v13
	v_cmp_gt_u32_e32 vcc_lo, 24, v1
	s_wait_dscnt 0x0
	s_barrier_signal -1
	s_barrier_wait -1
	v_add_f64_e32 v[10:11], v[12:13], v[10:11]
	v_cndmask_b32_e64 v12, 0, 8, vcc_lo
	v_cmp_gt_u32_e32 vcc_lo, 28, v1
	s_delay_alu instid0(VALU_DEP_2)
	v_add_lshl_u32 v13, v12, v1, 2
	ds_bpermute_b32 v12, v13, v10
	ds_bpermute_b32 v13, v13, v11
	s_wait_dscnt 0x0
	v_add_f64_e32 v[10:11], v[10:11], v[12:13]
	v_cndmask_b32_e64 v12, 0, 4, vcc_lo
	v_cmp_gt_u32_e32 vcc_lo, 30, v1
	s_delay_alu instid0(VALU_DEP_2)
	v_add_lshl_u32 v14, v12, v1, 2
	ds_bpermute_b32 v12, v14, v10
	ds_bpermute_b32 v13, v14, v11
	s_wait_dscnt 0x0
	v_add_f64_e32 v[10:11], v[10:11], v[12:13]
	v_cndmask_b32_e64 v12, 0, 2, vcc_lo
	v_cmp_ne_u32_e32 vcc_lo, 31, v1
	s_delay_alu instid0(VALU_DEP_2)
	v_add_lshl_u32 v15, v12, v1, 2
	ds_bpermute_b32 v12, v15, v10
	ds_bpermute_b32 v13, v15, v11
	s_wait_dscnt 0x0
	v_add_f64_e32 v[10:11], v[10:11], v[12:13]
	v_add_co_ci_u32_e64 v12, null, 0, v1, vcc_lo
	s_delay_alu instid0(VALU_DEP_1)
	v_lshlrev_b32_e32 v16, 2, v12
	ds_bpermute_b32 v12, v16, v10
	ds_bpermute_b32 v13, v16, v11
	s_and_saveexec_b32 s37, s3
	s_cbranch_execz .LBB270_25
; %bb.24:                               ;   in Loop: Header=BB270_4 Depth=1
	s_wait_dscnt 0x0
	v_add_f64_e32 v[10:11], v[10:11], v[12:13]
	ds_store_b64 v20, v[10:11]
.LBB270_25:                             ;   in Loop: Header=BB270_4 Depth=1
	s_or_b32 exec_lo, exec_lo, s37
	v_mov_b64_e32 v[10:11], 0
	s_wait_dscnt 0x0
	s_barrier_signal -1
	s_barrier_wait -1
	s_and_saveexec_b32 s37, s2
	s_cbranch_execnz .LBB270_32
; %bb.26:                               ;   in Loop: Header=BB270_4 Depth=1
	s_or_b32 exec_lo, exec_lo, s37
	s_and_saveexec_b32 s37, s1
	s_cbranch_execnz .LBB270_33
.LBB270_27:                             ;   in Loop: Header=BB270_4 Depth=1
	s_or_b32 exec_lo, exec_lo, s37
                                        ; implicit-def: $vgpr14_vgpr15
	s_and_saveexec_b32 s37, s0
	s_cbranch_execnz .LBB270_34
	s_branch .LBB270_37
.LBB270_28:                             ;   in Loop: Header=BB270_4 Depth=1
	v_mov_b64_e32 v[12:13], 0
	s_delay_alu instid0(VALU_DEP_2)
	v_mov_b64_e32 v[16:17], v[14:15]
	v_dual_mov_b32 v23, v21 :: v_dual_mov_b32 v24, v0
	s_mov_b32 s38, 0
.LBB270_29:                             ;   Parent Loop BB270_4 Depth=1
                                        ; =>  This Inner Loop Header: Depth=2
	v_readfirstlane_b32 s40, v10
	v_readfirstlane_b32 s41, v11
	s_delay_alu instid0(VALU_DEP_3)
	v_add_nc_u32_e32 v24, 0x100, v24
	flat_load_b64 v[26:27], v[16:17]
	flat_load_b64 v[28:29], v23, s[40:41] scale_offset
	s_wait_xcnt 0x1
	v_add_nc_u64_e32 v[16:17], 0x800, v[16:17]
	v_cmp_le_i32_e32 vcc_lo, s24, v24
	s_wait_xcnt 0x0
	v_add_nc_u32_e32 v23, s35, v23
	s_or_b32 s38, vcc_lo, s38
	s_wait_loadcnt_dscnt 0x0
	v_fmac_f64_e32 v[12:13], v[26:27], v[28:29]
	s_and_not1_b32 exec_lo, exec_lo, s38
	s_cbranch_execnz .LBB270_29
; %bb.30:                               ;   in Loop: Header=BB270_4 Depth=1
	s_or_b32 exec_lo, exec_lo, s38
	s_delay_alu instid0(SALU_CYCLE_1)
	s_or_b32 exec_lo, exec_lo, s37
	s_and_saveexec_b32 s37, s5
	s_cbranch_execz .LBB270_21
.LBB270_31:                             ;   in Loop: Header=BB270_4 Depth=1
	v_lshl_add_u64 v[14:15], s[24:25], 3, v[14:15]
	v_lshl_add_u64 v[10:11], v[6:7], 3, v[10:11]
	flat_load_b64 v[16:17], v[14:15]
	flat_load_b64 v[24:25], v[10:11]
	s_wait_loadcnt_dscnt 0x0
	v_fmac_f64_e32 v[12:13], v[16:17], v[24:25]
	s_wait_xcnt 0x0
	s_or_b32 exec_lo, exec_lo, s37
	s_and_saveexec_b32 s37, s1
	s_cbranch_execnz .LBB270_22
	s_branch .LBB270_23
.LBB270_32:                             ;   in Loop: Header=BB270_4 Depth=1
	ds_load_b64 v[10:11], v19
	s_or_b32 exec_lo, exec_lo, s37
	s_and_saveexec_b32 s37, s1
	s_cbranch_execz .LBB270_27
.LBB270_33:                             ;   in Loop: Header=BB270_4 Depth=1
	s_wait_dscnt 0x0
	ds_bpermute_b32 v12, v14, v10
	ds_bpermute_b32 v13, v14, v11
	s_wait_dscnt 0x0
	v_add_f64_e32 v[10:11], v[10:11], v[12:13]
	ds_bpermute_b32 v12, v15, v10
	ds_bpermute_b32 v13, v15, v11
	s_wait_dscnt 0x0
	v_add_f64_e32 v[10:11], v[10:11], v[12:13]
	ds_bpermute_b32 v12, v16, v10
	ds_bpermute_b32 v13, v16, v11
	s_wait_dscnt 0x0
	v_add_f64_e32 v[10:11], v[10:11], v[12:13]
	s_or_b32 exec_lo, exec_lo, s37
                                        ; implicit-def: $vgpr14_vgpr15
	s_and_saveexec_b32 s37, s0
	s_cbranch_execz .LBB270_37
.LBB270_34:                             ;   in Loop: Header=BB270_4 Depth=1
	s_wait_dscnt 0x0
	s_delay_alu instid0(VALU_DEP_1)
	v_mul_f64_e32 v[14:15], s[22:23], v[10:11]
	s_and_not1_b32 vcc_lo, exec_lo, s34
	s_cbranch_vccnz .LBB270_36
; %bb.35:                               ;   in Loop: Header=BB270_4 Depth=1
	v_add_nc_u64_e32 v[10:11], s[28:29], v[8:9]
	flat_load_b64 v[10:11], v[10:11]
	s_wait_loadcnt_dscnt 0x0
	v_fmac_f64_e32 v[14:15], s[20:21], v[10:11]
.LBB270_36:                             ;   in Loop: Header=BB270_4 Depth=1
	s_or_b32 s36, s36, exec_lo
.LBB270_37:                             ;   in Loop: Header=BB270_4 Depth=1
	s_wait_xcnt 0x0
	s_or_b32 exec_lo, exec_lo, s37
.LBB270_38:                             ;   in Loop: Header=BB270_4 Depth=1
	s_and_saveexec_b32 s37, s36
	s_cbranch_execz .LBB270_2
; %bb.39:                               ;   in Loop: Header=BB270_4 Depth=1
	v_add_nc_u64_e32 v[8:9], s[28:29], v[8:9]
	flat_store_b64 v[8:9], v[14:15]
	s_branch .LBB270_2
.LBB270_40:
	s_endpgm
	.section	.rodata,"a",@progbits
	.p2align	6, 0x0
	.amdhsa_kernel _ZL32rocblas_gemvt_warp_reduce_kernelILb0ELi256EiPKddKPdEviiT3_lPKT2_lT1_lS7_lS8_lS4_lPT4_lS8_li
		.amdhsa_group_segment_fixed_size 256
		.amdhsa_private_segment_fixed_size 0
		.amdhsa_kernarg_size 140
		.amdhsa_user_sgpr_count 2
		.amdhsa_user_sgpr_dispatch_ptr 0
		.amdhsa_user_sgpr_queue_ptr 0
		.amdhsa_user_sgpr_kernarg_segment_ptr 1
		.amdhsa_user_sgpr_dispatch_id 0
		.amdhsa_user_sgpr_kernarg_preload_length 0
		.amdhsa_user_sgpr_kernarg_preload_offset 0
		.amdhsa_user_sgpr_private_segment_size 0
		.amdhsa_wavefront_size32 1
		.amdhsa_uses_dynamic_stack 0
		.amdhsa_enable_private_segment 0
		.amdhsa_system_sgpr_workgroup_id_x 1
		.amdhsa_system_sgpr_workgroup_id_y 0
		.amdhsa_system_sgpr_workgroup_id_z 1
		.amdhsa_system_sgpr_workgroup_info 0
		.amdhsa_system_vgpr_workitem_id 0
		.amdhsa_next_free_vgpr 30
		.amdhsa_next_free_sgpr 42
		.amdhsa_named_barrier_count 0
		.amdhsa_reserve_vcc 1
		.amdhsa_float_round_mode_32 0
		.amdhsa_float_round_mode_16_64 0
		.amdhsa_float_denorm_mode_32 3
		.amdhsa_float_denorm_mode_16_64 3
		.amdhsa_fp16_overflow 0
		.amdhsa_memory_ordered 1
		.amdhsa_forward_progress 1
		.amdhsa_inst_pref_size 12
		.amdhsa_round_robin_scheduling 0
		.amdhsa_exception_fp_ieee_invalid_op 0
		.amdhsa_exception_fp_denorm_src 0
		.amdhsa_exception_fp_ieee_div_zero 0
		.amdhsa_exception_fp_ieee_overflow 0
		.amdhsa_exception_fp_ieee_underflow 0
		.amdhsa_exception_fp_ieee_inexact 0
		.amdhsa_exception_int_div_zero 0
	.end_amdhsa_kernel
	.section	.text._ZL32rocblas_gemvt_warp_reduce_kernelILb0ELi256EiPKddKPdEviiT3_lPKT2_lT1_lS7_lS8_lS4_lPT4_lS8_li,"axG",@progbits,_ZL32rocblas_gemvt_warp_reduce_kernelILb0ELi256EiPKddKPdEviiT3_lPKT2_lT1_lS7_lS8_lS4_lPT4_lS8_li,comdat
.Lfunc_end270:
	.size	_ZL32rocblas_gemvt_warp_reduce_kernelILb0ELi256EiPKddKPdEviiT3_lPKT2_lT1_lS7_lS8_lS4_lPT4_lS8_li, .Lfunc_end270-_ZL32rocblas_gemvt_warp_reduce_kernelILb0ELi256EiPKddKPdEviiT3_lPKT2_lT1_lS7_lS8_lS4_lPT4_lS8_li
                                        ; -- End function
	.set _ZL32rocblas_gemvt_warp_reduce_kernelILb0ELi256EiPKddKPdEviiT3_lPKT2_lT1_lS7_lS8_lS4_lPT4_lS8_li.num_vgpr, 30
	.set _ZL32rocblas_gemvt_warp_reduce_kernelILb0ELi256EiPKddKPdEviiT3_lPKT2_lT1_lS7_lS8_lS4_lPT4_lS8_li.num_agpr, 0
	.set _ZL32rocblas_gemvt_warp_reduce_kernelILb0ELi256EiPKddKPdEviiT3_lPKT2_lT1_lS7_lS8_lS4_lPT4_lS8_li.numbered_sgpr, 42
	.set _ZL32rocblas_gemvt_warp_reduce_kernelILb0ELi256EiPKddKPdEviiT3_lPKT2_lT1_lS7_lS8_lS4_lPT4_lS8_li.num_named_barrier, 0
	.set _ZL32rocblas_gemvt_warp_reduce_kernelILb0ELi256EiPKddKPdEviiT3_lPKT2_lT1_lS7_lS8_lS4_lPT4_lS8_li.private_seg_size, 0
	.set _ZL32rocblas_gemvt_warp_reduce_kernelILb0ELi256EiPKddKPdEviiT3_lPKT2_lT1_lS7_lS8_lS4_lPT4_lS8_li.uses_vcc, 1
	.set _ZL32rocblas_gemvt_warp_reduce_kernelILb0ELi256EiPKddKPdEviiT3_lPKT2_lT1_lS7_lS8_lS4_lPT4_lS8_li.uses_flat_scratch, 0
	.set _ZL32rocblas_gemvt_warp_reduce_kernelILb0ELi256EiPKddKPdEviiT3_lPKT2_lT1_lS7_lS8_lS4_lPT4_lS8_li.has_dyn_sized_stack, 0
	.set _ZL32rocblas_gemvt_warp_reduce_kernelILb0ELi256EiPKddKPdEviiT3_lPKT2_lT1_lS7_lS8_lS4_lPT4_lS8_li.has_recursion, 0
	.set _ZL32rocblas_gemvt_warp_reduce_kernelILb0ELi256EiPKddKPdEviiT3_lPKT2_lT1_lS7_lS8_lS4_lPT4_lS8_li.has_indirect_call, 0
	.section	.AMDGPU.csdata,"",@progbits
; Kernel info:
; codeLenInByte = 1488
; TotalNumSgprs: 44
; NumVgprs: 30
; ScratchSize: 0
; MemoryBound: 1
; FloatMode: 240
; IeeeMode: 1
; LDSByteSize: 256 bytes/workgroup (compile time only)
; SGPRBlocks: 0
; VGPRBlocks: 1
; NumSGPRsForWavesPerEU: 44
; NumVGPRsForWavesPerEU: 30
; NamedBarCnt: 0
; Occupancy: 16
; WaveLimiterHint : 1
; COMPUTE_PGM_RSRC2:SCRATCH_EN: 0
; COMPUTE_PGM_RSRC2:USER_SGPR: 2
; COMPUTE_PGM_RSRC2:TRAP_HANDLER: 0
; COMPUTE_PGM_RSRC2:TGID_X_EN: 1
; COMPUTE_PGM_RSRC2:TGID_Y_EN: 0
; COMPUTE_PGM_RSRC2:TGID_Z_EN: 1
; COMPUTE_PGM_RSRC2:TIDIG_COMP_CNT: 0
	.section	.text._ZL32rocblas_gemvt_warp_reduce_kernelILb0ELi256ElPKddKPdEviiT3_lPKT2_lT1_lS7_lS8_lS4_lPT4_lS8_li,"axG",@progbits,_ZL32rocblas_gemvt_warp_reduce_kernelILb0ELi256ElPKddKPdEviiT3_lPKT2_lT1_lS7_lS8_lS4_lPT4_lS8_li,comdat
	.globl	_ZL32rocblas_gemvt_warp_reduce_kernelILb0ELi256ElPKddKPdEviiT3_lPKT2_lT1_lS7_lS8_lS4_lPT4_lS8_li ; -- Begin function _ZL32rocblas_gemvt_warp_reduce_kernelILb0ELi256ElPKddKPdEviiT3_lPKT2_lT1_lS7_lS8_lS4_lPT4_lS8_li
	.p2align	8
	.type	_ZL32rocblas_gemvt_warp_reduce_kernelILb0ELi256ElPKddKPdEviiT3_lPKT2_lT1_lS7_lS8_lS4_lPT4_lS8_li,@function
_ZL32rocblas_gemvt_warp_reduce_kernelILb0ELi256ElPKddKPdEviiT3_lPKT2_lT1_lS7_lS8_lS4_lPT4_lS8_li: ; @_ZL32rocblas_gemvt_warp_reduce_kernelILb0ELi256ElPKddKPdEviiT3_lPKT2_lT1_lS7_lS8_lS4_lPT4_lS8_li
; %bb.0:
	s_load_b32 s33, s[0:1], 0x88
	s_bfe_u32 s2, ttmp6, 0x40014
	s_lshr_b32 s3, ttmp7, 16
	s_add_co_i32 s2, s2, 1
	s_bfe_u32 s5, ttmp6, 0x40008
	s_mul_i32 s4, s3, s2
	s_getreg_b32 s2, hwreg(HW_REG_IB_STS2, 6, 4)
	s_add_co_i32 s5, s5, s4
	s_cmp_eq_u32 s2, 0
	s_mov_b32 s7, 0
	s_cselect_b32 s6, s3, s5
	s_wait_kmcnt 0x0
	s_cmp_ge_u32 s6, s33
	s_cbranch_scc1 .LBB271_40
; %bb.1:
	s_clause 0x4
	s_load_b64 s[20:21], s[0:1], 0x58
	s_load_b64 s[22:23], s[0:1], 0x8
	s_load_b128 s[8:11], s[0:1], 0x68
	s_load_b32 s25, s[0:1], 0x0
	s_load_b64 s[28:29], s[0:1], 0x48
	s_bfe_u32 s5, ttmp6, 0x4000c
	s_and_b32 s12, ttmp6, 15
	s_add_co_i32 s5, s5, 1
	v_mbcnt_lo_u32_b32 v24, -1, 0
	s_mul_i32 s5, ttmp9, s5
	s_load_b64 s[26:27], s[0:1], 0x28
	s_add_co_i32 s12, s12, s5
	s_delay_alu instid0(VALU_DEP_1)
	v_lshl_or_b32 v25, v24, 2, 64
	s_wait_kmcnt 0x0
	v_cmp_neq_f64_e64 s3, s[20:21], 1.0
	v_cmp_neq_f64_e64 s4, s[22:23], 0
	v_cmp_eq_f64_e64 s35, s[22:23], 0
	v_cmp_neq_f64_e64 s36, s[20:21], 0
	v_cmp_gt_i32_e32 vcc_lo, s25, v0
	v_cndmask_b32_e32 v2, 0, v0, vcc_lo
	s_or_b32 s34, s4, s3
	s_cmp_eq_u32 s2, 0
	v_cndmask_b32_e64 v22, 0, 1, s4
	s_cselect_b32 s2, ttmp9, s12
	s_ashr_i32 s3, s25, 31
	s_load_b64 s[4:5], s[0:1], 0x78
	s_lshr_b32 s3, s3, 24
	s_clause 0x1
	s_load_b128 s[12:15], s[0:1], 0x18
	s_load_b128 s[16:19], s[0:1], 0x38
	s_add_co_i32 s3, s25, s3
	s_wait_xcnt 0x0
	v_cmp_eq_u32_e64 s0, 0, v0
	s_and_b32 s24, s3, 0xffffff00
	s_delay_alu instid0(SALU_CYCLE_1)
	v_dual_mov_b32 v3, 0 :: v_dual_bitop2_b32 v8, s24, v0 bitop3:0x54
	s_ashr_i32 s3, s2, 31
	v_cmp_gt_i32_e64 s1, s24, v0
	s_lshl_b64 s[10:11], s[10:11], 3
	v_dual_mov_b32 v1, v3 :: v_dual_ashrrev_i32 v9, 31, v8
	s_mul_u64 s[26:27], s[26:27], s[2:3]
	s_delay_alu instid0(VALU_DEP_1) | instskip(NEXT) | instid1(VALU_DEP_2)
	v_mul_u64_e32 v[6:7], s[28:29], v[0:1]
	v_mul_u64_e32 v[4:5], s[28:29], v[8:9]
	v_and_b32_e32 v9, 31, v0
	s_lshl_b64 s[28:29], s[28:29], 11
	s_wait_kmcnt 0x0
	s_mul_u64 s[30:31], s[4:5], s[2:3]
	v_cmp_gt_i32_e64 s2, s25, v8
	v_dual_lshrrev_b32 v8, 2, v0 :: v_dual_lshlrev_b32 v1, 3, v9
	v_cmp_eq_u32_e64 s4, 0, v9
	v_cmp_gt_u32_e64 s3, 32, v0
	v_cmp_gt_u32_e64 s5, 8, v0
	s_delay_alu instid0(VALU_DEP_4)
	v_dual_lshlrev_b32 v2, 3, v2 :: v_dual_bitop2_b32 v23, 56, v8 bitop3:0x40
	v_mov_b64_e32 v[8:9], 0
	s_ashr_i32 s25, s24, 31
	s_lshl_b64 s[14:15], s[14:15], 3
	s_lshl_b64 s[18:19], s[18:19], 3
	;; [unrolled: 1-line block ×3, first 2 shown]
	v_lshlrev_b64_e32 v[6:7], 3, v[6:7]
	s_branch .LBB271_4
.LBB271_2:                              ;   in Loop: Header=BB271_4 Depth=1
	s_wait_xcnt 0x0
	s_or_b32 exec_lo, exec_lo, s38
.LBB271_3:                              ;   in Loop: Header=BB271_4 Depth=1
	s_add_co_i32 s6, s6, 0x10000
	s_delay_alu instid0(SALU_CYCLE_1)
	s_cmp_lt_u32 s6, s33
	s_cbranch_scc0 .LBB271_40
.LBB271_4:                              ; =>This Loop Header: Depth=1
                                        ;     Child Loop BB271_29 Depth 2
	s_and_not1_b32 vcc_lo, exec_lo, s34
	s_cbranch_vccnz .LBB271_3
; %bb.5:                                ;   in Loop: Header=BB271_4 Depth=1
	s_and_not1_b32 vcc_lo, exec_lo, s35
	s_cbranch_vccnz .LBB271_7
; %bb.6:                                ;   in Loop: Header=BB271_4 Depth=1
	s_wait_dscnt 0x0
	v_mov_b64_e32 v[12:13], 0
	v_mov_b64_e32 v[14:15], 0
	s_cbranch_execz .LBB271_8
	s_branch .LBB271_9
.LBB271_7:                              ;   in Loop: Header=BB271_4 Depth=1
	s_wait_dscnt 0x0
	v_mov_b64_e32 v[12:13], 0
	v_mov_b64_e32 v[14:15], 0
.LBB271_8:                              ;   in Loop: Header=BB271_4 Depth=1
	s_lshl_b64 s[38:39], s[6:7], 3
	s_delay_alu instid0(SALU_CYCLE_1)
	s_add_nc_u64 s[38:39], s[12:13], s[38:39]
	global_load_b64 v[10:11], v3, s[38:39]
	s_wait_loadcnt 0x0
	v_add_nc_u64_e32 v[14:15], s[14:15], v[10:11]
.LBB271_9:                              ;   in Loop: Header=BB271_4 Depth=1
	v_cmp_ne_u32_e32 vcc_lo, 1, v22
	s_cbranch_vccnz .LBB271_11
; %bb.10:                               ;   in Loop: Header=BB271_4 Depth=1
	s_wait_xcnt 0x0
	s_lshl_b64 s[38:39], s[6:7], 3
	s_delay_alu instid0(SALU_CYCLE_1)
	s_add_nc_u64 s[38:39], s[16:17], s[38:39]
	global_load_b64 v[10:11], v3, s[38:39]
	s_wait_loadcnt 0x0
	v_add_nc_u64_e32 v[12:13], s[18:19], v[10:11]
.LBB271_11:                             ;   in Loop: Header=BB271_4 Depth=1
	s_wait_xcnt 0x0
	s_lshl_b64 s[38:39], s[6:7], 3
	s_and_not1_b32 vcc_lo, exec_lo, s35
	s_add_nc_u64 s[38:39], s[8:9], s[38:39]
	global_load_b64 v[10:11], v3, s[38:39]
	s_wait_loadcnt 0x0
	v_add_nc_u64_e32 v[10:11], s[10:11], v[10:11]
	s_cbranch_vccnz .LBB271_15
; %bb.12:                               ;   in Loop: Header=BB271_4 Depth=1
	s_wait_xcnt 0x0
	s_mov_b32 s38, 0
	s_mov_b32 s37, 0
                                        ; implicit-def: $vgpr16_vgpr17
	s_and_saveexec_b32 s39, s0
	s_cbranch_execz .LBB271_16
; %bb.13:                               ;   in Loop: Header=BB271_4 Depth=1
	s_and_not1_b32 vcc_lo, exec_lo, s36
	s_cbranch_vccnz .LBB271_17
; %bb.14:                               ;   in Loop: Header=BB271_4 Depth=1
	v_add_nc_u64_e32 v[16:17], s[30:31], v[10:11]
	flat_load_b64 v[16:17], v[16:17]
	s_wait_loadcnt_dscnt 0x0
	s_wait_xcnt 0x0
	v_mul_f64_e32 v[16:17], s[20:21], v[16:17]
	s_branch .LBB271_18
.LBB271_15:                             ;   in Loop: Header=BB271_4 Depth=1
	s_wait_xcnt 0x0
	s_mov_b32 s37, 0
                                        ; implicit-def: $vgpr16_vgpr17
	s_cbranch_execnz .LBB271_19
	s_branch .LBB271_38
.LBB271_16:                             ;   in Loop: Header=BB271_4 Depth=1
	s_or_b32 exec_lo, exec_lo, s39
	s_delay_alu instid0(SALU_CYCLE_1)
	s_and_b32 vcc_lo, exec_lo, s38
	s_cbranch_vccnz .LBB271_19
	s_branch .LBB271_38
.LBB271_17:                             ;   in Loop: Header=BB271_4 Depth=1
	v_mov_b64_e32 v[16:17], 0
.LBB271_18:                             ;   in Loop: Header=BB271_4 Depth=1
	s_mov_b32 s37, exec_lo
	s_or_b32 exec_lo, exec_lo, s39
	s_delay_alu instid0(SALU_CYCLE_1)
	s_and_b32 vcc_lo, exec_lo, s38
	s_cbranch_vccz .LBB271_38
.LBB271_19:                             ;   in Loop: Header=BB271_4 Depth=1
	v_add_nc_u64_e32 v[16:17], v[14:15], v[2:3]
	v_mov_b64_e32 v[14:15], 0
	s_delay_alu instid0(VALU_DEP_2)
	v_lshl_add_u64 v[16:17], s[26:27], 3, v[16:17]
	s_and_saveexec_b32 s38, s1
	s_cbranch_execnz .LBB271_28
; %bb.20:                               ;   in Loop: Header=BB271_4 Depth=1
	s_or_b32 exec_lo, exec_lo, s38
	s_and_saveexec_b32 s38, s2
	s_cbranch_execnz .LBB271_31
.LBB271_21:                             ;   in Loop: Header=BB271_4 Depth=1
	s_or_b32 exec_lo, exec_lo, s38
	s_and_saveexec_b32 s38, s3
.LBB271_22:                             ;   in Loop: Header=BB271_4 Depth=1
	ds_store_b64 v1, v[8:9]
.LBB271_23:                             ;   in Loop: Header=BB271_4 Depth=1
	s_or_b32 exec_lo, exec_lo, s38
	ds_bpermute_b32 v12, v25, v14
	ds_bpermute_b32 v13, v25, v15
	v_cmp_gt_u32_e32 vcc_lo, 24, v24
	s_wait_dscnt 0x0
	s_barrier_signal -1
	s_barrier_wait -1
	v_add_f64_e32 v[12:13], v[14:15], v[12:13]
	v_cndmask_b32_e64 v14, 0, 8, vcc_lo
	v_cmp_gt_u32_e32 vcc_lo, 28, v24
	s_delay_alu instid0(VALU_DEP_2)
	v_add_lshl_u32 v15, v14, v24, 2
	ds_bpermute_b32 v14, v15, v12
	ds_bpermute_b32 v15, v15, v13
	s_wait_dscnt 0x0
	v_add_f64_e32 v[12:13], v[12:13], v[14:15]
	v_cndmask_b32_e64 v14, 0, 4, vcc_lo
	v_cmp_gt_u32_e32 vcc_lo, 30, v24
	s_delay_alu instid0(VALU_DEP_2)
	v_add_lshl_u32 v16, v14, v24, 2
	ds_bpermute_b32 v14, v16, v12
	ds_bpermute_b32 v15, v16, v13
	s_wait_dscnt 0x0
	v_add_f64_e32 v[12:13], v[12:13], v[14:15]
	v_cndmask_b32_e64 v14, 0, 2, vcc_lo
	v_cmp_ne_u32_e32 vcc_lo, 31, v24
	s_delay_alu instid0(VALU_DEP_2)
	v_add_lshl_u32 v17, v14, v24, 2
	ds_bpermute_b32 v14, v17, v12
	ds_bpermute_b32 v15, v17, v13
	s_wait_dscnt 0x0
	v_add_f64_e32 v[12:13], v[12:13], v[14:15]
	v_add_co_ci_u32_e64 v14, null, 0, v24, vcc_lo
	s_delay_alu instid0(VALU_DEP_1)
	v_lshlrev_b32_e32 v18, 2, v14
	ds_bpermute_b32 v14, v18, v12
	ds_bpermute_b32 v15, v18, v13
	s_and_saveexec_b32 s38, s4
	s_cbranch_execz .LBB271_25
; %bb.24:                               ;   in Loop: Header=BB271_4 Depth=1
	s_wait_dscnt 0x0
	v_add_f64_e32 v[12:13], v[12:13], v[14:15]
	ds_store_b64 v23, v[12:13]
.LBB271_25:                             ;   in Loop: Header=BB271_4 Depth=1
	s_or_b32 exec_lo, exec_lo, s38
	v_mov_b64_e32 v[12:13], 0
	s_wait_dscnt 0x0
	s_barrier_signal -1
	s_barrier_wait -1
	s_and_saveexec_b32 s38, s5
	s_cbranch_execnz .LBB271_32
; %bb.26:                               ;   in Loop: Header=BB271_4 Depth=1
	s_or_b32 exec_lo, exec_lo, s38
	s_and_saveexec_b32 s38, s3
	s_cbranch_execnz .LBB271_33
.LBB271_27:                             ;   in Loop: Header=BB271_4 Depth=1
	s_or_b32 exec_lo, exec_lo, s38
                                        ; implicit-def: $vgpr16_vgpr17
	s_and_saveexec_b32 s38, s0
	s_cbranch_execnz .LBB271_34
	s_branch .LBB271_37
.LBB271_28:                             ;   in Loop: Header=BB271_4 Depth=1
	v_add_nc_u64_e32 v[18:19], v[12:13], v[6:7]
	v_mov_b64_e32 v[14:15], 0
	v_mov_b64_e32 v[20:21], v[16:17]
	v_mov_b32_e32 v26, v0
	s_mov_b32 s39, 0
.LBB271_29:                             ;   Parent Loop BB271_4 Depth=1
                                        ; =>  This Inner Loop Header: Depth=2
	flat_load_b64 v[28:29], v[20:21]
	flat_load_b64 v[30:31], v[18:19]
	v_add_nc_u32_e32 v26, 0x100, v26
	s_wait_xcnt 0x1
	v_add_nc_u64_e32 v[20:21], 0x800, v[20:21]
	s_wait_xcnt 0x0
	v_add_nc_u64_e32 v[18:19], s[28:29], v[18:19]
	v_cmp_le_i32_e32 vcc_lo, s24, v26
	s_or_b32 s39, vcc_lo, s39
	s_wait_loadcnt_dscnt 0x0
	v_fmac_f64_e32 v[14:15], v[28:29], v[30:31]
	s_and_not1_b32 exec_lo, exec_lo, s39
	s_cbranch_execnz .LBB271_29
; %bb.30:                               ;   in Loop: Header=BB271_4 Depth=1
	s_or_b32 exec_lo, exec_lo, s39
	s_delay_alu instid0(SALU_CYCLE_1)
	s_or_b32 exec_lo, exec_lo, s38
	s_and_saveexec_b32 s38, s2
	s_cbranch_execz .LBB271_21
.LBB271_31:                             ;   in Loop: Header=BB271_4 Depth=1
	v_lshl_add_u64 v[16:17], s[24:25], 3, v[16:17]
	v_lshl_add_u64 v[12:13], v[4:5], 3, v[12:13]
	flat_load_b64 v[18:19], v[16:17]
	flat_load_b64 v[20:21], v[12:13]
	s_wait_loadcnt_dscnt 0x0
	v_fmac_f64_e32 v[14:15], v[18:19], v[20:21]
	s_wait_xcnt 0x0
	s_or_b32 exec_lo, exec_lo, s38
	s_and_saveexec_b32 s38, s3
	s_cbranch_execnz .LBB271_22
	s_branch .LBB271_23
.LBB271_32:                             ;   in Loop: Header=BB271_4 Depth=1
	ds_load_b64 v[12:13], v1
	s_or_b32 exec_lo, exec_lo, s38
	s_and_saveexec_b32 s38, s3
	s_cbranch_execz .LBB271_27
.LBB271_33:                             ;   in Loop: Header=BB271_4 Depth=1
	s_wait_dscnt 0x0
	ds_bpermute_b32 v14, v16, v12
	ds_bpermute_b32 v15, v16, v13
	s_wait_dscnt 0x0
	v_add_f64_e32 v[12:13], v[12:13], v[14:15]
	ds_bpermute_b32 v14, v17, v12
	ds_bpermute_b32 v15, v17, v13
	s_wait_dscnt 0x0
	v_add_f64_e32 v[12:13], v[12:13], v[14:15]
	;; [unrolled: 4-line block ×3, first 2 shown]
	s_or_b32 exec_lo, exec_lo, s38
                                        ; implicit-def: $vgpr16_vgpr17
	s_and_saveexec_b32 s38, s0
	s_cbranch_execz .LBB271_37
.LBB271_34:                             ;   in Loop: Header=BB271_4 Depth=1
	s_wait_dscnt 0x0
	s_delay_alu instid0(VALU_DEP_1)
	v_mul_f64_e32 v[16:17], s[22:23], v[12:13]
	s_and_not1_b32 vcc_lo, exec_lo, s36
	s_cbranch_vccnz .LBB271_36
; %bb.35:                               ;   in Loop: Header=BB271_4 Depth=1
	v_add_nc_u64_e32 v[12:13], s[30:31], v[10:11]
	flat_load_b64 v[12:13], v[12:13]
	s_wait_loadcnt_dscnt 0x0
	v_fmac_f64_e32 v[16:17], s[20:21], v[12:13]
.LBB271_36:                             ;   in Loop: Header=BB271_4 Depth=1
	s_or_b32 s37, s37, exec_lo
.LBB271_37:                             ;   in Loop: Header=BB271_4 Depth=1
	s_wait_xcnt 0x0
	s_or_b32 exec_lo, exec_lo, s38
.LBB271_38:                             ;   in Loop: Header=BB271_4 Depth=1
	s_and_saveexec_b32 s38, s37
	s_cbranch_execz .LBB271_2
; %bb.39:                               ;   in Loop: Header=BB271_4 Depth=1
	v_add_nc_u64_e32 v[10:11], s[30:31], v[10:11]
	flat_store_b64 v[10:11], v[16:17]
	s_branch .LBB271_2
.LBB271_40:
	s_endpgm
	.section	.rodata,"a",@progbits
	.p2align	6, 0x0
	.amdhsa_kernel _ZL32rocblas_gemvt_warp_reduce_kernelILb0ELi256ElPKddKPdEviiT3_lPKT2_lT1_lS7_lS8_lS4_lPT4_lS8_li
		.amdhsa_group_segment_fixed_size 256
		.amdhsa_private_segment_fixed_size 0
		.amdhsa_kernarg_size 140
		.amdhsa_user_sgpr_count 2
		.amdhsa_user_sgpr_dispatch_ptr 0
		.amdhsa_user_sgpr_queue_ptr 0
		.amdhsa_user_sgpr_kernarg_segment_ptr 1
		.amdhsa_user_sgpr_dispatch_id 0
		.amdhsa_user_sgpr_kernarg_preload_length 0
		.amdhsa_user_sgpr_kernarg_preload_offset 0
		.amdhsa_user_sgpr_private_segment_size 0
		.amdhsa_wavefront_size32 1
		.amdhsa_uses_dynamic_stack 0
		.amdhsa_enable_private_segment 0
		.amdhsa_system_sgpr_workgroup_id_x 1
		.amdhsa_system_sgpr_workgroup_id_y 0
		.amdhsa_system_sgpr_workgroup_id_z 1
		.amdhsa_system_sgpr_workgroup_info 0
		.amdhsa_system_vgpr_workitem_id 0
		.amdhsa_next_free_vgpr 32
		.amdhsa_next_free_sgpr 40
		.amdhsa_named_barrier_count 0
		.amdhsa_reserve_vcc 1
		.amdhsa_float_round_mode_32 0
		.amdhsa_float_round_mode_16_64 0
		.amdhsa_float_denorm_mode_32 3
		.amdhsa_float_denorm_mode_16_64 3
		.amdhsa_fp16_overflow 0
		.amdhsa_memory_ordered 1
		.amdhsa_forward_progress 1
		.amdhsa_inst_pref_size 12
		.amdhsa_round_robin_scheduling 0
		.amdhsa_exception_fp_ieee_invalid_op 0
		.amdhsa_exception_fp_denorm_src 0
		.amdhsa_exception_fp_ieee_div_zero 0
		.amdhsa_exception_fp_ieee_overflow 0
		.amdhsa_exception_fp_ieee_underflow 0
		.amdhsa_exception_fp_ieee_inexact 0
		.amdhsa_exception_int_div_zero 0
	.end_amdhsa_kernel
	.section	.text._ZL32rocblas_gemvt_warp_reduce_kernelILb0ELi256ElPKddKPdEviiT3_lPKT2_lT1_lS7_lS8_lS4_lPT4_lS8_li,"axG",@progbits,_ZL32rocblas_gemvt_warp_reduce_kernelILb0ELi256ElPKddKPdEviiT3_lPKT2_lT1_lS7_lS8_lS4_lPT4_lS8_li,comdat
.Lfunc_end271:
	.size	_ZL32rocblas_gemvt_warp_reduce_kernelILb0ELi256ElPKddKPdEviiT3_lPKT2_lT1_lS7_lS8_lS4_lPT4_lS8_li, .Lfunc_end271-_ZL32rocblas_gemvt_warp_reduce_kernelILb0ELi256ElPKddKPdEviiT3_lPKT2_lT1_lS7_lS8_lS4_lPT4_lS8_li
                                        ; -- End function
	.set _ZL32rocblas_gemvt_warp_reduce_kernelILb0ELi256ElPKddKPdEviiT3_lPKT2_lT1_lS7_lS8_lS4_lPT4_lS8_li.num_vgpr, 32
	.set _ZL32rocblas_gemvt_warp_reduce_kernelILb0ELi256ElPKddKPdEviiT3_lPKT2_lT1_lS7_lS8_lS4_lPT4_lS8_li.num_agpr, 0
	.set _ZL32rocblas_gemvt_warp_reduce_kernelILb0ELi256ElPKddKPdEviiT3_lPKT2_lT1_lS7_lS8_lS4_lPT4_lS8_li.numbered_sgpr, 40
	.set _ZL32rocblas_gemvt_warp_reduce_kernelILb0ELi256ElPKddKPdEviiT3_lPKT2_lT1_lS7_lS8_lS4_lPT4_lS8_li.num_named_barrier, 0
	.set _ZL32rocblas_gemvt_warp_reduce_kernelILb0ELi256ElPKddKPdEviiT3_lPKT2_lT1_lS7_lS8_lS4_lPT4_lS8_li.private_seg_size, 0
	.set _ZL32rocblas_gemvt_warp_reduce_kernelILb0ELi256ElPKddKPdEviiT3_lPKT2_lT1_lS7_lS8_lS4_lPT4_lS8_li.uses_vcc, 1
	.set _ZL32rocblas_gemvt_warp_reduce_kernelILb0ELi256ElPKddKPdEviiT3_lPKT2_lT1_lS7_lS8_lS4_lPT4_lS8_li.uses_flat_scratch, 0
	.set _ZL32rocblas_gemvt_warp_reduce_kernelILb0ELi256ElPKddKPdEviiT3_lPKT2_lT1_lS7_lS8_lS4_lPT4_lS8_li.has_dyn_sized_stack, 0
	.set _ZL32rocblas_gemvt_warp_reduce_kernelILb0ELi256ElPKddKPdEviiT3_lPKT2_lT1_lS7_lS8_lS4_lPT4_lS8_li.has_recursion, 0
	.set _ZL32rocblas_gemvt_warp_reduce_kernelILb0ELi256ElPKddKPdEviiT3_lPKT2_lT1_lS7_lS8_lS4_lPT4_lS8_li.has_indirect_call, 0
	.section	.AMDGPU.csdata,"",@progbits
; Kernel info:
; codeLenInByte = 1496
; TotalNumSgprs: 42
; NumVgprs: 32
; ScratchSize: 0
; MemoryBound: 1
; FloatMode: 240
; IeeeMode: 1
; LDSByteSize: 256 bytes/workgroup (compile time only)
; SGPRBlocks: 0
; VGPRBlocks: 1
; NumSGPRsForWavesPerEU: 42
; NumVGPRsForWavesPerEU: 32
; NamedBarCnt: 0
; Occupancy: 16
; WaveLimiterHint : 1
; COMPUTE_PGM_RSRC2:SCRATCH_EN: 0
; COMPUTE_PGM_RSRC2:USER_SGPR: 2
; COMPUTE_PGM_RSRC2:TRAP_HANDLER: 0
; COMPUTE_PGM_RSRC2:TGID_X_EN: 1
; COMPUTE_PGM_RSRC2:TGID_Y_EN: 0
; COMPUTE_PGM_RSRC2:TGID_Z_EN: 1
; COMPUTE_PGM_RSRC2:TIDIG_COMP_CNT: 0
	.section	.text._ZL20rocblas_gemvt_kernelILb0ELi256EPKdS1_KPdEviiT2_lPKT1_lilS7_lilS4_lPT3_lili,"axG",@progbits,_ZL20rocblas_gemvt_kernelILb0ELi256EPKdS1_KPdEviiT2_lPKT1_lilS7_lilS4_lPT3_lili,comdat
	.globl	_ZL20rocblas_gemvt_kernelILb0ELi256EPKdS1_KPdEviiT2_lPKT1_lilS7_lilS4_lPT3_lili ; -- Begin function _ZL20rocblas_gemvt_kernelILb0ELi256EPKdS1_KPdEviiT2_lPKT1_lilS7_lilS4_lPT3_lili
	.p2align	8
	.type	_ZL20rocblas_gemvt_kernelILb0ELi256EPKdS1_KPdEviiT2_lPKT1_lilS7_lilS4_lPT3_lili,@function
_ZL20rocblas_gemvt_kernelILb0ELi256EPKdS1_KPdEviiT2_lPKT1_lilS7_lilS4_lPT3_lili: ; @_ZL20rocblas_gemvt_kernelILb0ELi256EPKdS1_KPdEviiT2_lPKT1_lilS7_lilS4_lPT3_lili
; %bb.0:
	s_load_b32 s11, s[0:1], 0x88
	s_bfe_u32 s2, ttmp6, 0x40014
	s_lshr_b32 s3, ttmp7, 16
	s_add_co_i32 s2, s2, 1
	s_bfe_u32 s5, ttmp6, 0x40008
	s_mul_i32 s4, s3, s2
	s_getreg_b32 s2, hwreg(HW_REG_IB_STS2, 6, 4)
	s_add_co_i32 s5, s5, s4
	s_cmp_eq_u32 s2, 0
	s_mov_b32 s35, 0
	s_cselect_b32 s34, s3, s5
	s_wait_kmcnt 0x0
	s_cmp_ge_u32 s34, s11
	s_cbranch_scc1 .LBB272_44
; %bb.1:
	s_clause 0x3
	s_load_b32 s4, s[0:1], 0x28
	s_load_b32 s40, s[0:1], 0x48
	;; [unrolled: 1-line block ×4, first 2 shown]
	s_bfe_u32 s3, ttmp6, 0x4000c
	s_and_b32 s5, ttmp6, 15
	s_add_co_i32 s3, s3, 1
	s_load_b128 s[28:31], s[0:1], 0x38
	s_mul_i32 s3, ttmp9, s3
	s_clause 0x1
	s_load_b256 s[12:19], s[0:1], 0x8
	s_load_b256 s[20:27], s[0:1], 0x58
	s_add_co_i32 s3, s5, s3
	s_wait_xcnt 0x0
	v_cmp_eq_u32_e64 s0, 0, v0
	v_lshlrev_b32_e32 v22, 3, v0
	s_wait_kmcnt 0x0
	s_ashr_i32 s5, s4, 31
	s_ashr_i32 s41, s40, 31
	;; [unrolled: 1-line block ×3, first 2 shown]
	s_cmp_eq_u32 s2, 0
	v_cmp_gt_i32_e32 vcc_lo, s8, v0
	s_cselect_b32 s2, ttmp9, s3
	s_ashr_i32 s3, s8, 31
	s_delay_alu instid0(SALU_CYCLE_1) | instskip(SKIP_2) | instid1(SALU_CYCLE_1)
	s_lshr_b32 s3, s3, 24
	v_cndmask_b32_e32 v8, 0, v0, vcc_lo
	s_add_co_i32 s3, s8, s3
	s_and_b32 s36, s3, 0xffffff00
	s_delay_alu instid0(SALU_CYCLE_1) | instskip(SKIP_3) | instid1(VALU_DEP_1)
	v_dual_mov_b32 v1, 0 :: v_dual_bitop2_b32 v4, s36, v0 bitop3:0x54
	s_ashr_i32 s3, s2, 31
	s_cmp_gt_i32 s8, 0xff
	s_mul_u64 s[42:43], s[6:7], s[2:3]
	v_mul_u64_e32 v[6:7], s[40:41], v[0:1]
	v_ashrrev_i32_e32 v5, 31, v4
	v_cmp_gt_i32_e64 s1, s8, v4
	s_mul_u64 s[38:39], s[4:5], s[2:3]
	v_cmp_gt_u32_e64 s2, 0x80, v0
	v_cmp_gt_u32_e64 s3, 64, v0
	v_mul_u64_e32 v[2:3], s[40:41], v[4:5]
	v_cmp_gt_u32_e64 s4, 32, v0
	v_cmp_gt_u32_e64 s5, 16, v0
	;; [unrolled: 1-line block ×5, first 2 shown]
	v_lshlrev_b32_e32 v0, 3, v8
	s_cselect_b32 s33, -1, 0
	s_ashr_i32 s37, s36, 31
	s_lshl_b64 s[40:41], s[40:41], 11
	s_lshl_b64 s[18:19], s[18:19], 3
	;; [unrolled: 1-line block ×5, first 2 shown]
	v_lshlrev_b64_e32 v[4:5], 3, v[6:7]
	s_branch .LBB272_4
.LBB272_2:                              ;   in Loop: Header=BB272_4 Depth=1
	s_wait_xcnt 0x0
	s_or_b32 exec_lo, exec_lo, s10
.LBB272_3:                              ;   in Loop: Header=BB272_4 Depth=1
	s_add_co_i32 s34, s34, 0x10000
	s_delay_alu instid0(SALU_CYCLE_1)
	s_cmp_lt_u32 s34, s11
	s_cbranch_scc0 .LBB272_44
.LBB272_4:                              ; =>This Loop Header: Depth=1
                                        ;     Child Loop BB272_18 Depth 2
	s_wait_xcnt 0x1
	s_mul_u64 s[44:45], s[14:15], s[34:35]
	s_wait_xcnt 0x0
	s_mul_u64 s[46:47], s[22:23], s[34:35]
	s_lshl_b64 s[44:45], s[44:45], 3
	s_lshl_b64 s[46:47], s[46:47], 3
	s_add_nc_u64 s[44:45], s[12:13], s[44:45]
	s_add_nc_u64 s[46:47], s[20:21], s[46:47]
	s_clause 0x1
	global_load_b64 v[8:9], v1, s[44:45]
	global_load_b64 v[6:7], v1, s[46:47]
	s_wait_loadcnt 0x1
	v_cmp_eq_f64_e64 s9, 0, v[8:9]
	s_wait_loadcnt 0x0
	v_cmp_eq_f64_e32 vcc_lo, 1.0, v[6:7]
	s_and_b32 s10, s9, vcc_lo
	s_delay_alu instid0(SALU_CYCLE_1)
	s_and_b32 vcc_lo, exec_lo, s10
	s_cbranch_vccnz .LBB272_3
; %bb.5:                                ;   in Loop: Header=BB272_4 Depth=1
	v_cmp_neq_f64_e64 s10, 0, v[8:9]
	v_mov_b64_e32 v[12:13], 0
	v_mov_b64_e32 v[14:15], 0
	s_and_b32 vcc_lo, exec_lo, s9
	s_cbranch_vccnz .LBB272_7
; %bb.6:                                ;   in Loop: Header=BB272_4 Depth=1
	s_wait_xcnt 0x1
	s_lshl_b64 s[44:45], s[34:35], 3
	s_delay_alu instid0(SALU_CYCLE_1)
	s_add_nc_u64 s[44:45], s[16:17], s[44:45]
	global_load_b64 v[10:11], v1, s[44:45]
	s_wait_loadcnt 0x0
	v_add_nc_u64_e32 v[14:15], s[18:19], v[10:11]
.LBB272_7:                              ;   in Loop: Header=BB272_4 Depth=1
	s_and_not1_b32 vcc_lo, exec_lo, s10
	s_cbranch_vccnz .LBB272_9
; %bb.8:                                ;   in Loop: Header=BB272_4 Depth=1
	s_wait_xcnt 0x0
	s_lshl_b64 s[44:45], s[34:35], 3
	s_delay_alu instid0(SALU_CYCLE_1)
	s_add_nc_u64 s[44:45], s[28:29], s[44:45]
	global_load_b64 v[10:11], v1, s[44:45]
	s_wait_loadcnt 0x0
	v_add_nc_u64_e32 v[12:13], s[30:31], v[10:11]
.LBB272_9:                              ;   in Loop: Header=BB272_4 Depth=1
	s_wait_xcnt 0x0
	s_lshl_b64 s[44:45], s[34:35], 3
	s_and_not1_b32 vcc_lo, exec_lo, s9
	s_add_nc_u64 s[44:45], s[24:25], s[44:45]
	global_load_b64 v[10:11], v1, s[44:45]
	s_wait_loadcnt 0x0
	v_add_nc_u64_e32 v[10:11], s[26:27], v[10:11]
	s_cbranch_vccnz .LBB272_14
; %bb.10:                               ;   in Loop: Header=BB272_4 Depth=1
	s_mov_b32 s10, 0
	s_mov_b32 s9, 0
                                        ; implicit-def: $vgpr16_vgpr17
	s_wait_xcnt 0x0
	s_and_saveexec_b32 s44, s0
	s_cbranch_execz .LBB272_15
; %bb.11:                               ;   in Loop: Header=BB272_4 Depth=1
	v_cmp_eq_f64_e32 vcc_lo, 0, v[6:7]
	v_mov_b64_e32 v[16:17], 0
	s_cbranch_vccnz .LBB272_13
; %bb.12:                               ;   in Loop: Header=BB272_4 Depth=1
	v_add_nc_u64_e32 v[16:17], s[42:43], v[10:11]
	flat_load_b64 v[16:17], v[16:17]
	s_wait_loadcnt_dscnt 0x0
	s_wait_xcnt 0x0
	v_mul_f64_e32 v[16:17], v[6:7], v[16:17]
.LBB272_13:                             ;   in Loop: Header=BB272_4 Depth=1
	s_mov_b32 s9, exec_lo
	s_or_b32 exec_lo, exec_lo, s44
	s_delay_alu instid0(SALU_CYCLE_1)
	s_and_b32 vcc_lo, exec_lo, s10
	s_cbranch_vccnz .LBB272_16
	s_branch .LBB272_42
.LBB272_14:                             ;   in Loop: Header=BB272_4 Depth=1
	s_mov_b32 s9, 0
                                        ; implicit-def: $vgpr16_vgpr17
	s_cbranch_execnz .LBB272_16
	s_branch .LBB272_42
.LBB272_15:                             ;   in Loop: Header=BB272_4 Depth=1
	s_or_b32 exec_lo, exec_lo, s44
	s_delay_alu instid0(SALU_CYCLE_1)
	s_and_b32 vcc_lo, exec_lo, s10
	s_cbranch_vccz .LBB272_42
.LBB272_16:                             ;   in Loop: Header=BB272_4 Depth=1
	v_add_nc_u64_e32 v[16:17], v[14:15], v[0:1]
	v_mov_b64_e32 v[14:15], 0
	s_and_not1_b32 vcc_lo, exec_lo, s33
	s_delay_alu instid0(VALU_DEP_2)
	v_lshl_add_u64 v[16:17], s[38:39], 3, v[16:17]
	s_cbranch_vccnz .LBB272_19
; %bb.17:                               ;   in Loop: Header=BB272_4 Depth=1
	v_add_nc_u64_e32 v[18:19], v[12:13], v[4:5]
	v_mov_b64_e32 v[14:15], 0
	s_delay_alu instid0(VALU_DEP_3)
	v_mov_b64_e32 v[20:21], v[16:17]
	s_mov_b32 s10, 0
.LBB272_18:                             ;   Parent Loop BB272_4 Depth=1
                                        ; =>  This Inner Loop Header: Depth=2
	flat_load_b64 v[24:25], v[20:21]
	flat_load_b64 v[26:27], v[18:19]
	s_wait_xcnt 0x0
	v_add_nc_u64_e32 v[18:19], s[40:41], v[18:19]
	v_add_nc_u64_e32 v[20:21], 0x800, v[20:21]
	s_addk_co_i32 s10, 0x100
	s_delay_alu instid0(SALU_CYCLE_1)
	s_cmp_ge_i32 s10, s36
	s_wait_loadcnt_dscnt 0x0
	v_fmac_f64_e32 v[14:15], v[24:25], v[26:27]
	s_cbranch_scc0 .LBB272_18
.LBB272_19:                             ;   in Loop: Header=BB272_4 Depth=1
	s_wait_xcnt 0x0
	s_and_saveexec_b32 s10, s1
	s_cbranch_execz .LBB272_21
; %bb.20:                               ;   in Loop: Header=BB272_4 Depth=1
	v_lshl_add_u64 v[16:17], s[36:37], 3, v[16:17]
	v_lshl_add_u64 v[12:13], v[2:3], 3, v[12:13]
	flat_load_b64 v[18:19], v[16:17]
	flat_load_b64 v[20:21], v[12:13]
	s_wait_loadcnt_dscnt 0x0
	v_fmac_f64_e32 v[14:15], v[18:19], v[20:21]
.LBB272_21:                             ;   in Loop: Header=BB272_4 Depth=1
	s_wait_xcnt 0x0
	s_or_b32 exec_lo, exec_lo, s10
	ds_store_b64 v22, v[14:15]
	s_wait_dscnt 0x0
	s_barrier_signal -1
	s_barrier_wait -1
	s_and_saveexec_b32 s10, s2
	s_cbranch_execz .LBB272_23
; %bb.22:                               ;   in Loop: Header=BB272_4 Depth=1
	ds_load_2addr_stride64_b64 v[12:15], v22 offset1:2
	s_wait_dscnt 0x0
	v_add_f64_e32 v[12:13], v[14:15], v[12:13]
	ds_store_b64 v22, v[12:13]
.LBB272_23:                             ;   in Loop: Header=BB272_4 Depth=1
	s_or_b32 exec_lo, exec_lo, s10
	s_wait_dscnt 0x0
	s_barrier_signal -1
	s_barrier_wait -1
	s_and_saveexec_b32 s10, s3
	s_cbranch_execz .LBB272_25
; %bb.24:                               ;   in Loop: Header=BB272_4 Depth=1
	ds_load_2addr_stride64_b64 v[12:15], v22 offset1:1
	s_wait_dscnt 0x0
	v_add_f64_e32 v[12:13], v[14:15], v[12:13]
	ds_store_b64 v22, v[12:13]
.LBB272_25:                             ;   in Loop: Header=BB272_4 Depth=1
	s_or_b32 exec_lo, exec_lo, s10
	s_wait_dscnt 0x0
	s_barrier_signal -1
	s_barrier_wait -1
	s_and_saveexec_b32 s10, s4
	s_cbranch_execz .LBB272_27
; %bb.26:                               ;   in Loop: Header=BB272_4 Depth=1
	ds_load_2addr_b64 v[12:15], v22 offset1:32
	s_wait_dscnt 0x0
	v_add_f64_e32 v[12:13], v[14:15], v[12:13]
	ds_store_b64 v22, v[12:13]
.LBB272_27:                             ;   in Loop: Header=BB272_4 Depth=1
	s_or_b32 exec_lo, exec_lo, s10
	s_wait_dscnt 0x0
	s_barrier_signal -1
	s_barrier_wait -1
	s_and_saveexec_b32 s10, s5
	s_cbranch_execz .LBB272_29
; %bb.28:                               ;   in Loop: Header=BB272_4 Depth=1
	ds_load_2addr_b64 v[12:15], v22 offset1:16
	s_wait_dscnt 0x0
	v_add_f64_e32 v[12:13], v[14:15], v[12:13]
	ds_store_b64 v22, v[12:13]
.LBB272_29:                             ;   in Loop: Header=BB272_4 Depth=1
	;; [unrolled: 12-line block ×5, first 2 shown]
	s_or_b32 exec_lo, exec_lo, s10
	s_wait_dscnt 0x0
	s_barrier_signal -1
	s_barrier_wait -1
	s_and_saveexec_b32 s10, s0
	s_cbranch_execz .LBB272_37
; %bb.36:                               ;   in Loop: Header=BB272_4 Depth=1
	ds_load_b128 v[12:15], v1
	s_wait_dscnt 0x0
	v_add_f64_e32 v[12:13], v[14:15], v[12:13]
	ds_store_b64 v1, v[12:13]
.LBB272_37:                             ;   in Loop: Header=BB272_4 Depth=1
	s_or_b32 exec_lo, exec_lo, s10
	s_wait_dscnt 0x0
	s_barrier_signal -1
	s_barrier_wait -1
                                        ; implicit-def: $vgpr16_vgpr17
	s_and_saveexec_b32 s10, s0
	s_cbranch_execz .LBB272_41
; %bb.38:                               ;   in Loop: Header=BB272_4 Depth=1
	ds_load_b64 v[12:13], v1
	v_cmp_eq_f64_e32 vcc_lo, 0, v[6:7]
	s_wait_dscnt 0x0
	v_mul_f64_e32 v[16:17], v[8:9], v[12:13]
	s_cbranch_vccnz .LBB272_40
; %bb.39:                               ;   in Loop: Header=BB272_4 Depth=1
	v_add_nc_u64_e32 v[8:9], s[42:43], v[10:11]
	flat_load_b64 v[8:9], v[8:9]
	s_wait_loadcnt_dscnt 0x0
	v_fmac_f64_e32 v[16:17], v[6:7], v[8:9]
.LBB272_40:                             ;   in Loop: Header=BB272_4 Depth=1
	s_or_b32 s9, s9, exec_lo
.LBB272_41:                             ;   in Loop: Header=BB272_4 Depth=1
	s_wait_xcnt 0x0
	s_or_b32 exec_lo, exec_lo, s10
.LBB272_42:                             ;   in Loop: Header=BB272_4 Depth=1
	s_wait_xcnt 0x0
	s_and_saveexec_b32 s10, s9
	s_cbranch_execz .LBB272_2
; %bb.43:                               ;   in Loop: Header=BB272_4 Depth=1
	v_add_nc_u64_e32 v[6:7], s[42:43], v[10:11]
	flat_store_b64 v[6:7], v[16:17]
	s_branch .LBB272_2
.LBB272_44:
	s_endpgm
	.section	.rodata,"a",@progbits
	.p2align	6, 0x0
	.amdhsa_kernel _ZL20rocblas_gemvt_kernelILb0ELi256EPKdS1_KPdEviiT2_lPKT1_lilS7_lilS4_lPT3_lili
		.amdhsa_group_segment_fixed_size 2048
		.amdhsa_private_segment_fixed_size 0
		.amdhsa_kernarg_size 140
		.amdhsa_user_sgpr_count 2
		.amdhsa_user_sgpr_dispatch_ptr 0
		.amdhsa_user_sgpr_queue_ptr 0
		.amdhsa_user_sgpr_kernarg_segment_ptr 1
		.amdhsa_user_sgpr_dispatch_id 0
		.amdhsa_user_sgpr_kernarg_preload_length 0
		.amdhsa_user_sgpr_kernarg_preload_offset 0
		.amdhsa_user_sgpr_private_segment_size 0
		.amdhsa_wavefront_size32 1
		.amdhsa_uses_dynamic_stack 0
		.amdhsa_enable_private_segment 0
		.amdhsa_system_sgpr_workgroup_id_x 1
		.amdhsa_system_sgpr_workgroup_id_y 0
		.amdhsa_system_sgpr_workgroup_id_z 1
		.amdhsa_system_sgpr_workgroup_info 0
		.amdhsa_system_vgpr_workitem_id 0
		.amdhsa_next_free_vgpr 28
		.amdhsa_next_free_sgpr 48
		.amdhsa_named_barrier_count 0
		.amdhsa_reserve_vcc 1
		.amdhsa_float_round_mode_32 0
		.amdhsa_float_round_mode_16_64 0
		.amdhsa_float_denorm_mode_32 3
		.amdhsa_float_denorm_mode_16_64 3
		.amdhsa_fp16_overflow 0
		.amdhsa_memory_ordered 1
		.amdhsa_forward_progress 1
		.amdhsa_inst_pref_size 12
		.amdhsa_round_robin_scheduling 0
		.amdhsa_exception_fp_ieee_invalid_op 0
		.amdhsa_exception_fp_denorm_src 0
		.amdhsa_exception_fp_ieee_div_zero 0
		.amdhsa_exception_fp_ieee_overflow 0
		.amdhsa_exception_fp_ieee_underflow 0
		.amdhsa_exception_fp_ieee_inexact 0
		.amdhsa_exception_int_div_zero 0
	.end_amdhsa_kernel
	.section	.text._ZL20rocblas_gemvt_kernelILb0ELi256EPKdS1_KPdEviiT2_lPKT1_lilS7_lilS4_lPT3_lili,"axG",@progbits,_ZL20rocblas_gemvt_kernelILb0ELi256EPKdS1_KPdEviiT2_lPKT1_lilS7_lilS4_lPT3_lili,comdat
.Lfunc_end272:
	.size	_ZL20rocblas_gemvt_kernelILb0ELi256EPKdS1_KPdEviiT2_lPKT1_lilS7_lilS4_lPT3_lili, .Lfunc_end272-_ZL20rocblas_gemvt_kernelILb0ELi256EPKdS1_KPdEviiT2_lPKT1_lilS7_lilS4_lPT3_lili
                                        ; -- End function
	.set _ZL20rocblas_gemvt_kernelILb0ELi256EPKdS1_KPdEviiT2_lPKT1_lilS7_lilS4_lPT3_lili.num_vgpr, 28
	.set _ZL20rocblas_gemvt_kernelILb0ELi256EPKdS1_KPdEviiT2_lPKT1_lilS7_lilS4_lPT3_lili.num_agpr, 0
	.set _ZL20rocblas_gemvt_kernelILb0ELi256EPKdS1_KPdEviiT2_lPKT1_lilS7_lilS4_lPT3_lili.numbered_sgpr, 48
	.set _ZL20rocblas_gemvt_kernelILb0ELi256EPKdS1_KPdEviiT2_lPKT1_lilS7_lilS4_lPT3_lili.num_named_barrier, 0
	.set _ZL20rocblas_gemvt_kernelILb0ELi256EPKdS1_KPdEviiT2_lPKT1_lilS7_lilS4_lPT3_lili.private_seg_size, 0
	.set _ZL20rocblas_gemvt_kernelILb0ELi256EPKdS1_KPdEviiT2_lPKT1_lilS7_lilS4_lPT3_lili.uses_vcc, 1
	.set _ZL20rocblas_gemvt_kernelILb0ELi256EPKdS1_KPdEviiT2_lPKT1_lilS7_lilS4_lPT3_lili.uses_flat_scratch, 0
	.set _ZL20rocblas_gemvt_kernelILb0ELi256EPKdS1_KPdEviiT2_lPKT1_lilS7_lilS4_lPT3_lili.has_dyn_sized_stack, 0
	.set _ZL20rocblas_gemvt_kernelILb0ELi256EPKdS1_KPdEviiT2_lPKT1_lilS7_lilS4_lPT3_lili.has_recursion, 0
	.set _ZL20rocblas_gemvt_kernelILb0ELi256EPKdS1_KPdEviiT2_lPKT1_lilS7_lilS4_lPT3_lili.has_indirect_call, 0
	.section	.AMDGPU.csdata,"",@progbits
; Kernel info:
; codeLenInByte = 1452
; TotalNumSgprs: 50
; NumVgprs: 28
; ScratchSize: 0
; MemoryBound: 1
; FloatMode: 240
; IeeeMode: 1
; LDSByteSize: 2048 bytes/workgroup (compile time only)
; SGPRBlocks: 0
; VGPRBlocks: 1
; NumSGPRsForWavesPerEU: 50
; NumVGPRsForWavesPerEU: 28
; NamedBarCnt: 0
; Occupancy: 16
; WaveLimiterHint : 1
; COMPUTE_PGM_RSRC2:SCRATCH_EN: 0
; COMPUTE_PGM_RSRC2:USER_SGPR: 2
; COMPUTE_PGM_RSRC2:TRAP_HANDLER: 0
; COMPUTE_PGM_RSRC2:TGID_X_EN: 1
; COMPUTE_PGM_RSRC2:TGID_Y_EN: 0
; COMPUTE_PGM_RSRC2:TGID_Z_EN: 1
; COMPUTE_PGM_RSRC2:TIDIG_COMP_CNT: 0
	.section	.text._ZL20rocblas_gemvt_kernelILb0ELi256EPKddKPdEviiT2_lPKT1_lilS7_lilS4_lPT3_lili,"axG",@progbits,_ZL20rocblas_gemvt_kernelILb0ELi256EPKddKPdEviiT2_lPKT1_lilS7_lilS4_lPT3_lili,comdat
	.globl	_ZL20rocblas_gemvt_kernelILb0ELi256EPKddKPdEviiT2_lPKT1_lilS7_lilS4_lPT3_lili ; -- Begin function _ZL20rocblas_gemvt_kernelILb0ELi256EPKddKPdEviiT2_lPKT1_lilS7_lilS4_lPT3_lili
	.p2align	8
	.type	_ZL20rocblas_gemvt_kernelILb0ELi256EPKddKPdEviiT2_lPKT1_lilS7_lilS4_lPT3_lili,@function
_ZL20rocblas_gemvt_kernelILb0ELi256EPKddKPdEviiT2_lPKT1_lilS7_lilS4_lPT3_lili: ; @_ZL20rocblas_gemvt_kernelILb0ELi256EPKddKPdEviiT2_lPKT1_lilS7_lilS4_lPT3_lili
; %bb.0:
	s_load_b32 s9, s[0:1], 0x88
	s_bfe_u32 s2, ttmp6, 0x40014
	s_lshr_b32 s3, ttmp7, 16
	s_add_co_i32 s2, s2, 1
	s_bfe_u32 s5, ttmp6, 0x40008
	s_mul_i32 s4, s3, s2
	s_getreg_b32 s2, hwreg(HW_REG_IB_STS2, 6, 4)
	s_add_co_i32 s5, s5, s4
	s_cmp_eq_u32 s2, 0
	s_mov_b32 s11, 0
	s_cselect_b32 s10, s3, s5
	s_wait_kmcnt 0x0
	s_cmp_ge_u32 s10, s9
	s_cbranch_scc1 .LBB273_47
; %bb.1:
	s_clause 0x6
	s_load_b64 s[24:25], s[0:1], 0x58
	s_load_b64 s[26:27], s[0:1], 0x8
	s_load_b128 s[12:15], s[0:1], 0x68
	s_load_b32 s4, s[0:1], 0x28
	s_load_b32 s34, s[0:1], 0x48
	s_load_b32 s6, s[0:1], 0x78
	s_load_b32 s29, s[0:1], 0x0
	s_bfe_u32 s5, ttmp6, 0x4000c
	s_and_b32 s7, ttmp6, 15
	s_add_co_i32 s5, s5, 1
	v_lshlrev_b32_e32 v19, 3, v0
	s_mul_i32 s5, ttmp9, s5
	s_delay_alu instid0(SALU_CYCLE_1)
	s_add_co_i32 s16, s7, s5
	s_wait_kmcnt 0x0
	s_ashr_i32 s5, s4, 31
	v_cmp_neq_f64_e64 s3, s[24:25], 1.0
	v_cmp_neq_f64_e64 s8, s[26:27], 0
	s_ashr_i32 s35, s34, 31
	s_ashr_i32 s7, s6, 31
	v_cmp_gt_i32_e32 vcc_lo, s29, v0
	v_cmp_eq_f64_e64 s39, s[26:27], 0
	v_cmp_neq_f64_e64 s40, s[24:25], 0
	v_cndmask_b32_e32 v8, 0, v0, vcc_lo
	s_or_b32 s33, s8, s3
	s_cmp_eq_u32 s2, 0
	v_cndmask_b32_e64 v18, 0, 1, s8
	s_cselect_b32 s2, ttmp9, s16
	s_ashr_i32 s3, s29, 31
	s_clause 0x1
	s_load_b128 s[16:19], s[0:1], 0x18
	s_load_b128 s[20:23], s[0:1], 0x38
	s_lshr_b32 s3, s3, 24
	s_wait_xcnt 0x0
	v_cmp_eq_u32_e64 s0, 0, v0
	s_add_co_i32 s3, s29, s3
	v_cmp_gt_u32_e64 s8, 2, v0
	s_and_b32 s28, s3, 0xffffff00
	s_delay_alu instid0(SALU_CYCLE_1) | instskip(SKIP_3) | instid1(VALU_DEP_1)
	v_dual_mov_b32 v1, 0 :: v_dual_bitop2_b32 v6, s28, v0 bitop3:0x54
	s_ashr_i32 s3, s2, 31
	s_cmp_gt_i32 s29, 0xff
	s_mul_u64 s[36:37], s[6:7], s[2:3]
	v_mul_u64_e32 v[4:5], s[34:35], v[0:1]
	v_ashrrev_i32_e32 v7, 31, v6
	s_mul_u64 s[30:31], s[4:5], s[2:3]
	v_cmp_gt_i32_e64 s1, s29, v6
	v_cmp_gt_u32_e64 s2, 0x80, v0
	v_cmp_gt_u32_e64 s3, 64, v0
	v_mul_u64_e32 v[2:3], s[34:35], v[6:7]
	v_cmp_gt_u32_e64 s4, 32, v0
	v_cmp_gt_u32_e64 s5, 16, v0
	;; [unrolled: 1-line block ×4, first 2 shown]
	v_lshlrev_b32_e32 v0, 3, v8
	s_cselect_b32 s38, -1, 0
	s_ashr_i32 s29, s28, 31
	s_lshl_b64 s[34:35], s[34:35], 11
	s_wait_kmcnt 0x0
	s_lshl_b64 s[18:19], s[18:19], 3
	s_lshl_b64 s[22:23], s[22:23], 3
	;; [unrolled: 1-line block ×4, first 2 shown]
	v_lshlrev_b64_e32 v[4:5], 3, v[4:5]
	s_branch .LBB273_4
.LBB273_2:                              ;   in Loop: Header=BB273_4 Depth=1
	s_wait_xcnt 0x0
	s_or_b32 exec_lo, exec_lo, s42
.LBB273_3:                              ;   in Loop: Header=BB273_4 Depth=1
	s_add_co_i32 s10, s10, 0x10000
	s_delay_alu instid0(SALU_CYCLE_1)
	s_cmp_lt_u32 s10, s9
	s_cbranch_scc0 .LBB273_47
.LBB273_4:                              ; =>This Loop Header: Depth=1
                                        ;     Child Loop BB273_21 Depth 2
	s_and_not1_b32 vcc_lo, exec_lo, s33
	s_cbranch_vccnz .LBB273_3
; %bb.5:                                ;   in Loop: Header=BB273_4 Depth=1
	s_and_not1_b32 vcc_lo, exec_lo, s39
	s_cbranch_vccnz .LBB273_7
; %bb.6:                                ;   in Loop: Header=BB273_4 Depth=1
	v_mov_b64_e32 v[8:9], 0
	v_mov_b64_e32 v[10:11], 0
	s_cbranch_execz .LBB273_8
	s_branch .LBB273_9
.LBB273_7:                              ;   in Loop: Header=BB273_4 Depth=1
	v_mov_b64_e32 v[8:9], 0
	v_mov_b64_e32 v[10:11], 0
.LBB273_8:                              ;   in Loop: Header=BB273_4 Depth=1
	s_lshl_b64 s[42:43], s[10:11], 3
	s_delay_alu instid0(SALU_CYCLE_1)
	s_add_nc_u64 s[42:43], s[16:17], s[42:43]
	global_load_b64 v[6:7], v1, s[42:43]
	s_wait_loadcnt 0x0
	v_add_nc_u64_e32 v[10:11], s[18:19], v[6:7]
.LBB273_9:                              ;   in Loop: Header=BB273_4 Depth=1
	v_cmp_ne_u32_e32 vcc_lo, 1, v18
	s_cbranch_vccnz .LBB273_11
; %bb.10:                               ;   in Loop: Header=BB273_4 Depth=1
	s_wait_xcnt 0x0
	s_lshl_b64 s[42:43], s[10:11], 3
	s_delay_alu instid0(SALU_CYCLE_1)
	s_add_nc_u64 s[42:43], s[20:21], s[42:43]
	global_load_b64 v[6:7], v1, s[42:43]
	s_wait_loadcnt 0x0
	v_add_nc_u64_e32 v[8:9], s[22:23], v[6:7]
.LBB273_11:                             ;   in Loop: Header=BB273_4 Depth=1
	s_wait_xcnt 0x0
	s_lshl_b64 s[42:43], s[10:11], 3
	s_and_not1_b32 vcc_lo, exec_lo, s39
	s_add_nc_u64 s[42:43], s[12:13], s[42:43]
	global_load_b64 v[6:7], v1, s[42:43]
	s_wait_loadcnt 0x0
	v_add_nc_u64_e32 v[6:7], s[14:15], v[6:7]
	s_cbranch_vccnz .LBB273_15
; %bb.12:                               ;   in Loop: Header=BB273_4 Depth=1
	s_wait_xcnt 0x0
	s_mov_b32 s42, 0
	s_mov_b32 s41, 0
                                        ; implicit-def: $vgpr12_vgpr13
	s_and_saveexec_b32 s43, s0
	s_cbranch_execz .LBB273_16
; %bb.13:                               ;   in Loop: Header=BB273_4 Depth=1
	s_and_not1_b32 vcc_lo, exec_lo, s40
	s_cbranch_vccnz .LBB273_17
; %bb.14:                               ;   in Loop: Header=BB273_4 Depth=1
	v_add_nc_u64_e32 v[12:13], s[36:37], v[6:7]
	flat_load_b64 v[12:13], v[12:13]
	s_wait_loadcnt_dscnt 0x0
	s_wait_xcnt 0x0
	v_mul_f64_e32 v[12:13], s[24:25], v[12:13]
	s_branch .LBB273_18
.LBB273_15:                             ;   in Loop: Header=BB273_4 Depth=1
	s_wait_xcnt 0x0
	s_mov_b32 s41, 0
                                        ; implicit-def: $vgpr12_vgpr13
	s_cbranch_execnz .LBB273_19
	s_branch .LBB273_45
.LBB273_16:                             ;   in Loop: Header=BB273_4 Depth=1
	s_or_b32 exec_lo, exec_lo, s43
	s_delay_alu instid0(SALU_CYCLE_1)
	s_and_b32 vcc_lo, exec_lo, s42
	s_cbranch_vccnz .LBB273_19
	s_branch .LBB273_45
.LBB273_17:                             ;   in Loop: Header=BB273_4 Depth=1
	v_mov_b64_e32 v[12:13], 0
.LBB273_18:                             ;   in Loop: Header=BB273_4 Depth=1
	s_mov_b32 s41, exec_lo
	s_or_b32 exec_lo, exec_lo, s43
	s_delay_alu instid0(SALU_CYCLE_1)
	s_and_b32 vcc_lo, exec_lo, s42
	s_cbranch_vccz .LBB273_45
.LBB273_19:                             ;   in Loop: Header=BB273_4 Depth=1
	v_add_nc_u64_e32 v[12:13], v[10:11], v[0:1]
	v_mov_b64_e32 v[10:11], 0
	s_and_not1_b32 vcc_lo, exec_lo, s38
	s_delay_alu instid0(VALU_DEP_2)
	v_lshl_add_u64 v[12:13], s[30:31], 3, v[12:13]
	s_cbranch_vccnz .LBB273_22
; %bb.20:                               ;   in Loop: Header=BB273_4 Depth=1
	v_add_nc_u64_e32 v[14:15], v[8:9], v[4:5]
	v_mov_b64_e32 v[10:11], 0
	s_delay_alu instid0(VALU_DEP_3)
	v_mov_b64_e32 v[16:17], v[12:13]
	s_mov_b32 s42, 0
.LBB273_21:                             ;   Parent Loop BB273_4 Depth=1
                                        ; =>  This Inner Loop Header: Depth=2
	flat_load_b64 v[20:21], v[16:17]
	flat_load_b64 v[22:23], v[14:15]
	s_wait_xcnt 0x0
	v_add_nc_u64_e32 v[14:15], s[34:35], v[14:15]
	v_add_nc_u64_e32 v[16:17], 0x800, v[16:17]
	s_addk_co_i32 s42, 0x100
	s_delay_alu instid0(SALU_CYCLE_1)
	s_cmp_ge_i32 s42, s28
	s_wait_loadcnt_dscnt 0x0
	v_fmac_f64_e32 v[10:11], v[20:21], v[22:23]
	s_cbranch_scc0 .LBB273_21
.LBB273_22:                             ;   in Loop: Header=BB273_4 Depth=1
	s_and_saveexec_b32 s42, s1
	s_cbranch_execz .LBB273_24
; %bb.23:                               ;   in Loop: Header=BB273_4 Depth=1
	s_delay_alu instid0(VALU_DEP_1)
	v_lshl_add_u64 v[12:13], s[28:29], 3, v[12:13]
	v_lshl_add_u64 v[8:9], v[2:3], 3, v[8:9]
	flat_load_b64 v[14:15], v[12:13]
	flat_load_b64 v[16:17], v[8:9]
	s_wait_loadcnt_dscnt 0x0
	v_fmac_f64_e32 v[10:11], v[14:15], v[16:17]
.LBB273_24:                             ;   in Loop: Header=BB273_4 Depth=1
	s_wait_xcnt 0x0
	s_or_b32 exec_lo, exec_lo, s42
	ds_store_b64 v19, v[10:11]
	s_wait_dscnt 0x0
	s_barrier_signal -1
	s_barrier_wait -1
	s_and_saveexec_b32 s42, s2
	s_cbranch_execz .LBB273_26
; %bb.25:                               ;   in Loop: Header=BB273_4 Depth=1
	ds_load_2addr_stride64_b64 v[8:11], v19 offset1:2
	s_wait_dscnt 0x0
	v_add_f64_e32 v[8:9], v[10:11], v[8:9]
	ds_store_b64 v19, v[8:9]
.LBB273_26:                             ;   in Loop: Header=BB273_4 Depth=1
	s_or_b32 exec_lo, exec_lo, s42
	s_wait_dscnt 0x0
	s_barrier_signal -1
	s_barrier_wait -1
	s_and_saveexec_b32 s42, s3
	s_cbranch_execz .LBB273_28
; %bb.27:                               ;   in Loop: Header=BB273_4 Depth=1
	ds_load_2addr_stride64_b64 v[8:11], v19 offset1:1
	s_wait_dscnt 0x0
	v_add_f64_e32 v[8:9], v[10:11], v[8:9]
	ds_store_b64 v19, v[8:9]
.LBB273_28:                             ;   in Loop: Header=BB273_4 Depth=1
	s_or_b32 exec_lo, exec_lo, s42
	s_wait_dscnt 0x0
	s_barrier_signal -1
	s_barrier_wait -1
	s_and_saveexec_b32 s42, s4
	s_cbranch_execz .LBB273_30
; %bb.29:                               ;   in Loop: Header=BB273_4 Depth=1
	ds_load_2addr_b64 v[8:11], v19 offset1:32
	s_wait_dscnt 0x0
	v_add_f64_e32 v[8:9], v[10:11], v[8:9]
	ds_store_b64 v19, v[8:9]
.LBB273_30:                             ;   in Loop: Header=BB273_4 Depth=1
	s_or_b32 exec_lo, exec_lo, s42
	s_wait_dscnt 0x0
	s_barrier_signal -1
	s_barrier_wait -1
	s_and_saveexec_b32 s42, s5
	s_cbranch_execz .LBB273_32
; %bb.31:                               ;   in Loop: Header=BB273_4 Depth=1
	ds_load_2addr_b64 v[8:11], v19 offset1:16
	s_wait_dscnt 0x0
	v_add_f64_e32 v[8:9], v[10:11], v[8:9]
	ds_store_b64 v19, v[8:9]
.LBB273_32:                             ;   in Loop: Header=BB273_4 Depth=1
	s_or_b32 exec_lo, exec_lo, s42
	s_wait_dscnt 0x0
	s_barrier_signal -1
	s_barrier_wait -1
	s_and_saveexec_b32 s42, s6
	s_cbranch_execz .LBB273_34
; %bb.33:                               ;   in Loop: Header=BB273_4 Depth=1
	ds_load_2addr_b64 v[8:11], v19 offset1:8
	s_wait_dscnt 0x0
	v_add_f64_e32 v[8:9], v[10:11], v[8:9]
	ds_store_b64 v19, v[8:9]
.LBB273_34:                             ;   in Loop: Header=BB273_4 Depth=1
	s_or_b32 exec_lo, exec_lo, s42
	s_wait_dscnt 0x0
	s_barrier_signal -1
	s_barrier_wait -1
	s_and_saveexec_b32 s42, s7
	s_cbranch_execz .LBB273_36
; %bb.35:                               ;   in Loop: Header=BB273_4 Depth=1
	ds_load_2addr_b64 v[8:11], v19 offset1:4
	s_wait_dscnt 0x0
	v_add_f64_e32 v[8:9], v[10:11], v[8:9]
	ds_store_b64 v19, v[8:9]
.LBB273_36:                             ;   in Loop: Header=BB273_4 Depth=1
	s_or_b32 exec_lo, exec_lo, s42
	s_wait_dscnt 0x0
	s_barrier_signal -1
	s_barrier_wait -1
	s_and_saveexec_b32 s42, s8
	s_cbranch_execz .LBB273_38
; %bb.37:                               ;   in Loop: Header=BB273_4 Depth=1
	ds_load_2addr_b64 v[8:11], v19 offset1:2
	s_wait_dscnt 0x0
	v_add_f64_e32 v[8:9], v[10:11], v[8:9]
	ds_store_b64 v19, v[8:9]
.LBB273_38:                             ;   in Loop: Header=BB273_4 Depth=1
	s_or_b32 exec_lo, exec_lo, s42
	s_wait_dscnt 0x0
	s_barrier_signal -1
	s_barrier_wait -1
	s_and_saveexec_b32 s42, s0
	s_cbranch_execz .LBB273_40
; %bb.39:                               ;   in Loop: Header=BB273_4 Depth=1
	ds_load_b128 v[8:11], v1
	s_wait_dscnt 0x0
	v_add_f64_e32 v[8:9], v[10:11], v[8:9]
	ds_store_b64 v1, v[8:9]
.LBB273_40:                             ;   in Loop: Header=BB273_4 Depth=1
	s_or_b32 exec_lo, exec_lo, s42
	s_wait_dscnt 0x0
	s_barrier_signal -1
	s_barrier_wait -1
                                        ; implicit-def: $vgpr12_vgpr13
	s_and_saveexec_b32 s42, s0
	s_cbranch_execz .LBB273_44
; %bb.41:                               ;   in Loop: Header=BB273_4 Depth=1
	ds_load_b64 v[8:9], v1
	s_and_not1_b32 vcc_lo, exec_lo, s40
	s_wait_dscnt 0x0
	v_mul_f64_e32 v[12:13], s[26:27], v[8:9]
	s_cbranch_vccnz .LBB273_43
; %bb.42:                               ;   in Loop: Header=BB273_4 Depth=1
	v_add_nc_u64_e32 v[8:9], s[36:37], v[6:7]
	flat_load_b64 v[8:9], v[8:9]
	s_wait_loadcnt_dscnt 0x0
	v_fmac_f64_e32 v[12:13], s[24:25], v[8:9]
.LBB273_43:                             ;   in Loop: Header=BB273_4 Depth=1
	s_or_b32 s41, s41, exec_lo
.LBB273_44:                             ;   in Loop: Header=BB273_4 Depth=1
	s_wait_xcnt 0x0
	s_or_b32 exec_lo, exec_lo, s42
.LBB273_45:                             ;   in Loop: Header=BB273_4 Depth=1
	s_and_saveexec_b32 s42, s41
	s_cbranch_execz .LBB273_2
; %bb.46:                               ;   in Loop: Header=BB273_4 Depth=1
	v_add_nc_u64_e32 v[6:7], s[36:37], v[6:7]
	flat_store_b64 v[6:7], v[12:13]
	s_branch .LBB273_2
.LBB273_47:
	s_endpgm
	.section	.rodata,"a",@progbits
	.p2align	6, 0x0
	.amdhsa_kernel _ZL20rocblas_gemvt_kernelILb0ELi256EPKddKPdEviiT2_lPKT1_lilS7_lilS4_lPT3_lili
		.amdhsa_group_segment_fixed_size 2048
		.amdhsa_private_segment_fixed_size 0
		.amdhsa_kernarg_size 140
		.amdhsa_user_sgpr_count 2
		.amdhsa_user_sgpr_dispatch_ptr 0
		.amdhsa_user_sgpr_queue_ptr 0
		.amdhsa_user_sgpr_kernarg_segment_ptr 1
		.amdhsa_user_sgpr_dispatch_id 0
		.amdhsa_user_sgpr_kernarg_preload_length 0
		.amdhsa_user_sgpr_kernarg_preload_offset 0
		.amdhsa_user_sgpr_private_segment_size 0
		.amdhsa_wavefront_size32 1
		.amdhsa_uses_dynamic_stack 0
		.amdhsa_enable_private_segment 0
		.amdhsa_system_sgpr_workgroup_id_x 1
		.amdhsa_system_sgpr_workgroup_id_y 0
		.amdhsa_system_sgpr_workgroup_id_z 1
		.amdhsa_system_sgpr_workgroup_info 0
		.amdhsa_system_vgpr_workitem_id 0
		.amdhsa_next_free_vgpr 24
		.amdhsa_next_free_sgpr 44
		.amdhsa_named_barrier_count 0
		.amdhsa_reserve_vcc 1
		.amdhsa_float_round_mode_32 0
		.amdhsa_float_round_mode_16_64 0
		.amdhsa_float_denorm_mode_32 3
		.amdhsa_float_denorm_mode_16_64 3
		.amdhsa_fp16_overflow 0
		.amdhsa_memory_ordered 1
		.amdhsa_forward_progress 1
		.amdhsa_inst_pref_size 12
		.amdhsa_round_robin_scheduling 0
		.amdhsa_exception_fp_ieee_invalid_op 0
		.amdhsa_exception_fp_denorm_src 0
		.amdhsa_exception_fp_ieee_div_zero 0
		.amdhsa_exception_fp_ieee_overflow 0
		.amdhsa_exception_fp_ieee_underflow 0
		.amdhsa_exception_fp_ieee_inexact 0
		.amdhsa_exception_int_div_zero 0
	.end_amdhsa_kernel
	.section	.text._ZL20rocblas_gemvt_kernelILb0ELi256EPKddKPdEviiT2_lPKT1_lilS7_lilS4_lPT3_lili,"axG",@progbits,_ZL20rocblas_gemvt_kernelILb0ELi256EPKddKPdEviiT2_lPKT1_lilS7_lilS4_lPT3_lili,comdat
.Lfunc_end273:
	.size	_ZL20rocblas_gemvt_kernelILb0ELi256EPKddKPdEviiT2_lPKT1_lilS7_lilS4_lPT3_lili, .Lfunc_end273-_ZL20rocblas_gemvt_kernelILb0ELi256EPKddKPdEviiT2_lPKT1_lilS7_lilS4_lPT3_lili
                                        ; -- End function
	.set _ZL20rocblas_gemvt_kernelILb0ELi256EPKddKPdEviiT2_lPKT1_lilS7_lilS4_lPT3_lili.num_vgpr, 24
	.set _ZL20rocblas_gemvt_kernelILb0ELi256EPKddKPdEviiT2_lPKT1_lilS7_lilS4_lPT3_lili.num_agpr, 0
	.set _ZL20rocblas_gemvt_kernelILb0ELi256EPKddKPdEviiT2_lPKT1_lilS7_lilS4_lPT3_lili.numbered_sgpr, 44
	.set _ZL20rocblas_gemvt_kernelILb0ELi256EPKddKPdEviiT2_lPKT1_lilS7_lilS4_lPT3_lili.num_named_barrier, 0
	.set _ZL20rocblas_gemvt_kernelILb0ELi256EPKddKPdEviiT2_lPKT1_lilS7_lilS4_lPT3_lili.private_seg_size, 0
	.set _ZL20rocblas_gemvt_kernelILb0ELi256EPKddKPdEviiT2_lPKT1_lilS7_lilS4_lPT3_lili.uses_vcc, 1
	.set _ZL20rocblas_gemvt_kernelILb0ELi256EPKddKPdEviiT2_lPKT1_lilS7_lilS4_lPT3_lili.uses_flat_scratch, 0
	.set _ZL20rocblas_gemvt_kernelILb0ELi256EPKddKPdEviiT2_lPKT1_lilS7_lilS4_lPT3_lili.has_dyn_sized_stack, 0
	.set _ZL20rocblas_gemvt_kernelILb0ELi256EPKddKPdEviiT2_lPKT1_lilS7_lilS4_lPT3_lili.has_recursion, 0
	.set _ZL20rocblas_gemvt_kernelILb0ELi256EPKddKPdEviiT2_lPKT1_lilS7_lilS4_lPT3_lili.has_indirect_call, 0
	.section	.AMDGPU.csdata,"",@progbits
; Kernel info:
; codeLenInByte = 1436
; TotalNumSgprs: 46
; NumVgprs: 24
; ScratchSize: 0
; MemoryBound: 1
; FloatMode: 240
; IeeeMode: 1
; LDSByteSize: 2048 bytes/workgroup (compile time only)
; SGPRBlocks: 0
; VGPRBlocks: 1
; NumSGPRsForWavesPerEU: 46
; NumVGPRsForWavesPerEU: 24
; NamedBarCnt: 0
; Occupancy: 16
; WaveLimiterHint : 1
; COMPUTE_PGM_RSRC2:SCRATCH_EN: 0
; COMPUTE_PGM_RSRC2:USER_SGPR: 2
; COMPUTE_PGM_RSRC2:TRAP_HANDLER: 0
; COMPUTE_PGM_RSRC2:TGID_X_EN: 1
; COMPUTE_PGM_RSRC2:TGID_Y_EN: 0
; COMPUTE_PGM_RSRC2:TGID_Z_EN: 1
; COMPUTE_PGM_RSRC2:TIDIG_COMP_CNT: 0
	.section	.text._ZL32rocblas_gemvt_warp_reduce_kernelILb0ELi1024EiPKdS1_KPdEviiT3_lPKT2_lT1_lS7_lS8_lS4_lPT4_lS8_li,"axG",@progbits,_ZL32rocblas_gemvt_warp_reduce_kernelILb0ELi1024EiPKdS1_KPdEviiT3_lPKT2_lT1_lS7_lS8_lS4_lPT4_lS8_li,comdat
	.globl	_ZL32rocblas_gemvt_warp_reduce_kernelILb0ELi1024EiPKdS1_KPdEviiT3_lPKT2_lT1_lS7_lS8_lS4_lPT4_lS8_li ; -- Begin function _ZL32rocblas_gemvt_warp_reduce_kernelILb0ELi1024EiPKdS1_KPdEviiT3_lPKT2_lT1_lS7_lS8_lS4_lPT4_lS8_li
	.p2align	8
	.type	_ZL32rocblas_gemvt_warp_reduce_kernelILb0ELi1024EiPKdS1_KPdEviiT3_lPKT2_lT1_lS7_lS8_lS4_lPT4_lS8_li,@function
_ZL32rocblas_gemvt_warp_reduce_kernelILb0ELi1024EiPKdS1_KPdEviiT3_lPKT2_lT1_lS7_lS8_lS4_lPT4_lS8_li: ; @_ZL32rocblas_gemvt_warp_reduce_kernelILb0ELi1024EiPKdS1_KPdEviiT3_lPKT2_lT1_lS7_lS8_lS4_lPT4_lS8_li
; %bb.0:
	s_load_b32 s7, s[0:1], 0x88
	s_bfe_u32 s2, ttmp6, 0x40014
	s_lshr_b32 s3, ttmp7, 16
	s_add_co_i32 s2, s2, 1
	s_bfe_u32 s5, ttmp6, 0x40008
	s_mul_i32 s4, s3, s2
	s_getreg_b32 s2, hwreg(HW_REG_IB_STS2, 6, 4)
	s_add_co_i32 s5, s5, s4
	s_cmp_eq_u32 s2, 0
	s_mov_b32 s29, 0
	s_cselect_b32 s28, s3, s5
	s_wait_kmcnt 0x0
	s_cmp_ge_u32 s28, s7
	s_cbranch_scc1 .LBB274_37
; %bb.1:
	s_clause 0x6
	s_load_b32 s4, s[0:1], 0x0
	s_load_b256 s[8:15], s[0:1], 0x8
	s_load_b32 s3, s[0:1], 0x28
	s_load_b128 s[24:27], s[0:1], 0x38
	s_load_b32 s5, s[0:1], 0x48
	s_load_b256 s[16:23], s[0:1], 0x58
	s_load_b32 s6, s[0:1], 0x78
	s_wait_xcnt 0x0
	s_bfe_u32 s1, ttmp6, 0x4000c
	s_and_b32 s30, ttmp6, 15
	s_add_co_i32 s1, s1, 1
	v_dual_mov_b32 v3, 0 :: v_dual_bitop2_b32 v2, 31, v0 bitop3:0x40
	s_mul_i32 s31, ttmp9, s1
	v_lshrrev_b32_e32 v6, 2, v0
	s_add_co_i32 s30, s30, s31
	s_cmp_eq_u32 s2, 0
	v_lshlrev_b32_e32 v22, 3, v2
	s_cselect_b32 s31, ttmp9, s30
	v_and_b32_e32 v23, 0xf8, v6
	v_mbcnt_lo_u32_b32 v1, -1, 0
	s_wait_kmcnt 0x0
	s_ashr_i32 s2, s4, 31
	v_cmp_gt_i32_e32 vcc_lo, s4, v0
	s_lshr_b32 s2, s2, 22
	v_mov_b64_e32 v[4:5], 0
	s_add_co_i32 s2, s4, s2
	v_mul_lo_u32 v24, v0, s5
	s_and_b32 s30, s2, 0xfffffc00
	v_cmp_eq_u32_e64 s2, 0, v2
	v_dual_cndmask_b32 v2, 0, v0, vcc_lo :: v_dual_bitop2_b32 v7, s30, v0 bitop3:0x54
	s_mul_i32 s36, s6, s31
	v_cmp_eq_u32_e64 s0, 0, v0
	v_cmp_gt_u32_e64 s1, 32, v0
	s_delay_alu instid0(VALU_DEP_3)
	v_mul_lo_u32 v6, s5, v7
	s_mul_i32 s34, s3, s31
	v_lshlrev_b32_e32 v2, 3, v2
	v_cmp_gt_i32_e64 s3, s30, v0
	v_cmp_gt_i32_e64 s4, s4, v7
	v_lshl_or_b32 v25, v1, 2, 64
	s_ashr_i32 s37, s36, 31
	s_lshl_b32 s33, s5, 10
	s_lshl_b64 s[14:15], s[14:15], 3
	s_ashr_i32 s35, s34, 31
	s_ashr_i32 s31, s30, 31
	v_ashrrev_i32_e32 v7, 31, v6
	s_lshl_b64 s[26:27], s[26:27], 3
	s_lshl_b64 s[22:23], s[22:23], 3
	;; [unrolled: 1-line block ×3, first 2 shown]
	s_branch .LBB274_4
.LBB274_2:                              ;   in Loop: Header=BB274_4 Depth=1
	s_wait_xcnt 0x0
	s_or_b32 exec_lo, exec_lo, s6
.LBB274_3:                              ;   in Loop: Header=BB274_4 Depth=1
	s_add_co_i32 s28, s28, 0x10000
	s_delay_alu instid0(SALU_CYCLE_1)
	s_cmp_lt_u32 s28, s7
	s_cbranch_scc0 .LBB274_37
.LBB274_4:                              ; =>This Loop Header: Depth=1
                                        ;     Child Loop BB274_26 Depth 2
	s_wait_xcnt 0x1
	s_mul_u64 s[38:39], s[10:11], s[28:29]
	s_wait_xcnt 0x0
	s_mul_u64 s[40:41], s[18:19], s[28:29]
	s_lshl_b64 s[38:39], s[38:39], 3
	s_lshl_b64 s[40:41], s[40:41], 3
	s_add_nc_u64 s[38:39], s[8:9], s[38:39]
	s_add_nc_u64 s[40:41], s[16:17], s[40:41]
	s_clause 0x1
	global_load_b64 v[10:11], v3, s[38:39]
	global_load_b64 v[8:9], v3, s[40:41]
	s_wait_loadcnt 0x1
	v_cmp_eq_f64_e64 s5, 0, v[10:11]
	s_wait_loadcnt 0x0
	v_cmp_eq_f64_e32 vcc_lo, 1.0, v[8:9]
	s_and_b32 s6, s5, vcc_lo
	s_delay_alu instid0(SALU_CYCLE_1)
	s_and_b32 vcc_lo, exec_lo, s6
	s_cbranch_vccnz .LBB274_3
; %bb.5:                                ;   in Loop: Header=BB274_4 Depth=1
	v_cmp_neq_f64_e64 s6, 0, v[10:11]
	s_wait_dscnt 0x0
	v_mov_b64_e32 v[14:15], 0
	v_mov_b64_e32 v[16:17], 0
	s_and_b32 vcc_lo, exec_lo, s5
	s_cbranch_vccnz .LBB274_7
; %bb.6:                                ;   in Loop: Header=BB274_4 Depth=1
	s_wait_xcnt 0x1
	s_lshl_b64 s[38:39], s[28:29], 3
	s_delay_alu instid0(SALU_CYCLE_1)
	s_add_nc_u64 s[38:39], s[12:13], s[38:39]
	global_load_b64 v[12:13], v3, s[38:39]
	s_wait_loadcnt 0x0
	v_add_nc_u64_e32 v[16:17], s[14:15], v[12:13]
.LBB274_7:                              ;   in Loop: Header=BB274_4 Depth=1
	s_and_not1_b32 vcc_lo, exec_lo, s6
	s_cbranch_vccnz .LBB274_9
; %bb.8:                                ;   in Loop: Header=BB274_4 Depth=1
	s_wait_xcnt 0x0
	s_lshl_b64 s[38:39], s[28:29], 3
	s_delay_alu instid0(SALU_CYCLE_1)
	s_add_nc_u64 s[38:39], s[24:25], s[38:39]
	global_load_b64 v[12:13], v3, s[38:39]
	s_wait_loadcnt 0x0
	v_add_nc_u64_e32 v[14:15], s[26:27], v[12:13]
.LBB274_9:                              ;   in Loop: Header=BB274_4 Depth=1
	s_wait_xcnt 0x0
	s_lshl_b64 s[38:39], s[28:29], 3
	s_and_not1_b32 vcc_lo, exec_lo, s5
	s_add_nc_u64 s[38:39], s[20:21], s[38:39]
	global_load_b64 v[12:13], v3, s[38:39]
	s_wait_loadcnt 0x0
	v_add_nc_u64_e32 v[12:13], s[22:23], v[12:13]
	s_cbranch_vccnz .LBB274_14
; %bb.10:                               ;   in Loop: Header=BB274_4 Depth=1
	s_mov_b32 s6, 0
	s_mov_b32 s5, 0
                                        ; implicit-def: $vgpr18_vgpr19
	s_wait_xcnt 0x0
	s_and_saveexec_b32 s38, s0
	s_cbranch_execz .LBB274_15
; %bb.11:                               ;   in Loop: Header=BB274_4 Depth=1
	v_cmp_eq_f64_e32 vcc_lo, 0, v[8:9]
	v_mov_b64_e32 v[18:19], 0
	s_cbranch_vccnz .LBB274_13
; %bb.12:                               ;   in Loop: Header=BB274_4 Depth=1
	v_add_nc_u64_e32 v[18:19], s[36:37], v[12:13]
	flat_load_b64 v[18:19], v[18:19]
	s_wait_loadcnt_dscnt 0x0
	s_wait_xcnt 0x0
	v_mul_f64_e32 v[18:19], v[8:9], v[18:19]
.LBB274_13:                             ;   in Loop: Header=BB274_4 Depth=1
	s_mov_b32 s5, exec_lo
	s_or_b32 exec_lo, exec_lo, s38
	s_delay_alu instid0(SALU_CYCLE_1)
	s_and_b32 vcc_lo, exec_lo, s6
	s_cbranch_vccnz .LBB274_16
	s_branch .LBB274_35
.LBB274_14:                             ;   in Loop: Header=BB274_4 Depth=1
	s_mov_b32 s5, 0
                                        ; implicit-def: $vgpr18_vgpr19
	s_cbranch_execnz .LBB274_16
	s_branch .LBB274_35
.LBB274_15:                             ;   in Loop: Header=BB274_4 Depth=1
	s_or_b32 exec_lo, exec_lo, s38
	s_delay_alu instid0(SALU_CYCLE_1)
	s_and_b32 vcc_lo, exec_lo, s6
	s_cbranch_vccz .LBB274_35
.LBB274_16:                             ;   in Loop: Header=BB274_4 Depth=1
	v_add_nc_u64_e32 v[18:19], v[16:17], v[2:3]
	v_mov_b64_e32 v[16:17], 0
	s_delay_alu instid0(VALU_DEP_2)
	v_lshl_add_u64 v[18:19], s[34:35], 3, v[18:19]
	s_wait_xcnt 0x0
	s_and_saveexec_b32 s6, s3
	s_cbranch_execnz .LBB274_25
; %bb.17:                               ;   in Loop: Header=BB274_4 Depth=1
	s_or_b32 exec_lo, exec_lo, s6
	s_and_saveexec_b32 s6, s4
	s_cbranch_execnz .LBB274_28
.LBB274_18:                             ;   in Loop: Header=BB274_4 Depth=1
	s_or_b32 exec_lo, exec_lo, s6
	s_and_saveexec_b32 s6, s1
.LBB274_19:                             ;   in Loop: Header=BB274_4 Depth=1
	ds_store_b64 v22, v[4:5]
.LBB274_20:                             ;   in Loop: Header=BB274_4 Depth=1
	s_or_b32 exec_lo, exec_lo, s6
	ds_bpermute_b32 v14, v25, v16
	ds_bpermute_b32 v15, v25, v17
	v_cmp_gt_u32_e32 vcc_lo, 24, v1
	s_wait_dscnt 0x0
	s_barrier_signal -1
	s_barrier_wait -1
	v_add_f64_e32 v[14:15], v[16:17], v[14:15]
	v_cndmask_b32_e64 v16, 0, 8, vcc_lo
	v_cmp_gt_u32_e32 vcc_lo, 28, v1
	s_delay_alu instid0(VALU_DEP_2)
	v_add_lshl_u32 v18, v16, v1, 2
	ds_bpermute_b32 v16, v18, v14
	ds_bpermute_b32 v17, v18, v15
	s_wait_dscnt 0x0
	v_add_f64_e32 v[14:15], v[14:15], v[16:17]
	v_cndmask_b32_e64 v16, 0, 4, vcc_lo
	v_cmp_gt_u32_e32 vcc_lo, 30, v1
	s_delay_alu instid0(VALU_DEP_2)
	v_add_lshl_u32 v19, v16, v1, 2
	ds_bpermute_b32 v16, v19, v14
	ds_bpermute_b32 v17, v19, v15
	s_wait_dscnt 0x0
	v_add_f64_e32 v[14:15], v[14:15], v[16:17]
	v_cndmask_b32_e64 v16, 0, 2, vcc_lo
	v_cmp_ne_u32_e32 vcc_lo, 31, v1
	s_delay_alu instid0(VALU_DEP_2)
	v_add_lshl_u32 v20, v16, v1, 2
	ds_bpermute_b32 v16, v20, v14
	ds_bpermute_b32 v17, v20, v15
	s_wait_dscnt 0x0
	v_add_f64_e32 v[14:15], v[14:15], v[16:17]
	v_add_co_ci_u32_e64 v16, null, 0, v1, vcc_lo
	s_delay_alu instid0(VALU_DEP_1)
	v_lshlrev_b32_e32 v21, 2, v16
	ds_bpermute_b32 v16, v21, v14
	ds_bpermute_b32 v17, v21, v15
	s_and_saveexec_b32 s6, s2
	s_cbranch_execz .LBB274_22
; %bb.21:                               ;   in Loop: Header=BB274_4 Depth=1
	s_wait_dscnt 0x0
	v_add_f64_e32 v[14:15], v[14:15], v[16:17]
	ds_store_b64 v23, v[14:15]
.LBB274_22:                             ;   in Loop: Header=BB274_4 Depth=1
	s_or_b32 exec_lo, exec_lo, s6
	v_mov_b64_e32 v[14:15], 0
	s_wait_dscnt 0x0
	s_barrier_signal -1
	s_barrier_wait -1
	s_and_saveexec_b32 s6, s1
	s_cbranch_execnz .LBB274_29
; %bb.23:                               ;   in Loop: Header=BB274_4 Depth=1
	s_or_b32 exec_lo, exec_lo, s6
	s_and_saveexec_b32 s6, s1
	s_cbranch_execnz .LBB274_30
.LBB274_24:                             ;   in Loop: Header=BB274_4 Depth=1
	s_or_b32 exec_lo, exec_lo, s6
                                        ; implicit-def: $vgpr18_vgpr19
	s_and_saveexec_b32 s6, s0
	s_cbranch_execnz .LBB274_31
	s_branch .LBB274_34
.LBB274_25:                             ;   in Loop: Header=BB274_4 Depth=1
	v_mov_b64_e32 v[16:17], 0
	v_mov_b64_e32 v[20:21], v[18:19]
	v_dual_mov_b32 v26, v0 :: v_dual_mov_b32 v27, v24
	s_mov_b32 s38, 0
.LBB274_26:                             ;   Parent Loop BB274_4 Depth=1
                                        ; =>  This Inner Loop Header: Depth=2
	v_readfirstlane_b32 s40, v14
	v_readfirstlane_b32 s41, v15
	s_delay_alu instid0(VALU_DEP_3)
	v_add_nc_u32_e32 v26, 0x400, v26
	flat_load_b64 v[28:29], v[20:21]
	flat_load_b64 v[30:31], v27, s[40:41] scale_offset
	s_wait_xcnt 0x1
	v_add_nc_u64_e32 v[20:21], 0x2000, v[20:21]
	v_cmp_le_i32_e32 vcc_lo, s30, v26
	s_wait_xcnt 0x0
	v_add_nc_u32_e32 v27, s33, v27
	s_or_b32 s38, vcc_lo, s38
	s_wait_loadcnt_dscnt 0x0
	v_fmac_f64_e32 v[16:17], v[28:29], v[30:31]
	s_and_not1_b32 exec_lo, exec_lo, s38
	s_cbranch_execnz .LBB274_26
; %bb.27:                               ;   in Loop: Header=BB274_4 Depth=1
	s_or_b32 exec_lo, exec_lo, s38
	s_delay_alu instid0(SALU_CYCLE_1)
	s_or_b32 exec_lo, exec_lo, s6
	s_and_saveexec_b32 s6, s4
	s_cbranch_execz .LBB274_18
.LBB274_28:                             ;   in Loop: Header=BB274_4 Depth=1
	v_lshl_add_u64 v[18:19], s[30:31], 3, v[18:19]
	v_lshl_add_u64 v[14:15], v[6:7], 3, v[14:15]
	flat_load_b64 v[20:21], v[18:19]
	flat_load_b64 v[26:27], v[14:15]
	s_wait_loadcnt_dscnt 0x0
	v_fmac_f64_e32 v[16:17], v[20:21], v[26:27]
	s_wait_xcnt 0x0
	s_or_b32 exec_lo, exec_lo, s6
	s_and_saveexec_b32 s6, s1
	s_cbranch_execnz .LBB274_19
	s_branch .LBB274_20
.LBB274_29:                             ;   in Loop: Header=BB274_4 Depth=1
	ds_load_b64 v[14:15], v22
	s_or_b32 exec_lo, exec_lo, s6
	s_and_saveexec_b32 s6, s1
	s_cbranch_execz .LBB274_24
.LBB274_30:                             ;   in Loop: Header=BB274_4 Depth=1
	s_wait_dscnt 0x0
	ds_bpermute_b32 v16, v25, v14
	ds_bpermute_b32 v17, v25, v15
	s_wait_dscnt 0x0
	v_add_f64_e32 v[14:15], v[14:15], v[16:17]
	ds_bpermute_b32 v16, v18, v14
	ds_bpermute_b32 v17, v18, v15
	s_wait_dscnt 0x0
	v_add_f64_e32 v[14:15], v[14:15], v[16:17]
	;; [unrolled: 4-line block ×5, first 2 shown]
	s_or_b32 exec_lo, exec_lo, s6
                                        ; implicit-def: $vgpr18_vgpr19
	s_and_saveexec_b32 s6, s0
	s_cbranch_execz .LBB274_34
.LBB274_31:                             ;   in Loop: Header=BB274_4 Depth=1
	v_cmp_eq_f64_e32 vcc_lo, 0, v[8:9]
	s_wait_dscnt 0x0
	s_delay_alu instid0(VALU_DEP_2)
	v_mul_f64_e32 v[18:19], v[10:11], v[14:15]
	s_cbranch_vccnz .LBB274_33
; %bb.32:                               ;   in Loop: Header=BB274_4 Depth=1
	v_add_nc_u64_e32 v[10:11], s[36:37], v[12:13]
	flat_load_b64 v[10:11], v[10:11]
	s_wait_loadcnt_dscnt 0x0
	v_fmac_f64_e32 v[18:19], v[8:9], v[10:11]
.LBB274_33:                             ;   in Loop: Header=BB274_4 Depth=1
	s_or_b32 s5, s5, exec_lo
.LBB274_34:                             ;   in Loop: Header=BB274_4 Depth=1
	s_wait_xcnt 0x0
	s_or_b32 exec_lo, exec_lo, s6
.LBB274_35:                             ;   in Loop: Header=BB274_4 Depth=1
	s_wait_xcnt 0x0
	s_and_saveexec_b32 s6, s5
	s_cbranch_execz .LBB274_2
; %bb.36:                               ;   in Loop: Header=BB274_4 Depth=1
	v_add_nc_u64_e32 v[8:9], s[36:37], v[12:13]
	flat_store_b64 v[8:9], v[18:19]
	s_branch .LBB274_2
.LBB274_37:
	s_endpgm
	.section	.rodata,"a",@progbits
	.p2align	6, 0x0
	.amdhsa_kernel _ZL32rocblas_gemvt_warp_reduce_kernelILb0ELi1024EiPKdS1_KPdEviiT3_lPKT2_lT1_lS7_lS8_lS4_lPT4_lS8_li
		.amdhsa_group_segment_fixed_size 256
		.amdhsa_private_segment_fixed_size 0
		.amdhsa_kernarg_size 140
		.amdhsa_user_sgpr_count 2
		.amdhsa_user_sgpr_dispatch_ptr 0
		.amdhsa_user_sgpr_queue_ptr 0
		.amdhsa_user_sgpr_kernarg_segment_ptr 1
		.amdhsa_user_sgpr_dispatch_id 0
		.amdhsa_user_sgpr_kernarg_preload_length 0
		.amdhsa_user_sgpr_kernarg_preload_offset 0
		.amdhsa_user_sgpr_private_segment_size 0
		.amdhsa_wavefront_size32 1
		.amdhsa_uses_dynamic_stack 0
		.amdhsa_enable_private_segment 0
		.amdhsa_system_sgpr_workgroup_id_x 1
		.amdhsa_system_sgpr_workgroup_id_y 0
		.amdhsa_system_sgpr_workgroup_id_z 1
		.amdhsa_system_sgpr_workgroup_info 0
		.amdhsa_system_vgpr_workitem_id 0
		.amdhsa_next_free_vgpr 32
		.amdhsa_next_free_sgpr 42
		.amdhsa_named_barrier_count 0
		.amdhsa_reserve_vcc 1
		.amdhsa_float_round_mode_32 0
		.amdhsa_float_round_mode_16_64 0
		.amdhsa_float_denorm_mode_32 3
		.amdhsa_float_denorm_mode_16_64 3
		.amdhsa_fp16_overflow 0
		.amdhsa_memory_ordered 1
		.amdhsa_forward_progress 1
		.amdhsa_inst_pref_size 13
		.amdhsa_round_robin_scheduling 0
		.amdhsa_exception_fp_ieee_invalid_op 0
		.amdhsa_exception_fp_denorm_src 0
		.amdhsa_exception_fp_ieee_div_zero 0
		.amdhsa_exception_fp_ieee_overflow 0
		.amdhsa_exception_fp_ieee_underflow 0
		.amdhsa_exception_fp_ieee_inexact 0
		.amdhsa_exception_int_div_zero 0
	.end_amdhsa_kernel
	.section	.text._ZL32rocblas_gemvt_warp_reduce_kernelILb0ELi1024EiPKdS1_KPdEviiT3_lPKT2_lT1_lS7_lS8_lS4_lPT4_lS8_li,"axG",@progbits,_ZL32rocblas_gemvt_warp_reduce_kernelILb0ELi1024EiPKdS1_KPdEviiT3_lPKT2_lT1_lS7_lS8_lS4_lPT4_lS8_li,comdat
.Lfunc_end274:
	.size	_ZL32rocblas_gemvt_warp_reduce_kernelILb0ELi1024EiPKdS1_KPdEviiT3_lPKT2_lT1_lS7_lS8_lS4_lPT4_lS8_li, .Lfunc_end274-_ZL32rocblas_gemvt_warp_reduce_kernelILb0ELi1024EiPKdS1_KPdEviiT3_lPKT2_lT1_lS7_lS8_lS4_lPT4_lS8_li
                                        ; -- End function
	.set _ZL32rocblas_gemvt_warp_reduce_kernelILb0ELi1024EiPKdS1_KPdEviiT3_lPKT2_lT1_lS7_lS8_lS4_lPT4_lS8_li.num_vgpr, 32
	.set _ZL32rocblas_gemvt_warp_reduce_kernelILb0ELi1024EiPKdS1_KPdEviiT3_lPKT2_lT1_lS7_lS8_lS4_lPT4_lS8_li.num_agpr, 0
	.set _ZL32rocblas_gemvt_warp_reduce_kernelILb0ELi1024EiPKdS1_KPdEviiT3_lPKT2_lT1_lS7_lS8_lS4_lPT4_lS8_li.numbered_sgpr, 42
	.set _ZL32rocblas_gemvt_warp_reduce_kernelILb0ELi1024EiPKdS1_KPdEviiT3_lPKT2_lT1_lS7_lS8_lS4_lPT4_lS8_li.num_named_barrier, 0
	.set _ZL32rocblas_gemvt_warp_reduce_kernelILb0ELi1024EiPKdS1_KPdEviiT3_lPKT2_lT1_lS7_lS8_lS4_lPT4_lS8_li.private_seg_size, 0
	.set _ZL32rocblas_gemvt_warp_reduce_kernelILb0ELi1024EiPKdS1_KPdEviiT3_lPKT2_lT1_lS7_lS8_lS4_lPT4_lS8_li.uses_vcc, 1
	.set _ZL32rocblas_gemvt_warp_reduce_kernelILb0ELi1024EiPKdS1_KPdEviiT3_lPKT2_lT1_lS7_lS8_lS4_lPT4_lS8_li.uses_flat_scratch, 0
	.set _ZL32rocblas_gemvt_warp_reduce_kernelILb0ELi1024EiPKdS1_KPdEviiT3_lPKT2_lT1_lS7_lS8_lS4_lPT4_lS8_li.has_dyn_sized_stack, 0
	.set _ZL32rocblas_gemvt_warp_reduce_kernelILb0ELi1024EiPKdS1_KPdEviiT3_lPKT2_lT1_lS7_lS8_lS4_lPT4_lS8_li.has_recursion, 0
	.set _ZL32rocblas_gemvt_warp_reduce_kernelILb0ELi1024EiPKdS1_KPdEviiT3_lPKT2_lT1_lS7_lS8_lS4_lPT4_lS8_li.has_indirect_call, 0
	.section	.AMDGPU.csdata,"",@progbits
; Kernel info:
; codeLenInByte = 1548
; TotalNumSgprs: 44
; NumVgprs: 32
; ScratchSize: 0
; MemoryBound: 1
; FloatMode: 240
; IeeeMode: 1
; LDSByteSize: 256 bytes/workgroup (compile time only)
; SGPRBlocks: 0
; VGPRBlocks: 1
; NumSGPRsForWavesPerEU: 44
; NumVGPRsForWavesPerEU: 32
; NamedBarCnt: 0
; Occupancy: 16
; WaveLimiterHint : 1
; COMPUTE_PGM_RSRC2:SCRATCH_EN: 0
; COMPUTE_PGM_RSRC2:USER_SGPR: 2
; COMPUTE_PGM_RSRC2:TRAP_HANDLER: 0
; COMPUTE_PGM_RSRC2:TGID_X_EN: 1
; COMPUTE_PGM_RSRC2:TGID_Y_EN: 0
; COMPUTE_PGM_RSRC2:TGID_Z_EN: 1
; COMPUTE_PGM_RSRC2:TIDIG_COMP_CNT: 0
	.section	.text._ZL32rocblas_gemvt_warp_reduce_kernelILb0ELi1024ElPKdS1_KPdEviiT3_lPKT2_lT1_lS7_lS8_lS4_lPT4_lS8_li,"axG",@progbits,_ZL32rocblas_gemvt_warp_reduce_kernelILb0ELi1024ElPKdS1_KPdEviiT3_lPKT2_lT1_lS7_lS8_lS4_lPT4_lS8_li,comdat
	.globl	_ZL32rocblas_gemvt_warp_reduce_kernelILb0ELi1024ElPKdS1_KPdEviiT3_lPKT2_lT1_lS7_lS8_lS4_lPT4_lS8_li ; -- Begin function _ZL32rocblas_gemvt_warp_reduce_kernelILb0ELi1024ElPKdS1_KPdEviiT3_lPKT2_lT1_lS7_lS8_lS4_lPT4_lS8_li
	.p2align	8
	.type	_ZL32rocblas_gemvt_warp_reduce_kernelILb0ELi1024ElPKdS1_KPdEviiT3_lPKT2_lT1_lS7_lS8_lS4_lPT4_lS8_li,@function
_ZL32rocblas_gemvt_warp_reduce_kernelILb0ELi1024ElPKdS1_KPdEviiT3_lPKT2_lT1_lS7_lS8_lS4_lPT4_lS8_li: ; @_ZL32rocblas_gemvt_warp_reduce_kernelILb0ELi1024ElPKdS1_KPdEviiT3_lPKT2_lT1_lS7_lS8_lS4_lPT4_lS8_li
; %bb.0:
	s_load_b32 s7, s[0:1], 0x88
	s_bfe_u32 s2, ttmp6, 0x40014
	s_lshr_b32 s3, ttmp7, 16
	s_add_co_i32 s2, s2, 1
	s_bfe_u32 s5, ttmp6, 0x40008
	s_mul_i32 s4, s3, s2
	s_getreg_b32 s2, hwreg(HW_REG_IB_STS2, 6, 4)
	s_add_co_i32 s5, s5, s4
	s_cmp_eq_u32 s2, 0
	s_mov_b32 s29, 0
	s_cselect_b32 s28, s3, s5
	s_wait_kmcnt 0x0
	s_cmp_ge_u32 s28, s7
	s_cbranch_scc1 .LBB275_37
; %bb.1:
	s_clause 0x1
	s_load_b32 s6, s[0:1], 0x0
	s_load_b64 s[36:37], s[0:1], 0x48
	s_bfe_u32 s3, ttmp6, 0x4000c
	s_and_b32 s4, ttmp6, 15
	s_add_co_i32 s3, s3, 1
	s_clause 0x2
	s_load_b256 s[8:15], s[0:1], 0x8
	s_load_b128 s[24:27], s[0:1], 0x38
	s_load_b256 s[16:23], s[0:1], 0x58
	s_mul_i32 s3, ttmp9, s3
	v_mbcnt_lo_u32_b32 v27, -1, 0
	s_add_co_i32 s4, s4, s3
	s_cmp_eq_u32 s2, 0
	s_load_b64 s[34:35], s[0:1], 0x28
	s_cselect_b32 s2, ttmp9, s4
	s_load_b64 s[4:5], s[0:1], 0x78
	s_wait_xcnt 0x0
	v_cmp_eq_u32_e64 s0, 0, v0
	v_lshl_or_b32 v28, v27, 2, 64
	s_wait_kmcnt 0x0
	s_ashr_i32 s3, s6, 31
	v_cmp_gt_i32_e32 vcc_lo, s6, v0
	s_lshr_b32 s3, s3, 22
	s_lshl_b64 s[14:15], s[14:15], 3
	s_add_co_i32 s3, s6, s3
	s_lshl_b64 s[26:27], s[26:27], 3
	s_and_b32 s30, s3, 0xfffffc00
	s_delay_alu instid0(SALU_CYCLE_1) | instskip(SKIP_3) | instid1(VALU_DEP_2)
	v_dual_mov_b32 v3, 0 :: v_dual_bitop2_b32 v8, s30, v0 bitop3:0x54
	s_ashr_i32 s3, s2, 31
	v_cndmask_b32_e32 v2, 0, v0, vcc_lo
	s_mul_u64 s[34:35], s[34:35], s[2:3]
	v_dual_mov_b32 v1, v3 :: v_dual_ashrrev_i32 v9, 31, v8
	s_mul_u64 s[38:39], s[4:5], s[2:3]
	v_cmp_gt_i32_e64 s2, s6, v8
	v_cmp_gt_i32_e64 s1, s30, v0
	s_delay_alu instid0(VALU_DEP_3)
	v_mul_u64_e32 v[6:7], s[36:37], v[0:1]
	v_mul_u64_e32 v[4:5], s[36:37], v[8:9]
	v_dual_lshrrev_b32 v8, 2, v0 :: v_dual_bitop2_b32 v9, 31, v0 bitop3:0x40
	v_cmp_gt_u32_e64 s3, 32, v0
	v_lshlrev_b32_e32 v2, 3, v2
	s_ashr_i32 s31, s30, 31
	v_lshlrev_b32_e32 v1, 3, v9
	v_cmp_eq_u32_e64 s4, 0, v9
	v_and_b32_e32 v26, 0xf8, v8
	v_mov_b64_e32 v[8:9], 0
	s_lshl_b64 s[36:37], s[36:37], 13
	s_lshl_b64 s[22:23], s[22:23], 3
	;; [unrolled: 1-line block ×3, first 2 shown]
	v_lshlrev_b64_e32 v[6:7], 3, v[6:7]
	s_branch .LBB275_4
.LBB275_2:                              ;   in Loop: Header=BB275_4 Depth=1
	s_wait_xcnt 0x0
	s_or_b32 exec_lo, exec_lo, s6
.LBB275_3:                              ;   in Loop: Header=BB275_4 Depth=1
	s_add_co_i32 s28, s28, 0x10000
	s_delay_alu instid0(SALU_CYCLE_1)
	s_cmp_lt_u32 s28, s7
	s_cbranch_scc0 .LBB275_37
.LBB275_4:                              ; =>This Loop Header: Depth=1
                                        ;     Child Loop BB275_26 Depth 2
	s_wait_xcnt 0x1
	s_mul_u64 s[40:41], s[10:11], s[28:29]
	s_wait_xcnt 0x0
	s_mul_u64 s[42:43], s[18:19], s[28:29]
	s_lshl_b64 s[40:41], s[40:41], 3
	s_lshl_b64 s[42:43], s[42:43], 3
	s_add_nc_u64 s[40:41], s[8:9], s[40:41]
	s_add_nc_u64 s[42:43], s[16:17], s[42:43]
	s_clause 0x1
	global_load_b64 v[12:13], v3, s[40:41]
	global_load_b64 v[10:11], v3, s[42:43]
	s_wait_loadcnt 0x1
	v_cmp_eq_f64_e64 s5, 0, v[12:13]
	s_wait_loadcnt 0x0
	v_cmp_eq_f64_e32 vcc_lo, 1.0, v[10:11]
	s_and_b32 s6, s5, vcc_lo
	s_delay_alu instid0(SALU_CYCLE_1)
	s_and_b32 vcc_lo, exec_lo, s6
	s_cbranch_vccnz .LBB275_3
; %bb.5:                                ;   in Loop: Header=BB275_4 Depth=1
	v_cmp_neq_f64_e64 s6, 0, v[12:13]
	s_wait_dscnt 0x0
	v_mov_b64_e32 v[16:17], 0
	v_mov_b64_e32 v[18:19], 0
	s_and_b32 vcc_lo, exec_lo, s5
	s_cbranch_vccnz .LBB275_7
; %bb.6:                                ;   in Loop: Header=BB275_4 Depth=1
	s_wait_xcnt 0x1
	s_lshl_b64 s[40:41], s[28:29], 3
	s_delay_alu instid0(SALU_CYCLE_1)
	s_add_nc_u64 s[40:41], s[12:13], s[40:41]
	global_load_b64 v[14:15], v3, s[40:41]
	s_wait_loadcnt 0x0
	v_add_nc_u64_e32 v[18:19], s[14:15], v[14:15]
.LBB275_7:                              ;   in Loop: Header=BB275_4 Depth=1
	s_and_not1_b32 vcc_lo, exec_lo, s6
	s_cbranch_vccnz .LBB275_9
; %bb.8:                                ;   in Loop: Header=BB275_4 Depth=1
	s_wait_xcnt 0x0
	s_lshl_b64 s[40:41], s[28:29], 3
	s_delay_alu instid0(SALU_CYCLE_1)
	s_add_nc_u64 s[40:41], s[24:25], s[40:41]
	global_load_b64 v[14:15], v3, s[40:41]
	s_wait_loadcnt 0x0
	v_add_nc_u64_e32 v[16:17], s[26:27], v[14:15]
.LBB275_9:                              ;   in Loop: Header=BB275_4 Depth=1
	s_wait_xcnt 0x0
	s_lshl_b64 s[40:41], s[28:29], 3
	s_and_not1_b32 vcc_lo, exec_lo, s5
	s_add_nc_u64 s[40:41], s[20:21], s[40:41]
	global_load_b64 v[14:15], v3, s[40:41]
	s_wait_loadcnt 0x0
	v_add_nc_u64_e32 v[14:15], s[22:23], v[14:15]
	s_cbranch_vccnz .LBB275_14
; %bb.10:                               ;   in Loop: Header=BB275_4 Depth=1
	s_mov_b32 s6, 0
	s_mov_b32 s5, 0
                                        ; implicit-def: $vgpr20_vgpr21
	s_wait_xcnt 0x0
	s_and_saveexec_b32 s33, s0
	s_cbranch_execz .LBB275_15
; %bb.11:                               ;   in Loop: Header=BB275_4 Depth=1
	v_cmp_eq_f64_e32 vcc_lo, 0, v[10:11]
	v_mov_b64_e32 v[20:21], 0
	s_cbranch_vccnz .LBB275_13
; %bb.12:                               ;   in Loop: Header=BB275_4 Depth=1
	v_add_nc_u64_e32 v[20:21], s[38:39], v[14:15]
	flat_load_b64 v[20:21], v[20:21]
	s_wait_loadcnt_dscnt 0x0
	s_wait_xcnt 0x0
	v_mul_f64_e32 v[20:21], v[10:11], v[20:21]
.LBB275_13:                             ;   in Loop: Header=BB275_4 Depth=1
	s_mov_b32 s5, exec_lo
	s_or_b32 exec_lo, exec_lo, s33
	s_delay_alu instid0(SALU_CYCLE_1)
	s_and_b32 vcc_lo, exec_lo, s6
	s_cbranch_vccnz .LBB275_16
	s_branch .LBB275_35
.LBB275_14:                             ;   in Loop: Header=BB275_4 Depth=1
	s_mov_b32 s5, 0
                                        ; implicit-def: $vgpr20_vgpr21
	s_cbranch_execnz .LBB275_16
	s_branch .LBB275_35
.LBB275_15:                             ;   in Loop: Header=BB275_4 Depth=1
	s_or_b32 exec_lo, exec_lo, s33
	s_delay_alu instid0(SALU_CYCLE_1)
	s_and_b32 vcc_lo, exec_lo, s6
	s_cbranch_vccz .LBB275_35
.LBB275_16:                             ;   in Loop: Header=BB275_4 Depth=1
	v_add_nc_u64_e32 v[20:21], v[18:19], v[2:3]
	v_mov_b64_e32 v[18:19], 0
	s_delay_alu instid0(VALU_DEP_2)
	v_lshl_add_u64 v[20:21], s[34:35], 3, v[20:21]
	s_wait_xcnt 0x0
	s_and_saveexec_b32 s6, s1
	s_cbranch_execnz .LBB275_25
; %bb.17:                               ;   in Loop: Header=BB275_4 Depth=1
	s_or_b32 exec_lo, exec_lo, s6
	s_and_saveexec_b32 s6, s2
	s_cbranch_execnz .LBB275_28
.LBB275_18:                             ;   in Loop: Header=BB275_4 Depth=1
	s_or_b32 exec_lo, exec_lo, s6
	s_and_saveexec_b32 s6, s3
.LBB275_19:                             ;   in Loop: Header=BB275_4 Depth=1
	ds_store_b64 v1, v[8:9]
.LBB275_20:                             ;   in Loop: Header=BB275_4 Depth=1
	s_or_b32 exec_lo, exec_lo, s6
	ds_bpermute_b32 v16, v28, v18
	ds_bpermute_b32 v17, v28, v19
	v_cmp_gt_u32_e32 vcc_lo, 24, v27
	s_wait_dscnt 0x0
	s_barrier_signal -1
	s_barrier_wait -1
	v_add_f64_e32 v[16:17], v[18:19], v[16:17]
	v_cndmask_b32_e64 v18, 0, 8, vcc_lo
	v_cmp_gt_u32_e32 vcc_lo, 28, v27
	s_delay_alu instid0(VALU_DEP_2)
	v_add_lshl_u32 v20, v18, v27, 2
	ds_bpermute_b32 v18, v20, v16
	ds_bpermute_b32 v19, v20, v17
	s_wait_dscnt 0x0
	v_add_f64_e32 v[16:17], v[16:17], v[18:19]
	v_cndmask_b32_e64 v18, 0, 4, vcc_lo
	v_cmp_gt_u32_e32 vcc_lo, 30, v27
	s_delay_alu instid0(VALU_DEP_2)
	v_add_lshl_u32 v21, v18, v27, 2
	ds_bpermute_b32 v18, v21, v16
	ds_bpermute_b32 v19, v21, v17
	s_wait_dscnt 0x0
	v_add_f64_e32 v[16:17], v[16:17], v[18:19]
	v_cndmask_b32_e64 v18, 0, 2, vcc_lo
	v_cmp_ne_u32_e32 vcc_lo, 31, v27
	s_delay_alu instid0(VALU_DEP_2)
	v_add_lshl_u32 v22, v18, v27, 2
	ds_bpermute_b32 v18, v22, v16
	ds_bpermute_b32 v19, v22, v17
	s_wait_dscnt 0x0
	v_add_f64_e32 v[16:17], v[16:17], v[18:19]
	v_add_co_ci_u32_e64 v18, null, 0, v27, vcc_lo
	s_delay_alu instid0(VALU_DEP_1)
	v_lshlrev_b32_e32 v23, 2, v18
	ds_bpermute_b32 v18, v23, v16
	ds_bpermute_b32 v19, v23, v17
	s_and_saveexec_b32 s6, s4
	s_cbranch_execz .LBB275_22
; %bb.21:                               ;   in Loop: Header=BB275_4 Depth=1
	s_wait_dscnt 0x0
	v_add_f64_e32 v[16:17], v[16:17], v[18:19]
	ds_store_b64 v26, v[16:17]
.LBB275_22:                             ;   in Loop: Header=BB275_4 Depth=1
	s_or_b32 exec_lo, exec_lo, s6
	v_mov_b64_e32 v[16:17], 0
	s_wait_dscnt 0x0
	s_barrier_signal -1
	s_barrier_wait -1
	s_and_saveexec_b32 s6, s3
	s_cbranch_execnz .LBB275_29
; %bb.23:                               ;   in Loop: Header=BB275_4 Depth=1
	s_or_b32 exec_lo, exec_lo, s6
	s_and_saveexec_b32 s6, s3
	s_cbranch_execnz .LBB275_30
.LBB275_24:                             ;   in Loop: Header=BB275_4 Depth=1
	s_or_b32 exec_lo, exec_lo, s6
                                        ; implicit-def: $vgpr20_vgpr21
	s_and_saveexec_b32 s6, s0
	s_cbranch_execnz .LBB275_31
	s_branch .LBB275_34
.LBB275_25:                             ;   in Loop: Header=BB275_4 Depth=1
	v_add_nc_u64_e32 v[22:23], v[16:17], v[6:7]
	v_mov_b64_e32 v[18:19], 0
	v_mov_b64_e32 v[24:25], v[20:21]
	v_mov_b32_e32 v29, v0
	s_mov_b32 s33, 0
.LBB275_26:                             ;   Parent Loop BB275_4 Depth=1
                                        ; =>  This Inner Loop Header: Depth=2
	flat_load_b64 v[30:31], v[24:25]
	flat_load_b64 v[32:33], v[22:23]
	v_add_nc_u32_e32 v29, 0x400, v29
	s_wait_xcnt 0x1
	v_add_nc_u64_e32 v[24:25], 0x2000, v[24:25]
	s_wait_xcnt 0x0
	v_add_nc_u64_e32 v[22:23], s[36:37], v[22:23]
	v_cmp_le_i32_e32 vcc_lo, s30, v29
	s_or_b32 s33, vcc_lo, s33
	s_wait_loadcnt_dscnt 0x0
	v_fmac_f64_e32 v[18:19], v[30:31], v[32:33]
	s_and_not1_b32 exec_lo, exec_lo, s33
	s_cbranch_execnz .LBB275_26
; %bb.27:                               ;   in Loop: Header=BB275_4 Depth=1
	s_or_b32 exec_lo, exec_lo, s33
	s_delay_alu instid0(SALU_CYCLE_1)
	s_or_b32 exec_lo, exec_lo, s6
	s_and_saveexec_b32 s6, s2
	s_cbranch_execz .LBB275_18
.LBB275_28:                             ;   in Loop: Header=BB275_4 Depth=1
	v_lshl_add_u64 v[20:21], s[30:31], 3, v[20:21]
	v_lshl_add_u64 v[16:17], v[4:5], 3, v[16:17]
	flat_load_b64 v[22:23], v[20:21]
	flat_load_b64 v[24:25], v[16:17]
	s_wait_loadcnt_dscnt 0x0
	v_fmac_f64_e32 v[18:19], v[22:23], v[24:25]
	s_wait_xcnt 0x0
	s_or_b32 exec_lo, exec_lo, s6
	s_and_saveexec_b32 s6, s3
	s_cbranch_execnz .LBB275_19
	s_branch .LBB275_20
.LBB275_29:                             ;   in Loop: Header=BB275_4 Depth=1
	ds_load_b64 v[16:17], v1
	s_or_b32 exec_lo, exec_lo, s6
	s_and_saveexec_b32 s6, s3
	s_cbranch_execz .LBB275_24
.LBB275_30:                             ;   in Loop: Header=BB275_4 Depth=1
	s_wait_dscnt 0x0
	ds_bpermute_b32 v18, v28, v16
	ds_bpermute_b32 v19, v28, v17
	s_wait_dscnt 0x0
	v_add_f64_e32 v[16:17], v[16:17], v[18:19]
	ds_bpermute_b32 v18, v20, v16
	ds_bpermute_b32 v19, v20, v17
	s_wait_dscnt 0x0
	v_add_f64_e32 v[16:17], v[16:17], v[18:19]
	;; [unrolled: 4-line block ×5, first 2 shown]
	s_or_b32 exec_lo, exec_lo, s6
                                        ; implicit-def: $vgpr20_vgpr21
	s_and_saveexec_b32 s6, s0
	s_cbranch_execz .LBB275_34
.LBB275_31:                             ;   in Loop: Header=BB275_4 Depth=1
	v_cmp_eq_f64_e32 vcc_lo, 0, v[10:11]
	s_wait_dscnt 0x0
	s_delay_alu instid0(VALU_DEP_2)
	v_mul_f64_e32 v[20:21], v[12:13], v[16:17]
	s_cbranch_vccnz .LBB275_33
; %bb.32:                               ;   in Loop: Header=BB275_4 Depth=1
	v_add_nc_u64_e32 v[12:13], s[38:39], v[14:15]
	flat_load_b64 v[12:13], v[12:13]
	s_wait_loadcnt_dscnt 0x0
	v_fmac_f64_e32 v[20:21], v[10:11], v[12:13]
.LBB275_33:                             ;   in Loop: Header=BB275_4 Depth=1
	s_or_b32 s5, s5, exec_lo
.LBB275_34:                             ;   in Loop: Header=BB275_4 Depth=1
	s_wait_xcnt 0x0
	s_or_b32 exec_lo, exec_lo, s6
.LBB275_35:                             ;   in Loop: Header=BB275_4 Depth=1
	s_wait_xcnt 0x0
	s_and_saveexec_b32 s6, s5
	s_cbranch_execz .LBB275_2
; %bb.36:                               ;   in Loop: Header=BB275_4 Depth=1
	v_add_nc_u64_e32 v[10:11], s[38:39], v[14:15]
	flat_store_b64 v[10:11], v[20:21]
	s_branch .LBB275_2
.LBB275_37:
	s_endpgm
	.section	.rodata,"a",@progbits
	.p2align	6, 0x0
	.amdhsa_kernel _ZL32rocblas_gemvt_warp_reduce_kernelILb0ELi1024ElPKdS1_KPdEviiT3_lPKT2_lT1_lS7_lS8_lS4_lPT4_lS8_li
		.amdhsa_group_segment_fixed_size 256
		.amdhsa_private_segment_fixed_size 0
		.amdhsa_kernarg_size 140
		.amdhsa_user_sgpr_count 2
		.amdhsa_user_sgpr_dispatch_ptr 0
		.amdhsa_user_sgpr_queue_ptr 0
		.amdhsa_user_sgpr_kernarg_segment_ptr 1
		.amdhsa_user_sgpr_dispatch_id 0
		.amdhsa_user_sgpr_kernarg_preload_length 0
		.amdhsa_user_sgpr_kernarg_preload_offset 0
		.amdhsa_user_sgpr_private_segment_size 0
		.amdhsa_wavefront_size32 1
		.amdhsa_uses_dynamic_stack 0
		.amdhsa_enable_private_segment 0
		.amdhsa_system_sgpr_workgroup_id_x 1
		.amdhsa_system_sgpr_workgroup_id_y 0
		.amdhsa_system_sgpr_workgroup_id_z 1
		.amdhsa_system_sgpr_workgroup_info 0
		.amdhsa_system_vgpr_workitem_id 0
		.amdhsa_next_free_vgpr 34
		.amdhsa_next_free_sgpr 44
		.amdhsa_named_barrier_count 0
		.amdhsa_reserve_vcc 1
		.amdhsa_float_round_mode_32 0
		.amdhsa_float_round_mode_16_64 0
		.amdhsa_float_denorm_mode_32 3
		.amdhsa_float_denorm_mode_16_64 3
		.amdhsa_fp16_overflow 0
		.amdhsa_memory_ordered 1
		.amdhsa_forward_progress 1
		.amdhsa_inst_pref_size 13
		.amdhsa_round_robin_scheduling 0
		.amdhsa_exception_fp_ieee_invalid_op 0
		.amdhsa_exception_fp_denorm_src 0
		.amdhsa_exception_fp_ieee_div_zero 0
		.amdhsa_exception_fp_ieee_overflow 0
		.amdhsa_exception_fp_ieee_underflow 0
		.amdhsa_exception_fp_ieee_inexact 0
		.amdhsa_exception_int_div_zero 0
	.end_amdhsa_kernel
	.section	.text._ZL32rocblas_gemvt_warp_reduce_kernelILb0ELi1024ElPKdS1_KPdEviiT3_lPKT2_lT1_lS7_lS8_lS4_lPT4_lS8_li,"axG",@progbits,_ZL32rocblas_gemvt_warp_reduce_kernelILb0ELi1024ElPKdS1_KPdEviiT3_lPKT2_lT1_lS7_lS8_lS4_lPT4_lS8_li,comdat
.Lfunc_end275:
	.size	_ZL32rocblas_gemvt_warp_reduce_kernelILb0ELi1024ElPKdS1_KPdEviiT3_lPKT2_lT1_lS7_lS8_lS4_lPT4_lS8_li, .Lfunc_end275-_ZL32rocblas_gemvt_warp_reduce_kernelILb0ELi1024ElPKdS1_KPdEviiT3_lPKT2_lT1_lS7_lS8_lS4_lPT4_lS8_li
                                        ; -- End function
	.set _ZL32rocblas_gemvt_warp_reduce_kernelILb0ELi1024ElPKdS1_KPdEviiT3_lPKT2_lT1_lS7_lS8_lS4_lPT4_lS8_li.num_vgpr, 34
	.set _ZL32rocblas_gemvt_warp_reduce_kernelILb0ELi1024ElPKdS1_KPdEviiT3_lPKT2_lT1_lS7_lS8_lS4_lPT4_lS8_li.num_agpr, 0
	.set _ZL32rocblas_gemvt_warp_reduce_kernelILb0ELi1024ElPKdS1_KPdEviiT3_lPKT2_lT1_lS7_lS8_lS4_lPT4_lS8_li.numbered_sgpr, 44
	.set _ZL32rocblas_gemvt_warp_reduce_kernelILb0ELi1024ElPKdS1_KPdEviiT3_lPKT2_lT1_lS7_lS8_lS4_lPT4_lS8_li.num_named_barrier, 0
	.set _ZL32rocblas_gemvt_warp_reduce_kernelILb0ELi1024ElPKdS1_KPdEviiT3_lPKT2_lT1_lS7_lS8_lS4_lPT4_lS8_li.private_seg_size, 0
	.set _ZL32rocblas_gemvt_warp_reduce_kernelILb0ELi1024ElPKdS1_KPdEviiT3_lPKT2_lT1_lS7_lS8_lS4_lPT4_lS8_li.uses_vcc, 1
	.set _ZL32rocblas_gemvt_warp_reduce_kernelILb0ELi1024ElPKdS1_KPdEviiT3_lPKT2_lT1_lS7_lS8_lS4_lPT4_lS8_li.uses_flat_scratch, 0
	.set _ZL32rocblas_gemvt_warp_reduce_kernelILb0ELi1024ElPKdS1_KPdEviiT3_lPKT2_lT1_lS7_lS8_lS4_lPT4_lS8_li.has_dyn_sized_stack, 0
	.set _ZL32rocblas_gemvt_warp_reduce_kernelILb0ELi1024ElPKdS1_KPdEviiT3_lPKT2_lT1_lS7_lS8_lS4_lPT4_lS8_li.has_recursion, 0
	.set _ZL32rocblas_gemvt_warp_reduce_kernelILb0ELi1024ElPKdS1_KPdEviiT3_lPKT2_lT1_lS7_lS8_lS4_lPT4_lS8_li.has_indirect_call, 0
	.section	.AMDGPU.csdata,"",@progbits
; Kernel info:
; codeLenInByte = 1544
; TotalNumSgprs: 46
; NumVgprs: 34
; ScratchSize: 0
; MemoryBound: 1
; FloatMode: 240
; IeeeMode: 1
; LDSByteSize: 256 bytes/workgroup (compile time only)
; SGPRBlocks: 0
; VGPRBlocks: 2
; NumSGPRsForWavesPerEU: 46
; NumVGPRsForWavesPerEU: 34
; NamedBarCnt: 0
; Occupancy: 16
; WaveLimiterHint : 1
; COMPUTE_PGM_RSRC2:SCRATCH_EN: 0
; COMPUTE_PGM_RSRC2:USER_SGPR: 2
; COMPUTE_PGM_RSRC2:TRAP_HANDLER: 0
; COMPUTE_PGM_RSRC2:TGID_X_EN: 1
; COMPUTE_PGM_RSRC2:TGID_Y_EN: 0
; COMPUTE_PGM_RSRC2:TGID_Z_EN: 1
; COMPUTE_PGM_RSRC2:TIDIG_COMP_CNT: 0
	.section	.text._ZL32rocblas_gemvt_warp_reduce_kernelILb0ELi1024EiPKddKPdEviiT3_lPKT2_lT1_lS7_lS8_lS4_lPT4_lS8_li,"axG",@progbits,_ZL32rocblas_gemvt_warp_reduce_kernelILb0ELi1024EiPKddKPdEviiT3_lPKT2_lT1_lS7_lS8_lS4_lPT4_lS8_li,comdat
	.globl	_ZL32rocblas_gemvt_warp_reduce_kernelILb0ELi1024EiPKddKPdEviiT3_lPKT2_lT1_lS7_lS8_lS4_lPT4_lS8_li ; -- Begin function _ZL32rocblas_gemvt_warp_reduce_kernelILb0ELi1024EiPKddKPdEviiT3_lPKT2_lT1_lS7_lS8_lS4_lPT4_lS8_li
	.p2align	8
	.type	_ZL32rocblas_gemvt_warp_reduce_kernelILb0ELi1024EiPKddKPdEviiT3_lPKT2_lT1_lS7_lS8_lS4_lPT4_lS8_li,@function
_ZL32rocblas_gemvt_warp_reduce_kernelILb0ELi1024EiPKddKPdEviiT3_lPKT2_lT1_lS7_lS8_lS4_lPT4_lS8_li: ; @_ZL32rocblas_gemvt_warp_reduce_kernelILb0ELi1024EiPKddKPdEviiT3_lPKT2_lT1_lS7_lS8_lS4_lPT4_lS8_li
; %bb.0:
	s_load_b32 s5, s[0:1], 0x88
	s_bfe_u32 s2, ttmp6, 0x40014
	s_lshr_b32 s3, ttmp7, 16
	s_add_co_i32 s2, s2, 1
	s_bfe_u32 s6, ttmp6, 0x40008
	s_mul_i32 s4, s3, s2
	s_getreg_b32 s2, hwreg(HW_REG_IB_STS2, 6, 4)
	s_add_co_i32 s6, s6, s4
	s_cmp_eq_u32 s2, 0
	s_mov_b32 s7, 0
	s_cselect_b32 s6, s3, s6
	s_wait_kmcnt 0x0
	s_cmp_ge_u32 s6, s5
	s_cbranch_scc1 .LBB276_40
; %bb.1:
	s_clause 0x8
	s_load_b64 s[20:21], s[0:1], 0x58
	s_load_b64 s[22:23], s[0:1], 0x8
	s_load_b128 s[8:11], s[0:1], 0x68
	s_load_b32 s35, s[0:1], 0x0
	s_load_b128 s[12:15], s[0:1], 0x18
	s_load_b32 s25, s[0:1], 0x28
	;; [unrolled: 2-line block ×3, first 2 shown]
	s_load_b32 s27, s[0:1], 0x78
	s_bfe_u32 s28, ttmp6, 0x4000c
	s_and_b32 s24, ttmp6, 15
	s_add_co_i32 s28, s28, 1
	v_dual_mov_b32 v3, 0 :: v_dual_bitop2_b32 v2, 31, v0 bitop3:0x40
	s_mul_i32 s28, ttmp9, s28
	v_lshrrev_b32_e32 v6, 2, v0
	s_add_co_i32 s24, s24, s28
	v_mbcnt_lo_u32_b32 v1, -1, 0
	v_lshlrev_b32_e32 v19, 3, v2
	v_mov_b64_e32 v[4:5], 0
	v_and_b32_e32 v20, 0xf8, v6
	s_wait_xcnt 0x0
	v_cmp_eq_u32_e64 s0, 0, v0
	v_cmp_gt_u32_e64 s1, 32, v0
	s_wait_kmcnt 0x0
	v_cmp_gt_i32_e32 vcc_lo, s35, v0
	v_lshl_or_b32 v22, v1, 2, 64
	v_cmp_neq_f64_e64 s3, s[20:21], 1.0
	v_cmp_neq_f64_e64 s4, s[22:23], 0
	v_cmp_eq_f64_e64 s31, s[22:23], 0
	v_cmp_neq_f64_e64 s33, s[20:21], 0
	v_mul_lo_u32 v21, v0, s26
	s_or_b32 s30, s4, s3
	s_cmp_eq_u32 s2, 0
	v_cndmask_b32_e64 v18, 0, 1, s4
	s_cselect_b32 s3, ttmp9, s24
	s_ashr_i32 s4, s35, 31
	v_cmp_eq_u32_e64 s2, 0, v2
	s_lshr_b32 s4, s4, 22
	s_mul_i32 s28, s27, s3
	s_add_co_i32 s4, s35, s4
	s_lshl_b32 s34, s26, 10
	s_and_b32 s24, s4, 0xfffffc00
	s_delay_alu instid0(SALU_CYCLE_1) | instskip(SKIP_3) | instid1(VALU_DEP_1)
	v_dual_cndmask_b32 v2, 0, v0, vcc_lo :: v_dual_bitop2_b32 v7, s24, v0 bitop3:0x54
	s_ashr_i32 s29, s28, 31
	s_lshl_b64 s[14:15], s[14:15], 3
	s_lshl_b64 s[18:19], s[18:19], 3
	v_lshlrev_b32_e32 v2, 3, v2
	v_mul_lo_u32 v6, s26, v7
	s_mul_i32 s26, s25, s3
	v_cmp_gt_i32_e64 s3, s24, v0
	v_cmp_gt_i32_e64 s4, s35, v7
	s_ashr_i32 s27, s26, 31
	s_ashr_i32 s25, s24, 31
	s_lshl_b64 s[10:11], s[10:11], 3
	s_lshl_b64 s[28:29], s[28:29], 3
	v_ashrrev_i32_e32 v7, 31, v6
	s_branch .LBB276_4
.LBB276_2:                              ;   in Loop: Header=BB276_4 Depth=1
	s_wait_xcnt 0x0
	s_or_b32 exec_lo, exec_lo, s36
.LBB276_3:                              ;   in Loop: Header=BB276_4 Depth=1
	s_add_co_i32 s6, s6, 0x10000
	s_delay_alu instid0(SALU_CYCLE_1)
	s_cmp_lt_u32 s6, s5
	s_cbranch_scc0 .LBB276_40
.LBB276_4:                              ; =>This Loop Header: Depth=1
                                        ;     Child Loop BB276_29 Depth 2
	s_and_not1_b32 vcc_lo, exec_lo, s30
	s_cbranch_vccnz .LBB276_3
; %bb.5:                                ;   in Loop: Header=BB276_4 Depth=1
	s_and_not1_b32 vcc_lo, exec_lo, s31
	s_cbranch_vccnz .LBB276_7
; %bb.6:                                ;   in Loop: Header=BB276_4 Depth=1
	s_wait_dscnt 0x0
	v_mov_b64_e32 v[10:11], 0
	v_mov_b64_e32 v[12:13], 0
	s_cbranch_execz .LBB276_8
	s_branch .LBB276_9
.LBB276_7:                              ;   in Loop: Header=BB276_4 Depth=1
	s_wait_dscnt 0x0
	v_mov_b64_e32 v[10:11], 0
	v_mov_b64_e32 v[12:13], 0
.LBB276_8:                              ;   in Loop: Header=BB276_4 Depth=1
	s_lshl_b64 s[36:37], s[6:7], 3
	s_delay_alu instid0(SALU_CYCLE_1)
	s_add_nc_u64 s[36:37], s[12:13], s[36:37]
	global_load_b64 v[8:9], v3, s[36:37]
	s_wait_loadcnt 0x0
	v_add_nc_u64_e32 v[12:13], s[14:15], v[8:9]
.LBB276_9:                              ;   in Loop: Header=BB276_4 Depth=1
	v_cmp_ne_u32_e32 vcc_lo, 1, v18
	s_cbranch_vccnz .LBB276_11
; %bb.10:                               ;   in Loop: Header=BB276_4 Depth=1
	s_wait_xcnt 0x0
	s_lshl_b64 s[36:37], s[6:7], 3
	s_delay_alu instid0(SALU_CYCLE_1)
	s_add_nc_u64 s[36:37], s[16:17], s[36:37]
	global_load_b64 v[8:9], v3, s[36:37]
	s_wait_loadcnt 0x0
	v_add_nc_u64_e32 v[10:11], s[18:19], v[8:9]
.LBB276_11:                             ;   in Loop: Header=BB276_4 Depth=1
	s_wait_xcnt 0x0
	s_lshl_b64 s[36:37], s[6:7], 3
	s_and_not1_b32 vcc_lo, exec_lo, s31
	s_add_nc_u64 s[36:37], s[8:9], s[36:37]
	global_load_b64 v[8:9], v3, s[36:37]
	s_wait_loadcnt 0x0
	v_add_nc_u64_e32 v[8:9], s[10:11], v[8:9]
	s_cbranch_vccnz .LBB276_15
; %bb.12:                               ;   in Loop: Header=BB276_4 Depth=1
	s_wait_xcnt 0x0
	s_mov_b32 s36, 0
	s_mov_b32 s35, 0
                                        ; implicit-def: $vgpr14_vgpr15
	s_and_saveexec_b32 s37, s0
	s_cbranch_execz .LBB276_16
; %bb.13:                               ;   in Loop: Header=BB276_4 Depth=1
	s_and_not1_b32 vcc_lo, exec_lo, s33
	s_cbranch_vccnz .LBB276_17
; %bb.14:                               ;   in Loop: Header=BB276_4 Depth=1
	v_add_nc_u64_e32 v[14:15], s[28:29], v[8:9]
	flat_load_b64 v[14:15], v[14:15]
	s_wait_loadcnt_dscnt 0x0
	s_wait_xcnt 0x0
	v_mul_f64_e32 v[14:15], s[20:21], v[14:15]
	s_branch .LBB276_18
.LBB276_15:                             ;   in Loop: Header=BB276_4 Depth=1
	s_wait_xcnt 0x0
	s_mov_b32 s35, 0
                                        ; implicit-def: $vgpr14_vgpr15
	s_cbranch_execnz .LBB276_19
	s_branch .LBB276_38
.LBB276_16:                             ;   in Loop: Header=BB276_4 Depth=1
	s_or_b32 exec_lo, exec_lo, s37
	s_delay_alu instid0(SALU_CYCLE_1)
	s_and_b32 vcc_lo, exec_lo, s36
	s_cbranch_vccnz .LBB276_19
	s_branch .LBB276_38
.LBB276_17:                             ;   in Loop: Header=BB276_4 Depth=1
	v_mov_b64_e32 v[14:15], 0
.LBB276_18:                             ;   in Loop: Header=BB276_4 Depth=1
	s_mov_b32 s35, exec_lo
	s_or_b32 exec_lo, exec_lo, s37
	s_delay_alu instid0(SALU_CYCLE_1)
	s_and_b32 vcc_lo, exec_lo, s36
	s_cbranch_vccz .LBB276_38
.LBB276_19:                             ;   in Loop: Header=BB276_4 Depth=1
	v_add_nc_u64_e32 v[14:15], v[12:13], v[2:3]
	v_mov_b64_e32 v[12:13], 0
	s_delay_alu instid0(VALU_DEP_2)
	v_lshl_add_u64 v[14:15], s[26:27], 3, v[14:15]
	s_and_saveexec_b32 s36, s3
	s_cbranch_execnz .LBB276_28
; %bb.20:                               ;   in Loop: Header=BB276_4 Depth=1
	s_or_b32 exec_lo, exec_lo, s36
	s_and_saveexec_b32 s36, s4
	s_cbranch_execnz .LBB276_31
.LBB276_21:                             ;   in Loop: Header=BB276_4 Depth=1
	s_or_b32 exec_lo, exec_lo, s36
	s_and_saveexec_b32 s36, s1
.LBB276_22:                             ;   in Loop: Header=BB276_4 Depth=1
	ds_store_b64 v19, v[4:5]
.LBB276_23:                             ;   in Loop: Header=BB276_4 Depth=1
	s_or_b32 exec_lo, exec_lo, s36
	ds_bpermute_b32 v10, v22, v12
	ds_bpermute_b32 v11, v22, v13
	v_cmp_gt_u32_e32 vcc_lo, 24, v1
	s_wait_dscnt 0x0
	s_barrier_signal -1
	s_barrier_wait -1
	v_add_f64_e32 v[10:11], v[12:13], v[10:11]
	v_cndmask_b32_e64 v12, 0, 8, vcc_lo
	v_cmp_gt_u32_e32 vcc_lo, 28, v1
	s_delay_alu instid0(VALU_DEP_2)
	v_add_lshl_u32 v14, v12, v1, 2
	ds_bpermute_b32 v12, v14, v10
	ds_bpermute_b32 v13, v14, v11
	s_wait_dscnt 0x0
	v_add_f64_e32 v[10:11], v[10:11], v[12:13]
	v_cndmask_b32_e64 v12, 0, 4, vcc_lo
	v_cmp_gt_u32_e32 vcc_lo, 30, v1
	s_delay_alu instid0(VALU_DEP_2)
	v_add_lshl_u32 v15, v12, v1, 2
	ds_bpermute_b32 v12, v15, v10
	ds_bpermute_b32 v13, v15, v11
	s_wait_dscnt 0x0
	v_add_f64_e32 v[10:11], v[10:11], v[12:13]
	v_cndmask_b32_e64 v12, 0, 2, vcc_lo
	v_cmp_ne_u32_e32 vcc_lo, 31, v1
	s_delay_alu instid0(VALU_DEP_2)
	v_add_lshl_u32 v16, v12, v1, 2
	ds_bpermute_b32 v12, v16, v10
	ds_bpermute_b32 v13, v16, v11
	s_wait_dscnt 0x0
	v_add_f64_e32 v[10:11], v[10:11], v[12:13]
	v_add_co_ci_u32_e64 v12, null, 0, v1, vcc_lo
	s_delay_alu instid0(VALU_DEP_1)
	v_lshlrev_b32_e32 v17, 2, v12
	ds_bpermute_b32 v12, v17, v10
	ds_bpermute_b32 v13, v17, v11
	s_and_saveexec_b32 s36, s2
	s_cbranch_execz .LBB276_25
; %bb.24:                               ;   in Loop: Header=BB276_4 Depth=1
	s_wait_dscnt 0x0
	v_add_f64_e32 v[10:11], v[10:11], v[12:13]
	ds_store_b64 v20, v[10:11]
.LBB276_25:                             ;   in Loop: Header=BB276_4 Depth=1
	s_or_b32 exec_lo, exec_lo, s36
	v_mov_b64_e32 v[10:11], 0
	s_wait_dscnt 0x0
	s_barrier_signal -1
	s_barrier_wait -1
	s_and_saveexec_b32 s36, s1
	s_cbranch_execnz .LBB276_32
; %bb.26:                               ;   in Loop: Header=BB276_4 Depth=1
	s_or_b32 exec_lo, exec_lo, s36
	s_and_saveexec_b32 s36, s1
	s_cbranch_execnz .LBB276_33
.LBB276_27:                             ;   in Loop: Header=BB276_4 Depth=1
	s_or_b32 exec_lo, exec_lo, s36
                                        ; implicit-def: $vgpr14_vgpr15
	s_and_saveexec_b32 s36, s0
	s_cbranch_execnz .LBB276_34
	s_branch .LBB276_37
.LBB276_28:                             ;   in Loop: Header=BB276_4 Depth=1
	v_mov_b64_e32 v[12:13], 0
	s_delay_alu instid0(VALU_DEP_2)
	v_mov_b64_e32 v[16:17], v[14:15]
	v_dual_mov_b32 v23, v0 :: v_dual_mov_b32 v24, v21
	s_mov_b32 s37, 0
.LBB276_29:                             ;   Parent Loop BB276_4 Depth=1
                                        ; =>  This Inner Loop Header: Depth=2
	v_readfirstlane_b32 s38, v10
	v_readfirstlane_b32 s39, v11
	s_delay_alu instid0(VALU_DEP_3)
	v_add_nc_u32_e32 v23, 0x400, v23
	flat_load_b64 v[26:27], v[16:17]
	flat_load_b64 v[28:29], v24, s[38:39] scale_offset
	s_wait_xcnt 0x1
	v_add_nc_u64_e32 v[16:17], 0x2000, v[16:17]
	v_cmp_le_i32_e32 vcc_lo, s24, v23
	s_wait_xcnt 0x0
	v_add_nc_u32_e32 v24, s34, v24
	s_or_b32 s37, vcc_lo, s37
	s_wait_loadcnt_dscnt 0x0
	v_fmac_f64_e32 v[12:13], v[26:27], v[28:29]
	s_and_not1_b32 exec_lo, exec_lo, s37
	s_cbranch_execnz .LBB276_29
; %bb.30:                               ;   in Loop: Header=BB276_4 Depth=1
	s_or_b32 exec_lo, exec_lo, s37
	s_delay_alu instid0(SALU_CYCLE_1)
	s_or_b32 exec_lo, exec_lo, s36
	s_and_saveexec_b32 s36, s4
	s_cbranch_execz .LBB276_21
.LBB276_31:                             ;   in Loop: Header=BB276_4 Depth=1
	v_lshl_add_u64 v[14:15], s[24:25], 3, v[14:15]
	v_lshl_add_u64 v[10:11], v[6:7], 3, v[10:11]
	flat_load_b64 v[16:17], v[14:15]
	flat_load_b64 v[24:25], v[10:11]
	s_wait_loadcnt_dscnt 0x0
	v_fmac_f64_e32 v[12:13], v[16:17], v[24:25]
	s_wait_xcnt 0x0
	s_or_b32 exec_lo, exec_lo, s36
	s_and_saveexec_b32 s36, s1
	s_cbranch_execnz .LBB276_22
	s_branch .LBB276_23
.LBB276_32:                             ;   in Loop: Header=BB276_4 Depth=1
	ds_load_b64 v[10:11], v19
	s_or_b32 exec_lo, exec_lo, s36
	s_and_saveexec_b32 s36, s1
	s_cbranch_execz .LBB276_27
.LBB276_33:                             ;   in Loop: Header=BB276_4 Depth=1
	s_wait_dscnt 0x0
	ds_bpermute_b32 v12, v22, v10
	ds_bpermute_b32 v13, v22, v11
	s_wait_dscnt 0x0
	v_add_f64_e32 v[10:11], v[10:11], v[12:13]
	ds_bpermute_b32 v12, v14, v10
	ds_bpermute_b32 v13, v14, v11
	s_wait_dscnt 0x0
	v_add_f64_e32 v[10:11], v[10:11], v[12:13]
	;; [unrolled: 4-line block ×5, first 2 shown]
	s_or_b32 exec_lo, exec_lo, s36
                                        ; implicit-def: $vgpr14_vgpr15
	s_and_saveexec_b32 s36, s0
	s_cbranch_execz .LBB276_37
.LBB276_34:                             ;   in Loop: Header=BB276_4 Depth=1
	s_wait_dscnt 0x0
	s_delay_alu instid0(VALU_DEP_1)
	v_mul_f64_e32 v[14:15], s[22:23], v[10:11]
	s_and_not1_b32 vcc_lo, exec_lo, s33
	s_cbranch_vccnz .LBB276_36
; %bb.35:                               ;   in Loop: Header=BB276_4 Depth=1
	v_add_nc_u64_e32 v[10:11], s[28:29], v[8:9]
	flat_load_b64 v[10:11], v[10:11]
	s_wait_loadcnt_dscnt 0x0
	v_fmac_f64_e32 v[14:15], s[20:21], v[10:11]
.LBB276_36:                             ;   in Loop: Header=BB276_4 Depth=1
	s_or_b32 s35, s35, exec_lo
.LBB276_37:                             ;   in Loop: Header=BB276_4 Depth=1
	s_wait_xcnt 0x0
	s_or_b32 exec_lo, exec_lo, s36
.LBB276_38:                             ;   in Loop: Header=BB276_4 Depth=1
	s_and_saveexec_b32 s36, s35
	s_cbranch_execz .LBB276_2
; %bb.39:                               ;   in Loop: Header=BB276_4 Depth=1
	v_add_nc_u64_e32 v[8:9], s[28:29], v[8:9]
	flat_store_b64 v[8:9], v[14:15]
	s_branch .LBB276_2
.LBB276_40:
	s_endpgm
	.section	.rodata,"a",@progbits
	.p2align	6, 0x0
	.amdhsa_kernel _ZL32rocblas_gemvt_warp_reduce_kernelILb0ELi1024EiPKddKPdEviiT3_lPKT2_lT1_lS7_lS8_lS4_lPT4_lS8_li
		.amdhsa_group_segment_fixed_size 256
		.amdhsa_private_segment_fixed_size 0
		.amdhsa_kernarg_size 140
		.amdhsa_user_sgpr_count 2
		.amdhsa_user_sgpr_dispatch_ptr 0
		.amdhsa_user_sgpr_queue_ptr 0
		.amdhsa_user_sgpr_kernarg_segment_ptr 1
		.amdhsa_user_sgpr_dispatch_id 0
		.amdhsa_user_sgpr_kernarg_preload_length 0
		.amdhsa_user_sgpr_kernarg_preload_offset 0
		.amdhsa_user_sgpr_private_segment_size 0
		.amdhsa_wavefront_size32 1
		.amdhsa_uses_dynamic_stack 0
		.amdhsa_enable_private_segment 0
		.amdhsa_system_sgpr_workgroup_id_x 1
		.amdhsa_system_sgpr_workgroup_id_y 0
		.amdhsa_system_sgpr_workgroup_id_z 1
		.amdhsa_system_sgpr_workgroup_info 0
		.amdhsa_system_vgpr_workitem_id 0
		.amdhsa_next_free_vgpr 30
		.amdhsa_next_free_sgpr 40
		.amdhsa_named_barrier_count 0
		.amdhsa_reserve_vcc 1
		.amdhsa_float_round_mode_32 0
		.amdhsa_float_round_mode_16_64 0
		.amdhsa_float_denorm_mode_32 3
		.amdhsa_float_denorm_mode_16_64 3
		.amdhsa_fp16_overflow 0
		.amdhsa_memory_ordered 1
		.amdhsa_forward_progress 1
		.amdhsa_inst_pref_size 12
		.amdhsa_round_robin_scheduling 0
		.amdhsa_exception_fp_ieee_invalid_op 0
		.amdhsa_exception_fp_denorm_src 0
		.amdhsa_exception_fp_ieee_div_zero 0
		.amdhsa_exception_fp_ieee_overflow 0
		.amdhsa_exception_fp_ieee_underflow 0
		.amdhsa_exception_fp_ieee_inexact 0
		.amdhsa_exception_int_div_zero 0
	.end_amdhsa_kernel
	.section	.text._ZL32rocblas_gemvt_warp_reduce_kernelILb0ELi1024EiPKddKPdEviiT3_lPKT2_lT1_lS7_lS8_lS4_lPT4_lS8_li,"axG",@progbits,_ZL32rocblas_gemvt_warp_reduce_kernelILb0ELi1024EiPKddKPdEviiT3_lPKT2_lT1_lS7_lS8_lS4_lPT4_lS8_li,comdat
.Lfunc_end276:
	.size	_ZL32rocblas_gemvt_warp_reduce_kernelILb0ELi1024EiPKddKPdEviiT3_lPKT2_lT1_lS7_lS8_lS4_lPT4_lS8_li, .Lfunc_end276-_ZL32rocblas_gemvt_warp_reduce_kernelILb0ELi1024EiPKddKPdEviiT3_lPKT2_lT1_lS7_lS8_lS4_lPT4_lS8_li
                                        ; -- End function
	.set _ZL32rocblas_gemvt_warp_reduce_kernelILb0ELi1024EiPKddKPdEviiT3_lPKT2_lT1_lS7_lS8_lS4_lPT4_lS8_li.num_vgpr, 30
	.set _ZL32rocblas_gemvt_warp_reduce_kernelILb0ELi1024EiPKddKPdEviiT3_lPKT2_lT1_lS7_lS8_lS4_lPT4_lS8_li.num_agpr, 0
	.set _ZL32rocblas_gemvt_warp_reduce_kernelILb0ELi1024EiPKddKPdEviiT3_lPKT2_lT1_lS7_lS8_lS4_lPT4_lS8_li.numbered_sgpr, 40
	.set _ZL32rocblas_gemvt_warp_reduce_kernelILb0ELi1024EiPKddKPdEviiT3_lPKT2_lT1_lS7_lS8_lS4_lPT4_lS8_li.num_named_barrier, 0
	.set _ZL32rocblas_gemvt_warp_reduce_kernelILb0ELi1024EiPKddKPdEviiT3_lPKT2_lT1_lS7_lS8_lS4_lPT4_lS8_li.private_seg_size, 0
	.set _ZL32rocblas_gemvt_warp_reduce_kernelILb0ELi1024EiPKddKPdEviiT3_lPKT2_lT1_lS7_lS8_lS4_lPT4_lS8_li.uses_vcc, 1
	.set _ZL32rocblas_gemvt_warp_reduce_kernelILb0ELi1024EiPKddKPdEviiT3_lPKT2_lT1_lS7_lS8_lS4_lPT4_lS8_li.uses_flat_scratch, 0
	.set _ZL32rocblas_gemvt_warp_reduce_kernelILb0ELi1024EiPKddKPdEviiT3_lPKT2_lT1_lS7_lS8_lS4_lPT4_lS8_li.has_dyn_sized_stack, 0
	.set _ZL32rocblas_gemvt_warp_reduce_kernelILb0ELi1024EiPKddKPdEviiT3_lPKT2_lT1_lS7_lS8_lS4_lPT4_lS8_li.has_recursion, 0
	.set _ZL32rocblas_gemvt_warp_reduce_kernelILb0ELi1024EiPKddKPdEviiT3_lPKT2_lT1_lS7_lS8_lS4_lPT4_lS8_li.has_indirect_call, 0
	.section	.AMDGPU.csdata,"",@progbits
; Kernel info:
; codeLenInByte = 1532
; TotalNumSgprs: 42
; NumVgprs: 30
; ScratchSize: 0
; MemoryBound: 1
; FloatMode: 240
; IeeeMode: 1
; LDSByteSize: 256 bytes/workgroup (compile time only)
; SGPRBlocks: 0
; VGPRBlocks: 1
; NumSGPRsForWavesPerEU: 42
; NumVGPRsForWavesPerEU: 30
; NamedBarCnt: 0
; Occupancy: 16
; WaveLimiterHint : 1
; COMPUTE_PGM_RSRC2:SCRATCH_EN: 0
; COMPUTE_PGM_RSRC2:USER_SGPR: 2
; COMPUTE_PGM_RSRC2:TRAP_HANDLER: 0
; COMPUTE_PGM_RSRC2:TGID_X_EN: 1
; COMPUTE_PGM_RSRC2:TGID_Y_EN: 0
; COMPUTE_PGM_RSRC2:TGID_Z_EN: 1
; COMPUTE_PGM_RSRC2:TIDIG_COMP_CNT: 0
	.section	.text._ZL32rocblas_gemvt_warp_reduce_kernelILb0ELi1024ElPKddKPdEviiT3_lPKT2_lT1_lS7_lS8_lS4_lPT4_lS8_li,"axG",@progbits,_ZL32rocblas_gemvt_warp_reduce_kernelILb0ELi1024ElPKddKPdEviiT3_lPKT2_lT1_lS7_lS8_lS4_lPT4_lS8_li,comdat
	.globl	_ZL32rocblas_gemvt_warp_reduce_kernelILb0ELi1024ElPKddKPdEviiT3_lPKT2_lT1_lS7_lS8_lS4_lPT4_lS8_li ; -- Begin function _ZL32rocblas_gemvt_warp_reduce_kernelILb0ELi1024ElPKddKPdEviiT3_lPKT2_lT1_lS7_lS8_lS4_lPT4_lS8_li
	.p2align	8
	.type	_ZL32rocblas_gemvt_warp_reduce_kernelILb0ELi1024ElPKddKPdEviiT3_lPKT2_lT1_lS7_lS8_lS4_lPT4_lS8_li,@function
_ZL32rocblas_gemvt_warp_reduce_kernelILb0ELi1024ElPKddKPdEviiT3_lPKT2_lT1_lS7_lS8_lS4_lPT4_lS8_li: ; @_ZL32rocblas_gemvt_warp_reduce_kernelILb0ELi1024ElPKddKPdEviiT3_lPKT2_lT1_lS7_lS8_lS4_lPT4_lS8_li
; %bb.0:
	s_load_b32 s5, s[0:1], 0x88
	s_bfe_u32 s2, ttmp6, 0x40014
	s_lshr_b32 s3, ttmp7, 16
	s_add_co_i32 s2, s2, 1
	s_bfe_u32 s6, ttmp6, 0x40008
	s_mul_i32 s4, s3, s2
	s_getreg_b32 s2, hwreg(HW_REG_IB_STS2, 6, 4)
	s_add_co_i32 s6, s6, s4
	s_cmp_eq_u32 s2, 0
	s_mov_b32 s7, 0
	s_cselect_b32 s6, s3, s6
	s_wait_kmcnt 0x0
	s_cmp_ge_u32 s6, s5
	s_cbranch_scc1 .LBB277_40
; %bb.1:
	s_clause 0x4
	s_load_b64 s[20:21], s[0:1], 0x58
	s_load_b64 s[22:23], s[0:1], 0x8
	s_load_b128 s[8:11], s[0:1], 0x68
	s_load_b32 s25, s[0:1], 0x0
	s_load_b64 s[28:29], s[0:1], 0x48
	s_bfe_u32 s12, ttmp6, 0x4000c
	s_and_b32 s13, ttmp6, 15
	s_add_co_i32 s12, s12, 1
	s_clause 0x1
	s_load_b64 s[26:27], s[0:1], 0x78
	s_load_b64 s[30:31], s[0:1], 0x28
	s_mul_i32 s12, ttmp9, s12
	v_mbcnt_lo_u32_b32 v24, -1, 0
	s_add_co_i32 s13, s13, s12
	s_delay_alu instid0(VALU_DEP_1)
	v_lshl_or_b32 v25, v24, 2, 64
	s_wait_kmcnt 0x0
	v_cmp_neq_f64_e64 s3, s[20:21], 1.0
	v_cmp_neq_f64_e64 s4, s[22:23], 0
	v_cmp_eq_f64_e64 s34, s[22:23], 0
	v_cmp_neq_f64_e64 s35, s[20:21], 0
	v_cmp_gt_i32_e32 vcc_lo, s25, v0
	v_cndmask_b32_e32 v2, 0, v0, vcc_lo
	s_or_b32 s33, s4, s3
	s_cmp_eq_u32 s2, 0
	v_cndmask_b32_e64 v22, 0, 1, s4
	s_cselect_b32 s2, ttmp9, s13
	s_ashr_i32 s3, s25, 31
	s_clause 0x1
	s_load_b128 s[12:15], s[0:1], 0x18
	s_load_b128 s[16:19], s[0:1], 0x38
	s_lshr_b32 s3, s3, 22
	s_wait_xcnt 0x0
	v_cmp_eq_u32_e64 s0, 0, v0
	s_add_co_i32 s3, s25, s3
	s_lshl_b64 s[10:11], s[10:11], 3
	s_and_b32 s24, s3, 0xfffffc00
	s_delay_alu instid0(SALU_CYCLE_1)
	v_dual_mov_b32 v3, 0 :: v_dual_bitop2_b32 v8, s24, v0 bitop3:0x54
	s_ashr_i32 s3, s2, 31
	v_cmp_gt_i32_e64 s1, s24, v0
	s_mul_u64 s[36:37], s[26:27], s[2:3]
	v_dual_mov_b32 v1, v3 :: v_dual_ashrrev_i32 v9, 31, v8
	s_mul_u64 s[26:27], s[30:31], s[2:3]
	v_cmp_gt_i32_e64 s2, s25, v8
	v_cmp_gt_u32_e64 s3, 32, v0
	s_delay_alu instid0(VALU_DEP_3)
	v_mul_u64_e32 v[6:7], s[28:29], v[0:1]
	v_mul_u64_e32 v[4:5], s[28:29], v[8:9]
	v_dual_lshrrev_b32 v8, 2, v0 :: v_dual_bitop2_b32 v9, 31, v0 bitop3:0x40
	v_lshlrev_b32_e32 v2, 3, v2
	s_ashr_i32 s25, s24, 31
	s_lshl_b64 s[28:29], s[28:29], 13
	s_delay_alu instid0(VALU_DEP_2)
	v_lshlrev_b32_e32 v1, 3, v9
	v_cmp_eq_u32_e64 s4, 0, v9
	v_and_b32_e32 v23, 0xf8, v8
	v_mov_b64_e32 v[8:9], 0
	s_wait_kmcnt 0x0
	s_lshl_b64 s[14:15], s[14:15], 3
	s_lshl_b64 s[18:19], s[18:19], 3
	;; [unrolled: 1-line block ×3, first 2 shown]
	v_lshlrev_b64_e32 v[6:7], 3, v[6:7]
	s_branch .LBB277_4
.LBB277_2:                              ;   in Loop: Header=BB277_4 Depth=1
	s_wait_xcnt 0x0
	s_or_b32 exec_lo, exec_lo, s37
.LBB277_3:                              ;   in Loop: Header=BB277_4 Depth=1
	s_add_co_i32 s6, s6, 0x10000
	s_delay_alu instid0(SALU_CYCLE_1)
	s_cmp_lt_u32 s6, s5
	s_cbranch_scc0 .LBB277_40
.LBB277_4:                              ; =>This Loop Header: Depth=1
                                        ;     Child Loop BB277_29 Depth 2
	s_and_not1_b32 vcc_lo, exec_lo, s33
	s_cbranch_vccnz .LBB277_3
; %bb.5:                                ;   in Loop: Header=BB277_4 Depth=1
	s_and_not1_b32 vcc_lo, exec_lo, s34
	s_cbranch_vccnz .LBB277_7
; %bb.6:                                ;   in Loop: Header=BB277_4 Depth=1
	s_wait_dscnt 0x0
	v_mov_b64_e32 v[12:13], 0
	v_mov_b64_e32 v[14:15], 0
	s_cbranch_execz .LBB277_8
	s_branch .LBB277_9
.LBB277_7:                              ;   in Loop: Header=BB277_4 Depth=1
	s_wait_dscnt 0x0
	v_mov_b64_e32 v[12:13], 0
	v_mov_b64_e32 v[14:15], 0
.LBB277_8:                              ;   in Loop: Header=BB277_4 Depth=1
	s_lshl_b64 s[36:37], s[6:7], 3
	s_delay_alu instid0(SALU_CYCLE_1)
	s_add_nc_u64 s[36:37], s[12:13], s[36:37]
	global_load_b64 v[10:11], v3, s[36:37]
	s_wait_loadcnt 0x0
	v_add_nc_u64_e32 v[14:15], s[14:15], v[10:11]
.LBB277_9:                              ;   in Loop: Header=BB277_4 Depth=1
	v_cmp_ne_u32_e32 vcc_lo, 1, v22
	s_cbranch_vccnz .LBB277_11
; %bb.10:                               ;   in Loop: Header=BB277_4 Depth=1
	s_wait_xcnt 0x0
	s_lshl_b64 s[36:37], s[6:7], 3
	s_delay_alu instid0(SALU_CYCLE_1)
	s_add_nc_u64 s[36:37], s[16:17], s[36:37]
	global_load_b64 v[10:11], v3, s[36:37]
	s_wait_loadcnt 0x0
	v_add_nc_u64_e32 v[12:13], s[18:19], v[10:11]
.LBB277_11:                             ;   in Loop: Header=BB277_4 Depth=1
	s_wait_xcnt 0x0
	s_lshl_b64 s[36:37], s[6:7], 3
	s_and_not1_b32 vcc_lo, exec_lo, s34
	s_add_nc_u64 s[36:37], s[8:9], s[36:37]
	global_load_b64 v[10:11], v3, s[36:37]
	s_wait_loadcnt 0x0
	v_add_nc_u64_e32 v[10:11], s[10:11], v[10:11]
	s_cbranch_vccnz .LBB277_15
; %bb.12:                               ;   in Loop: Header=BB277_4 Depth=1
	s_wait_xcnt 0x0
	s_mov_b32 s37, 0
	s_mov_b32 s36, 0
                                        ; implicit-def: $vgpr16_vgpr17
	s_and_saveexec_b32 s38, s0
	s_cbranch_execz .LBB277_16
; %bb.13:                               ;   in Loop: Header=BB277_4 Depth=1
	s_and_not1_b32 vcc_lo, exec_lo, s35
	s_cbranch_vccnz .LBB277_17
; %bb.14:                               ;   in Loop: Header=BB277_4 Depth=1
	v_add_nc_u64_e32 v[16:17], s[30:31], v[10:11]
	flat_load_b64 v[16:17], v[16:17]
	s_wait_loadcnt_dscnt 0x0
	s_wait_xcnt 0x0
	v_mul_f64_e32 v[16:17], s[20:21], v[16:17]
	s_branch .LBB277_18
.LBB277_15:                             ;   in Loop: Header=BB277_4 Depth=1
	s_wait_xcnt 0x0
	s_mov_b32 s36, 0
                                        ; implicit-def: $vgpr16_vgpr17
	s_cbranch_execnz .LBB277_19
	s_branch .LBB277_38
.LBB277_16:                             ;   in Loop: Header=BB277_4 Depth=1
	s_or_b32 exec_lo, exec_lo, s38
	s_delay_alu instid0(SALU_CYCLE_1)
	s_and_b32 vcc_lo, exec_lo, s37
	s_cbranch_vccnz .LBB277_19
	s_branch .LBB277_38
.LBB277_17:                             ;   in Loop: Header=BB277_4 Depth=1
	v_mov_b64_e32 v[16:17], 0
.LBB277_18:                             ;   in Loop: Header=BB277_4 Depth=1
	s_mov_b32 s36, exec_lo
	s_or_b32 exec_lo, exec_lo, s38
	s_delay_alu instid0(SALU_CYCLE_1)
	s_and_b32 vcc_lo, exec_lo, s37
	s_cbranch_vccz .LBB277_38
.LBB277_19:                             ;   in Loop: Header=BB277_4 Depth=1
	v_add_nc_u64_e32 v[16:17], v[14:15], v[2:3]
	v_mov_b64_e32 v[14:15], 0
	s_delay_alu instid0(VALU_DEP_2)
	v_lshl_add_u64 v[16:17], s[26:27], 3, v[16:17]
	s_and_saveexec_b32 s37, s1
	s_cbranch_execnz .LBB277_28
; %bb.20:                               ;   in Loop: Header=BB277_4 Depth=1
	s_or_b32 exec_lo, exec_lo, s37
	s_and_saveexec_b32 s37, s2
	s_cbranch_execnz .LBB277_31
.LBB277_21:                             ;   in Loop: Header=BB277_4 Depth=1
	s_or_b32 exec_lo, exec_lo, s37
	s_and_saveexec_b32 s37, s3
.LBB277_22:                             ;   in Loop: Header=BB277_4 Depth=1
	ds_store_b64 v1, v[8:9]
.LBB277_23:                             ;   in Loop: Header=BB277_4 Depth=1
	s_or_b32 exec_lo, exec_lo, s37
	ds_bpermute_b32 v12, v25, v14
	ds_bpermute_b32 v13, v25, v15
	v_cmp_gt_u32_e32 vcc_lo, 24, v24
	s_wait_dscnt 0x0
	s_barrier_signal -1
	s_barrier_wait -1
	v_add_f64_e32 v[12:13], v[14:15], v[12:13]
	v_cndmask_b32_e64 v14, 0, 8, vcc_lo
	v_cmp_gt_u32_e32 vcc_lo, 28, v24
	s_delay_alu instid0(VALU_DEP_2)
	v_add_lshl_u32 v16, v14, v24, 2
	ds_bpermute_b32 v14, v16, v12
	ds_bpermute_b32 v15, v16, v13
	s_wait_dscnt 0x0
	v_add_f64_e32 v[12:13], v[12:13], v[14:15]
	v_cndmask_b32_e64 v14, 0, 4, vcc_lo
	v_cmp_gt_u32_e32 vcc_lo, 30, v24
	s_delay_alu instid0(VALU_DEP_2)
	v_add_lshl_u32 v17, v14, v24, 2
	ds_bpermute_b32 v14, v17, v12
	ds_bpermute_b32 v15, v17, v13
	s_wait_dscnt 0x0
	v_add_f64_e32 v[12:13], v[12:13], v[14:15]
	v_cndmask_b32_e64 v14, 0, 2, vcc_lo
	v_cmp_ne_u32_e32 vcc_lo, 31, v24
	s_delay_alu instid0(VALU_DEP_2)
	v_add_lshl_u32 v18, v14, v24, 2
	ds_bpermute_b32 v14, v18, v12
	ds_bpermute_b32 v15, v18, v13
	s_wait_dscnt 0x0
	v_add_f64_e32 v[12:13], v[12:13], v[14:15]
	v_add_co_ci_u32_e64 v14, null, 0, v24, vcc_lo
	s_delay_alu instid0(VALU_DEP_1)
	v_lshlrev_b32_e32 v19, 2, v14
	ds_bpermute_b32 v14, v19, v12
	ds_bpermute_b32 v15, v19, v13
	s_and_saveexec_b32 s37, s4
	s_cbranch_execz .LBB277_25
; %bb.24:                               ;   in Loop: Header=BB277_4 Depth=1
	s_wait_dscnt 0x0
	v_add_f64_e32 v[12:13], v[12:13], v[14:15]
	ds_store_b64 v23, v[12:13]
.LBB277_25:                             ;   in Loop: Header=BB277_4 Depth=1
	s_or_b32 exec_lo, exec_lo, s37
	v_mov_b64_e32 v[12:13], 0
	s_wait_dscnt 0x0
	s_barrier_signal -1
	s_barrier_wait -1
	s_and_saveexec_b32 s37, s3
	s_cbranch_execnz .LBB277_32
; %bb.26:                               ;   in Loop: Header=BB277_4 Depth=1
	s_or_b32 exec_lo, exec_lo, s37
	s_and_saveexec_b32 s37, s3
	s_cbranch_execnz .LBB277_33
.LBB277_27:                             ;   in Loop: Header=BB277_4 Depth=1
	s_or_b32 exec_lo, exec_lo, s37
                                        ; implicit-def: $vgpr16_vgpr17
	s_and_saveexec_b32 s37, s0
	s_cbranch_execnz .LBB277_34
	s_branch .LBB277_37
.LBB277_28:                             ;   in Loop: Header=BB277_4 Depth=1
	v_add_nc_u64_e32 v[18:19], v[12:13], v[6:7]
	v_mov_b64_e32 v[14:15], 0
	v_mov_b64_e32 v[20:21], v[16:17]
	v_mov_b32_e32 v26, v0
	s_mov_b32 s38, 0
.LBB277_29:                             ;   Parent Loop BB277_4 Depth=1
                                        ; =>  This Inner Loop Header: Depth=2
	flat_load_b64 v[28:29], v[20:21]
	flat_load_b64 v[30:31], v[18:19]
	v_add_nc_u32_e32 v26, 0x400, v26
	s_wait_xcnt 0x1
	v_add_nc_u64_e32 v[20:21], 0x2000, v[20:21]
	s_wait_xcnt 0x0
	v_add_nc_u64_e32 v[18:19], s[28:29], v[18:19]
	v_cmp_le_i32_e32 vcc_lo, s24, v26
	s_or_b32 s38, vcc_lo, s38
	s_wait_loadcnt_dscnt 0x0
	v_fmac_f64_e32 v[14:15], v[28:29], v[30:31]
	s_and_not1_b32 exec_lo, exec_lo, s38
	s_cbranch_execnz .LBB277_29
; %bb.30:                               ;   in Loop: Header=BB277_4 Depth=1
	s_or_b32 exec_lo, exec_lo, s38
	s_delay_alu instid0(SALU_CYCLE_1)
	s_or_b32 exec_lo, exec_lo, s37
	s_and_saveexec_b32 s37, s2
	s_cbranch_execz .LBB277_21
.LBB277_31:                             ;   in Loop: Header=BB277_4 Depth=1
	v_lshl_add_u64 v[16:17], s[24:25], 3, v[16:17]
	v_lshl_add_u64 v[12:13], v[4:5], 3, v[12:13]
	flat_load_b64 v[18:19], v[16:17]
	flat_load_b64 v[20:21], v[12:13]
	s_wait_loadcnt_dscnt 0x0
	v_fmac_f64_e32 v[14:15], v[18:19], v[20:21]
	s_wait_xcnt 0x0
	s_or_b32 exec_lo, exec_lo, s37
	s_and_saveexec_b32 s37, s3
	s_cbranch_execnz .LBB277_22
	s_branch .LBB277_23
.LBB277_32:                             ;   in Loop: Header=BB277_4 Depth=1
	ds_load_b64 v[12:13], v1
	s_or_b32 exec_lo, exec_lo, s37
	s_and_saveexec_b32 s37, s3
	s_cbranch_execz .LBB277_27
.LBB277_33:                             ;   in Loop: Header=BB277_4 Depth=1
	s_wait_dscnt 0x0
	ds_bpermute_b32 v14, v25, v12
	ds_bpermute_b32 v15, v25, v13
	s_wait_dscnt 0x0
	v_add_f64_e32 v[12:13], v[12:13], v[14:15]
	ds_bpermute_b32 v14, v16, v12
	ds_bpermute_b32 v15, v16, v13
	s_wait_dscnt 0x0
	v_add_f64_e32 v[12:13], v[12:13], v[14:15]
	;; [unrolled: 4-line block ×5, first 2 shown]
	s_or_b32 exec_lo, exec_lo, s37
                                        ; implicit-def: $vgpr16_vgpr17
	s_and_saveexec_b32 s37, s0
	s_cbranch_execz .LBB277_37
.LBB277_34:                             ;   in Loop: Header=BB277_4 Depth=1
	s_wait_dscnt 0x0
	s_delay_alu instid0(VALU_DEP_1)
	v_mul_f64_e32 v[16:17], s[22:23], v[12:13]
	s_and_not1_b32 vcc_lo, exec_lo, s35
	s_cbranch_vccnz .LBB277_36
; %bb.35:                               ;   in Loop: Header=BB277_4 Depth=1
	v_add_nc_u64_e32 v[12:13], s[30:31], v[10:11]
	flat_load_b64 v[12:13], v[12:13]
	s_wait_loadcnt_dscnt 0x0
	v_fmac_f64_e32 v[16:17], s[20:21], v[12:13]
.LBB277_36:                             ;   in Loop: Header=BB277_4 Depth=1
	s_or_b32 s36, s36, exec_lo
.LBB277_37:                             ;   in Loop: Header=BB277_4 Depth=1
	s_wait_xcnt 0x0
	s_or_b32 exec_lo, exec_lo, s37
.LBB277_38:                             ;   in Loop: Header=BB277_4 Depth=1
	s_and_saveexec_b32 s37, s36
	s_cbranch_execz .LBB277_2
; %bb.39:                               ;   in Loop: Header=BB277_4 Depth=1
	v_add_nc_u64_e32 v[10:11], s[30:31], v[10:11]
	flat_store_b64 v[10:11], v[16:17]
	s_branch .LBB277_2
.LBB277_40:
	s_endpgm
	.section	.rodata,"a",@progbits
	.p2align	6, 0x0
	.amdhsa_kernel _ZL32rocblas_gemvt_warp_reduce_kernelILb0ELi1024ElPKddKPdEviiT3_lPKT2_lT1_lS7_lS8_lS4_lPT4_lS8_li
		.amdhsa_group_segment_fixed_size 256
		.amdhsa_private_segment_fixed_size 0
		.amdhsa_kernarg_size 140
		.amdhsa_user_sgpr_count 2
		.amdhsa_user_sgpr_dispatch_ptr 0
		.amdhsa_user_sgpr_queue_ptr 0
		.amdhsa_user_sgpr_kernarg_segment_ptr 1
		.amdhsa_user_sgpr_dispatch_id 0
		.amdhsa_user_sgpr_kernarg_preload_length 0
		.amdhsa_user_sgpr_kernarg_preload_offset 0
		.amdhsa_user_sgpr_private_segment_size 0
		.amdhsa_wavefront_size32 1
		.amdhsa_uses_dynamic_stack 0
		.amdhsa_enable_private_segment 0
		.amdhsa_system_sgpr_workgroup_id_x 1
		.amdhsa_system_sgpr_workgroup_id_y 0
		.amdhsa_system_sgpr_workgroup_id_z 1
		.amdhsa_system_sgpr_workgroup_info 0
		.amdhsa_system_vgpr_workitem_id 0
		.amdhsa_next_free_vgpr 32
		.amdhsa_next_free_sgpr 39
		.amdhsa_named_barrier_count 0
		.amdhsa_reserve_vcc 1
		.amdhsa_float_round_mode_32 0
		.amdhsa_float_round_mode_16_64 0
		.amdhsa_float_denorm_mode_32 3
		.amdhsa_float_denorm_mode_16_64 3
		.amdhsa_fp16_overflow 0
		.amdhsa_memory_ordered 1
		.amdhsa_forward_progress 1
		.amdhsa_inst_pref_size 13
		.amdhsa_round_robin_scheduling 0
		.amdhsa_exception_fp_ieee_invalid_op 0
		.amdhsa_exception_fp_denorm_src 0
		.amdhsa_exception_fp_ieee_div_zero 0
		.amdhsa_exception_fp_ieee_overflow 0
		.amdhsa_exception_fp_ieee_underflow 0
		.amdhsa_exception_fp_ieee_inexact 0
		.amdhsa_exception_int_div_zero 0
	.end_amdhsa_kernel
	.section	.text._ZL32rocblas_gemvt_warp_reduce_kernelILb0ELi1024ElPKddKPdEviiT3_lPKT2_lT1_lS7_lS8_lS4_lPT4_lS8_li,"axG",@progbits,_ZL32rocblas_gemvt_warp_reduce_kernelILb0ELi1024ElPKddKPdEviiT3_lPKT2_lT1_lS7_lS8_lS4_lPT4_lS8_li,comdat
.Lfunc_end277:
	.size	_ZL32rocblas_gemvt_warp_reduce_kernelILb0ELi1024ElPKddKPdEviiT3_lPKT2_lT1_lS7_lS8_lS4_lPT4_lS8_li, .Lfunc_end277-_ZL32rocblas_gemvt_warp_reduce_kernelILb0ELi1024ElPKddKPdEviiT3_lPKT2_lT1_lS7_lS8_lS4_lPT4_lS8_li
                                        ; -- End function
	.set _ZL32rocblas_gemvt_warp_reduce_kernelILb0ELi1024ElPKddKPdEviiT3_lPKT2_lT1_lS7_lS8_lS4_lPT4_lS8_li.num_vgpr, 32
	.set _ZL32rocblas_gemvt_warp_reduce_kernelILb0ELi1024ElPKddKPdEviiT3_lPKT2_lT1_lS7_lS8_lS4_lPT4_lS8_li.num_agpr, 0
	.set _ZL32rocblas_gemvt_warp_reduce_kernelILb0ELi1024ElPKddKPdEviiT3_lPKT2_lT1_lS7_lS8_lS4_lPT4_lS8_li.numbered_sgpr, 39
	.set _ZL32rocblas_gemvt_warp_reduce_kernelILb0ELi1024ElPKddKPdEviiT3_lPKT2_lT1_lS7_lS8_lS4_lPT4_lS8_li.num_named_barrier, 0
	.set _ZL32rocblas_gemvt_warp_reduce_kernelILb0ELi1024ElPKddKPdEviiT3_lPKT2_lT1_lS7_lS8_lS4_lPT4_lS8_li.private_seg_size, 0
	.set _ZL32rocblas_gemvt_warp_reduce_kernelILb0ELi1024ElPKddKPdEviiT3_lPKT2_lT1_lS7_lS8_lS4_lPT4_lS8_li.uses_vcc, 1
	.set _ZL32rocblas_gemvt_warp_reduce_kernelILb0ELi1024ElPKddKPdEviiT3_lPKT2_lT1_lS7_lS8_lS4_lPT4_lS8_li.uses_flat_scratch, 0
	.set _ZL32rocblas_gemvt_warp_reduce_kernelILb0ELi1024ElPKddKPdEviiT3_lPKT2_lT1_lS7_lS8_lS4_lPT4_lS8_li.has_dyn_sized_stack, 0
	.set _ZL32rocblas_gemvt_warp_reduce_kernelILb0ELi1024ElPKddKPdEviiT3_lPKT2_lT1_lS7_lS8_lS4_lPT4_lS8_li.has_recursion, 0
	.set _ZL32rocblas_gemvt_warp_reduce_kernelILb0ELi1024ElPKddKPdEviiT3_lPKT2_lT1_lS7_lS8_lS4_lPT4_lS8_li.has_indirect_call, 0
	.section	.AMDGPU.csdata,"",@progbits
; Kernel info:
; codeLenInByte = 1540
; TotalNumSgprs: 41
; NumVgprs: 32
; ScratchSize: 0
; MemoryBound: 1
; FloatMode: 240
; IeeeMode: 1
; LDSByteSize: 256 bytes/workgroup (compile time only)
; SGPRBlocks: 0
; VGPRBlocks: 1
; NumSGPRsForWavesPerEU: 41
; NumVGPRsForWavesPerEU: 32
; NamedBarCnt: 0
; Occupancy: 16
; WaveLimiterHint : 1
; COMPUTE_PGM_RSRC2:SCRATCH_EN: 0
; COMPUTE_PGM_RSRC2:USER_SGPR: 2
; COMPUTE_PGM_RSRC2:TRAP_HANDLER: 0
; COMPUTE_PGM_RSRC2:TGID_X_EN: 1
; COMPUTE_PGM_RSRC2:TGID_Y_EN: 0
; COMPUTE_PGM_RSRC2:TGID_Z_EN: 1
; COMPUTE_PGM_RSRC2:TIDIG_COMP_CNT: 0
	.section	.text._ZL22rocblas_gemvtsm_kernelILb1ELi256EPKdS1_KPdEviiT2_lPKT1_lilS7_lilS4_lPT3_lil,"axG",@progbits,_ZL22rocblas_gemvtsm_kernelILb1ELi256EPKdS1_KPdEviiT2_lPKT1_lilS7_lilS4_lPT3_lil,comdat
	.globl	_ZL22rocblas_gemvtsm_kernelILb1ELi256EPKdS1_KPdEviiT2_lPKT1_lilS7_lilS4_lPT3_lil ; -- Begin function _ZL22rocblas_gemvtsm_kernelILb1ELi256EPKdS1_KPdEviiT2_lPKT1_lilS7_lilS4_lPT3_lil
	.p2align	8
	.type	_ZL22rocblas_gemvtsm_kernelILb1ELi256EPKdS1_KPdEviiT2_lPKT1_lilS7_lilS4_lPT3_lil,@function
_ZL22rocblas_gemvtsm_kernelILb1ELi256EPKdS1_KPdEviiT2_lPKT1_lilS7_lilS4_lPT3_lil: ; @_ZL22rocblas_gemvtsm_kernelILb1ELi256EPKdS1_KPdEviiT2_lPKT1_lilS7_lilS4_lPT3_lil
; %bb.0:
	s_clause 0x1
	s_load_b256 s[12:19], s[0:1], 0x8
	s_load_b256 s[4:11], s[0:1], 0x58
	s_bfe_u32 s2, ttmp6, 0x4000c
	s_and_b32 s3, ttmp6, 15
	s_add_co_i32 s2, s2, 1
	s_getreg_b32 s20, hwreg(HW_REG_IB_STS2, 6, 4)
	s_mul_i32 s2, ttmp9, s2
	s_delay_alu instid0(SALU_CYCLE_1)
	s_add_co_i32 s2, s3, s2
	s_cmp_eq_u32 s20, 0
	s_mov_b32 s3, 0
	s_cselect_b32 s2, ttmp9, s2
	s_wait_kmcnt 0x0
	s_mul_u64 s[14:15], s[14:15], s[2:3]
	s_mul_u64 s[6:7], s[6:7], s[2:3]
	s_lshl_b64 s[14:15], s[14:15], 3
	s_lshl_b64 s[6:7], s[6:7], 3
	s_add_nc_u64 s[12:13], s[12:13], s[14:15]
	s_add_nc_u64 s[6:7], s[4:5], s[6:7]
	s_load_b64 s[14:15], s[12:13], 0x0
	s_load_b64 s[4:5], s[6:7], 0x0
	s_wait_xcnt 0x0
	s_mov_b64 s[12:13], 0
	s_wait_kmcnt 0x0
	v_cmp_eq_f64_e64 s20, s[14:15], 0
	v_cmp_eq_f64_e64 s6, s[4:5], 1.0
	s_and_b32 s6, s20, s6
	s_delay_alu instid0(SALU_CYCLE_1)
	s_and_b32 vcc_lo, exec_lo, s6
	s_cbranch_vccnz .LBB278_39
; %bb.1:
	v_cmp_neq_f64_e64 s6, s[14:15], 0
	s_and_b32 vcc_lo, exec_lo, s20
	s_cbranch_vccnz .LBB278_3
; %bb.2:
	s_lshl_b64 s[12:13], s[2:3], 3
	s_delay_alu instid0(SALU_CYCLE_1)
	s_add_nc_u64 s[12:13], s[16:17], s[12:13]
	s_lshl_b64 s[16:17], s[18:19], 3
	s_load_b64 s[12:13], s[12:13], 0x0
	s_wait_kmcnt 0x0
	s_add_nc_u64 s[12:13], s[12:13], s[16:17]
.LBB278_3:
	s_and_not1_b32 vcc_lo, exec_lo, s6
	s_cbranch_vccnz .LBB278_5
; %bb.4:
	s_load_b128 s[16:19], s[0:1], 0x38
	s_lshl_b64 s[6:7], s[2:3], 3
	s_wait_kmcnt 0x0
	s_add_nc_u64 s[6:7], s[16:17], s[6:7]
	s_lshl_b64 s[16:17], s[18:19], 3
	s_load_b64 s[6:7], s[6:7], 0x0
	s_wait_kmcnt 0x0
	s_add_nc_u64 s[18:19], s[6:7], s[16:17]
	s_branch .LBB278_6
.LBB278_5:
	s_mov_b64 s[18:19], 0
.LBB278_6:
	s_lshl_b64 s[2:3], s[2:3], 3
	s_and_not1_b32 vcc_lo, exec_lo, s20
	s_add_nc_u64 s[2:3], s[8:9], s[2:3]
	s_clause 0x1
	s_load_b64 s[6:7], s[0:1], 0x0
	s_load_b32 s8, s[0:1], 0x78
	s_load_b64 s[16:17], s[2:3], 0x0
	s_wait_xcnt 0x0
	s_mov_b32 s2, -1
	s_cbranch_vccnz .LBB278_21
; %bb.7:
	v_cmp_neq_f64_e64 s2, s[4:5], 0
	s_wait_kmcnt 0x0
	s_cmp_gt_i32 s7, 0
	s_cselect_b32 s20, -1, 0
	s_delay_alu instid0(SALU_CYCLE_1) | instskip(SKIP_1) | instid1(VALU_DEP_1)
	v_cndmask_b32_e64 v1, 0, 1, s20
	s_and_b32 vcc_lo, exec_lo, s2
	v_cmp_ne_u32_e64 s2, 1, v1
	s_cbranch_vccnz .LBB278_14
; %bb.8:
	s_and_b32 vcc_lo, exec_lo, s2
	s_cbranch_vccnz .LBB278_13
; %bb.9:
	v_mov_b32_e32 v1, 0
	s_ashr_i32 s9, s8, 31
	s_lshl_b64 s[2:3], s[10:11], 3
	v_mov_b64_e32 v[2:3], 0
	s_add_nc_u64 s[2:3], s[16:17], s[2:3]
	v_mul_u64_e32 v[4:5], s[8:9], v[0:1]
	s_delay_alu instid0(VALU_DEP_1)
	v_lshl_add_u64 v[4:5], v[4:5], 3, s[2:3]
	s_lshl_b64 s[2:3], s[8:9], 11
	s_mov_b32 s9, 0
	s_branch .LBB278_11
.LBB278_10:                             ;   in Loop: Header=BB278_11 Depth=1
	s_wait_xcnt 0x0
	s_or_b32 exec_lo, exec_lo, s21
	v_add_nc_u64_e32 v[4:5], s[2:3], v[4:5]
	s_addk_co_i32 s9, 0x100
	s_delay_alu instid0(SALU_CYCLE_1)
	s_cmp_ge_i32 s9, s7
	s_cbranch_scc1 .LBB278_13
.LBB278_11:                             ; =>This Inner Loop Header: Depth=1
	v_add_nc_u32_e32 v1, s9, v0
	s_mov_b32 s21, exec_lo
	s_delay_alu instid0(VALU_DEP_1)
	v_cmpx_gt_i32_e64 s7, v1
	s_cbranch_execz .LBB278_10
; %bb.12:                               ;   in Loop: Header=BB278_11 Depth=1
	flat_store_b64 v[4:5], v[2:3]
	s_branch .LBB278_10
.LBB278_13:
	s_cbranch_execz .LBB278_15
	s_branch .LBB278_20
.LBB278_14:
.LBB278_15:
	s_and_not1_b32 vcc_lo, exec_lo, s20
	s_cbranch_vccnz .LBB278_20
; %bb.16:
	v_mov_b32_e32 v1, 0
	s_ashr_i32 s9, s8, 31
	s_lshl_b64 s[2:3], s[10:11], 3
	s_delay_alu instid0(SALU_CYCLE_1) | instskip(NEXT) | instid1(VALU_DEP_1)
	s_add_nc_u64 s[2:3], s[16:17], s[2:3]
	v_mul_u64_e32 v[2:3], s[8:9], v[0:1]
	s_delay_alu instid0(VALU_DEP_1)
	v_lshl_add_u64 v[2:3], v[2:3], 3, s[2:3]
	s_lshl_b64 s[2:3], s[8:9], 11
	s_mov_b32 s9, 0
	s_branch .LBB278_18
.LBB278_17:                             ;   in Loop: Header=BB278_18 Depth=1
	s_wait_xcnt 0x0
	s_or_b32 exec_lo, exec_lo, s20
	v_add_nc_u64_e32 v[2:3], s[2:3], v[2:3]
	s_addk_co_i32 s9, 0x100
	s_delay_alu instid0(SALU_CYCLE_1)
	s_cmp_ge_i32 s9, s7
	s_cbranch_scc1 .LBB278_20
.LBB278_18:                             ; =>This Inner Loop Header: Depth=1
	v_add_nc_u32_e32 v1, s9, v0
	s_mov_b32 s20, exec_lo
	s_delay_alu instid0(VALU_DEP_1)
	v_cmpx_gt_i32_e64 s7, v1
	s_cbranch_execz .LBB278_17
; %bb.19:                               ;   in Loop: Header=BB278_18 Depth=1
	flat_load_b64 v[4:5], v[2:3]
	s_wait_loadcnt_dscnt 0x0
	v_mul_f64_e32 v[4:5], s[4:5], v[4:5]
	flat_store_b64 v[2:3], v[4:5]
	s_branch .LBB278_17
.LBB278_20:
	s_mov_b32 s2, 0
.LBB278_21:
	s_delay_alu instid0(SALU_CYCLE_1)
	s_and_not1_b32 vcc_lo, exec_lo, s2
	s_cbranch_vccnz .LBB278_39
; %bb.22:
	s_mov_b32 s2, exec_lo
	s_wait_kmcnt 0x0
	v_cmpx_gt_i32_e64 s6, v0
	s_cbranch_execz .LBB278_24
; %bb.23:
	s_load_b32 s20, s[0:1], 0x48
	v_mov_b32_e32 v1, 0
	s_wait_kmcnt 0x0
	s_ashr_i32 s21, s20, 31
	s_delay_alu instid0(VALU_DEP_1) | instid1(SALU_CYCLE_1)
	v_mul_u64_e32 v[2:3], s[20:21], v[0:1]
	v_lshlrev_b32_e32 v1, 3, v0
	s_delay_alu instid0(VALU_DEP_2)
	v_lshl_add_u64 v[2:3], v[2:3], 3, s[18:19]
	flat_load_b64 v[2:3], v[2:3]
	s_wait_loadcnt_dscnt 0x0
	v_mul_f64_e32 v[2:3], s[14:15], v[2:3]
	ds_store_b64 v1, v[2:3]
.LBB278_24:
	s_or_b32 exec_lo, exec_lo, s2
	s_cmp_lt_i32 s7, 1
	s_wait_storecnt_dscnt 0x0
	s_barrier_signal -1
	s_barrier_wait -1
	s_cbranch_scc1 .LBB278_39
; %bb.25:
	s_load_b32 s18, s[0:1], 0x28
	v_mov_b32_e32 v3, 0
	v_cmp_neq_f64_e64 s14, s[4:5], 0
	s_wait_xcnt 0x0
	s_lshl_b64 s[0:1], s[10:11], 3
	s_ashr_i32 s9, s8, 31
	s_add_nc_u64 s[0:1], s[16:17], s[0:1]
	v_mov_b32_e32 v1, v3
	s_mov_b32 s3, 0
	s_mov_b32 s17, 0
	s_wait_kmcnt 0x0
	s_ashr_i32 s19, s18, 31
	s_cmp_gt_i32 s6, 0
	v_mul_u64_e32 v[4:5], s[18:19], v[0:1]
	s_cselect_b32 s15, -1, 0
	s_and_b32 s16, s6, 7
	s_cmp_gt_u32 s6, 7
	s_delay_alu instid0(VALU_DEP_1)
	v_lshl_add_u64 v[4:5], v[4:5], 3, s[12:13]
	s_cselect_b32 s12, -1, 0
	s_and_b32 s6, s6, 0x7ffffff8
	s_cmp_lg_u32 s16, 0
	s_cselect_b32 s13, -1, 0
	v_add_nc_u64_e32 v[6:7], 56, v[4:5]
	s_lshl_b64 s[10:11], s[18:19], 11
	s_branch .LBB278_28
.LBB278_26:                             ;   in Loop: Header=BB278_28 Depth=1
	flat_store_b64 v[8:9], v[10:11]
.LBB278_27:                             ;   in Loop: Header=BB278_28 Depth=1
	s_wait_xcnt 0x0
	s_or_b32 exec_lo, exec_lo, s18
	v_add_nc_u64_e32 v[6:7], s[10:11], v[6:7]
	v_add_nc_u64_e32 v[4:5], s[10:11], v[4:5]
	s_addk_co_i32 s17, 0x100
	s_delay_alu instid0(SALU_CYCLE_1)
	s_cmp_ge_i32 s17, s7
	s_cbranch_scc1 .LBB278_39
.LBB278_28:                             ; =>This Loop Header: Depth=1
                                        ;     Child Loop BB278_34 Depth 2
                                        ;     Child Loop BB278_38 Depth 2
	v_add_nc_u32_e32 v2, s17, v0
	s_mov_b32 s18, exec_lo
	s_delay_alu instid0(VALU_DEP_1)
	v_cmpx_gt_i32_e64 s7, v2
	s_cbranch_execz .LBB278_27
; %bb.29:                               ;   in Loop: Header=BB278_28 Depth=1
	v_mul_u64_e32 v[8:9], s[8:9], v[2:3]
	s_and_not1_b32 vcc_lo, exec_lo, s14
	s_delay_alu instid0(VALU_DEP_1)
	v_lshl_add_u64 v[8:9], v[8:9], 3, s[0:1]
	s_cbranch_vccnz .LBB278_31
; %bb.30:                               ;   in Loop: Header=BB278_28 Depth=1
	flat_load_b64 v[10:11], v[8:9]
	s_wait_loadcnt_dscnt 0x0
	v_mul_f64_e32 v[10:11], s[4:5], v[10:11]
	s_and_not1_b32 vcc_lo, exec_lo, s15
	s_cbranch_vccz .LBB278_32
	s_branch .LBB278_26
.LBB278_31:                             ;   in Loop: Header=BB278_28 Depth=1
	v_mov_b64_e32 v[10:11], 0
	s_and_not1_b32 vcc_lo, exec_lo, s15
	s_cbranch_vccnz .LBB278_26
.LBB278_32:                             ;   in Loop: Header=BB278_28 Depth=1
	s_and_not1_b32 vcc_lo, exec_lo, s12
	s_mov_b32 s2, 0
	s_cbranch_vccnz .LBB278_36
; %bb.33:                               ;   in Loop: Header=BB278_28 Depth=1
	v_mov_b64_e32 v[12:13], v[6:7]
	s_mov_b32 s19, 0
.LBB278_34:                             ;   Parent Loop BB278_28 Depth=1
                                        ; =>  This Inner Loop Header: Depth=2
	s_clause 0x3
	flat_load_b128 v[14:17], v[12:13] offset:-56
	flat_load_b128 v[18:21], v[12:13] offset:-40
	;; [unrolled: 1-line block ×4, first 2 shown]
	v_mov_b32_e32 v1, s2
	s_wait_xcnt 0x0
	v_add_nc_u64_e32 v[12:13], 64, v[12:13]
	s_add_co_i32 s19, s19, 8
	s_add_co_i32 s2, s2, 64
	ds_load_b128 v[30:33], v1
	ds_load_b128 v[34:37], v1 offset:16
	s_cmp_eq_u32 s6, s19
	s_wait_loadcnt_dscnt 0x301
	v_fmac_f64_e32 v[10:11], v[30:31], v[14:15]
	s_delay_alu instid0(VALU_DEP_1) | instskip(SKIP_1) | instid1(VALU_DEP_1)
	v_fmac_f64_e32 v[10:11], v[32:33], v[16:17]
	s_wait_loadcnt_dscnt 0x200
	v_fmac_f64_e32 v[10:11], v[34:35], v[18:19]
	s_delay_alu instid0(VALU_DEP_1) | instskip(SKIP_4) | instid1(VALU_DEP_1)
	v_fmac_f64_e32 v[10:11], v[36:37], v[20:21]
	ds_load_b128 v[14:17], v1 offset:32
	ds_load_b128 v[18:21], v1 offset:48
	s_wait_loadcnt_dscnt 0x101
	v_fmac_f64_e32 v[10:11], v[14:15], v[22:23]
	v_fmac_f64_e32 v[10:11], v[16:17], v[24:25]
	s_wait_loadcnt_dscnt 0x0
	s_delay_alu instid0(VALU_DEP_1) | instskip(NEXT) | instid1(VALU_DEP_1)
	v_fmac_f64_e32 v[10:11], v[18:19], v[26:27]
	v_fmac_f64_e32 v[10:11], v[20:21], v[28:29]
	s_cbranch_scc0 .LBB278_34
; %bb.35:                               ;   in Loop: Header=BB278_28 Depth=1
	s_mov_b32 s2, s6
.LBB278_36:                             ;   in Loop: Header=BB278_28 Depth=1
	s_and_not1_b32 vcc_lo, exec_lo, s13
	s_cbranch_vccnz .LBB278_26
; %bb.37:                               ;   in Loop: Header=BB278_28 Depth=1
	v_lshl_add_u64 v[12:13], s[2:3], 3, v[4:5]
	s_lshl_b32 s2, s2, 3
	s_mov_b32 s19, s16
.LBB278_38:                             ;   Parent Loop BB278_28 Depth=1
                                        ; =>  This Inner Loop Header: Depth=2
	flat_load_b64 v[14:15], v[12:13]
	v_mov_b32_e32 v1, s2
	s_wait_xcnt 0x0
	v_add_nc_u64_e32 v[12:13], 8, v[12:13]
	s_add_co_i32 s19, s19, -1
	s_add_co_i32 s2, s2, 8
	s_cmp_lg_u32 s19, 0
	ds_load_b64 v[16:17], v1
	s_wait_loadcnt_dscnt 0x0
	v_fmac_f64_e32 v[10:11], v[16:17], v[14:15]
	s_cbranch_scc1 .LBB278_38
	s_branch .LBB278_26
.LBB278_39:
	s_endpgm
	.section	.rodata,"a",@progbits
	.p2align	6, 0x0
	.amdhsa_kernel _ZL22rocblas_gemvtsm_kernelILb1ELi256EPKdS1_KPdEviiT2_lPKT1_lilS7_lilS4_lPT3_lil
		.amdhsa_group_segment_fixed_size 512
		.amdhsa_private_segment_fixed_size 0
		.amdhsa_kernarg_size 136
		.amdhsa_user_sgpr_count 2
		.amdhsa_user_sgpr_dispatch_ptr 0
		.amdhsa_user_sgpr_queue_ptr 0
		.amdhsa_user_sgpr_kernarg_segment_ptr 1
		.amdhsa_user_sgpr_dispatch_id 0
		.amdhsa_user_sgpr_kernarg_preload_length 0
		.amdhsa_user_sgpr_kernarg_preload_offset 0
		.amdhsa_user_sgpr_private_segment_size 0
		.amdhsa_wavefront_size32 1
		.amdhsa_uses_dynamic_stack 0
		.amdhsa_enable_private_segment 0
		.amdhsa_system_sgpr_workgroup_id_x 1
		.amdhsa_system_sgpr_workgroup_id_y 0
		.amdhsa_system_sgpr_workgroup_id_z 0
		.amdhsa_system_sgpr_workgroup_info 0
		.amdhsa_system_vgpr_workitem_id 0
		.amdhsa_next_free_vgpr 38
		.amdhsa_next_free_sgpr 22
		.amdhsa_named_barrier_count 0
		.amdhsa_reserve_vcc 1
		.amdhsa_float_round_mode_32 0
		.amdhsa_float_round_mode_16_64 0
		.amdhsa_float_denorm_mode_32 3
		.amdhsa_float_denorm_mode_16_64 3
		.amdhsa_fp16_overflow 0
		.amdhsa_memory_ordered 1
		.amdhsa_forward_progress 1
		.amdhsa_inst_pref_size 11
		.amdhsa_round_robin_scheduling 0
		.amdhsa_exception_fp_ieee_invalid_op 0
		.amdhsa_exception_fp_denorm_src 0
		.amdhsa_exception_fp_ieee_div_zero 0
		.amdhsa_exception_fp_ieee_overflow 0
		.amdhsa_exception_fp_ieee_underflow 0
		.amdhsa_exception_fp_ieee_inexact 0
		.amdhsa_exception_int_div_zero 0
	.end_amdhsa_kernel
	.section	.text._ZL22rocblas_gemvtsm_kernelILb1ELi256EPKdS1_KPdEviiT2_lPKT1_lilS7_lilS4_lPT3_lil,"axG",@progbits,_ZL22rocblas_gemvtsm_kernelILb1ELi256EPKdS1_KPdEviiT2_lPKT1_lilS7_lilS4_lPT3_lil,comdat
.Lfunc_end278:
	.size	_ZL22rocblas_gemvtsm_kernelILb1ELi256EPKdS1_KPdEviiT2_lPKT1_lilS7_lilS4_lPT3_lil, .Lfunc_end278-_ZL22rocblas_gemvtsm_kernelILb1ELi256EPKdS1_KPdEviiT2_lPKT1_lilS7_lilS4_lPT3_lil
                                        ; -- End function
	.set _ZL22rocblas_gemvtsm_kernelILb1ELi256EPKdS1_KPdEviiT2_lPKT1_lilS7_lilS4_lPT3_lil.num_vgpr, 38
	.set _ZL22rocblas_gemvtsm_kernelILb1ELi256EPKdS1_KPdEviiT2_lPKT1_lilS7_lilS4_lPT3_lil.num_agpr, 0
	.set _ZL22rocblas_gemvtsm_kernelILb1ELi256EPKdS1_KPdEviiT2_lPKT1_lilS7_lilS4_lPT3_lil.numbered_sgpr, 22
	.set _ZL22rocblas_gemvtsm_kernelILb1ELi256EPKdS1_KPdEviiT2_lPKT1_lilS7_lilS4_lPT3_lil.num_named_barrier, 0
	.set _ZL22rocblas_gemvtsm_kernelILb1ELi256EPKdS1_KPdEviiT2_lPKT1_lilS7_lilS4_lPT3_lil.private_seg_size, 0
	.set _ZL22rocblas_gemvtsm_kernelILb1ELi256EPKdS1_KPdEviiT2_lPKT1_lilS7_lilS4_lPT3_lil.uses_vcc, 1
	.set _ZL22rocblas_gemvtsm_kernelILb1ELi256EPKdS1_KPdEviiT2_lPKT1_lilS7_lilS4_lPT3_lil.uses_flat_scratch, 1
	.set _ZL22rocblas_gemvtsm_kernelILb1ELi256EPKdS1_KPdEviiT2_lPKT1_lilS7_lilS4_lPT3_lil.has_dyn_sized_stack, 0
	.set _ZL22rocblas_gemvtsm_kernelILb1ELi256EPKdS1_KPdEviiT2_lPKT1_lilS7_lilS4_lPT3_lil.has_recursion, 0
	.set _ZL22rocblas_gemvtsm_kernelILb1ELi256EPKdS1_KPdEviiT2_lPKT1_lilS7_lilS4_lPT3_lil.has_indirect_call, 0
	.section	.AMDGPU.csdata,"",@progbits
; Kernel info:
; codeLenInByte = 1304
; TotalNumSgprs: 24
; NumVgprs: 38
; ScratchSize: 0
; MemoryBound: 0
; FloatMode: 240
; IeeeMode: 1
; LDSByteSize: 512 bytes/workgroup (compile time only)
; SGPRBlocks: 0
; VGPRBlocks: 2
; NumSGPRsForWavesPerEU: 24
; NumVGPRsForWavesPerEU: 38
; NamedBarCnt: 0
; Occupancy: 16
; WaveLimiterHint : 1
; COMPUTE_PGM_RSRC2:SCRATCH_EN: 0
; COMPUTE_PGM_RSRC2:USER_SGPR: 2
; COMPUTE_PGM_RSRC2:TRAP_HANDLER: 0
; COMPUTE_PGM_RSRC2:TGID_X_EN: 1
; COMPUTE_PGM_RSRC2:TGID_Y_EN: 0
; COMPUTE_PGM_RSRC2:TGID_Z_EN: 0
; COMPUTE_PGM_RSRC2:TIDIG_COMP_CNT: 0
	.section	.text._ZL22rocblas_gemvtsm_kernelILb1ELi256EPKddKPdEviiT2_lPKT1_lilS7_lilS4_lPT3_lil,"axG",@progbits,_ZL22rocblas_gemvtsm_kernelILb1ELi256EPKddKPdEviiT2_lPKT1_lilS7_lilS4_lPT3_lil,comdat
	.globl	_ZL22rocblas_gemvtsm_kernelILb1ELi256EPKddKPdEviiT2_lPKT1_lilS7_lilS4_lPT3_lil ; -- Begin function _ZL22rocblas_gemvtsm_kernelILb1ELi256EPKddKPdEviiT2_lPKT1_lilS7_lilS4_lPT3_lil
	.p2align	8
	.type	_ZL22rocblas_gemvtsm_kernelILb1ELi256EPKddKPdEviiT2_lPKT1_lilS7_lilS4_lPT3_lil,@function
_ZL22rocblas_gemvtsm_kernelILb1ELi256EPKddKPdEviiT2_lPKT1_lilS7_lilS4_lPT3_lil: ; @_ZL22rocblas_gemvtsm_kernelILb1ELi256EPKddKPdEviiT2_lPKT1_lilS7_lilS4_lPT3_lil
; %bb.0:
	s_clause 0x1
	s_load_b64 s[12:13], s[0:1], 0x8
	s_load_b64 s[8:9], s[0:1], 0x58
	s_wait_kmcnt 0x0
	v_cmp_eq_f64_e64 s20, s[12:13], 0
	v_cmp_eq_f64_e64 s2, s[8:9], 1.0
	s_and_b32 s2, s20, s2
	s_delay_alu instid0(SALU_CYCLE_1)
	s_and_b32 vcc_lo, exec_lo, s2
	s_cbranch_vccnz .LBB279_40
; %bb.1:
	v_cmp_neq_f64_e64 s4, s[12:13], 0
	s_bfe_u32 s2, ttmp6, 0x4000c
	s_and_b32 s3, ttmp6, 15
	s_add_co_i32 s2, s2, 1
	s_getreg_b32 s5, hwreg(HW_REG_IB_STS2, 6, 4)
	s_mul_i32 s2, ttmp9, s2
	s_delay_alu instid0(SALU_CYCLE_1)
	s_add_co_i32 s3, s3, s2
	s_cmp_eq_u32 s5, 0
	s_cselect_b32 s2, ttmp9, s3
	s_mov_b32 s3, 0
	s_and_b32 vcc_lo, exec_lo, s4
	s_cbranch_vccnz .LBB279_3
; %bb.2:
	s_mov_b32 s5, s3
	s_mov_b64 s[18:19], 0
	s_and_not1_b32 vcc_lo, exec_lo, s5
	s_mov_b64 s[14:15], 0
	s_cbranch_vccz .LBB279_4
	s_branch .LBB279_5
.LBB279_3:
	s_mov_b64 s[18:19], 0
	s_mov_b64 s[14:15], 0
.LBB279_4:
	s_load_b128 s[24:27], s[0:1], 0x18
	s_lshl_b64 s[6:7], s[2:3], 3
	s_wait_kmcnt 0x0
	s_add_nc_u64 s[6:7], s[24:25], s[6:7]
	s_lshl_b64 s[10:11], s[26:27], 3
	s_load_b64 s[6:7], s[6:7], 0x0
	s_wait_kmcnt 0x0
	s_add_nc_u64 s[14:15], s[6:7], s[10:11]
.LBB279_5:
	s_and_not1_b32 vcc_lo, exec_lo, s4
	s_cbranch_vccnz .LBB279_7
; %bb.6:
	s_load_b128 s[4:7], s[0:1], 0x38
	s_lshl_b64 s[10:11], s[2:3], 3
	s_wait_kmcnt 0x0
	s_add_nc_u64 s[4:5], s[4:5], s[10:11]
	s_lshl_b64 s[6:7], s[6:7], 3
	s_load_b64 s[4:5], s[4:5], 0x0
	s_wait_kmcnt 0x0
	s_add_nc_u64 s[18:19], s[4:5], s[6:7]
.LBB279_7:
	s_clause 0x1
	s_load_b128 s[4:7], s[0:1], 0x68
	s_load_b64 s[10:11], s[0:1], 0x0
	s_lshl_b64 s[2:3], s[2:3], 3
	s_and_not1_b32 vcc_lo, exec_lo, s20
	s_wait_kmcnt 0x0
	s_add_nc_u64 s[2:3], s[4:5], s[2:3]
	s_load_b32 s4, s[0:1], 0x78
	s_load_b64 s[16:17], s[2:3], 0x0
	s_wait_xcnt 0x0
	s_mov_b32 s2, -1
	s_cbranch_vccnz .LBB279_22
; %bb.8:
	v_cmp_neq_f64_e64 s2, s[8:9], 0
	s_cmp_gt_i32 s11, 0
	s_cselect_b32 s20, -1, 0
	s_delay_alu instid0(SALU_CYCLE_1) | instskip(SKIP_1) | instid1(VALU_DEP_1)
	v_cndmask_b32_e64 v1, 0, 1, s20
	s_and_b32 vcc_lo, exec_lo, s2
	v_cmp_ne_u32_e64 s2, 1, v1
	s_cbranch_vccnz .LBB279_15
; %bb.9:
	s_and_b32 vcc_lo, exec_lo, s2
	s_cbranch_vccnz .LBB279_14
; %bb.10:
	v_mov_b32_e32 v1, 0
	s_wait_kmcnt 0x0
	s_ashr_i32 s5, s4, 31
	s_lshl_b64 s[2:3], s[6:7], 3
	v_mov_b64_e32 v[2:3], 0
	s_add_nc_u64 s[2:3], s[16:17], s[2:3]
	v_mul_u64_e32 v[4:5], s[4:5], v[0:1]
	s_delay_alu instid0(VALU_DEP_1)
	v_lshl_add_u64 v[4:5], v[4:5], 3, s[2:3]
	s_lshl_b64 s[2:3], s[4:5], 11
	s_mov_b32 s5, 0
	s_branch .LBB279_12
.LBB279_11:                             ;   in Loop: Header=BB279_12 Depth=1
	s_wait_xcnt 0x0
	s_or_b32 exec_lo, exec_lo, s21
	v_add_nc_u64_e32 v[4:5], s[2:3], v[4:5]
	s_addk_co_i32 s5, 0x100
	s_delay_alu instid0(SALU_CYCLE_1)
	s_cmp_ge_i32 s5, s11
	s_cbranch_scc1 .LBB279_14
.LBB279_12:                             ; =>This Inner Loop Header: Depth=1
	v_add_nc_u32_e32 v1, s5, v0
	s_mov_b32 s21, exec_lo
	s_delay_alu instid0(VALU_DEP_1)
	v_cmpx_gt_i32_e64 s11, v1
	s_cbranch_execz .LBB279_11
; %bb.13:                               ;   in Loop: Header=BB279_12 Depth=1
	flat_store_b64 v[4:5], v[2:3]
	s_branch .LBB279_11
.LBB279_14:
	s_cbranch_execz .LBB279_16
	s_branch .LBB279_21
.LBB279_15:
.LBB279_16:
	s_and_not1_b32 vcc_lo, exec_lo, s20
	s_cbranch_vccnz .LBB279_21
; %bb.17:
	v_mov_b32_e32 v1, 0
	s_wait_kmcnt 0x0
	s_ashr_i32 s5, s4, 31
	s_lshl_b64 s[2:3], s[6:7], 3
	s_delay_alu instid0(SALU_CYCLE_1) | instskip(SKIP_1) | instid1(VALU_DEP_1)
	s_add_nc_u64 s[2:3], s[16:17], s[2:3]
	v_mul_u64_e32 v[2:3], s[4:5], v[0:1]
	v_lshl_add_u64 v[2:3], v[2:3], 3, s[2:3]
	s_lshl_b64 s[2:3], s[4:5], 11
	s_mov_b32 s5, 0
	s_branch .LBB279_19
.LBB279_18:                             ;   in Loop: Header=BB279_19 Depth=1
	s_wait_xcnt 0x0
	s_or_b32 exec_lo, exec_lo, s20
	v_add_nc_u64_e32 v[2:3], s[2:3], v[2:3]
	s_addk_co_i32 s5, 0x100
	s_delay_alu instid0(SALU_CYCLE_1)
	s_cmp_ge_i32 s5, s11
	s_cbranch_scc1 .LBB279_21
.LBB279_19:                             ; =>This Inner Loop Header: Depth=1
	v_add_nc_u32_e32 v1, s5, v0
	s_mov_b32 s20, exec_lo
	s_delay_alu instid0(VALU_DEP_1)
	v_cmpx_gt_i32_e64 s11, v1
	s_cbranch_execz .LBB279_18
; %bb.20:                               ;   in Loop: Header=BB279_19 Depth=1
	flat_load_b64 v[4:5], v[2:3]
	s_wait_loadcnt_dscnt 0x0
	v_mul_f64_e32 v[4:5], s[8:9], v[4:5]
	flat_store_b64 v[2:3], v[4:5]
	s_branch .LBB279_18
.LBB279_21:
	s_mov_b32 s2, 0
.LBB279_22:
	s_delay_alu instid0(SALU_CYCLE_1)
	s_and_not1_b32 vcc_lo, exec_lo, s2
	s_cbranch_vccnz .LBB279_40
; %bb.23:
	s_mov_b32 s2, exec_lo
	v_cmpx_gt_i32_e64 s10, v0
	s_cbranch_execz .LBB279_25
; %bb.24:
	s_load_b32 s20, s[0:1], 0x48
	v_mov_b32_e32 v1, 0
	s_wait_kmcnt 0x0
	s_ashr_i32 s21, s20, 31
	s_delay_alu instid0(VALU_DEP_1) | instid1(SALU_CYCLE_1)
	v_mul_u64_e32 v[2:3], s[20:21], v[0:1]
	v_lshlrev_b32_e32 v1, 3, v0
	s_delay_alu instid0(VALU_DEP_2)
	v_lshl_add_u64 v[2:3], v[2:3], 3, s[18:19]
	flat_load_b64 v[2:3], v[2:3]
	s_wait_loadcnt_dscnt 0x0
	v_mul_f64_e32 v[2:3], s[12:13], v[2:3]
	ds_store_b64 v1, v[2:3]
.LBB279_25:
	s_or_b32 exec_lo, exec_lo, s2
	s_cmp_lt_i32 s11, 1
	s_wait_storecnt_dscnt 0x0
	s_barrier_signal -1
	s_barrier_wait -1
	s_cbranch_scc1 .LBB279_40
; %bb.26:
	s_load_b32 s18, s[0:1], 0x28
	v_mov_b32_e32 v3, 0
	v_cmp_neq_f64_e64 s12, s[8:9], 0
	s_wait_xcnt 0x0
	s_lshl_b64 s[0:1], s[6:7], 3
	s_wait_kmcnt 0x0
	s_ashr_i32 s5, s4, 31
	s_add_nc_u64 s[0:1], s[16:17], s[0:1]
	v_mov_b32_e32 v1, v3
	s_mov_b32 s3, 0
	s_mov_b32 s17, 0
	s_ashr_i32 s19, s18, 31
	s_cmp_gt_i32 s10, 0
	v_mul_u64_e32 v[4:5], s[18:19], v[0:1]
	s_cselect_b32 s13, -1, 0
	s_and_b32 s16, s10, 7
	s_cmp_gt_u32 s10, 7
	s_delay_alu instid0(VALU_DEP_1)
	v_lshl_add_u64 v[4:5], v[4:5], 3, s[14:15]
	s_cselect_b32 s14, -1, 0
	s_and_b32 s10, s10, 0x7ffffff8
	s_cmp_lg_u32 s16, 0
	s_cselect_b32 s15, -1, 0
	v_add_nc_u64_e32 v[6:7], 56, v[4:5]
	s_lshl_b64 s[6:7], s[18:19], 11
	s_branch .LBB279_29
.LBB279_27:                             ;   in Loop: Header=BB279_29 Depth=1
	flat_store_b64 v[8:9], v[10:11]
.LBB279_28:                             ;   in Loop: Header=BB279_29 Depth=1
	s_wait_xcnt 0x0
	s_or_b32 exec_lo, exec_lo, s18
	v_add_nc_u64_e32 v[6:7], s[6:7], v[6:7]
	v_add_nc_u64_e32 v[4:5], s[6:7], v[4:5]
	s_addk_co_i32 s17, 0x100
	s_delay_alu instid0(SALU_CYCLE_1)
	s_cmp_ge_i32 s17, s11
	s_cbranch_scc1 .LBB279_40
.LBB279_29:                             ; =>This Loop Header: Depth=1
                                        ;     Child Loop BB279_35 Depth 2
                                        ;     Child Loop BB279_39 Depth 2
	v_add_nc_u32_e32 v2, s17, v0
	s_mov_b32 s18, exec_lo
	s_delay_alu instid0(VALU_DEP_1)
	v_cmpx_gt_i32_e64 s11, v2
	s_cbranch_execz .LBB279_28
; %bb.30:                               ;   in Loop: Header=BB279_29 Depth=1
	v_mul_u64_e32 v[8:9], s[4:5], v[2:3]
	s_and_not1_b32 vcc_lo, exec_lo, s12
	s_delay_alu instid0(VALU_DEP_1)
	v_lshl_add_u64 v[8:9], v[8:9], 3, s[0:1]
	s_cbranch_vccnz .LBB279_32
; %bb.31:                               ;   in Loop: Header=BB279_29 Depth=1
	flat_load_b64 v[10:11], v[8:9]
	s_wait_loadcnt_dscnt 0x0
	v_mul_f64_e32 v[10:11], s[8:9], v[10:11]
	s_and_not1_b32 vcc_lo, exec_lo, s13
	s_cbranch_vccz .LBB279_33
	s_branch .LBB279_27
.LBB279_32:                             ;   in Loop: Header=BB279_29 Depth=1
	v_mov_b64_e32 v[10:11], 0
	s_and_not1_b32 vcc_lo, exec_lo, s13
	s_cbranch_vccnz .LBB279_27
.LBB279_33:                             ;   in Loop: Header=BB279_29 Depth=1
	s_and_not1_b32 vcc_lo, exec_lo, s14
	s_mov_b32 s2, 0
	s_cbranch_vccnz .LBB279_37
; %bb.34:                               ;   in Loop: Header=BB279_29 Depth=1
	v_mov_b64_e32 v[12:13], v[6:7]
	s_mov_b32 s19, 0
.LBB279_35:                             ;   Parent Loop BB279_29 Depth=1
                                        ; =>  This Inner Loop Header: Depth=2
	s_clause 0x3
	flat_load_b128 v[14:17], v[12:13] offset:-56
	flat_load_b128 v[18:21], v[12:13] offset:-40
	;; [unrolled: 1-line block ×4, first 2 shown]
	v_mov_b32_e32 v1, s2
	s_wait_xcnt 0x0
	v_add_nc_u64_e32 v[12:13], 64, v[12:13]
	s_add_co_i32 s19, s19, 8
	s_add_co_i32 s2, s2, 64
	ds_load_b128 v[30:33], v1
	ds_load_b128 v[34:37], v1 offset:16
	s_cmp_eq_u32 s10, s19
	s_wait_loadcnt_dscnt 0x301
	v_fmac_f64_e32 v[10:11], v[30:31], v[14:15]
	s_delay_alu instid0(VALU_DEP_1) | instskip(SKIP_1) | instid1(VALU_DEP_1)
	v_fmac_f64_e32 v[10:11], v[32:33], v[16:17]
	s_wait_loadcnt_dscnt 0x200
	v_fmac_f64_e32 v[10:11], v[34:35], v[18:19]
	s_delay_alu instid0(VALU_DEP_1) | instskip(SKIP_4) | instid1(VALU_DEP_1)
	v_fmac_f64_e32 v[10:11], v[36:37], v[20:21]
	ds_load_b128 v[14:17], v1 offset:32
	ds_load_b128 v[18:21], v1 offset:48
	s_wait_loadcnt_dscnt 0x101
	v_fmac_f64_e32 v[10:11], v[14:15], v[22:23]
	v_fmac_f64_e32 v[10:11], v[16:17], v[24:25]
	s_wait_loadcnt_dscnt 0x0
	s_delay_alu instid0(VALU_DEP_1) | instskip(NEXT) | instid1(VALU_DEP_1)
	v_fmac_f64_e32 v[10:11], v[18:19], v[26:27]
	v_fmac_f64_e32 v[10:11], v[20:21], v[28:29]
	s_cbranch_scc0 .LBB279_35
; %bb.36:                               ;   in Loop: Header=BB279_29 Depth=1
	s_mov_b32 s2, s10
.LBB279_37:                             ;   in Loop: Header=BB279_29 Depth=1
	s_and_not1_b32 vcc_lo, exec_lo, s15
	s_cbranch_vccnz .LBB279_27
; %bb.38:                               ;   in Loop: Header=BB279_29 Depth=1
	v_lshl_add_u64 v[12:13], s[2:3], 3, v[4:5]
	s_lshl_b32 s2, s2, 3
	s_mov_b32 s19, s16
.LBB279_39:                             ;   Parent Loop BB279_29 Depth=1
                                        ; =>  This Inner Loop Header: Depth=2
	flat_load_b64 v[14:15], v[12:13]
	v_mov_b32_e32 v1, s2
	s_wait_xcnt 0x0
	v_add_nc_u64_e32 v[12:13], 8, v[12:13]
	s_add_co_i32 s19, s19, -1
	s_add_co_i32 s2, s2, 8
	s_cmp_lg_u32 s19, 0
	ds_load_b64 v[16:17], v1
	s_wait_loadcnt_dscnt 0x0
	v_fmac_f64_e32 v[10:11], v[16:17], v[14:15]
	s_cbranch_scc1 .LBB279_39
	s_branch .LBB279_27
.LBB279_40:
	s_endpgm
	.section	.rodata,"a",@progbits
	.p2align	6, 0x0
	.amdhsa_kernel _ZL22rocblas_gemvtsm_kernelILb1ELi256EPKddKPdEviiT2_lPKT1_lilS7_lilS4_lPT3_lil
		.amdhsa_group_segment_fixed_size 512
		.amdhsa_private_segment_fixed_size 0
		.amdhsa_kernarg_size 136
		.amdhsa_user_sgpr_count 2
		.amdhsa_user_sgpr_dispatch_ptr 0
		.amdhsa_user_sgpr_queue_ptr 0
		.amdhsa_user_sgpr_kernarg_segment_ptr 1
		.amdhsa_user_sgpr_dispatch_id 0
		.amdhsa_user_sgpr_kernarg_preload_length 0
		.amdhsa_user_sgpr_kernarg_preload_offset 0
		.amdhsa_user_sgpr_private_segment_size 0
		.amdhsa_wavefront_size32 1
		.amdhsa_uses_dynamic_stack 0
		.amdhsa_enable_private_segment 0
		.amdhsa_system_sgpr_workgroup_id_x 1
		.amdhsa_system_sgpr_workgroup_id_y 0
		.amdhsa_system_sgpr_workgroup_id_z 0
		.amdhsa_system_sgpr_workgroup_info 0
		.amdhsa_system_vgpr_workitem_id 0
		.amdhsa_next_free_vgpr 38
		.amdhsa_next_free_sgpr 28
		.amdhsa_named_barrier_count 0
		.amdhsa_reserve_vcc 1
		.amdhsa_float_round_mode_32 0
		.amdhsa_float_round_mode_16_64 0
		.amdhsa_float_denorm_mode_32 3
		.amdhsa_float_denorm_mode_16_64 3
		.amdhsa_fp16_overflow 0
		.amdhsa_memory_ordered 1
		.amdhsa_forward_progress 1
		.amdhsa_inst_pref_size 11
		.amdhsa_round_robin_scheduling 0
		.amdhsa_exception_fp_ieee_invalid_op 0
		.amdhsa_exception_fp_denorm_src 0
		.amdhsa_exception_fp_ieee_div_zero 0
		.amdhsa_exception_fp_ieee_overflow 0
		.amdhsa_exception_fp_ieee_underflow 0
		.amdhsa_exception_fp_ieee_inexact 0
		.amdhsa_exception_int_div_zero 0
	.end_amdhsa_kernel
	.section	.text._ZL22rocblas_gemvtsm_kernelILb1ELi256EPKddKPdEviiT2_lPKT1_lilS7_lilS4_lPT3_lil,"axG",@progbits,_ZL22rocblas_gemvtsm_kernelILb1ELi256EPKddKPdEviiT2_lPKT1_lilS7_lilS4_lPT3_lil,comdat
.Lfunc_end279:
	.size	_ZL22rocblas_gemvtsm_kernelILb1ELi256EPKddKPdEviiT2_lPKT1_lilS7_lilS4_lPT3_lil, .Lfunc_end279-_ZL22rocblas_gemvtsm_kernelILb1ELi256EPKddKPdEviiT2_lPKT1_lilS7_lilS4_lPT3_lil
                                        ; -- End function
	.set _ZL22rocblas_gemvtsm_kernelILb1ELi256EPKddKPdEviiT2_lPKT1_lilS7_lilS4_lPT3_lil.num_vgpr, 38
	.set _ZL22rocblas_gemvtsm_kernelILb1ELi256EPKddKPdEviiT2_lPKT1_lilS7_lilS4_lPT3_lil.num_agpr, 0
	.set _ZL22rocblas_gemvtsm_kernelILb1ELi256EPKddKPdEviiT2_lPKT1_lilS7_lilS4_lPT3_lil.numbered_sgpr, 28
	.set _ZL22rocblas_gemvtsm_kernelILb1ELi256EPKddKPdEviiT2_lPKT1_lilS7_lilS4_lPT3_lil.num_named_barrier, 0
	.set _ZL22rocblas_gemvtsm_kernelILb1ELi256EPKddKPdEviiT2_lPKT1_lilS7_lilS4_lPT3_lil.private_seg_size, 0
	.set _ZL22rocblas_gemvtsm_kernelILb1ELi256EPKddKPdEviiT2_lPKT1_lilS7_lilS4_lPT3_lil.uses_vcc, 1
	.set _ZL22rocblas_gemvtsm_kernelILb1ELi256EPKddKPdEviiT2_lPKT1_lilS7_lilS4_lPT3_lil.uses_flat_scratch, 1
	.set _ZL22rocblas_gemvtsm_kernelILb1ELi256EPKddKPdEviiT2_lPKT1_lilS7_lilS4_lPT3_lil.has_dyn_sized_stack, 0
	.set _ZL22rocblas_gemvtsm_kernelILb1ELi256EPKddKPdEviiT2_lPKT1_lilS7_lilS4_lPT3_lil.has_recursion, 0
	.set _ZL22rocblas_gemvtsm_kernelILb1ELi256EPKddKPdEviiT2_lPKT1_lilS7_lilS4_lPT3_lil.has_indirect_call, 0
	.section	.AMDGPU.csdata,"",@progbits
; Kernel info:
; codeLenInByte = 1292
; TotalNumSgprs: 30
; NumVgprs: 38
; ScratchSize: 0
; MemoryBound: 0
; FloatMode: 240
; IeeeMode: 1
; LDSByteSize: 512 bytes/workgroup (compile time only)
; SGPRBlocks: 0
; VGPRBlocks: 2
; NumSGPRsForWavesPerEU: 30
; NumVGPRsForWavesPerEU: 38
; NamedBarCnt: 0
; Occupancy: 16
; WaveLimiterHint : 1
; COMPUTE_PGM_RSRC2:SCRATCH_EN: 0
; COMPUTE_PGM_RSRC2:USER_SGPR: 2
; COMPUTE_PGM_RSRC2:TRAP_HANDLER: 0
; COMPUTE_PGM_RSRC2:TGID_X_EN: 1
; COMPUTE_PGM_RSRC2:TGID_Y_EN: 0
; COMPUTE_PGM_RSRC2:TGID_Z_EN: 0
; COMPUTE_PGM_RSRC2:TIDIG_COMP_CNT: 0
	.section	.text._ZL23rocblas_gemvt_sn_kernelILb1ELi256ELi4EiPKdS1_dEviiT4_lPKT3_lilS5_lilPT5_i,"axG",@progbits,_ZL23rocblas_gemvt_sn_kernelILb1ELi256ELi4EiPKdS1_dEviiT4_lPKT3_lilS5_lilPT5_i,comdat
	.globl	_ZL23rocblas_gemvt_sn_kernelILb1ELi256ELi4EiPKdS1_dEviiT4_lPKT3_lilS5_lilPT5_i ; -- Begin function _ZL23rocblas_gemvt_sn_kernelILb1ELi256ELi4EiPKdS1_dEviiT4_lPKT3_lilS5_lilPT5_i
	.p2align	8
	.type	_ZL23rocblas_gemvt_sn_kernelILb1ELi256ELi4EiPKdS1_dEviiT4_lPKT3_lilS5_lilPT5_i,@function
_ZL23rocblas_gemvt_sn_kernelILb1ELi256ELi4EiPKdS1_dEviiT4_lPKT3_lilS5_lilPT5_i: ; @_ZL23rocblas_gemvt_sn_kernelILb1ELi256ELi4EiPKdS1_dEviiT4_lPKT3_lilS5_lilPT5_i
; %bb.0:
	s_load_b32 s33, s[0:1], 0x60
	s_bfe_u32 s2, ttmp6, 0x40014
	s_lshr_b32 s3, ttmp7, 16
	s_add_co_i32 s2, s2, 1
	s_bfe_u32 s5, ttmp6, 0x40008
	s_mul_i32 s2, s3, s2
	s_getreg_b32 s4, hwreg(HW_REG_IB_STS2, 6, 4)
	s_add_co_i32 s5, s5, s2
	s_cmp_eq_u32 s4, 0
	s_mov_b32 s25, 0
	s_cselect_b32 s10, s3, s5
	s_wait_kmcnt 0x0
	s_cmp_ge_u32 s10, s33
	s_cbranch_scc1 .LBB280_65
; %bb.1:
	s_clause 0x6
	s_load_b64 s[26:27], s[0:1], 0x0
	s_load_b256 s[12:19], s[0:1], 0x8
	s_load_b32 s28, s[0:1], 0x28
	s_load_b128 s[20:23], s[0:1], 0x38
	s_load_b32 s66, s[0:1], 0x48
	s_load_b64 s[30:31], s[0:1], 0x58
	s_load_b32 s34, s[0:1], 0x68
	s_wait_xcnt 0x0
	v_cmp_eq_u32_e64 s0, 0, v0
	v_dual_lshrrev_b32 v2, 2, v0 :: v_dual_bitop2_b32 v1, 31, v0 bitop3:0x40
	v_cmp_gt_u32_e64 s1, 32, v0
	v_cmp_gt_u32_e64 s2, 8, v0
	v_mbcnt_lo_u32_b32 v52, -1, 0
	s_delay_alu instid0(VALU_DEP_4)
	v_cmp_eq_u32_e64 s3, 0, v1
	v_dual_lshlrev_b32 v53, 3, v1 :: v_dual_bitop2_b32 v54, 56, v2 bitop3:0x40
	v_mov_b64_e32 v[34:35], 0
	s_mov_b32 s35, s25
	s_mov_b32 s37, s25
	v_lshl_or_b32 v55, v52, 2, 64
	s_wait_kmcnt 0x0
	s_ashr_i32 s7, s27, 31
	s_cmp_gt_i32 s27, 0
	s_mov_b32 s6, s27
	s_cselect_b32 s5, -1, 0
	s_bfe_u32 s8, ttmp6, 0x4000c
	s_and_b32 s9, ttmp6, 15
	s_add_co_i32 s8, s8, 1
	s_and_b32 s67, s0, s5
	s_mul_i32 s8, ttmp9, s8
	s_mul_u64 s[40:41], s[6:7], s[34:35]
	s_add_co_i32 s9, s9, s8
	s_cmp_eq_u32 s4, 0
	s_mov_b32 s29, s25
	s_cselect_b32 s36, ttmp9, s9
	s_ashr_i32 s4, s26, 31
	s_lshl_b32 s5, s36, 10
	s_lshr_b32 s4, s4, 30
	v_lshl_or_b32 v24, v0, 2, s5
	s_add_co_i32 s4, s26, s4
	s_lshr_b32 s5, s7, 30
	s_and_b32 s4, s4, -4
	s_add_co_i32 s5, s27, s5
	v_mul_lo_u32 v26, s66, v24
	s_sub_co_i32 s69, s26, s4
	s_and_b32 s68, s5, -4
	v_dual_add_nc_u32 v1, s69, v24 :: v_dual_ashrrev_i32 v25, 31, v24
	v_add_nc_u32_e32 v0, 4, v24
	s_cmp_gt_i32 s68, 0
	s_mov_b32 s39, s25
	s_cselect_b32 s70, -1, 0
	s_cmp_gt_i32 s69, 0
	v_cmp_ge_i32_e64 s4, s26, v0
	s_delay_alu instid0(VALU_DEP_4) | instskip(SKIP_3) | instid1(VALU_DEP_2)
	v_add_nc_u32_e32 v28, s66, v26
	s_cselect_b32 s71, -1, 0
	s_lshl_b32 s24, s28, 1
	v_cmp_ge_i32_e64 s5, s26, v1
	v_dual_ashrrev_i32 v27, 31, v26 :: v_dual_add_nc_u32 v30, s66, v28
	v_mov_b32_e32 v0, 0
	s_lshl_b64 s[42:43], s[36:37], 3
	s_mov_b64 s[50:51], s[24:25]
	s_delay_alu instid0(VALU_DEP_2)
	v_dual_ashrrev_i32 v29, 31, v28 :: v_dual_add_nc_u32 v32, s66, v30
	v_ashrrev_i32_e32 v31, 31, v30
	s_mul_i32 s24, s28, 3
	s_lshl_b64 s[44:45], s[40:41], 3
	s_lshl_b64 s[46:47], s[34:35], 3
	v_ashrrev_i32_e32 v33, 31, v32
	s_lshl_b32 s38, s28, 2
	s_add_nc_u64 s[48:49], s[30:31], s[42:43]
	s_mov_b64 s[52:53], s[24:25]
	s_lshl_b64 s[18:19], s[18:19], 3
	s_lshl_b64 s[22:23], s[22:23], 3
	s_branch .LBB280_3
.LBB280_2:                              ;   in Loop: Header=BB280_3 Depth=1
	s_add_co_i32 s10, s10, 0x10000
	s_delay_alu instid0(SALU_CYCLE_1)
	s_cmp_lt_u32 s10, s33
	s_cbranch_scc0 .LBB280_65
.LBB280_3:                              ; =>This Loop Header: Depth=1
                                        ;     Child Loop BB280_11 Depth 2
                                        ;     Child Loop BB280_16 Depth 2
                                        ;       Child Loop BB280_22 Depth 3
                                        ;       Child Loop BB280_25 Depth 3
	;; [unrolled: 1-line block ×3, first 2 shown]
                                        ;     Child Loop BB280_44 Depth 2
                                        ;       Child Loop BB280_57 Depth 3
                                        ;       Child Loop BB280_60 Depth 3
	s_mov_b32 s11, s25
	s_wait_dscnt 0x0
	v_mov_b64_e32 v[2:3], 0
	s_mul_u64 s[6:7], s[14:15], s[10:11]
	s_delay_alu instid0(SALU_CYCLE_1) | instskip(NEXT) | instid1(SALU_CYCLE_1)
	s_lshl_b64 s[6:7], s[6:7], 3
	s_add_nc_u64 s[6:7], s[12:13], s[6:7]
	global_load_b64 v[36:37], v0, s[6:7]
	s_wait_loadcnt 0x0
	s_wait_xcnt 0x0
	v_cmp_eq_f64_e64 s6, 0, v[36:37]
	v_cmp_neq_f64_e64 s7, 0, v[36:37]
	s_and_b32 vcc_lo, exec_lo, s6
	s_cbranch_vccnz .LBB280_5
; %bb.4:                                ;   in Loop: Header=BB280_3 Depth=1
	s_lshl_b64 s[8:9], s[10:11], 3
	s_delay_alu instid0(SALU_CYCLE_1)
	s_add_nc_u64 s[8:9], s[16:17], s[8:9]
	global_load_b64 v[2:3], v0, s[8:9]
	s_wait_loadcnt 0x0
	v_add_nc_u64_e32 v[2:3], s[18:19], v[2:3]
.LBB280_5:                              ;   in Loop: Header=BB280_3 Depth=1
	s_and_not1_b32 vcc_lo, exec_lo, s7
	s_cbranch_vccnz .LBB280_8
; %bb.6:                                ;   in Loop: Header=BB280_3 Depth=1
	s_wait_xcnt 0x0
	s_lshl_b64 s[8:9], s[10:11], 3
	s_delay_alu instid0(SALU_CYCLE_1)
	s_add_nc_u64 s[8:9], s[20:21], s[8:9]
	global_load_b64 v[4:5], v0, s[8:9]
	s_wait_loadcnt 0x0
	v_add_nc_u64_e32 v[38:39], s[22:23], v[4:5]
	s_and_not1_b32 vcc_lo, exec_lo, s6
	s_mov_b32 s6, -1
	s_cbranch_vccz .LBB280_9
.LBB280_7:                              ;   in Loop: Header=BB280_3 Depth=1
	s_and_not1_b32 vcc_lo, exec_lo, s6
	s_cbranch_vccnz .LBB280_2
	s_branch .LBB280_13
.LBB280_8:                              ;   in Loop: Header=BB280_3 Depth=1
	v_mov_b64_e32 v[38:39], 0
	s_and_not1_b32 vcc_lo, exec_lo, s6
	s_mov_b32 s6, -1
	s_cbranch_vccnz .LBB280_7
.LBB280_9:                              ;   in Loop: Header=BB280_3 Depth=1
	s_wait_xcnt 0x0
	s_and_saveexec_b32 s8, s67
	s_cbranch_execz .LBB280_12
; %bb.10:                               ;   in Loop: Header=BB280_3 Depth=1
	s_mul_u64 s[6:7], s[44:45], s[10:11]
	s_mov_b32 s9, s27
	s_add_nc_u64 s[6:7], s[48:49], s[6:7]
.LBB280_11:                             ;   Parent Loop BB280_3 Depth=1
                                        ; =>  This Inner Loop Header: Depth=2
	s_add_co_i32 s9, s9, -1
	global_store_b64 v0, v[34:35], s[6:7]
	s_cmp_eq_u32 s9, 0
	s_wait_xcnt 0x0
	s_add_nc_u64 s[6:7], s[6:7], s[46:47]
	s_cbranch_scc0 .LBB280_11
.LBB280_12:                             ;   in Loop: Header=BB280_3 Depth=1
	s_or_b32 exec_lo, exec_lo, s8
	s_cbranch_execnz .LBB280_2
.LBB280_13:                             ;   in Loop: Header=BB280_3 Depth=1
	v_lshlrev_b64_e32 v[4:5], 3, v[24:25]
	s_mul_u64 s[54:55], s[40:41], s[10:11]
	v_lshl_add_u64 v[40:41], v[24:25], 3, v[2:3]
	v_lshl_add_u64 v[42:43], v[26:27], 3, v[38:39]
	;; [unrolled: 1-line block ×5, first 2 shown]
	v_add_nc_u64_e32 v[50:51], v[2:3], v[4:5]
	s_wait_xcnt 0x0
	v_cmp_gt_u32_e64 s9, 24, v52
	v_cmp_gt_u32_e64 s8, 28, v52
	;; [unrolled: 1-line block ×3, first 2 shown]
	v_cmp_ne_u32_e64 s6, 31, v52
	s_lshl_b64 s[54:55], s[54:55], 3
	s_and_not1_b32 vcc_lo, exec_lo, s70
	s_add_nc_u64 s[54:55], s[30:31], s[54:55]
	s_cbranch_vccnz .LBB280_40
; %bb.14:                               ;   in Loop: Header=BB280_3 Depth=1
	v_cndmask_b32_e64 v1, 0, 8, s9
	v_cndmask_b32_e64 v8, 0, 4, s8
	;; [unrolled: 1-line block ×3, first 2 shown]
	v_add_co_ci_u32_e64 v10, null, 0, v52, s6
	v_dual_mov_b32 v5, v0 :: v_dual_mov_b32 v6, v0
	s_delay_alu instid0(VALU_DEP_2)
	v_dual_mov_b32 v7, v0 :: v_dual_lshlrev_b32 v59, 2, v10
	v_add_lshl_u32 v56, v1, v52, 2
	v_dual_mov_b32 v1, v0 :: v_dual_mov_b32 v2, v0
	v_dual_mov_b32 v3, v0 :: v_dual_mov_b32 v4, v0
	v_add_lshl_u32 v57, v8, v52, 2
	v_add_lshl_u32 v58, v9, v52, 2
	v_mov_b64_e32 v[14:15], v[6:7]
	s_delay_alu instid0(VALU_DEP_4)
	v_mov_b64_e32 v[10:11], v[2:3]
	v_mov_b64_e32 v[12:13], v[4:5]
	;; [unrolled: 1-line block ×3, first 2 shown]
	s_mov_b32 s56, 0
	s_mov_b64 s[58:59], s[52:53]
	s_mov_b64 s[60:61], s[50:51]
	;; [unrolled: 1-line block ×3, first 2 shown]
	s_mov_b32 s24, s56
	s_branch .LBB280_16
.LBB280_15:                             ;   in Loop: Header=BB280_16 Depth=2
	s_wait_xcnt 0x0
	s_or_b32 exec_lo, exec_lo, s6
	s_add_co_i32 s24, s24, 4
	s_add_co_i32 s56, s56, s38
	s_add_nc_u64 s[62:63], s[62:63], s[38:39]
	s_add_nc_u64 s[60:61], s[60:61], s[38:39]
	s_cmp_ge_i32 s24, s68
	s_add_nc_u64 s[58:59], s[58:59], s[38:39]
	s_cbranch_scc1 .LBB280_41
.LBB280_16:                             ;   Parent Loop BB280_3 Depth=1
                                        ; =>  This Loop Header: Depth=2
                                        ;       Child Loop BB280_22 Depth 3
                                        ;       Child Loop BB280_25 Depth 3
	;; [unrolled: 1-line block ×3, first 2 shown]
                                        ; implicit-def: $vgpr16_vgpr17_vgpr18_vgpr19_vgpr20_vgpr21_vgpr22_vgpr23
	s_and_saveexec_b32 s6, s4
	s_delay_alu instid0(SALU_CYCLE_1)
	s_xor_b32 s6, exec_lo, s6
	s_cbranch_execz .LBB280_18
; %bb.17:                               ;   in Loop: Header=BB280_16 Depth=2
	s_mul_i32 s8, s24, s28
	s_delay_alu instid0(SALU_CYCLE_1)
	s_ashr_i32 s9, s8, 31
	s_add_co_i32 s64, s8, s28
	v_lshl_add_u64 v[6:7], s[8:9], 3, v[40:41]
	s_ashr_i32 s65, s64, 31
	s_add_co_i32 s8, s64, s28
	v_lshl_add_u64 v[14:15], s[64:65], 3, v[40:41]
	s_add_co_i32 s64, s8, s28
	s_ashr_i32 s9, s8, 31
	s_ashr_i32 s65, s64, 31
	v_lshl_add_u64 v[16:17], s[8:9], 3, v[40:41]
	v_lshl_add_u64 v[18:19], s[64:65], 3, v[40:41]
	flat_load_b64 v[8:9], v[42:43]
	s_clause 0x3
	flat_load_b128 v[2:5], v[6:7]
	flat_load_b128 v[60:63], v[14:15]
	;; [unrolled: 1-line block ×4, first 2 shown]
	s_clause 0x1
	flat_load_b64 v[10:11], v[44:45]
	flat_load_b64 v[12:13], v[46:47]
	s_clause 0x3
	flat_load_b128 v[72:75], v[6:7] offset:16
	flat_load_b128 v[76:79], v[14:15] offset:16
	;; [unrolled: 1-line block ×4, first 2 shown]
	flat_load_b64 v[14:15], v[48:49]
	s_wait_loadcnt_dscnt 0xa0a
	s_wait_xcnt 0x2
	v_fma_f64 v[16:17], v[8:9], v[2:3], 0
	s_wait_loadcnt_dscnt 0x909
	s_wait_xcnt 0x1
	v_fma_f64 v[18:19], v[8:9], v[60:61], 0
	s_wait_loadcnt_dscnt 0x808
	v_fma_f64 v[20:21], v[8:9], v[64:65], 0
	s_wait_loadcnt_dscnt 0x707
	;; [unrolled: 2-line block ×3, first 2 shown]
	s_delay_alu instid0(VALU_DEP_4) | instskip(NEXT) | instid1(VALU_DEP_4)
	v_fmac_f64_e32 v[16:17], v[10:11], v[4:5]
	v_fmac_f64_e32 v[18:19], v[10:11], v[62:63]
	s_delay_alu instid0(VALU_DEP_4) | instskip(NEXT) | instid1(VALU_DEP_4)
	v_fmac_f64_e32 v[20:21], v[10:11], v[66:67]
	v_fmac_f64_e32 v[22:23], v[10:11], v[70:71]
	s_wait_loadcnt_dscnt 0x404
	s_delay_alu instid0(VALU_DEP_4) | instskip(SKIP_1) | instid1(VALU_DEP_4)
	v_fmac_f64_e32 v[16:17], v[12:13], v[72:73]
	s_wait_loadcnt_dscnt 0x303
	v_fmac_f64_e32 v[18:19], v[12:13], v[76:77]
	s_wait_loadcnt_dscnt 0x202
	s_delay_alu instid0(VALU_DEP_4) | instskip(SKIP_1) | instid1(VALU_DEP_4)
	v_fmac_f64_e32 v[20:21], v[12:13], v[80:81]
	s_wait_loadcnt_dscnt 0x101
	v_fmac_f64_e32 v[22:23], v[12:13], v[84:85]
	s_wait_loadcnt_dscnt 0x0
	s_delay_alu instid0(VALU_DEP_4) | instskip(NEXT) | instid1(VALU_DEP_4)
	v_fmac_f64_e32 v[16:17], v[14:15], v[74:75]
	v_fmac_f64_e32 v[18:19], v[14:15], v[78:79]
	s_delay_alu instid0(VALU_DEP_4) | instskip(NEXT) | instid1(VALU_DEP_4)
	v_fmac_f64_e32 v[20:21], v[14:15], v[82:83]
	v_fmac_f64_e32 v[22:23], v[14:15], v[86:87]
.LBB280_18:                             ;   in Loop: Header=BB280_16 Depth=2
	s_wait_xcnt 0x0
	s_and_not1_saveexec_b32 s11, s6
	s_cbranch_execz .LBB280_28
; %bb.19:                               ;   in Loop: Header=BB280_16 Depth=2
	v_dual_mov_b32 v5, v0 :: v_dual_mov_b32 v6, v0
	v_dual_mov_b32 v7, v0 :: v_dual_mov_b32 v1, v0
	;; [unrolled: 1-line block ×3, first 2 shown]
	v_mov_b32_e32 v4, v0
	s_delay_alu instid0(VALU_DEP_3) | instskip(NEXT) | instid1(VALU_DEP_4)
	v_mov_b64_e32 v[22:23], v[6:7]
	v_mov_b64_e32 v[16:17], v[0:1]
	s_delay_alu instid0(VALU_DEP_4) | instskip(NEXT) | instid1(VALU_DEP_4)
	v_mov_b64_e32 v[18:19], v[2:3]
	v_mov_b64_e32 v[20:21], v[4:5]
	s_and_saveexec_b32 s26, s5
	s_cbranch_execz .LBB280_27
; %bb.20:                               ;   in Loop: Header=BB280_16 Depth=2
	s_and_not1_b32 vcc_lo, exec_lo, s71
	s_cbranch_vccnz .LBB280_23
; %bb.21:                               ;   in Loop: Header=BB280_16 Depth=2
	v_mov_b32_e32 v1, v26
	s_mov_b64 s[64:65], 0
.LBB280_22:                             ;   Parent Loop BB280_3 Depth=1
                                        ;     Parent Loop BB280_16 Depth=2
                                        ; =>    This Inner Loop Header: Depth=3
	v_readfirstlane_b32 s6, v38
	v_readfirstlane_b32 s7, v39
	s_cmp_eq_u32 s64, 3
	s_cselect_b32 vcc_lo, -1, 0
	s_cmp_eq_u32 s64, 2
	flat_load_b64 v[2:3], v1, s[6:7] scale_offset
	s_wait_xcnt 0x0
	s_cselect_b32 s6, -1, 0
	s_cmp_eq_u32 s64, 1
	v_add_nc_u32_e32 v1, s66, v1
	s_cselect_b32 s7, -1, 0
	s_cmp_eq_u32 s64, 0
	s_add_nc_u64 s[64:65], s[64:65], 1
	s_cselect_b32 s8, -1, 0
	s_cmp_eq_u32 s69, s64
	s_wait_loadcnt_dscnt 0x0
	v_dual_cndmask_b32 v15, v15, v3 :: v_dual_cndmask_b32 v14, v14, v2
	v_dual_cndmask_b32 v13, v13, v3, s6 :: v_dual_cndmask_b32 v12, v12, v2, s6
	v_dual_cndmask_b32 v11, v11, v3, s7 :: v_dual_cndmask_b32 v10, v10, v2, s7
	;; [unrolled: 1-line block ×3, first 2 shown]
	s_cbranch_scc0 .LBB280_22
.LBB280_23:                             ;   in Loop: Header=BB280_16 Depth=2
	s_and_not1_b32 vcc_lo, exec_lo, s71
	s_cbranch_vccnz .LBB280_26
; %bb.24:                               ;   in Loop: Header=BB280_16 Depth=2
	s_ashr_i32 s57, s56, 31
	v_mov_b64_e32 v[16:17], 0
	v_mov_b64_e32 v[18:19], 0
	;; [unrolled: 1-line block ×4, first 2 shown]
	v_lshl_add_u64 v[2:3], s[56:57], 3, v[50:51]
	s_mov_b64 s[8:9], 0
.LBB280_25:                             ;   Parent Loop BB280_3 Depth=1
                                        ;     Parent Loop BB280_16 Depth=2
                                        ; =>    This Inner Loop Header: Depth=3
	s_delay_alu instid0(SALU_CYCLE_1)
	s_cmp_eq_u32 s8, 1
	s_cselect_b32 vcc_lo, -1, 0
	s_cmp_eq_u32 s8, 2
	v_dual_cndmask_b32 v1, v9, v11 :: v_dual_cndmask_b32 v64, v8, v10
	s_cselect_b32 s6, -1, 0
	s_cmp_eq_u32 s8, 3
	s_cselect_b32 s7, -1, 0
	s_add_co_i32 s64, s62, s8
	s_add_co_i32 s72, s60, s8
	;; [unrolled: 1-line block ×3, first 2 shown]
	s_ashr_i32 s65, s64, 31
	s_ashr_i32 s73, s72, 31
	;; [unrolled: 1-line block ×3, first 2 shown]
	s_wait_xcnt 0x2
	v_lshl_add_u64 v[4:5], s[64:65], 3, v[40:41]
	s_wait_xcnt 0x1
	v_lshl_add_u64 v[6:7], s[72:73], 3, v[40:41]
	;; [unrolled: 2-line block ×3, first 2 shown]
	flat_load_b64 v[62:63], v[2:3]
	s_clause 0x2
	flat_load_b64 v[4:5], v[4:5]
	flat_load_b64 v[6:7], v[6:7]
	flat_load_b64 v[60:61], v[60:61]
	v_dual_cndmask_b32 v1, v1, v13, s6 :: v_dual_cndmask_b32 v64, v64, v12, s6
	s_wait_xcnt 0x3
	v_add_nc_u64_e32 v[2:3], 8, v[2:3]
	s_add_nc_u64 s[8:9], s[8:9], 1
	s_delay_alu instid0(VALU_DEP_2) | instskip(SKIP_2) | instid1(VALU_DEP_1)
	v_dual_cndmask_b32 v65, v1, v15, s7 :: v_dual_cndmask_b32 v64, v64, v14, s7
	s_cmp_lg_u32 s69, s8
	s_wait_loadcnt_dscnt 0x303
	v_fmac_f64_e32 v[16:17], v[64:65], v[62:63]
	s_wait_loadcnt_dscnt 0x202
	v_fmac_f64_e32 v[18:19], v[64:65], v[4:5]
	s_wait_loadcnt_dscnt 0x101
	v_fmac_f64_e32 v[20:21], v[64:65], v[6:7]
	s_wait_loadcnt_dscnt 0x0
	v_fmac_f64_e32 v[22:23], v[64:65], v[60:61]
	s_cbranch_scc1 .LBB280_25
	s_branch .LBB280_27
.LBB280_26:                             ;   in Loop: Header=BB280_16 Depth=2
	v_dual_mov_b32 v5, v0 :: v_dual_mov_b32 v6, v0
	v_dual_mov_b32 v7, v0 :: v_dual_mov_b32 v1, v0
	;; [unrolled: 1-line block ×3, first 2 shown]
	v_mov_b32_e32 v4, v0
	s_delay_alu instid0(VALU_DEP_3) | instskip(NEXT) | instid1(VALU_DEP_4)
	v_mov_b64_e32 v[22:23], v[6:7]
	v_mov_b64_e32 v[16:17], v[0:1]
	s_delay_alu instid0(VALU_DEP_4) | instskip(NEXT) | instid1(VALU_DEP_4)
	v_mov_b64_e32 v[18:19], v[2:3]
	v_mov_b64_e32 v[20:21], v[4:5]
.LBB280_27:                             ;   in Loop: Header=BB280_16 Depth=2
	s_wait_xcnt 0x0
	s_or_b32 exec_lo, exec_lo, s26
.LBB280_28:                             ;   in Loop: Header=BB280_16 Depth=2
	s_delay_alu instid0(SALU_CYCLE_1)
	s_or_b32 exec_lo, exec_lo, s11
	s_mov_b64 s[6:7], 0
	s_branch .LBB280_30
.LBB280_29:                             ;   in Loop: Header=BB280_30 Depth=3
	s_or_b32 exec_lo, exec_lo, s8
	s_cmp_eq_u32 s6, 3
	s_cselect_b32 vcc_lo, -1, 0
	s_cmp_eq_u32 s6, 2
	s_wait_dscnt 0x0
	s_delay_alu instid0(VALU_DEP_1)
	v_dual_cndmask_b32 v23, v23, v3 :: v_dual_cndmask_b32 v22, v22, v2
	s_cselect_b32 vcc_lo, -1, 0
	s_cmp_eq_u32 s6, 1
	v_dual_cndmask_b32 v21, v21, v3 :: v_dual_cndmask_b32 v20, v20, v2
	s_cselect_b32 vcc_lo, -1, 0
	s_cmp_eq_u32 s6, 0
	v_dual_cndmask_b32 v19, v19, v3 :: v_dual_cndmask_b32 v18, v18, v2
	s_cselect_b32 vcc_lo, -1, 0
	s_add_nc_u64 s[6:7], s[6:7], 1
	v_dual_cndmask_b32 v17, v17, v3 :: v_dual_cndmask_b32 v16, v16, v2
	s_cmp_eq_u32 s6, 4
	s_cbranch_scc1 .LBB280_38
.LBB280_30:                             ;   Parent Loop BB280_3 Depth=1
                                        ;     Parent Loop BB280_16 Depth=2
                                        ; =>    This Inner Loop Header: Depth=3
	s_and_saveexec_b32 s8, s1
; %bb.31:                               ;   in Loop: Header=BB280_30 Depth=3
	ds_store_b64 v53, v[34:35]
; %bb.32:                               ;   in Loop: Header=BB280_30 Depth=3
	s_or_b32 exec_lo, exec_lo, s8
	s_cmp_eq_u32 s6, 1
	s_wait_storecnt_dscnt 0x0
	s_cselect_b32 vcc_lo, -1, 0
	s_cmp_eq_u32 s6, 2
	v_dual_cndmask_b32 v1, v17, v19 :: v_dual_cndmask_b32 v2, v16, v18
	s_cselect_b32 vcc_lo, -1, 0
	s_cmp_eq_u32 s6, 3
	s_barrier_signal -1
	s_delay_alu instid0(VALU_DEP_1) | instskip(SKIP_2) | instid1(VALU_DEP_1)
	v_dual_cndmask_b32 v1, v1, v21 :: v_dual_cndmask_b32 v2, v2, v20
	s_cselect_b32 vcc_lo, -1, 0
	s_barrier_wait -1
	v_dual_cndmask_b32 v3, v1, v23 :: v_dual_cndmask_b32 v2, v2, v22
	ds_bpermute_b32 v5, v55, v3
	ds_bpermute_b32 v4, v55, v2
	s_wait_dscnt 0x0
	v_add_f64_e32 v[2:3], v[2:3], v[4:5]
	ds_bpermute_b32 v4, v56, v2
	ds_bpermute_b32 v5, v56, v3
	s_wait_dscnt 0x0
	v_add_f64_e32 v[2:3], v[2:3], v[4:5]
	;; [unrolled: 4-line block ×4, first 2 shown]
	ds_bpermute_b32 v4, v59, v2
	ds_bpermute_b32 v5, v59, v3
	s_and_saveexec_b32 s8, s3
	s_cbranch_execz .LBB280_34
; %bb.33:                               ;   in Loop: Header=BB280_30 Depth=3
	s_wait_dscnt 0x0
	v_add_f64_e32 v[2:3], v[2:3], v[4:5]
	ds_store_b64 v54, v[2:3]
.LBB280_34:                             ;   in Loop: Header=BB280_30 Depth=3
	s_or_b32 exec_lo, exec_lo, s8
	v_mov_b64_e32 v[2:3], 0
	s_wait_dscnt 0x0
	s_barrier_signal -1
	s_barrier_wait -1
	s_and_saveexec_b32 s8, s2
; %bb.35:                               ;   in Loop: Header=BB280_30 Depth=3
	ds_load_b64 v[2:3], v53
; %bb.36:                               ;   in Loop: Header=BB280_30 Depth=3
	s_or_b32 exec_lo, exec_lo, s8
	s_and_saveexec_b32 s8, s1
	s_cbranch_execz .LBB280_29
; %bb.37:                               ;   in Loop: Header=BB280_30 Depth=3
	s_wait_dscnt 0x0
	ds_bpermute_b32 v4, v57, v2
	ds_bpermute_b32 v5, v57, v3
	s_wait_dscnt 0x0
	v_add_f64_e32 v[2:3], v[2:3], v[4:5]
	ds_bpermute_b32 v4, v58, v2
	ds_bpermute_b32 v5, v58, v3
	s_wait_dscnt 0x0
	v_add_f64_e32 v[2:3], v[2:3], v[4:5]
	;; [unrolled: 4-line block ×3, first 2 shown]
	s_branch .LBB280_29
.LBB280_38:                             ;   in Loop: Header=BB280_16 Depth=2
	s_and_saveexec_b32 s6, s0
	s_cbranch_execz .LBB280_15
; %bb.39:                               ;   in Loop: Header=BB280_16 Depth=2
	s_mul_i32 s7, s24, s34
	s_delay_alu instid0(SALU_CYCLE_1) | instskip(NEXT) | instid1(SALU_CYCLE_1)
	s_add_co_i32 s7, s7, s36
	v_dual_mul_f64 v[2:3], v[36:37], v[16:17] :: v_dual_mov_b32 v1, s7
	s_add_co_i32 s8, s7, s34
	s_delay_alu instid0(SALU_CYCLE_1) | instskip(SKIP_1) | instid1(SALU_CYCLE_1)
	v_dual_mul_f64 v[4:5], v[36:37], v[18:19] :: v_dual_mov_b32 v18, s8
	s_add_co_i32 s7, s8, s34
	v_dual_mul_f64 v[6:7], v[36:37], v[20:21] :: v_dual_mov_b32 v19, s7
	s_add_co_i32 s8, s7, s34
	s_delay_alu instid0(SALU_CYCLE_1)
	v_dual_mul_f64 v[16:17], v[36:37], v[22:23] :: v_dual_mov_b32 v20, s8
	s_clause 0x3
	global_store_b64 v1, v[2:3], s[54:55] scale_offset
	global_store_b64 v18, v[4:5], s[54:55] scale_offset
	;; [unrolled: 1-line block ×4, first 2 shown]
	s_branch .LBB280_15
.LBB280_40:                             ;   in Loop: Header=BB280_3 Depth=1
	v_dual_mov_b32 v5, v0 :: v_dual_mov_b32 v6, v0
	v_dual_mov_b32 v7, v0 :: v_dual_mov_b32 v1, v0
	;; [unrolled: 1-line block ×3, first 2 shown]
	v_mov_b32_e32 v4, v0
	s_delay_alu instid0(VALU_DEP_3) | instskip(NEXT) | instid1(VALU_DEP_4)
	v_mov_b64_e32 v[14:15], v[6:7]
	v_mov_b64_e32 v[8:9], v[0:1]
	s_mov_b32 s24, 0
	v_mov_b64_e32 v[10:11], v[2:3]
	v_mov_b64_e32 v[12:13], v[4:5]
.LBB280_41:                             ;   in Loop: Header=BB280_3 Depth=1
	s_cmp_ge_i32 s24, s27
	s_cbranch_scc1 .LBB280_2
; %bb.42:                               ;   in Loop: Header=BB280_3 Depth=1
	v_cmp_gt_u32_e32 vcc_lo, 24, v52
	s_add_nc_u64 s[54:55], s[54:55], s[42:43]
	s_mul_i32 s56, s28, s24
	v_cndmask_b32_e64 v1, 0, 8, vcc_lo
	v_cmp_gt_u32_e32 vcc_lo, 28, v52
	s_delay_alu instid0(VALU_DEP_2) | instskip(SKIP_2) | instid1(VALU_DEP_2)
	v_add_lshl_u32 v1, v1, v52, 2
	v_cndmask_b32_e64 v2, 0, 4, vcc_lo
	v_cmp_gt_u32_e32 vcc_lo, 30, v52
	v_add_lshl_u32 v6, v2, v52, 2
	v_cndmask_b32_e64 v3, 0, 2, vcc_lo
	v_cmp_ne_u32_e32 vcc_lo, 31, v52
	s_delay_alu instid0(VALU_DEP_2) | instskip(SKIP_1) | instid1(VALU_DEP_1)
	v_add_lshl_u32 v7, v3, v52, 2
	v_add_co_ci_u32_e64 v4, null, 0, v52, vcc_lo
	v_lshlrev_b32_e32 v16, 2, v4
	s_branch .LBB280_44
.LBB280_43:                             ;   in Loop: Header=BB280_44 Depth=2
	s_wait_xcnt 0x0
	s_or_b32 exec_lo, exec_lo, s6
	s_add_co_i32 s24, s24, 1
	s_add_co_i32 s56, s56, s28
	s_cmp_ge_i32 s24, s27
	s_cbranch_scc1 .LBB280_2
.LBB280_44:                             ;   Parent Loop BB280_3 Depth=1
                                        ; =>  This Loop Header: Depth=2
                                        ;       Child Loop BB280_57 Depth 3
                                        ;       Child Loop BB280_60 Depth 3
	s_wait_dscnt 0x0
	v_dual_mov_b32 v2, s25 :: v_dual_mov_b32 v3, s25
	s_and_saveexec_b32 s6, s4
	s_delay_alu instid0(SALU_CYCLE_1)
	s_xor_b32 s6, exec_lo, s6
	s_cbranch_execnz .LBB280_53
; %bb.45:                               ;   in Loop: Header=BB280_44 Depth=2
	s_and_not1_saveexec_b32 s9, s6
	s_cbranch_execnz .LBB280_54
.LBB280_46:                             ;   in Loop: Header=BB280_44 Depth=2
	s_or_b32 exec_lo, exec_lo, s9
	s_and_saveexec_b32 s6, s1
.LBB280_47:                             ;   in Loop: Header=BB280_44 Depth=2
	ds_store_b64 v53, v[34:35]
.LBB280_48:                             ;   in Loop: Header=BB280_44 Depth=2
	s_or_b32 exec_lo, exec_lo, s6
	ds_bpermute_b32 v4, v55, v2
	ds_bpermute_b32 v5, v55, v3
	s_wait_storecnt_dscnt 0x0
	s_barrier_signal -1
	s_barrier_wait -1
	v_add_f64_e32 v[2:3], v[2:3], v[4:5]
	ds_bpermute_b32 v4, v1, v2
	ds_bpermute_b32 v5, v1, v3
	s_wait_dscnt 0x0
	v_add_f64_e32 v[2:3], v[2:3], v[4:5]
	ds_bpermute_b32 v4, v6, v2
	ds_bpermute_b32 v5, v6, v3
	s_wait_dscnt 0x0
	;; [unrolled: 4-line block ×3, first 2 shown]
	v_add_f64_e32 v[2:3], v[2:3], v[4:5]
	ds_bpermute_b32 v4, v16, v2
	ds_bpermute_b32 v5, v16, v3
	s_and_saveexec_b32 s6, s3
	s_cbranch_execz .LBB280_50
; %bb.49:                               ;   in Loop: Header=BB280_44 Depth=2
	s_wait_dscnt 0x0
	v_add_f64_e32 v[2:3], v[2:3], v[4:5]
	ds_store_b64 v54, v[2:3]
.LBB280_50:                             ;   in Loop: Header=BB280_44 Depth=2
	s_or_b32 exec_lo, exec_lo, s6
	v_mov_b64_e32 v[2:3], 0
	s_wait_dscnt 0x0
	s_barrier_signal -1
	s_barrier_wait -1
	s_and_saveexec_b32 s6, s2
	s_cbranch_execnz .LBB280_62
; %bb.51:                               ;   in Loop: Header=BB280_44 Depth=2
	s_or_b32 exec_lo, exec_lo, s6
	s_and_saveexec_b32 s6, s1
	s_cbranch_execnz .LBB280_63
.LBB280_52:                             ;   in Loop: Header=BB280_44 Depth=2
	s_or_b32 exec_lo, exec_lo, s6
	s_and_saveexec_b32 s6, s0
	s_cbranch_execz .LBB280_43
	s_branch .LBB280_64
.LBB280_53:                             ;   in Loop: Header=BB280_44 Depth=2
	s_mul_i32 s8, s24, s28
	s_delay_alu instid0(SALU_CYCLE_1) | instskip(NEXT) | instid1(SALU_CYCLE_1)
	s_ashr_i32 s9, s8, 31
	v_lshl_add_u64 v[12:13], s[8:9], 3, v[40:41]
	flat_load_b128 v[2:5], v[12:13]
	s_clause 0x1
	flat_load_b64 v[8:9], v[42:43]
	flat_load_b64 v[10:11], v[44:45]
	flat_load_b128 v[18:21], v[12:13] offset:16
	s_clause 0x1
	flat_load_b64 v[12:13], v[46:47]
	flat_load_b64 v[14:15], v[48:49]
	s_wait_loadcnt_dscnt 0x404
	v_fma_f64 v[2:3], v[8:9], v[2:3], 0
	s_wait_loadcnt_dscnt 0x303
	s_delay_alu instid0(VALU_DEP_1) | instskip(SKIP_1) | instid1(VALU_DEP_1)
	v_fmac_f64_e32 v[2:3], v[10:11], v[4:5]
	s_wait_loadcnt_dscnt 0x101
	v_fmac_f64_e32 v[2:3], v[12:13], v[18:19]
	s_wait_loadcnt_dscnt 0x0
	s_delay_alu instid0(VALU_DEP_1)
	v_fmac_f64_e32 v[2:3], v[14:15], v[20:21]
	s_wait_xcnt 0x0
	s_and_not1_saveexec_b32 s9, s6
	s_cbranch_execz .LBB280_46
.LBB280_54:                             ;   in Loop: Header=BB280_44 Depth=2
	s_and_saveexec_b32 s11, s5
	s_cbranch_execz .LBB280_61
; %bb.55:                               ;   in Loop: Header=BB280_44 Depth=2
	s_and_not1_b32 vcc_lo, exec_lo, s71
	s_cbranch_vccnz .LBB280_58
; %bb.56:                               ;   in Loop: Header=BB280_44 Depth=2
	v_mov_b32_e32 v4, v26
	s_mov_b64 s[58:59], 0
.LBB280_57:                             ;   Parent Loop BB280_3 Depth=1
                                        ;     Parent Loop BB280_44 Depth=2
                                        ; =>    This Inner Loop Header: Depth=3
	v_readfirstlane_b32 s6, v38
	v_readfirstlane_b32 s7, v39
	s_cmp_eq_u32 s58, 3
	s_cselect_b32 vcc_lo, -1, 0
	s_cmp_eq_u32 s58, 2
	flat_load_b64 v[18:19], v4, s[6:7] scale_offset
	s_wait_xcnt 0x0
	s_cselect_b32 s6, -1, 0
	s_cmp_eq_u32 s58, 1
	v_add_nc_u32_e32 v4, s66, v4
	s_cselect_b32 s7, -1, 0
	s_cmp_eq_u32 s58, 0
	s_add_nc_u64 s[58:59], s[58:59], 1
	s_cselect_b32 s8, -1, 0
	s_cmp_eq_u32 s69, s58
	s_wait_loadcnt_dscnt 0x0
	v_dual_cndmask_b32 v15, v15, v19 :: v_dual_cndmask_b32 v14, v14, v18
	v_dual_cndmask_b32 v13, v13, v19, s6 :: v_dual_cndmask_b32 v12, v12, v18, s6
	v_dual_cndmask_b32 v11, v11, v19, s7 :: v_dual_cndmask_b32 v10, v10, v18, s7
	;; [unrolled: 1-line block ×3, first 2 shown]
	s_cbranch_scc0 .LBB280_57
.LBB280_58:                             ;   in Loop: Header=BB280_44 Depth=2
	s_and_not1_b32 vcc_lo, exec_lo, s71
	s_cbranch_vccnz .LBB280_61
; %bb.59:                               ;   in Loop: Header=BB280_44 Depth=2
	s_ashr_i32 s57, s56, 31
	s_mov_b64 s[6:7], 0
	v_lshl_add_u64 v[4:5], s[56:57], 3, v[50:51]
.LBB280_60:                             ;   Parent Loop BB280_3 Depth=1
                                        ;     Parent Loop BB280_44 Depth=2
                                        ; =>    This Inner Loop Header: Depth=3
	flat_load_b64 v[18:19], v[4:5]
	s_cmp_eq_u32 s6, 1
	s_wait_xcnt 0x0
	v_add_nc_u64_e32 v[4:5], 8, v[4:5]
	s_cselect_b32 vcc_lo, -1, 0
	s_cmp_eq_u32 s6, 2
	v_dual_cndmask_b32 v17, v9, v11 :: v_dual_cndmask_b32 v20, v8, v10
	s_cselect_b32 vcc_lo, -1, 0
	s_cmp_eq_u32 s6, 3
	s_add_nc_u64 s[6:7], s[6:7], 1
	s_delay_alu instid0(VALU_DEP_1) | instskip(SKIP_2) | instid1(VALU_DEP_1)
	v_dual_cndmask_b32 v17, v17, v13 :: v_dual_cndmask_b32 v20, v20, v12
	s_cselect_b32 vcc_lo, -1, 0
	s_cmp_lg_u32 s69, s6
	v_dual_cndmask_b32 v21, v17, v15 :: v_dual_cndmask_b32 v20, v20, v14
	s_wait_loadcnt_dscnt 0x0
	s_delay_alu instid0(VALU_DEP_1)
	v_fmac_f64_e32 v[2:3], v[20:21], v[18:19]
	s_cbranch_scc1 .LBB280_60
.LBB280_61:                             ;   in Loop: Header=BB280_44 Depth=2
	s_or_b32 exec_lo, exec_lo, s11
	s_delay_alu instid0(SALU_CYCLE_1)
	s_or_b32 exec_lo, exec_lo, s9
	s_and_saveexec_b32 s6, s1
	s_cbranch_execnz .LBB280_47
	s_branch .LBB280_48
.LBB280_62:                             ;   in Loop: Header=BB280_44 Depth=2
	ds_load_b64 v[2:3], v53
	s_or_b32 exec_lo, exec_lo, s6
	s_and_saveexec_b32 s6, s1
	s_cbranch_execz .LBB280_52
.LBB280_63:                             ;   in Loop: Header=BB280_44 Depth=2
	s_wait_dscnt 0x0
	ds_bpermute_b32 v4, v6, v2
	ds_bpermute_b32 v5, v6, v3
	s_wait_dscnt 0x0
	v_add_f64_e32 v[2:3], v[2:3], v[4:5]
	ds_bpermute_b32 v4, v7, v2
	ds_bpermute_b32 v5, v7, v3
	s_wait_dscnt 0x0
	v_add_f64_e32 v[2:3], v[2:3], v[4:5]
	;; [unrolled: 4-line block ×3, first 2 shown]
	s_or_b32 exec_lo, exec_lo, s6
	s_and_saveexec_b32 s6, s0
	s_cbranch_execz .LBB280_43
.LBB280_64:                             ;   in Loop: Header=BB280_44 Depth=2
	s_wait_dscnt 0x0
	s_delay_alu instid0(VALU_DEP_1) | instskip(SKIP_1) | instid1(SALU_CYCLE_1)
	v_mul_f64_e32 v[2:3], v[36:37], v[2:3]
	s_mul_u64 s[8:9], s[24:25], s[34:35]
	s_lshl_b64 s[8:9], s[8:9], 3
	s_delay_alu instid0(SALU_CYCLE_1)
	s_add_nc_u64 s[8:9], s[54:55], s[8:9]
	global_store_b64 v0, v[2:3], s[8:9]
	s_branch .LBB280_43
.LBB280_65:
	s_sendmsg sendmsg(MSG_DEALLOC_VGPRS)
	s_endpgm
	.section	.rodata,"a",@progbits
	.p2align	6, 0x0
	.amdhsa_kernel _ZL23rocblas_gemvt_sn_kernelILb1ELi256ELi4EiPKdS1_dEviiT4_lPKT3_lilS5_lilPT5_i
		.amdhsa_group_segment_fixed_size 256
		.amdhsa_private_segment_fixed_size 0
		.amdhsa_kernarg_size 360
		.amdhsa_user_sgpr_count 2
		.amdhsa_user_sgpr_dispatch_ptr 0
		.amdhsa_user_sgpr_queue_ptr 0
		.amdhsa_user_sgpr_kernarg_segment_ptr 1
		.amdhsa_user_sgpr_dispatch_id 0
		.amdhsa_user_sgpr_kernarg_preload_length 0
		.amdhsa_user_sgpr_kernarg_preload_offset 0
		.amdhsa_user_sgpr_private_segment_size 0
		.amdhsa_wavefront_size32 1
		.amdhsa_uses_dynamic_stack 0
		.amdhsa_enable_private_segment 0
		.amdhsa_system_sgpr_workgroup_id_x 1
		.amdhsa_system_sgpr_workgroup_id_y 0
		.amdhsa_system_sgpr_workgroup_id_z 1
		.amdhsa_system_sgpr_workgroup_info 0
		.amdhsa_system_vgpr_workitem_id 0
		.amdhsa_next_free_vgpr 88
		.amdhsa_next_free_sgpr 76
		.amdhsa_named_barrier_count 0
		.amdhsa_reserve_vcc 1
		.amdhsa_float_round_mode_32 0
		.amdhsa_float_round_mode_16_64 0
		.amdhsa_float_denorm_mode_32 3
		.amdhsa_float_denorm_mode_16_64 3
		.amdhsa_fp16_overflow 0
		.amdhsa_memory_ordered 1
		.amdhsa_forward_progress 1
		.amdhsa_inst_pref_size 29
		.amdhsa_round_robin_scheduling 0
		.amdhsa_exception_fp_ieee_invalid_op 0
		.amdhsa_exception_fp_denorm_src 0
		.amdhsa_exception_fp_ieee_div_zero 0
		.amdhsa_exception_fp_ieee_overflow 0
		.amdhsa_exception_fp_ieee_underflow 0
		.amdhsa_exception_fp_ieee_inexact 0
		.amdhsa_exception_int_div_zero 0
	.end_amdhsa_kernel
	.section	.text._ZL23rocblas_gemvt_sn_kernelILb1ELi256ELi4EiPKdS1_dEviiT4_lPKT3_lilS5_lilPT5_i,"axG",@progbits,_ZL23rocblas_gemvt_sn_kernelILb1ELi256ELi4EiPKdS1_dEviiT4_lPKT3_lilS5_lilPT5_i,comdat
.Lfunc_end280:
	.size	_ZL23rocblas_gemvt_sn_kernelILb1ELi256ELi4EiPKdS1_dEviiT4_lPKT3_lilS5_lilPT5_i, .Lfunc_end280-_ZL23rocblas_gemvt_sn_kernelILb1ELi256ELi4EiPKdS1_dEviiT4_lPKT3_lilS5_lilPT5_i
                                        ; -- End function
	.set _ZL23rocblas_gemvt_sn_kernelILb1ELi256ELi4EiPKdS1_dEviiT4_lPKT3_lilS5_lilPT5_i.num_vgpr, 88
	.set _ZL23rocblas_gemvt_sn_kernelILb1ELi256ELi4EiPKdS1_dEviiT4_lPKT3_lilS5_lilPT5_i.num_agpr, 0
	.set _ZL23rocblas_gemvt_sn_kernelILb1ELi256ELi4EiPKdS1_dEviiT4_lPKT3_lilS5_lilPT5_i.numbered_sgpr, 76
	.set _ZL23rocblas_gemvt_sn_kernelILb1ELi256ELi4EiPKdS1_dEviiT4_lPKT3_lilS5_lilPT5_i.num_named_barrier, 0
	.set _ZL23rocblas_gemvt_sn_kernelILb1ELi256ELi4EiPKdS1_dEviiT4_lPKT3_lilS5_lilPT5_i.private_seg_size, 0
	.set _ZL23rocblas_gemvt_sn_kernelILb1ELi256ELi4EiPKdS1_dEviiT4_lPKT3_lilS5_lilPT5_i.uses_vcc, 1
	.set _ZL23rocblas_gemvt_sn_kernelILb1ELi256ELi4EiPKdS1_dEviiT4_lPKT3_lilS5_lilPT5_i.uses_flat_scratch, 1
	.set _ZL23rocblas_gemvt_sn_kernelILb1ELi256ELi4EiPKdS1_dEviiT4_lPKT3_lilS5_lilPT5_i.has_dyn_sized_stack, 0
	.set _ZL23rocblas_gemvt_sn_kernelILb1ELi256ELi4EiPKdS1_dEviiT4_lPKT3_lilS5_lilPT5_i.has_recursion, 0
	.set _ZL23rocblas_gemvt_sn_kernelILb1ELi256ELi4EiPKdS1_dEviiT4_lPKT3_lilS5_lilPT5_i.has_indirect_call, 0
	.section	.AMDGPU.csdata,"",@progbits
; Kernel info:
; codeLenInByte = 3608
; TotalNumSgprs: 78
; NumVgprs: 88
; ScratchSize: 0
; MemoryBound: 1
; FloatMode: 240
; IeeeMode: 1
; LDSByteSize: 256 bytes/workgroup (compile time only)
; SGPRBlocks: 0
; VGPRBlocks: 5
; NumSGPRsForWavesPerEU: 78
; NumVGPRsForWavesPerEU: 88
; NamedBarCnt: 0
; Occupancy: 10
; WaveLimiterHint : 0
; COMPUTE_PGM_RSRC2:SCRATCH_EN: 0
; COMPUTE_PGM_RSRC2:USER_SGPR: 2
; COMPUTE_PGM_RSRC2:TRAP_HANDLER: 0
; COMPUTE_PGM_RSRC2:TGID_X_EN: 1
; COMPUTE_PGM_RSRC2:TGID_Y_EN: 0
; COMPUTE_PGM_RSRC2:TGID_Z_EN: 1
; COMPUTE_PGM_RSRC2:TIDIG_COMP_CNT: 0
	.section	.text._ZL23rocblas_gemvt_sn_kernelILb1ELi256ELi4ElPKdS1_dEviiT4_lPKT3_lilS5_lilPT5_i,"axG",@progbits,_ZL23rocblas_gemvt_sn_kernelILb1ELi256ELi4ElPKdS1_dEviiT4_lPKT3_lilS5_lilPT5_i,comdat
	.globl	_ZL23rocblas_gemvt_sn_kernelILb1ELi256ELi4ElPKdS1_dEviiT4_lPKT3_lilS5_lilPT5_i ; -- Begin function _ZL23rocblas_gemvt_sn_kernelILb1ELi256ELi4ElPKdS1_dEviiT4_lPKT3_lilS5_lilPT5_i
	.p2align	8
	.type	_ZL23rocblas_gemvt_sn_kernelILb1ELi256ELi4ElPKdS1_dEviiT4_lPKT3_lilS5_lilPT5_i,@function
_ZL23rocblas_gemvt_sn_kernelILb1ELi256ELi4ElPKdS1_dEviiT4_lPKT3_lilS5_lilPT5_i: ; @_ZL23rocblas_gemvt_sn_kernelILb1ELi256ELi4ElPKdS1_dEviiT4_lPKT3_lilS5_lilPT5_i
; %bb.0:
	s_load_b32 s33, s[0:1], 0x60
	s_bfe_u32 s2, ttmp6, 0x40014
	s_lshr_b32 s4, ttmp7, 16
	s_add_co_i32 s2, s2, 1
	s_bfe_u32 s5, ttmp6, 0x40008
	s_mul_i32 s2, s4, s2
	s_getreg_b32 s3, hwreg(HW_REG_IB_STS2, 6, 4)
	s_add_co_i32 s5, s5, s2
	s_cmp_eq_u32 s3, 0
	s_mov_b32 s25, 0
	s_cselect_b32 s10, s4, s5
	s_wait_kmcnt 0x0
	s_cmp_ge_u32 s10, s33
	s_cbranch_scc1 .LBB281_65
; %bb.1:
	s_clause 0x6
	s_load_b32 s26, s[0:1], 0x28
	s_load_b32 s4, s[0:1], 0x48
	s_load_b64 s[28:29], s[0:1], 0x0
	s_load_b256 s[12:19], s[0:1], 0x8
	s_load_b128 s[20:23], s[0:1], 0x38
	s_load_b64 s[30:31], s[0:1], 0x58
	s_load_b32 s34, s[0:1], 0x68
	s_wait_xcnt 0x0
	v_cmp_eq_u32_e64 s0, 0, v0
	s_mov_b32 s35, s25
	v_dual_lshrrev_b32 v3, 2, v0 :: v_dual_bitop2_b32 v1, 31, v0 bitop3:0x40
	v_cmp_gt_u32_e64 s1, 32, v0
	v_cmp_gt_u32_e64 s2, 8, v0
	s_delay_alu instid0(VALU_DEP_3) | instskip(SKIP_2) | instid1(VALU_DEP_2)
	v_dual_mov_b32 v2, 0 :: v_dual_lshlrev_b32 v61, 3, v1
	v_mbcnt_lo_u32_b32 v60, -1, 0
	v_mov_b64_e32 v[38:39], 0
	v_lshl_or_b32 v63, v60, 2, 64
	s_wait_kmcnt 0x0
	s_ashr_i32 s27, s26, 31
	s_ashr_i32 s5, s4, 31
	;; [unrolled: 1-line block ×3, first 2 shown]
	s_cmp_gt_i32 s29, 0
	s_mul_u64 s[38:39], s[26:27], 24
	s_cselect_b32 s6, -1, 0
	s_bfe_u32 s8, ttmp6, 0x4000c
	s_and_b32 s9, ttmp6, 15
	s_add_co_i32 s8, s8, 1
	s_and_b32 s60, s0, s6
	s_mul_i32 s8, ttmp9, s8
	s_mov_b32 s6, s29
	s_add_co_i32 s9, s9, s8
	s_cmp_eq_u32 s3, 0
	s_mul_u64 s[36:37], s[6:7], s[34:35]
	s_cselect_b32 s24, ttmp9, s9
	s_ashr_i32 s6, s28, 31
	s_lshl_b32 s3, s24, 10
	s_lshr_b32 s6, s6, 30
	v_lshl_or_b32 v0, v0, 2, s3
	v_and_b32_e32 v62, 56, v3
	s_add_co_i32 s6, s28, s6
	v_cmp_eq_u32_e64 s3, 0, v1
	s_and_b32 s6, s6, -4
	v_dual_add_nc_u32 v3, 4, v0 :: v_dual_bitop2_b32 v6, 2, v0 bitop3:0x54
	v_dual_ashrrev_i32 v1, 31, v0 :: v_dual_bitop2_b32 v4, 1, v0 bitop3:0x54
	s_sub_co_i32 s62, s28, s6
	s_delay_alu instid0(VALU_DEP_2) | instskip(NEXT) | instid1(VALU_DEP_2)
	v_dual_ashrrev_i32 v7, 31, v6 :: v_dual_bitop2_b32 v8, 3, v0 bitop3:0x54
	v_ashrrev_i32_e32 v5, 31, v4
	s_delay_alu instid0(VALU_DEP_3)
	v_mul_u64_e32 v[26:27], s[4:5], v[0:1]
	s_lshr_b32 s7, s7, 30
	v_lshlrev_b64_e32 v[34:35], 3, v[0:1]
	v_mul_u64_e32 v[30:31], s[4:5], v[6:7]
	v_mul_u64_e32 v[28:29], s[4:5], v[4:5]
	v_add_nc_u32_e32 v4, s62, v0
	v_ashrrev_i32_e32 v9, 31, v8
	s_add_co_i32 s7, s29, s7
	s_delay_alu instid0(SALU_CYCLE_1) | instskip(NEXT) | instid1(VALU_DEP_1)
	s_and_b32 s61, s7, -4
	v_mul_u64_e32 v[32:33], s[4:5], v[8:9]
	s_cmp_gt_i32 s61, 0
	s_cselect_b32 s63, -1, 0
	s_cmp_gt_i32 s62, 0
	s_cselect_b32 s64, -1, 0
	s_lshl_b64 s[46:47], s[4:5], 3
	v_cmp_ge_i32_e64 s4, s28, v3
	v_cmp_ge_i32_e64 s5, s28, v4
	s_lshl_b64 s[40:41], s[24:25], 3
	s_lshl_b64 s[42:43], s[36:37], 3
	;; [unrolled: 1-line block ×5, first 2 shown]
	s_add_nc_u64 s[52:53], s[30:31], s[40:41]
	s_lshl_b64 s[54:55], s[26:27], 3
	s_lshl_b64 s[18:19], s[18:19], 3
	;; [unrolled: 1-line block ×3, first 2 shown]
	v_lshlrev_b64_e32 v[36:37], 3, v[26:27]
	s_branch .LBB281_3
.LBB281_2:                              ;   in Loop: Header=BB281_3 Depth=1
	s_add_co_i32 s10, s10, 0x10000
	s_delay_alu instid0(SALU_CYCLE_1)
	s_cmp_lt_u32 s10, s33
	s_cbranch_scc0 .LBB281_65
.LBB281_3:                              ; =>This Loop Header: Depth=1
                                        ;     Child Loop BB281_11 Depth 2
                                        ;     Child Loop BB281_16 Depth 2
                                        ;       Child Loop BB281_22 Depth 3
                                        ;       Child Loop BB281_25 Depth 3
	;; [unrolled: 1-line block ×3, first 2 shown]
                                        ;     Child Loop BB281_44 Depth 2
                                        ;       Child Loop BB281_57 Depth 3
                                        ;       Child Loop BB281_60 Depth 3
	s_mov_b32 s11, s25
	v_mov_b64_e32 v[54:55], 0
	s_mul_u64 s[6:7], s[14:15], s[10:11]
	s_delay_alu instid0(SALU_CYCLE_1) | instskip(NEXT) | instid1(SALU_CYCLE_1)
	s_lshl_b64 s[6:7], s[6:7], 3
	s_add_nc_u64 s[6:7], s[12:13], s[6:7]
	global_load_b64 v[40:41], v2, s[6:7]
	s_wait_loadcnt 0x0
	s_wait_xcnt 0x0
	v_cmp_eq_f64_e64 s6, 0, v[40:41]
	v_cmp_neq_f64_e64 s7, 0, v[40:41]
	s_and_b32 vcc_lo, exec_lo, s6
	s_cbranch_vccnz .LBB281_5
; %bb.4:                                ;   in Loop: Header=BB281_3 Depth=1
	s_lshl_b64 s[8:9], s[10:11], 3
	s_delay_alu instid0(SALU_CYCLE_1)
	s_add_nc_u64 s[8:9], s[16:17], s[8:9]
	global_load_b64 v[4:5], v2, s[8:9]
	s_wait_loadcnt 0x0
	v_add_nc_u64_e32 v[54:55], s[18:19], v[4:5]
.LBB281_5:                              ;   in Loop: Header=BB281_3 Depth=1
	s_and_not1_b32 vcc_lo, exec_lo, s7
	s_cbranch_vccnz .LBB281_8
; %bb.6:                                ;   in Loop: Header=BB281_3 Depth=1
	s_wait_xcnt 0x0
	s_lshl_b64 s[8:9], s[10:11], 3
	s_delay_alu instid0(SALU_CYCLE_1)
	s_add_nc_u64 s[8:9], s[20:21], s[8:9]
	global_load_b64 v[4:5], v2, s[8:9]
	s_wait_loadcnt 0x0
	v_add_nc_u64_e32 v[10:11], s[22:23], v[4:5]
	s_and_not1_b32 vcc_lo, exec_lo, s6
	s_mov_b32 s6, -1
	s_cbranch_vccz .LBB281_9
.LBB281_7:                              ;   in Loop: Header=BB281_3 Depth=1
	s_and_not1_b32 vcc_lo, exec_lo, s6
	s_cbranch_vccnz .LBB281_2
	s_branch .LBB281_13
.LBB281_8:                              ;   in Loop: Header=BB281_3 Depth=1
	v_mov_b64_e32 v[10:11], 0
	s_and_not1_b32 vcc_lo, exec_lo, s6
	s_mov_b32 s6, -1
	s_cbranch_vccnz .LBB281_7
.LBB281_9:                              ;   in Loop: Header=BB281_3 Depth=1
	s_wait_xcnt 0x0
	s_and_saveexec_b32 s8, s60
	s_cbranch_execz .LBB281_12
; %bb.10:                               ;   in Loop: Header=BB281_3 Depth=1
	s_mul_u64 s[6:7], s[42:43], s[10:11]
	s_mov_b32 s9, s29
	s_add_nc_u64 s[6:7], s[52:53], s[6:7]
.LBB281_11:                             ;   Parent Loop BB281_3 Depth=1
                                        ; =>  This Inner Loop Header: Depth=2
	s_add_co_i32 s9, s9, -1
	global_store_b64 v2, v[38:39], s[6:7]
	s_cmp_eq_u32 s9, 0
	s_wait_xcnt 0x0
	s_add_nc_u64 s[6:7], s[6:7], s[44:45]
	s_cbranch_scc0 .LBB281_11
.LBB281_12:                             ;   in Loop: Header=BB281_3 Depth=1
	s_or_b32 exec_lo, exec_lo, s8
	s_cbranch_execnz .LBB281_2
.LBB281_13:                             ;   in Loop: Header=BB281_3 Depth=1
	s_mul_u64 s[6:7], s[36:37], s[10:11]
	v_add_nc_u64_e32 v[52:53], v[10:11], v[36:37]
	s_lshl_b64 s[56:57], s[6:7], 3
	v_lshl_add_u64 v[42:43], v[0:1], 3, v[54:55]
	v_lshl_add_u64 v[44:45], v[26:27], 3, v[10:11]
	;; [unrolled: 1-line block ×5, first 2 shown]
	s_wait_xcnt 0x0
	v_cmp_gt_u32_e64 s8, 24, v60
	v_cmp_gt_u32_e64 s6, 28, v60
	v_cmp_gt_u32_e64 s9, 30, v60
	v_cmp_ne_u32_e64 s7, 31, v60
	s_add_nc_u64 s[56:57], s[30:31], s[56:57]
	s_and_not1_b32 vcc_lo, exec_lo, s63
	s_add_nc_u64 s[56:57], s[56:57], s[40:41]
	s_cbranch_vccnz .LBB281_40
; %bb.14:                               ;   in Loop: Header=BB281_3 Depth=1
	v_cndmask_b32_e64 v3, 0, 8, s8
	v_cndmask_b32_e64 v4, 0, 4, s6
	;; [unrolled: 1-line block ×3, first 2 shown]
	v_add_co_ci_u32_e64 v13, null, 0, v60, s7
	s_wait_dscnt 0x0
	v_dual_mov_b32 v7, v2 :: v_dual_mov_b32 v8, v2
	s_delay_alu instid0(VALU_DEP_2)
	v_dual_mov_b32 v9, v2 :: v_dual_lshlrev_b32 v67, 2, v13
	v_add_lshl_u32 v64, v3, v60, 2
	v_add_lshl_u32 v65, v4, v60, 2
	v_dual_mov_b32 v3, v2 :: v_dual_mov_b32 v4, v2
	v_dual_mov_b32 v5, v2 :: v_dual_mov_b32 v6, v2
	v_add_lshl_u32 v66, v12, v60, 2
	v_add_nc_u64_e32 v[56:57], v[10:11], v[36:37]
	v_mov_b64_e32 v[16:17], v[8:9]
	v_mov_b64_e32 v[58:59], v[42:43]
	v_mov_b64_e32 v[14:15], v[6:7]
	v_mov_b64_e32 v[12:13], v[4:5]
	v_mov_b64_e32 v[10:11], v[2:3]
	s_mov_b32 s24, 0
	s_branch .LBB281_16
.LBB281_15:                             ;   in Loop: Header=BB281_16 Depth=2
	s_wait_xcnt 0x0
	s_or_b32 exec_lo, exec_lo, s6
	v_add_nc_u64_e32 v[58:59], s[48:49], v[58:59]
	s_add_co_i32 s24, s24, 4
	s_delay_alu instid0(SALU_CYCLE_1)
	s_cmp_ge_i32 s24, s61
	s_cbranch_scc1 .LBB281_41
.LBB281_16:                             ;   Parent Loop BB281_3 Depth=1
                                        ; =>  This Loop Header: Depth=2
                                        ;       Child Loop BB281_22 Depth 3
                                        ;       Child Loop BB281_25 Depth 3
	;; [unrolled: 1-line block ×3, first 2 shown]
                                        ; implicit-def: $vgpr18_vgpr19_vgpr20_vgpr21_vgpr22_vgpr23_vgpr24_vgpr25
	s_and_saveexec_b32 s6, s4
	s_delay_alu instid0(SALU_CYCLE_1)
	s_xor_b32 s6, exec_lo, s6
	s_cbranch_execz .LBB281_18
; %bb.17:                               ;   in Loop: Header=BB281_16 Depth=2
	s_or_b32 s8, s24, 1
	s_mov_b32 s9, s25
	s_mul_u64 s[58:59], s[24:25], s[26:27]
	s_mul_u64 s[8:9], s[8:9], s[26:27]
	v_lshl_add_u64 v[8:9], s[58:59], 3, v[42:43]
	v_lshl_add_u64 v[16:17], s[8:9], 3, v[42:43]
	s_or_b32 s8, s24, 2
	s_mov_b32 s9, s25
	s_or_b32 s58, s24, 3
	s_mov_b32 s59, s25
	s_mul_u64 s[8:9], s[8:9], s[26:27]
	s_mul_u64 s[58:59], s[58:59], s[26:27]
	v_lshl_add_u64 v[18:19], s[8:9], 3, v[42:43]
	v_lshl_add_u64 v[20:21], s[58:59], 3, v[42:43]
	flat_load_b64 v[10:11], v[44:45]
	s_clause 0x3
	flat_load_b128 v[4:7], v[8:9]
	flat_load_b128 v[68:71], v[16:17]
	;; [unrolled: 1-line block ×4, first 2 shown]
	s_clause 0x1
	flat_load_b64 v[12:13], v[46:47]
	flat_load_b64 v[14:15], v[48:49]
	s_clause 0x3
	flat_load_b128 v[80:83], v[8:9] offset:16
	flat_load_b128 v[84:87], v[16:17] offset:16
	;; [unrolled: 1-line block ×4, first 2 shown]
	flat_load_b64 v[16:17], v[50:51]
	s_wait_loadcnt_dscnt 0xa0a
	s_wait_xcnt 0x2
	v_fma_f64 v[18:19], v[10:11], v[4:5], 0
	s_wait_loadcnt_dscnt 0x909
	s_wait_xcnt 0x1
	v_fma_f64 v[20:21], v[10:11], v[68:69], 0
	s_wait_loadcnt_dscnt 0x808
	v_fma_f64 v[22:23], v[10:11], v[72:73], 0
	s_wait_loadcnt_dscnt 0x707
	;; [unrolled: 2-line block ×3, first 2 shown]
	s_delay_alu instid0(VALU_DEP_4) | instskip(NEXT) | instid1(VALU_DEP_4)
	v_fmac_f64_e32 v[18:19], v[12:13], v[6:7]
	v_fmac_f64_e32 v[20:21], v[12:13], v[70:71]
	s_delay_alu instid0(VALU_DEP_4) | instskip(NEXT) | instid1(VALU_DEP_4)
	v_fmac_f64_e32 v[22:23], v[12:13], v[74:75]
	v_fmac_f64_e32 v[24:25], v[12:13], v[78:79]
	s_wait_loadcnt_dscnt 0x404
	s_delay_alu instid0(VALU_DEP_4) | instskip(SKIP_1) | instid1(VALU_DEP_4)
	v_fmac_f64_e32 v[18:19], v[14:15], v[80:81]
	s_wait_loadcnt_dscnt 0x303
	v_fmac_f64_e32 v[20:21], v[14:15], v[84:85]
	s_wait_loadcnt_dscnt 0x202
	s_delay_alu instid0(VALU_DEP_4) | instskip(SKIP_1) | instid1(VALU_DEP_4)
	v_fmac_f64_e32 v[22:23], v[14:15], v[88:89]
	s_wait_loadcnt_dscnt 0x101
	v_fmac_f64_e32 v[24:25], v[14:15], v[92:93]
	s_wait_loadcnt_dscnt 0x0
	s_delay_alu instid0(VALU_DEP_4) | instskip(NEXT) | instid1(VALU_DEP_4)
	v_fmac_f64_e32 v[18:19], v[16:17], v[82:83]
	v_fmac_f64_e32 v[20:21], v[16:17], v[86:87]
	s_delay_alu instid0(VALU_DEP_4) | instskip(NEXT) | instid1(VALU_DEP_4)
	v_fmac_f64_e32 v[22:23], v[16:17], v[90:91]
	v_fmac_f64_e32 v[24:25], v[16:17], v[94:95]
.LBB281_18:                             ;   in Loop: Header=BB281_16 Depth=2
	s_wait_xcnt 0x0
	s_and_not1_saveexec_b32 s11, s6
	s_cbranch_execz .LBB281_28
; %bb.19:                               ;   in Loop: Header=BB281_16 Depth=2
	v_dual_mov_b32 v7, v2 :: v_dual_mov_b32 v8, v2
	v_dual_mov_b32 v9, v2 :: v_dual_mov_b32 v3, v2
	;; [unrolled: 1-line block ×3, first 2 shown]
	v_mov_b32_e32 v6, v2
	s_delay_alu instid0(VALU_DEP_3) | instskip(NEXT) | instid1(VALU_DEP_4)
	v_mov_b64_e32 v[24:25], v[8:9]
	v_mov_b64_e32 v[18:19], v[2:3]
	s_delay_alu instid0(VALU_DEP_4) | instskip(NEXT) | instid1(VALU_DEP_4)
	v_mov_b64_e32 v[20:21], v[4:5]
	v_mov_b64_e32 v[22:23], v[6:7]
	s_and_saveexec_b32 s28, s5
	s_cbranch_execz .LBB281_27
; %bb.20:                               ;   in Loop: Header=BB281_16 Depth=2
	s_and_not1_b32 vcc_lo, exec_lo, s64
	s_cbranch_vccnz .LBB281_23
; %bb.21:                               ;   in Loop: Header=BB281_16 Depth=2
	v_mov_b64_e32 v[4:5], v[56:57]
	s_mov_b64 s[58:59], 0
.LBB281_22:                             ;   Parent Loop BB281_3 Depth=1
                                        ;     Parent Loop BB281_16 Depth=2
                                        ; =>    This Inner Loop Header: Depth=3
	flat_load_b64 v[6:7], v[4:5]
	s_cmp_eq_u32 s58, 3
	s_wait_xcnt 0x0
	v_add_nc_u64_e32 v[4:5], s[46:47], v[4:5]
	s_cselect_b32 vcc_lo, -1, 0
	s_cmp_eq_u32 s58, 2
	s_cselect_b32 s6, -1, 0
	s_cmp_eq_u32 s58, 1
	s_cselect_b32 s7, -1, 0
	s_cmp_eq_u32 s58, 0
	s_add_nc_u64 s[58:59], s[58:59], 1
	s_cselect_b32 s8, -1, 0
	s_cmp_eq_u32 s62, s58
	s_wait_loadcnt_dscnt 0x0
	v_dual_cndmask_b32 v17, v17, v7 :: v_dual_cndmask_b32 v16, v16, v6
	v_dual_cndmask_b32 v15, v15, v7, s6 :: v_dual_cndmask_b32 v14, v14, v6, s6
	v_dual_cndmask_b32 v13, v13, v7, s7 :: v_dual_cndmask_b32 v12, v12, v6, s7
	;; [unrolled: 1-line block ×3, first 2 shown]
	s_cbranch_scc0 .LBB281_22
.LBB281_23:                             ;   in Loop: Header=BB281_16 Depth=2
	s_and_not1_b32 vcc_lo, exec_lo, s64
	s_cbranch_vccnz .LBB281_26
; %bb.24:                               ;   in Loop: Header=BB281_16 Depth=2
	v_mov_b64_e32 v[18:19], 0
	v_mov_b64_e32 v[20:21], 0
	;; [unrolled: 1-line block ×5, first 2 shown]
	s_mov_b64 s[8:9], 0
.LBB281_25:                             ;   Parent Loop BB281_3 Depth=1
                                        ;     Parent Loop BB281_16 Depth=2
                                        ; =>    This Inner Loop Header: Depth=3
	s_wait_xcnt 0x2
	s_delay_alu instid0(VALU_DEP_1)
	v_add_nc_u64_e32 v[6:7], s[54:55], v[4:5]
	s_wait_xcnt 0x1
	v_add_nc_u64_e32 v[8:9], s[50:51], v[4:5]
	s_wait_xcnt 0x0
	v_add_nc_u64_e32 v[68:69], s[38:39], v[4:5]
	s_cmp_eq_u32 s8, 1
	s_clause 0x3
	flat_load_b64 v[70:71], v[4:5]
	flat_load_b64 v[6:7], v[6:7]
	;; [unrolled: 1-line block ×4, first 2 shown]
	s_cselect_b32 vcc_lo, -1, 0
	s_cmp_eq_u32 s8, 2
	v_dual_cndmask_b32 v3, v11, v13 :: v_dual_cndmask_b32 v72, v10, v12
	s_cselect_b32 vcc_lo, -1, 0
	s_cmp_eq_u32 s8, 3
	s_wait_xcnt 0x3
	v_add_nc_u64_e32 v[4:5], 8, v[4:5]
	v_dual_cndmask_b32 v3, v3, v15 :: v_dual_cndmask_b32 v72, v72, v14
	s_cselect_b32 s6, -1, 0
	s_add_nc_u64 s[8:9], s[8:9], 1
	s_delay_alu instid0(VALU_DEP_1) | instskip(SKIP_2) | instid1(VALU_DEP_1)
	v_dual_cndmask_b32 v73, v3, v17, s6 :: v_dual_cndmask_b32 v72, v72, v16, s6
	s_cmp_lg_u32 s62, s8
	s_wait_loadcnt_dscnt 0x303
	v_fmac_f64_e32 v[18:19], v[72:73], v[70:71]
	s_wait_loadcnt_dscnt 0x202
	v_fmac_f64_e32 v[20:21], v[72:73], v[6:7]
	;; [unrolled: 2-line block ×4, first 2 shown]
	s_cbranch_scc1 .LBB281_25
	s_branch .LBB281_27
.LBB281_26:                             ;   in Loop: Header=BB281_16 Depth=2
	v_dual_mov_b32 v7, v2 :: v_dual_mov_b32 v8, v2
	v_dual_mov_b32 v9, v2 :: v_dual_mov_b32 v3, v2
	;; [unrolled: 1-line block ×3, first 2 shown]
	v_mov_b32_e32 v6, v2
	s_delay_alu instid0(VALU_DEP_3) | instskip(NEXT) | instid1(VALU_DEP_4)
	v_mov_b64_e32 v[24:25], v[8:9]
	v_mov_b64_e32 v[18:19], v[2:3]
	s_delay_alu instid0(VALU_DEP_4) | instskip(NEXT) | instid1(VALU_DEP_4)
	v_mov_b64_e32 v[20:21], v[4:5]
	v_mov_b64_e32 v[22:23], v[6:7]
.LBB281_27:                             ;   in Loop: Header=BB281_16 Depth=2
	s_wait_xcnt 0x0
	s_or_b32 exec_lo, exec_lo, s28
.LBB281_28:                             ;   in Loop: Header=BB281_16 Depth=2
	s_delay_alu instid0(SALU_CYCLE_1)
	s_or_b32 exec_lo, exec_lo, s11
	s_mov_b64 s[6:7], 0
	s_branch .LBB281_30
.LBB281_29:                             ;   in Loop: Header=BB281_30 Depth=3
	s_or_b32 exec_lo, exec_lo, s8
	s_cmp_eq_u32 s6, 3
	s_cselect_b32 vcc_lo, -1, 0
	s_cmp_eq_u32 s6, 2
	s_wait_dscnt 0x0
	s_delay_alu instid0(VALU_DEP_1)
	v_dual_cndmask_b32 v25, v25, v5 :: v_dual_cndmask_b32 v24, v24, v4
	s_cselect_b32 vcc_lo, -1, 0
	s_cmp_eq_u32 s6, 1
	v_dual_cndmask_b32 v23, v23, v5 :: v_dual_cndmask_b32 v22, v22, v4
	s_cselect_b32 vcc_lo, -1, 0
	s_cmp_eq_u32 s6, 0
	v_dual_cndmask_b32 v21, v21, v5 :: v_dual_cndmask_b32 v20, v20, v4
	s_cselect_b32 vcc_lo, -1, 0
	s_add_nc_u64 s[6:7], s[6:7], 1
	v_dual_cndmask_b32 v19, v19, v5 :: v_dual_cndmask_b32 v18, v18, v4
	s_cmp_eq_u32 s6, 4
	s_cbranch_scc1 .LBB281_38
.LBB281_30:                             ;   Parent Loop BB281_3 Depth=1
                                        ;     Parent Loop BB281_16 Depth=2
                                        ; =>    This Inner Loop Header: Depth=3
	s_and_saveexec_b32 s8, s1
; %bb.31:                               ;   in Loop: Header=BB281_30 Depth=3
	ds_store_b64 v61, v[38:39]
; %bb.32:                               ;   in Loop: Header=BB281_30 Depth=3
	s_or_b32 exec_lo, exec_lo, s8
	s_cmp_eq_u32 s6, 1
	s_wait_storecnt_dscnt 0x0
	s_cselect_b32 vcc_lo, -1, 0
	s_cmp_eq_u32 s6, 2
	v_dual_cndmask_b32 v3, v19, v21 :: v_dual_cndmask_b32 v4, v18, v20
	s_cselect_b32 vcc_lo, -1, 0
	s_cmp_eq_u32 s6, 3
	s_barrier_signal -1
	s_delay_alu instid0(VALU_DEP_1) | instskip(SKIP_2) | instid1(VALU_DEP_1)
	v_dual_cndmask_b32 v3, v3, v23 :: v_dual_cndmask_b32 v4, v4, v22
	s_cselect_b32 vcc_lo, -1, 0
	s_barrier_wait -1
	v_dual_cndmask_b32 v5, v3, v25 :: v_dual_cndmask_b32 v4, v4, v24
	ds_bpermute_b32 v7, v63, v5
	ds_bpermute_b32 v6, v63, v4
	s_wait_dscnt 0x0
	v_add_f64_e32 v[4:5], v[4:5], v[6:7]
	ds_bpermute_b32 v6, v64, v4
	ds_bpermute_b32 v7, v64, v5
	s_wait_dscnt 0x0
	v_add_f64_e32 v[4:5], v[4:5], v[6:7]
	;; [unrolled: 4-line block ×4, first 2 shown]
	ds_bpermute_b32 v6, v67, v4
	ds_bpermute_b32 v7, v67, v5
	s_and_saveexec_b32 s8, s3
	s_cbranch_execz .LBB281_34
; %bb.33:                               ;   in Loop: Header=BB281_30 Depth=3
	s_wait_dscnt 0x0
	v_add_f64_e32 v[4:5], v[4:5], v[6:7]
	ds_store_b64 v62, v[4:5]
.LBB281_34:                             ;   in Loop: Header=BB281_30 Depth=3
	s_or_b32 exec_lo, exec_lo, s8
	v_mov_b64_e32 v[4:5], 0
	s_wait_dscnt 0x0
	s_barrier_signal -1
	s_barrier_wait -1
	s_and_saveexec_b32 s8, s2
; %bb.35:                               ;   in Loop: Header=BB281_30 Depth=3
	ds_load_b64 v[4:5], v61
; %bb.36:                               ;   in Loop: Header=BB281_30 Depth=3
	s_or_b32 exec_lo, exec_lo, s8
	s_and_saveexec_b32 s8, s1
	s_cbranch_execz .LBB281_29
; %bb.37:                               ;   in Loop: Header=BB281_30 Depth=3
	s_wait_dscnt 0x0
	ds_bpermute_b32 v6, v65, v4
	ds_bpermute_b32 v7, v65, v5
	s_wait_dscnt 0x0
	v_add_f64_e32 v[4:5], v[4:5], v[6:7]
	ds_bpermute_b32 v6, v66, v4
	ds_bpermute_b32 v7, v66, v5
	s_wait_dscnt 0x0
	v_add_f64_e32 v[4:5], v[4:5], v[6:7]
	;; [unrolled: 4-line block ×3, first 2 shown]
	s_branch .LBB281_29
.LBB281_38:                             ;   in Loop: Header=BB281_16 Depth=2
	s_and_saveexec_b32 s6, s0
	s_cbranch_execz .LBB281_15
; %bb.39:                               ;   in Loop: Header=BB281_16 Depth=2
	v_mul_f64_e32 v[4:5], v[40:41], v[18:19]
	v_mul_f64_e32 v[6:7], v[40:41], v[20:21]
	v_mul_f64_e32 v[8:9], v[40:41], v[22:23]
	v_mul_f64_e32 v[18:19], v[40:41], v[24:25]
	s_or_b32 s58, s24, 1
	s_mov_b32 s59, s25
	s_mul_u64 s[8:9], s[24:25], s[34:35]
	s_or_b32 s66, s24, 2
	s_mov_b32 s67, s25
	s_or_b32 s68, s24, 3
	s_mov_b32 s69, s25
	s_mul_u64 s[58:59], s[58:59], s[34:35]
	s_lshl_b64 s[8:9], s[8:9], 3
	s_mul_u64 s[66:67], s[66:67], s[34:35]
	s_mul_u64 s[68:69], s[68:69], s[34:35]
	s_lshl_b64 s[58:59], s[58:59], 3
	s_add_nc_u64 s[8:9], s[56:57], s[8:9]
	s_lshl_b64 s[66:67], s[66:67], 3
	s_lshl_b64 s[68:69], s[68:69], 3
	s_add_nc_u64 s[58:59], s[56:57], s[58:59]
	s_add_nc_u64 s[66:67], s[56:57], s[66:67]
	;; [unrolled: 1-line block ×3, first 2 shown]
	s_clause 0x3
	global_store_b64 v2, v[4:5], s[8:9]
	global_store_b64 v2, v[6:7], s[58:59]
	;; [unrolled: 1-line block ×4, first 2 shown]
	s_branch .LBB281_15
.LBB281_40:                             ;   in Loop: Header=BB281_3 Depth=1
	s_wait_dscnt 0x0
	v_dual_mov_b32 v7, v2 :: v_dual_mov_b32 v8, v2
	v_dual_mov_b32 v9, v2 :: v_dual_mov_b32 v3, v2
	;; [unrolled: 1-line block ×3, first 2 shown]
	v_mov_b32_e32 v6, v2
	s_delay_alu instid0(VALU_DEP_3) | instskip(NEXT) | instid1(VALU_DEP_4)
	v_mov_b64_e32 v[16:17], v[8:9]
	v_mov_b64_e32 v[10:11], v[2:3]
	s_mov_b32 s24, 0
	v_mov_b64_e32 v[12:13], v[4:5]
	v_mov_b64_e32 v[14:15], v[6:7]
.LBB281_41:                             ;   in Loop: Header=BB281_3 Depth=1
	s_cmp_ge_i32 s24, s29
	s_cbranch_scc1 .LBB281_2
; %bb.42:                               ;   in Loop: Header=BB281_3 Depth=1
	v_cmp_gt_u32_e32 vcc_lo, 24, v60
	v_add_nc_u64_e32 v[4:5], v[54:55], v[34:35]
	v_cndmask_b32_e64 v3, 0, 8, vcc_lo
	v_cmp_gt_u32_e32 vcc_lo, 28, v60
	s_delay_alu instid0(VALU_DEP_3) | instskip(NEXT) | instid1(VALU_DEP_3)
	v_mad_nc_u64_u32 v[4:5], s54, s24, v[4:5]
	v_add_lshl_u32 v3, v3, v60, 2
	v_cndmask_b32_e64 v6, 0, 4, vcc_lo
	v_cmp_gt_u32_e32 vcc_lo, 30, v60
	s_delay_alu instid0(VALU_DEP_2) | instskip(SKIP_3) | instid1(VALU_DEP_3)
	v_add_lshl_u32 v18, v6, v60, 2
	v_cndmask_b32_e64 v7, 0, 2, vcc_lo
	v_cmp_ne_u32_e32 vcc_lo, 31, v60
	v_mad_u32 v5, s55, s24, v5
	v_add_lshl_u32 v19, v7, v60, 2
	v_add_co_ci_u32_e64 v8, null, 0, v60, vcc_lo
	s_delay_alu instid0(VALU_DEP_1)
	v_lshlrev_b32_e32 v20, 2, v8
	s_branch .LBB281_44
.LBB281_43:                             ;   in Loop: Header=BB281_44 Depth=2
	s_wait_xcnt 0x0
	s_or_b32 exec_lo, exec_lo, s6
	v_add_nc_u64_e32 v[4:5], s[54:55], v[4:5]
	s_add_co_i32 s24, s24, 1
	s_delay_alu instid0(SALU_CYCLE_1)
	s_cmp_ge_i32 s24, s29
	s_cbranch_scc1 .LBB281_2
.LBB281_44:                             ;   Parent Loop BB281_3 Depth=1
                                        ; =>  This Loop Header: Depth=2
                                        ;       Child Loop BB281_57 Depth 3
                                        ;       Child Loop BB281_60 Depth 3
	s_wait_dscnt 0x0
	v_dual_mov_b32 v6, s25 :: v_dual_mov_b32 v7, s25
	s_and_saveexec_b32 s6, s4
	s_delay_alu instid0(SALU_CYCLE_1)
	s_xor_b32 s6, exec_lo, s6
	s_cbranch_execnz .LBB281_53
; %bb.45:                               ;   in Loop: Header=BB281_44 Depth=2
	s_and_not1_saveexec_b32 s9, s6
	s_cbranch_execnz .LBB281_54
.LBB281_46:                             ;   in Loop: Header=BB281_44 Depth=2
	s_or_b32 exec_lo, exec_lo, s9
	s_and_saveexec_b32 s6, s1
.LBB281_47:                             ;   in Loop: Header=BB281_44 Depth=2
	ds_store_b64 v61, v[38:39]
.LBB281_48:                             ;   in Loop: Header=BB281_44 Depth=2
	s_or_b32 exec_lo, exec_lo, s6
	ds_bpermute_b32 v8, v63, v6
	ds_bpermute_b32 v9, v63, v7
	s_wait_storecnt_dscnt 0x0
	s_barrier_signal -1
	s_barrier_wait -1
	v_add_f64_e32 v[6:7], v[6:7], v[8:9]
	ds_bpermute_b32 v8, v3, v6
	ds_bpermute_b32 v9, v3, v7
	s_wait_dscnt 0x0
	v_add_f64_e32 v[6:7], v[6:7], v[8:9]
	ds_bpermute_b32 v8, v18, v6
	ds_bpermute_b32 v9, v18, v7
	s_wait_dscnt 0x0
	;; [unrolled: 4-line block ×3, first 2 shown]
	v_add_f64_e32 v[6:7], v[6:7], v[8:9]
	ds_bpermute_b32 v8, v20, v6
	ds_bpermute_b32 v9, v20, v7
	s_and_saveexec_b32 s6, s3
	s_cbranch_execz .LBB281_50
; %bb.49:                               ;   in Loop: Header=BB281_44 Depth=2
	s_wait_dscnt 0x0
	v_add_f64_e32 v[6:7], v[6:7], v[8:9]
	ds_store_b64 v62, v[6:7]
.LBB281_50:                             ;   in Loop: Header=BB281_44 Depth=2
	s_or_b32 exec_lo, exec_lo, s6
	v_mov_b64_e32 v[6:7], 0
	s_wait_dscnt 0x0
	s_barrier_signal -1
	s_barrier_wait -1
	s_and_saveexec_b32 s6, s2
	s_cbranch_execnz .LBB281_62
; %bb.51:                               ;   in Loop: Header=BB281_44 Depth=2
	s_or_b32 exec_lo, exec_lo, s6
	s_and_saveexec_b32 s6, s1
	s_cbranch_execnz .LBB281_63
.LBB281_52:                             ;   in Loop: Header=BB281_44 Depth=2
	s_or_b32 exec_lo, exec_lo, s6
	s_and_saveexec_b32 s6, s0
	s_cbranch_execz .LBB281_43
	s_branch .LBB281_64
.LBB281_53:                             ;   in Loop: Header=BB281_44 Depth=2
	s_mul_u64 s[8:9], s[24:25], s[26:27]
	s_delay_alu instid0(SALU_CYCLE_1)
	v_lshl_add_u64 v[14:15], s[8:9], 3, v[42:43]
	flat_load_b128 v[6:9], v[14:15]
	s_clause 0x1
	flat_load_b64 v[10:11], v[44:45]
	flat_load_b64 v[12:13], v[46:47]
	flat_load_b128 v[22:25], v[14:15] offset:16
	s_clause 0x1
	flat_load_b64 v[14:15], v[48:49]
	flat_load_b64 v[16:17], v[50:51]
	s_wait_loadcnt_dscnt 0x404
	v_fma_f64 v[6:7], v[10:11], v[6:7], 0
	s_wait_loadcnt_dscnt 0x303
	s_delay_alu instid0(VALU_DEP_1) | instskip(SKIP_1) | instid1(VALU_DEP_1)
	v_fmac_f64_e32 v[6:7], v[12:13], v[8:9]
	s_wait_loadcnt_dscnt 0x101
	v_fmac_f64_e32 v[6:7], v[14:15], v[22:23]
	s_wait_loadcnt_dscnt 0x0
	s_delay_alu instid0(VALU_DEP_1)
	v_fmac_f64_e32 v[6:7], v[16:17], v[24:25]
	s_wait_xcnt 0x0
	s_and_not1_saveexec_b32 s9, s6
	s_cbranch_execz .LBB281_46
.LBB281_54:                             ;   in Loop: Header=BB281_44 Depth=2
	s_and_saveexec_b32 s11, s5
	s_cbranch_execz .LBB281_61
; %bb.55:                               ;   in Loop: Header=BB281_44 Depth=2
	s_and_not1_b32 vcc_lo, exec_lo, s64
	s_cbranch_vccnz .LBB281_58
; %bb.56:                               ;   in Loop: Header=BB281_44 Depth=2
	v_mov_b64_e32 v[8:9], v[52:53]
	s_mov_b64 s[58:59], 0
.LBB281_57:                             ;   Parent Loop BB281_3 Depth=1
                                        ;     Parent Loop BB281_44 Depth=2
                                        ; =>    This Inner Loop Header: Depth=3
	flat_load_b64 v[22:23], v[8:9]
	s_cmp_eq_u32 s58, 3
	s_wait_xcnt 0x0
	v_add_nc_u64_e32 v[8:9], s[46:47], v[8:9]
	s_cselect_b32 vcc_lo, -1, 0
	s_cmp_eq_u32 s58, 2
	s_cselect_b32 s6, -1, 0
	s_cmp_eq_u32 s58, 1
	s_cselect_b32 s7, -1, 0
	s_cmp_eq_u32 s58, 0
	s_add_nc_u64 s[58:59], s[58:59], 1
	s_cselect_b32 s8, -1, 0
	s_cmp_eq_u32 s62, s58
	s_wait_loadcnt_dscnt 0x0
	v_dual_cndmask_b32 v17, v17, v23 :: v_dual_cndmask_b32 v16, v16, v22
	v_dual_cndmask_b32 v15, v15, v23, s6 :: v_dual_cndmask_b32 v14, v14, v22, s6
	v_dual_cndmask_b32 v13, v13, v23, s7 :: v_dual_cndmask_b32 v12, v12, v22, s7
	;; [unrolled: 1-line block ×3, first 2 shown]
	s_cbranch_scc0 .LBB281_57
.LBB281_58:                             ;   in Loop: Header=BB281_44 Depth=2
	s_and_not1_b32 vcc_lo, exec_lo, s64
	s_cbranch_vccnz .LBB281_61
; %bb.59:                               ;   in Loop: Header=BB281_44 Depth=2
	v_mov_b64_e32 v[8:9], v[4:5]
	s_mov_b64 s[6:7], 0
.LBB281_60:                             ;   Parent Loop BB281_3 Depth=1
                                        ;     Parent Loop BB281_44 Depth=2
                                        ; =>    This Inner Loop Header: Depth=3
	flat_load_b64 v[22:23], v[8:9]
	s_cmp_eq_u32 s6, 1
	s_wait_xcnt 0x0
	v_add_nc_u64_e32 v[8:9], 8, v[8:9]
	s_cselect_b32 vcc_lo, -1, 0
	s_cmp_eq_u32 s6, 2
	v_dual_cndmask_b32 v21, v11, v13 :: v_dual_cndmask_b32 v24, v10, v12
	s_cselect_b32 vcc_lo, -1, 0
	s_cmp_eq_u32 s6, 3
	s_add_nc_u64 s[6:7], s[6:7], 1
	s_delay_alu instid0(VALU_DEP_1) | instskip(SKIP_2) | instid1(VALU_DEP_1)
	v_dual_cndmask_b32 v21, v21, v15 :: v_dual_cndmask_b32 v24, v24, v14
	s_cselect_b32 vcc_lo, -1, 0
	s_cmp_lg_u32 s62, s6
	v_dual_cndmask_b32 v25, v21, v17 :: v_dual_cndmask_b32 v24, v24, v16
	s_wait_loadcnt_dscnt 0x0
	s_delay_alu instid0(VALU_DEP_1)
	v_fmac_f64_e32 v[6:7], v[24:25], v[22:23]
	s_cbranch_scc1 .LBB281_60
.LBB281_61:                             ;   in Loop: Header=BB281_44 Depth=2
	s_or_b32 exec_lo, exec_lo, s11
	s_delay_alu instid0(SALU_CYCLE_1)
	s_or_b32 exec_lo, exec_lo, s9
	s_and_saveexec_b32 s6, s1
	s_cbranch_execnz .LBB281_47
	s_branch .LBB281_48
.LBB281_62:                             ;   in Loop: Header=BB281_44 Depth=2
	ds_load_b64 v[6:7], v61
	s_or_b32 exec_lo, exec_lo, s6
	s_and_saveexec_b32 s6, s1
	s_cbranch_execz .LBB281_52
.LBB281_63:                             ;   in Loop: Header=BB281_44 Depth=2
	s_wait_dscnt 0x0
	ds_bpermute_b32 v8, v18, v6
	ds_bpermute_b32 v9, v18, v7
	s_wait_dscnt 0x0
	v_add_f64_e32 v[6:7], v[6:7], v[8:9]
	ds_bpermute_b32 v8, v19, v6
	ds_bpermute_b32 v9, v19, v7
	s_wait_dscnt 0x0
	v_add_f64_e32 v[6:7], v[6:7], v[8:9]
	;; [unrolled: 4-line block ×3, first 2 shown]
	s_or_b32 exec_lo, exec_lo, s6
	s_and_saveexec_b32 s6, s0
	s_cbranch_execz .LBB281_43
.LBB281_64:                             ;   in Loop: Header=BB281_44 Depth=2
	s_wait_dscnt 0x0
	s_delay_alu instid0(VALU_DEP_1) | instskip(SKIP_1) | instid1(SALU_CYCLE_1)
	v_mul_f64_e32 v[6:7], v[40:41], v[6:7]
	s_mul_u64 s[8:9], s[24:25], s[34:35]
	s_lshl_b64 s[8:9], s[8:9], 3
	s_delay_alu instid0(SALU_CYCLE_1)
	s_add_nc_u64 s[8:9], s[56:57], s[8:9]
	global_store_b64 v2, v[6:7], s[8:9]
	s_branch .LBB281_43
.LBB281_65:
	s_sendmsg sendmsg(MSG_DEALLOC_VGPRS)
	s_endpgm
	.section	.rodata,"a",@progbits
	.p2align	6, 0x0
	.amdhsa_kernel _ZL23rocblas_gemvt_sn_kernelILb1ELi256ELi4ElPKdS1_dEviiT4_lPKT3_lilS5_lilPT5_i
		.amdhsa_group_segment_fixed_size 256
		.amdhsa_private_segment_fixed_size 0
		.amdhsa_kernarg_size 360
		.amdhsa_user_sgpr_count 2
		.amdhsa_user_sgpr_dispatch_ptr 0
		.amdhsa_user_sgpr_queue_ptr 0
		.amdhsa_user_sgpr_kernarg_segment_ptr 1
		.amdhsa_user_sgpr_dispatch_id 0
		.amdhsa_user_sgpr_kernarg_preload_length 0
		.amdhsa_user_sgpr_kernarg_preload_offset 0
		.amdhsa_user_sgpr_private_segment_size 0
		.amdhsa_wavefront_size32 1
		.amdhsa_uses_dynamic_stack 0
		.amdhsa_enable_private_segment 0
		.amdhsa_system_sgpr_workgroup_id_x 1
		.amdhsa_system_sgpr_workgroup_id_y 0
		.amdhsa_system_sgpr_workgroup_id_z 1
		.amdhsa_system_sgpr_workgroup_info 0
		.amdhsa_system_vgpr_workitem_id 0
		.amdhsa_next_free_vgpr 96
		.amdhsa_next_free_sgpr 70
		.amdhsa_named_barrier_count 0
		.amdhsa_reserve_vcc 1
		.amdhsa_float_round_mode_32 0
		.amdhsa_float_round_mode_16_64 0
		.amdhsa_float_denorm_mode_32 3
		.amdhsa_float_denorm_mode_16_64 3
		.amdhsa_fp16_overflow 0
		.amdhsa_memory_ordered 1
		.amdhsa_forward_progress 1
		.amdhsa_inst_pref_size 28
		.amdhsa_round_robin_scheduling 0
		.amdhsa_exception_fp_ieee_invalid_op 0
		.amdhsa_exception_fp_denorm_src 0
		.amdhsa_exception_fp_ieee_div_zero 0
		.amdhsa_exception_fp_ieee_overflow 0
		.amdhsa_exception_fp_ieee_underflow 0
		.amdhsa_exception_fp_ieee_inexact 0
		.amdhsa_exception_int_div_zero 0
	.end_amdhsa_kernel
	.section	.text._ZL23rocblas_gemvt_sn_kernelILb1ELi256ELi4ElPKdS1_dEviiT4_lPKT3_lilS5_lilPT5_i,"axG",@progbits,_ZL23rocblas_gemvt_sn_kernelILb1ELi256ELi4ElPKdS1_dEviiT4_lPKT3_lilS5_lilPT5_i,comdat
.Lfunc_end281:
	.size	_ZL23rocblas_gemvt_sn_kernelILb1ELi256ELi4ElPKdS1_dEviiT4_lPKT3_lilS5_lilPT5_i, .Lfunc_end281-_ZL23rocblas_gemvt_sn_kernelILb1ELi256ELi4ElPKdS1_dEviiT4_lPKT3_lilS5_lilPT5_i
                                        ; -- End function
	.set _ZL23rocblas_gemvt_sn_kernelILb1ELi256ELi4ElPKdS1_dEviiT4_lPKT3_lilS5_lilPT5_i.num_vgpr, 96
	.set _ZL23rocblas_gemvt_sn_kernelILb1ELi256ELi4ElPKdS1_dEviiT4_lPKT3_lilS5_lilPT5_i.num_agpr, 0
	.set _ZL23rocblas_gemvt_sn_kernelILb1ELi256ELi4ElPKdS1_dEviiT4_lPKT3_lilS5_lilPT5_i.numbered_sgpr, 70
	.set _ZL23rocblas_gemvt_sn_kernelILb1ELi256ELi4ElPKdS1_dEviiT4_lPKT3_lilS5_lilPT5_i.num_named_barrier, 0
	.set _ZL23rocblas_gemvt_sn_kernelILb1ELi256ELi4ElPKdS1_dEviiT4_lPKT3_lilS5_lilPT5_i.private_seg_size, 0
	.set _ZL23rocblas_gemvt_sn_kernelILb1ELi256ELi4ElPKdS1_dEviiT4_lPKT3_lilS5_lilPT5_i.uses_vcc, 1
	.set _ZL23rocblas_gemvt_sn_kernelILb1ELi256ELi4ElPKdS1_dEviiT4_lPKT3_lilS5_lilPT5_i.uses_flat_scratch, 1
	.set _ZL23rocblas_gemvt_sn_kernelILb1ELi256ELi4ElPKdS1_dEviiT4_lPKT3_lilS5_lilPT5_i.has_dyn_sized_stack, 0
	.set _ZL23rocblas_gemvt_sn_kernelILb1ELi256ELi4ElPKdS1_dEviiT4_lPKT3_lilS5_lilPT5_i.has_recursion, 0
	.set _ZL23rocblas_gemvt_sn_kernelILb1ELi256ELi4ElPKdS1_dEviiT4_lPKT3_lilS5_lilPT5_i.has_indirect_call, 0
	.section	.AMDGPU.csdata,"",@progbits
; Kernel info:
; codeLenInByte = 3556
; TotalNumSgprs: 72
; NumVgprs: 96
; ScratchSize: 0
; MemoryBound: 1
; FloatMode: 240
; IeeeMode: 1
; LDSByteSize: 256 bytes/workgroup (compile time only)
; SGPRBlocks: 0
; VGPRBlocks: 5
; NumSGPRsForWavesPerEU: 72
; NumVGPRsForWavesPerEU: 96
; NamedBarCnt: 0
; Occupancy: 10
; WaveLimiterHint : 0
; COMPUTE_PGM_RSRC2:SCRATCH_EN: 0
; COMPUTE_PGM_RSRC2:USER_SGPR: 2
; COMPUTE_PGM_RSRC2:TRAP_HANDLER: 0
; COMPUTE_PGM_RSRC2:TGID_X_EN: 1
; COMPUTE_PGM_RSRC2:TGID_Y_EN: 0
; COMPUTE_PGM_RSRC2:TGID_Z_EN: 1
; COMPUTE_PGM_RSRC2:TIDIG_COMP_CNT: 0
	.section	.text._ZL23rocblas_gemvt_sn_kernelILb1ELi256ELi4EiPKdddEviiT4_lPKT3_lilS5_lilPT5_i,"axG",@progbits,_ZL23rocblas_gemvt_sn_kernelILb1ELi256ELi4EiPKdddEviiT4_lPKT3_lilS5_lilPT5_i,comdat
	.globl	_ZL23rocblas_gemvt_sn_kernelILb1ELi256ELi4EiPKdddEviiT4_lPKT3_lilS5_lilPT5_i ; -- Begin function _ZL23rocblas_gemvt_sn_kernelILb1ELi256ELi4EiPKdddEviiT4_lPKT3_lilS5_lilPT5_i
	.p2align	8
	.type	_ZL23rocblas_gemvt_sn_kernelILb1ELi256ELi4EiPKdddEviiT4_lPKT3_lilS5_lilPT5_i,@function
_ZL23rocblas_gemvt_sn_kernelILb1ELi256ELi4EiPKdddEviiT4_lPKT3_lilS5_lilPT5_i: ; @_ZL23rocblas_gemvt_sn_kernelILb1ELi256ELi4EiPKdddEviiT4_lPKT3_lilS5_lilPT5_i
; %bb.0:
	s_load_b32 s33, s[0:1], 0x60
	s_bfe_u32 s2, ttmp6, 0x40014
	s_lshr_b32 s3, ttmp7, 16
	s_add_co_i32 s2, s2, 1
	s_bfe_u32 s5, ttmp6, 0x40008
	s_mul_i32 s2, s3, s2
	s_getreg_b32 s4, hwreg(HW_REG_IB_STS2, 6, 4)
	s_add_co_i32 s5, s5, s2
	s_cmp_eq_u32 s4, 0
	s_mov_b32 s25, 0
	s_cselect_b32 s10, s3, s5
	s_wait_kmcnt 0x0
	s_cmp_ge_u32 s10, s33
	s_cbranch_scc1 .LBB282_67
; %bb.1:
	s_clause 0x6
	s_load_b128 s[12:15], s[0:1], 0x0
	s_load_b128 s[16:19], s[0:1], 0x18
	s_load_b32 s26, s[0:1], 0x28
	s_load_b128 s[20:23], s[0:1], 0x38
	s_load_b32 s60, s[0:1], 0x48
	s_load_b64 s[28:29], s[0:1], 0x58
	s_load_b32 s30, s[0:1], 0x68
	s_wait_xcnt 0x0
	v_cmp_eq_u32_e64 s0, 0, v0
	s_mov_b32 s31, s25
	v_dual_lshrrev_b32 v3, 2, v0 :: v_dual_bitop2_b32 v1, 31, v0 bitop3:0x40
	v_cmp_gt_u32_e64 s1, 32, v0
	v_cmp_gt_u32_e64 s2, 8, v0
	v_mbcnt_lo_u32_b32 v52, -1, 0
	v_mov_b64_e32 v[34:35], 0
	v_dual_mov_b32 v2, 0 :: v_dual_lshlrev_b32 v50, 3, v1
	v_cmp_eq_u32_e64 s3, 0, v1
	s_delay_alu instid0(VALU_DEP_4)
	v_lshl_or_b32 v53, v52, 2, 64
	s_mov_b32 s35, s25
	s_wait_kmcnt 0x0
	s_ashr_i32 s5, s13, 31
	s_cmp_gt_i32 s13, 0
	v_cmp_eq_f64_e64 s62, s[14:15], 0
	s_cselect_b32 s6, -1, 0
	s_bfe_u32 s7, ttmp6, 0x4000c
	s_and_b32 s8, ttmp6, 15
	s_add_co_i32 s7, s7, 1
	s_and_b32 s61, s0, s6
	s_mul_i32 s7, ttmp9, s7
	s_mov_b32 s27, s25
	s_add_co_i32 s8, s8, s7
	s_cmp_eq_u32 s4, 0
	s_mov_b32 s4, s13
	s_cselect_b32 s34, ttmp9, s8
	s_ashr_i32 s7, s12, 31
	s_mul_u64 s[38:39], s[4:5], s[30:31]
	s_lshr_b32 s4, s7, 30
	s_lshl_b32 s6, s34, 10
	s_add_co_i32 s4, s12, s4
	v_lshl_or_b32 v0, v0, 2, s6
	s_and_b32 s4, s4, -4
	v_and_b32_e32 v51, 56, v3
	s_sub_co_i32 s64, s12, s4
	s_lshr_b32 s5, s5, 30
	v_dual_add_nc_u32 v3, 4, v0 :: v_dual_add_nc_u32 v4, s64, v0
	s_add_co_i32 s5, s13, s5
	v_mul_lo_u32 v26, s60, v0
	s_and_b32 s63, s5, -4
	s_delay_alu instid0(VALU_DEP_2)
	v_cmp_ge_i32_e64 s4, s12, v3
	v_cmp_ge_i32_e64 s5, s12, v4
	v_cmp_neq_f64_e64 s12, s[14:15], 0
	s_cmp_gt_i32 s63, 0
	v_ashrrev_i32_e32 v1, 31, v0
	s_cselect_b32 s65, -1, 0
	s_cmp_gt_i32 s64, 0
	s_mov_b32 s37, s25
	s_cselect_b32 s66, -1, 0
	v_dual_add_nc_u32 v28, s60, v26 :: v_dual_ashrrev_i32 v27, 31, v26
	s_lshl_b32 s24, s26, 1
	s_lshl_b64 s[40:41], s[30:31], 3
	s_mov_b64 s[42:43], s[24:25]
	s_delay_alu instid0(VALU_DEP_1) | instskip(SKIP_3) | instid1(VALU_DEP_1)
	v_dual_add_nc_u32 v30, s60, v28 :: v_dual_ashrrev_i32 v29, 31, v28
	s_mul_i32 s24, s26, 3
	s_lshl_b32 s36, s26, 2
	s_mov_b64 s[44:45], s[24:25]
	v_dual_add_nc_u32 v32, s60, v30 :: v_dual_ashrrev_i32 v31, 31, v30
	s_lshl_b64 s[18:19], s[18:19], 3
	s_lshl_b64 s[22:23], s[22:23], 3
	;; [unrolled: 1-line block ×3, first 2 shown]
	s_delay_alu instid0(VALU_DEP_1)
	v_ashrrev_i32_e32 v33, 31, v32
	s_branch .LBB282_3
.LBB282_2:                              ;   in Loop: Header=BB282_3 Depth=1
	s_add_co_i32 s10, s10, 0x10000
	s_delay_alu instid0(SALU_CYCLE_1)
	s_cmp_lt_u32 s10, s33
	s_cbranch_scc0 .LBB282_67
.LBB282_3:                              ; =>This Loop Header: Depth=1
                                        ;     Child Loop BB282_10 Depth 2
                                        ;     Child Loop BB282_16 Depth 2
                                        ;       Child Loop BB282_22 Depth 3
                                        ;       Child Loop BB282_25 Depth 3
	;; [unrolled: 1-line block ×3, first 2 shown]
                                        ;     Child Loop BB282_46 Depth 2
                                        ;       Child Loop BB282_59 Depth 3
                                        ;       Child Loop BB282_62 Depth 3
	s_mov_b32 s11, s25
	s_and_not1_b32 vcc_lo, exec_lo, s62
	s_mov_b32 s6, -1
	s_cbranch_vccz .LBB282_40
; %bb.4:                                ;   in Loop: Header=BB282_3 Depth=1
	v_mov_b64_e32 v[36:37], 0
	s_wait_dscnt 0x0
	v_mov_b64_e32 v[4:5], 0
	s_and_not1_b32 vcc_lo, exec_lo, s6
	s_cbranch_vccz .LBB282_41
.LBB282_5:                              ;   in Loop: Header=BB282_3 Depth=1
	s_and_not1_b32 vcc_lo, exec_lo, s12
	s_cbranch_vccnz .LBB282_7
.LBB282_6:                              ;   in Loop: Header=BB282_3 Depth=1
	s_wait_xcnt 0x0
	s_lshl_b64 s[6:7], s[10:11], 3
	s_delay_alu instid0(SALU_CYCLE_1)
	s_add_nc_u64 s[6:7], s[20:21], s[6:7]
	global_load_b64 v[6:7], v2, s[6:7]
	s_wait_loadcnt 0x0
	v_add_nc_u64_e32 v[36:37], s[22:23], v[6:7]
.LBB282_7:                              ;   in Loop: Header=BB282_3 Depth=1
	s_wait_xcnt 0x0
	s_mul_u64 s[6:7], s[38:39], s[10:11]
	s_and_not1_b32 vcc_lo, exec_lo, s62
	s_lshl_b64 s[6:7], s[6:7], 3
	s_delay_alu instid0(SALU_CYCLE_1)
	s_add_nc_u64 s[48:49], s[28:29], s[6:7]
	s_mov_b32 s6, -1
	s_cbranch_vccnz .LBB282_12
; %bb.8:                                ;   in Loop: Header=BB282_3 Depth=1
	s_and_saveexec_b32 s8, s61
	s_cbranch_execz .LBB282_11
; %bb.9:                                ;   in Loop: Header=BB282_3 Depth=1
	s_add_nc_u64 s[6:7], s[48:49], s[46:47]
	s_mov_b32 s9, s13
.LBB282_10:                             ;   Parent Loop BB282_3 Depth=1
                                        ; =>  This Inner Loop Header: Depth=2
	s_delay_alu instid0(SALU_CYCLE_1)
	s_add_co_i32 s9, s9, -1
	global_store_b64 v2, v[34:35], s[6:7]
	s_cmp_eq_u32 s9, 0
	s_wait_xcnt 0x0
	s_add_nc_u64 s[6:7], s[6:7], s[40:41]
	s_cbranch_scc0 .LBB282_10
.LBB282_11:                             ;   in Loop: Header=BB282_3 Depth=1
	s_or_b32 exec_lo, exec_lo, s8
	s_mov_b32 s6, 0
.LBB282_12:                             ;   in Loop: Header=BB282_3 Depth=1
	s_delay_alu instid0(SALU_CYCLE_1)
	s_and_not1_b32 vcc_lo, exec_lo, s6
	s_cbranch_vccnz .LBB282_2
; %bb.13:                               ;   in Loop: Header=BB282_3 Depth=1
	v_lshlrev_b64_e32 v[6:7], 3, v[0:1]
	v_lshl_add_u64 v[38:39], v[0:1], 3, v[4:5]
	v_lshl_add_u64 v[40:41], v[26:27], 3, v[36:37]
	;; [unrolled: 1-line block ×5, first 2 shown]
	v_cmp_gt_u32_e64 s9, 24, v52
	v_add_nc_u64_e32 v[48:49], v[4:5], v[6:7]
	v_cmp_gt_u32_e64 s8, 28, v52
	v_cmp_gt_u32_e64 s7, 30, v52
	v_cmp_ne_u32_e64 s6, 31, v52
	s_and_not1_b32 vcc_lo, exec_lo, s65
	s_cbranch_vccnz .LBB282_42
; %bb.14:                               ;   in Loop: Header=BB282_3 Depth=1
	v_cndmask_b32_e64 v3, 0, 8, s9
	v_cndmask_b32_e64 v10, 0, 4, s8
	;; [unrolled: 1-line block ×3, first 2 shown]
	v_add_co_ci_u32_e64 v12, null, 0, v52, s6
	v_dual_mov_b32 v7, v2 :: v_dual_mov_b32 v8, v2
	s_delay_alu instid0(VALU_DEP_2)
	v_dual_mov_b32 v9, v2 :: v_dual_lshlrev_b32 v57, 2, v12
	v_add_lshl_u32 v54, v3, v52, 2
	v_dual_mov_b32 v3, v2 :: v_dual_mov_b32 v4, v2
	v_dual_mov_b32 v5, v2 :: v_dual_mov_b32 v6, v2
	v_add_lshl_u32 v55, v10, v52, 2
	v_add_lshl_u32 v56, v11, v52, 2
	v_mov_b64_e32 v[16:17], v[8:9]
	s_delay_alu instid0(VALU_DEP_4)
	v_mov_b64_e32 v[12:13], v[4:5]
	v_mov_b64_e32 v[14:15], v[6:7]
	;; [unrolled: 1-line block ×3, first 2 shown]
	s_mov_b32 s50, 0
	s_mov_b64 s[52:53], s[44:45]
	s_mov_b64 s[54:55], s[42:43]
	;; [unrolled: 1-line block ×3, first 2 shown]
	s_mov_b32 s24, s50
	s_branch .LBB282_16
.LBB282_15:                             ;   in Loop: Header=BB282_16 Depth=2
	s_wait_xcnt 0x0
	s_or_b32 exec_lo, exec_lo, s6
	s_add_co_i32 s24, s24, 4
	s_add_co_i32 s50, s50, s36
	s_add_nc_u64 s[56:57], s[56:57], s[36:37]
	s_add_nc_u64 s[54:55], s[54:55], s[36:37]
	s_cmp_ge_i32 s24, s63
	s_add_nc_u64 s[52:53], s[52:53], s[36:37]
	s_cbranch_scc1 .LBB282_43
.LBB282_16:                             ;   Parent Loop BB282_3 Depth=1
                                        ; =>  This Loop Header: Depth=2
                                        ;       Child Loop BB282_22 Depth 3
                                        ;       Child Loop BB282_25 Depth 3
	;; [unrolled: 1-line block ×3, first 2 shown]
                                        ; implicit-def: $vgpr18_vgpr19_vgpr20_vgpr21_vgpr22_vgpr23_vgpr24_vgpr25
	s_and_saveexec_b32 s6, s4
	s_delay_alu instid0(SALU_CYCLE_1)
	s_xor_b32 s6, exec_lo, s6
	s_cbranch_execz .LBB282_18
; %bb.17:                               ;   in Loop: Header=BB282_16 Depth=2
	s_mul_i32 s8, s24, s26
	s_delay_alu instid0(SALU_CYCLE_1)
	s_ashr_i32 s9, s8, 31
	s_add_co_i32 s58, s8, s26
	v_lshl_add_u64 v[8:9], s[8:9], 3, v[38:39]
	s_ashr_i32 s59, s58, 31
	s_add_co_i32 s8, s58, s26
	v_lshl_add_u64 v[16:17], s[58:59], 3, v[38:39]
	s_add_co_i32 s58, s8, s26
	s_ashr_i32 s9, s8, 31
	s_ashr_i32 s59, s58, 31
	v_lshl_add_u64 v[18:19], s[8:9], 3, v[38:39]
	v_lshl_add_u64 v[20:21], s[58:59], 3, v[38:39]
	flat_load_b64 v[10:11], v[40:41]
	s_clause 0x3
	flat_load_b128 v[4:7], v[8:9]
	flat_load_b128 v[58:61], v[16:17]
	;; [unrolled: 1-line block ×4, first 2 shown]
	s_clause 0x1
	flat_load_b64 v[12:13], v[42:43]
	flat_load_b64 v[14:15], v[44:45]
	s_clause 0x3
	flat_load_b128 v[70:73], v[8:9] offset:16
	flat_load_b128 v[74:77], v[16:17] offset:16
	;; [unrolled: 1-line block ×4, first 2 shown]
	flat_load_b64 v[16:17], v[46:47]
	s_wait_loadcnt_dscnt 0xa0a
	s_wait_xcnt 0x2
	v_fma_f64 v[18:19], v[10:11], v[4:5], 0
	s_wait_loadcnt_dscnt 0x909
	s_wait_xcnt 0x1
	v_fma_f64 v[20:21], v[10:11], v[58:59], 0
	s_wait_loadcnt_dscnt 0x808
	v_fma_f64 v[22:23], v[10:11], v[62:63], 0
	s_wait_loadcnt_dscnt 0x707
	;; [unrolled: 2-line block ×3, first 2 shown]
	s_delay_alu instid0(VALU_DEP_4) | instskip(NEXT) | instid1(VALU_DEP_4)
	v_fmac_f64_e32 v[18:19], v[12:13], v[6:7]
	v_fmac_f64_e32 v[20:21], v[12:13], v[60:61]
	s_delay_alu instid0(VALU_DEP_4) | instskip(NEXT) | instid1(VALU_DEP_4)
	v_fmac_f64_e32 v[22:23], v[12:13], v[64:65]
	v_fmac_f64_e32 v[24:25], v[12:13], v[68:69]
	s_wait_loadcnt_dscnt 0x404
	s_delay_alu instid0(VALU_DEP_4) | instskip(SKIP_1) | instid1(VALU_DEP_4)
	v_fmac_f64_e32 v[18:19], v[14:15], v[70:71]
	s_wait_loadcnt_dscnt 0x303
	v_fmac_f64_e32 v[20:21], v[14:15], v[74:75]
	s_wait_loadcnt_dscnt 0x202
	s_delay_alu instid0(VALU_DEP_4) | instskip(SKIP_1) | instid1(VALU_DEP_4)
	v_fmac_f64_e32 v[22:23], v[14:15], v[78:79]
	s_wait_loadcnt_dscnt 0x101
	v_fmac_f64_e32 v[24:25], v[14:15], v[82:83]
	s_wait_loadcnt_dscnt 0x0
	s_delay_alu instid0(VALU_DEP_4) | instskip(NEXT) | instid1(VALU_DEP_4)
	v_fmac_f64_e32 v[18:19], v[16:17], v[72:73]
	v_fmac_f64_e32 v[20:21], v[16:17], v[76:77]
	s_delay_alu instid0(VALU_DEP_4) | instskip(NEXT) | instid1(VALU_DEP_4)
	v_fmac_f64_e32 v[22:23], v[16:17], v[80:81]
	v_fmac_f64_e32 v[24:25], v[16:17], v[84:85]
.LBB282_18:                             ;   in Loop: Header=BB282_16 Depth=2
	s_wait_xcnt 0x0
	s_and_not1_saveexec_b32 s11, s6
	s_cbranch_execz .LBB282_28
; %bb.19:                               ;   in Loop: Header=BB282_16 Depth=2
	v_dual_mov_b32 v7, v2 :: v_dual_mov_b32 v8, v2
	v_dual_mov_b32 v9, v2 :: v_dual_mov_b32 v3, v2
	;; [unrolled: 1-line block ×3, first 2 shown]
	v_mov_b32_e32 v6, v2
	s_delay_alu instid0(VALU_DEP_3) | instskip(NEXT) | instid1(VALU_DEP_4)
	v_mov_b64_e32 v[24:25], v[8:9]
	v_mov_b64_e32 v[18:19], v[2:3]
	s_delay_alu instid0(VALU_DEP_4) | instskip(NEXT) | instid1(VALU_DEP_4)
	v_mov_b64_e32 v[20:21], v[4:5]
	v_mov_b64_e32 v[22:23], v[6:7]
	s_and_saveexec_b32 s35, s5
	s_cbranch_execz .LBB282_27
; %bb.20:                               ;   in Loop: Header=BB282_16 Depth=2
	s_and_not1_b32 vcc_lo, exec_lo, s66
	s_cbranch_vccnz .LBB282_23
; %bb.21:                               ;   in Loop: Header=BB282_16 Depth=2
	v_mov_b32_e32 v3, v26
	s_mov_b64 s[58:59], 0
.LBB282_22:                             ;   Parent Loop BB282_3 Depth=1
                                        ;     Parent Loop BB282_16 Depth=2
                                        ; =>    This Inner Loop Header: Depth=3
	v_readfirstlane_b32 s6, v36
	v_readfirstlane_b32 s7, v37
	s_cmp_eq_u32 s58, 3
	s_cselect_b32 vcc_lo, -1, 0
	s_cmp_eq_u32 s58, 2
	flat_load_b64 v[4:5], v3, s[6:7] scale_offset
	s_wait_xcnt 0x0
	s_cselect_b32 s6, -1, 0
	s_cmp_eq_u32 s58, 1
	v_add_nc_u32_e32 v3, s60, v3
	s_cselect_b32 s7, -1, 0
	s_cmp_eq_u32 s58, 0
	s_add_nc_u64 s[58:59], s[58:59], 1
	s_cselect_b32 s8, -1, 0
	s_cmp_eq_u32 s64, s58
	s_wait_loadcnt_dscnt 0x0
	v_dual_cndmask_b32 v17, v17, v5 :: v_dual_cndmask_b32 v16, v16, v4
	v_dual_cndmask_b32 v15, v15, v5, s6 :: v_dual_cndmask_b32 v14, v14, v4, s6
	v_dual_cndmask_b32 v13, v13, v5, s7 :: v_dual_cndmask_b32 v12, v12, v4, s7
	;; [unrolled: 1-line block ×3, first 2 shown]
	s_cbranch_scc0 .LBB282_22
.LBB282_23:                             ;   in Loop: Header=BB282_16 Depth=2
	s_and_not1_b32 vcc_lo, exec_lo, s66
	s_cbranch_vccnz .LBB282_26
; %bb.24:                               ;   in Loop: Header=BB282_16 Depth=2
	s_ashr_i32 s51, s50, 31
	v_mov_b64_e32 v[18:19], 0
	v_mov_b64_e32 v[20:21], 0
	;; [unrolled: 1-line block ×4, first 2 shown]
	v_lshl_add_u64 v[4:5], s[50:51], 3, v[48:49]
	s_mov_b64 s[8:9], 0
.LBB282_25:                             ;   Parent Loop BB282_3 Depth=1
                                        ;     Parent Loop BB282_16 Depth=2
                                        ; =>    This Inner Loop Header: Depth=3
	s_delay_alu instid0(SALU_CYCLE_1)
	s_cmp_eq_u32 s8, 1
	s_cselect_b32 vcc_lo, -1, 0
	s_cmp_eq_u32 s8, 2
	v_dual_cndmask_b32 v3, v11, v13 :: v_dual_cndmask_b32 v62, v10, v12
	s_cselect_b32 s6, -1, 0
	s_cmp_eq_u32 s8, 3
	s_cselect_b32 s7, -1, 0
	s_add_co_i32 s58, s56, s8
	s_add_co_i32 s68, s54, s8
	;; [unrolled: 1-line block ×3, first 2 shown]
	s_ashr_i32 s59, s58, 31
	s_ashr_i32 s69, s68, 31
	;; [unrolled: 1-line block ×3, first 2 shown]
	s_wait_xcnt 0x2
	v_lshl_add_u64 v[6:7], s[58:59], 3, v[38:39]
	s_wait_xcnt 0x1
	v_lshl_add_u64 v[8:9], s[68:69], 3, v[38:39]
	;; [unrolled: 2-line block ×3, first 2 shown]
	flat_load_b64 v[60:61], v[4:5]
	s_clause 0x2
	flat_load_b64 v[6:7], v[6:7]
	flat_load_b64 v[8:9], v[8:9]
	;; [unrolled: 1-line block ×3, first 2 shown]
	v_dual_cndmask_b32 v3, v3, v15, s6 :: v_dual_cndmask_b32 v62, v62, v14, s6
	s_wait_xcnt 0x3
	v_add_nc_u64_e32 v[4:5], 8, v[4:5]
	s_add_nc_u64 s[8:9], s[8:9], 1
	s_delay_alu instid0(VALU_DEP_2) | instskip(SKIP_2) | instid1(VALU_DEP_1)
	v_dual_cndmask_b32 v63, v3, v17, s7 :: v_dual_cndmask_b32 v62, v62, v16, s7
	s_cmp_lg_u32 s64, s8
	s_wait_loadcnt_dscnt 0x303
	v_fmac_f64_e32 v[18:19], v[62:63], v[60:61]
	s_wait_loadcnt_dscnt 0x202
	v_fmac_f64_e32 v[20:21], v[62:63], v[6:7]
	s_wait_loadcnt_dscnt 0x101
	v_fmac_f64_e32 v[22:23], v[62:63], v[8:9]
	s_wait_loadcnt_dscnt 0x0
	v_fmac_f64_e32 v[24:25], v[62:63], v[58:59]
	s_cbranch_scc1 .LBB282_25
	s_branch .LBB282_27
.LBB282_26:                             ;   in Loop: Header=BB282_16 Depth=2
	v_dual_mov_b32 v7, v2 :: v_dual_mov_b32 v8, v2
	v_dual_mov_b32 v9, v2 :: v_dual_mov_b32 v3, v2
	;; [unrolled: 1-line block ×3, first 2 shown]
	v_mov_b32_e32 v6, v2
	s_delay_alu instid0(VALU_DEP_3) | instskip(NEXT) | instid1(VALU_DEP_4)
	v_mov_b64_e32 v[24:25], v[8:9]
	v_mov_b64_e32 v[18:19], v[2:3]
	s_delay_alu instid0(VALU_DEP_4) | instskip(NEXT) | instid1(VALU_DEP_4)
	v_mov_b64_e32 v[20:21], v[4:5]
	v_mov_b64_e32 v[22:23], v[6:7]
.LBB282_27:                             ;   in Loop: Header=BB282_16 Depth=2
	s_wait_xcnt 0x0
	s_or_b32 exec_lo, exec_lo, s35
.LBB282_28:                             ;   in Loop: Header=BB282_16 Depth=2
	s_delay_alu instid0(SALU_CYCLE_1)
	s_or_b32 exec_lo, exec_lo, s11
	s_mov_b64 s[6:7], 0
	s_branch .LBB282_30
.LBB282_29:                             ;   in Loop: Header=BB282_30 Depth=3
	s_or_b32 exec_lo, exec_lo, s8
	s_cmp_eq_u32 s6, 3
	s_cselect_b32 vcc_lo, -1, 0
	s_cmp_eq_u32 s6, 2
	s_wait_dscnt 0x0
	s_delay_alu instid0(VALU_DEP_1)
	v_dual_cndmask_b32 v25, v25, v5 :: v_dual_cndmask_b32 v24, v24, v4
	s_cselect_b32 vcc_lo, -1, 0
	s_cmp_eq_u32 s6, 1
	v_dual_cndmask_b32 v23, v23, v5 :: v_dual_cndmask_b32 v22, v22, v4
	s_cselect_b32 vcc_lo, -1, 0
	s_cmp_eq_u32 s6, 0
	v_dual_cndmask_b32 v21, v21, v5 :: v_dual_cndmask_b32 v20, v20, v4
	s_cselect_b32 vcc_lo, -1, 0
	s_add_nc_u64 s[6:7], s[6:7], 1
	v_dual_cndmask_b32 v19, v19, v5 :: v_dual_cndmask_b32 v18, v18, v4
	s_cmp_eq_u32 s6, 4
	s_cbranch_scc1 .LBB282_38
.LBB282_30:                             ;   Parent Loop BB282_3 Depth=1
                                        ;     Parent Loop BB282_16 Depth=2
                                        ; =>    This Inner Loop Header: Depth=3
	s_and_saveexec_b32 s8, s1
; %bb.31:                               ;   in Loop: Header=BB282_30 Depth=3
	ds_store_b64 v50, v[34:35]
; %bb.32:                               ;   in Loop: Header=BB282_30 Depth=3
	s_or_b32 exec_lo, exec_lo, s8
	s_cmp_eq_u32 s6, 1
	s_wait_storecnt_dscnt 0x0
	s_cselect_b32 vcc_lo, -1, 0
	s_cmp_eq_u32 s6, 2
	v_dual_cndmask_b32 v3, v19, v21 :: v_dual_cndmask_b32 v4, v18, v20
	s_cselect_b32 vcc_lo, -1, 0
	s_cmp_eq_u32 s6, 3
	s_barrier_signal -1
	s_delay_alu instid0(VALU_DEP_1) | instskip(SKIP_2) | instid1(VALU_DEP_1)
	v_dual_cndmask_b32 v3, v3, v23 :: v_dual_cndmask_b32 v4, v4, v22
	s_cselect_b32 vcc_lo, -1, 0
	s_barrier_wait -1
	v_dual_cndmask_b32 v5, v3, v25 :: v_dual_cndmask_b32 v4, v4, v24
	ds_bpermute_b32 v7, v53, v5
	ds_bpermute_b32 v6, v53, v4
	s_wait_dscnt 0x0
	v_add_f64_e32 v[4:5], v[4:5], v[6:7]
	ds_bpermute_b32 v6, v54, v4
	ds_bpermute_b32 v7, v54, v5
	s_wait_dscnt 0x0
	v_add_f64_e32 v[4:5], v[4:5], v[6:7]
	;; [unrolled: 4-line block ×4, first 2 shown]
	ds_bpermute_b32 v6, v57, v4
	ds_bpermute_b32 v7, v57, v5
	s_and_saveexec_b32 s8, s3
	s_cbranch_execz .LBB282_34
; %bb.33:                               ;   in Loop: Header=BB282_30 Depth=3
	s_wait_dscnt 0x0
	v_add_f64_e32 v[4:5], v[4:5], v[6:7]
	ds_store_b64 v51, v[4:5]
.LBB282_34:                             ;   in Loop: Header=BB282_30 Depth=3
	s_or_b32 exec_lo, exec_lo, s8
	v_mov_b64_e32 v[4:5], 0
	s_wait_dscnt 0x0
	s_barrier_signal -1
	s_barrier_wait -1
	s_and_saveexec_b32 s8, s2
; %bb.35:                               ;   in Loop: Header=BB282_30 Depth=3
	ds_load_b64 v[4:5], v50
; %bb.36:                               ;   in Loop: Header=BB282_30 Depth=3
	s_or_b32 exec_lo, exec_lo, s8
	s_and_saveexec_b32 s8, s1
	s_cbranch_execz .LBB282_29
; %bb.37:                               ;   in Loop: Header=BB282_30 Depth=3
	s_wait_dscnt 0x0
	ds_bpermute_b32 v6, v55, v4
	ds_bpermute_b32 v7, v55, v5
	s_wait_dscnt 0x0
	v_add_f64_e32 v[4:5], v[4:5], v[6:7]
	ds_bpermute_b32 v6, v56, v4
	ds_bpermute_b32 v7, v56, v5
	s_wait_dscnt 0x0
	v_add_f64_e32 v[4:5], v[4:5], v[6:7]
	;; [unrolled: 4-line block ×3, first 2 shown]
	s_branch .LBB282_29
.LBB282_38:                             ;   in Loop: Header=BB282_16 Depth=2
	s_and_saveexec_b32 s6, s0
	s_cbranch_execz .LBB282_15
; %bb.39:                               ;   in Loop: Header=BB282_16 Depth=2
	s_mul_i32 s7, s24, s30
	s_delay_alu instid0(SALU_CYCLE_1) | instskip(NEXT) | instid1(SALU_CYCLE_1)
	s_add_co_i32 s7, s7, s34
	v_dual_mul_f64 v[4:5], s[14:15], v[18:19] :: v_dual_mov_b32 v3, s7
	s_add_co_i32 s8, s7, s30
	s_delay_alu instid0(SALU_CYCLE_1) | instskip(SKIP_1) | instid1(SALU_CYCLE_1)
	v_dual_mul_f64 v[6:7], s[14:15], v[20:21] :: v_dual_mov_b32 v20, s8
	s_add_co_i32 s7, s8, s30
	v_dual_mul_f64 v[8:9], s[14:15], v[22:23] :: v_dual_mov_b32 v21, s7
	s_add_co_i32 s8, s7, s30
	s_delay_alu instid0(SALU_CYCLE_1)
	v_dual_mul_f64 v[18:19], s[14:15], v[24:25] :: v_dual_mov_b32 v22, s8
	s_clause 0x3
	global_store_b64 v3, v[4:5], s[48:49] scale_offset
	global_store_b64 v20, v[6:7], s[48:49] scale_offset
	;; [unrolled: 1-line block ×4, first 2 shown]
	s_branch .LBB282_15
.LBB282_40:                             ;   in Loop: Header=BB282_3 Depth=1
	v_mov_b64_e32 v[36:37], 0
	s_wait_dscnt 0x0
	v_mov_b64_e32 v[4:5], 0
	s_cbranch_execnz .LBB282_5
.LBB282_41:                             ;   in Loop: Header=BB282_3 Depth=1
	s_lshl_b64 s[6:7], s[10:11], 3
	s_delay_alu instid0(SALU_CYCLE_1)
	s_add_nc_u64 s[6:7], s[16:17], s[6:7]
	global_load_b64 v[4:5], v2, s[6:7]
	s_wait_loadcnt 0x0
	v_add_nc_u64_e32 v[4:5], s[18:19], v[4:5]
	s_and_not1_b32 vcc_lo, exec_lo, s12
	s_cbranch_vccz .LBB282_6
	s_branch .LBB282_7
.LBB282_42:                             ;   in Loop: Header=BB282_3 Depth=1
	v_dual_mov_b32 v7, v2 :: v_dual_mov_b32 v8, v2
	v_dual_mov_b32 v9, v2 :: v_dual_mov_b32 v3, v2
	;; [unrolled: 1-line block ×3, first 2 shown]
	v_mov_b32_e32 v6, v2
	s_delay_alu instid0(VALU_DEP_3) | instskip(NEXT) | instid1(VALU_DEP_4)
	v_mov_b64_e32 v[16:17], v[8:9]
	v_mov_b64_e32 v[10:11], v[2:3]
	s_mov_b32 s24, 0
	v_mov_b64_e32 v[12:13], v[4:5]
	v_mov_b64_e32 v[14:15], v[6:7]
.LBB282_43:                             ;   in Loop: Header=BB282_3 Depth=1
	s_cmp_ge_i32 s24, s13
	s_cbranch_scc1 .LBB282_2
; %bb.44:                               ;   in Loop: Header=BB282_3 Depth=1
	v_cmp_gt_u32_e32 vcc_lo, 24, v52
	s_add_nc_u64 s[48:49], s[48:49], s[46:47]
	s_mul_i32 s50, s26, s24
	v_cndmask_b32_e64 v3, 0, 8, vcc_lo
	v_cmp_gt_u32_e32 vcc_lo, 28, v52
	s_delay_alu instid0(VALU_DEP_2) | instskip(SKIP_2) | instid1(VALU_DEP_2)
	v_add_lshl_u32 v3, v3, v52, 2
	v_cndmask_b32_e64 v4, 0, 4, vcc_lo
	v_cmp_gt_u32_e32 vcc_lo, 30, v52
	v_add_lshl_u32 v8, v4, v52, 2
	v_cndmask_b32_e64 v5, 0, 2, vcc_lo
	v_cmp_ne_u32_e32 vcc_lo, 31, v52
	s_delay_alu instid0(VALU_DEP_2) | instskip(SKIP_1) | instid1(VALU_DEP_1)
	v_add_lshl_u32 v9, v5, v52, 2
	v_add_co_ci_u32_e64 v6, null, 0, v52, vcc_lo
	v_lshlrev_b32_e32 v18, 2, v6
	s_branch .LBB282_46
.LBB282_45:                             ;   in Loop: Header=BB282_46 Depth=2
	s_wait_xcnt 0x0
	s_or_b32 exec_lo, exec_lo, s6
	s_add_co_i32 s24, s24, 1
	s_add_co_i32 s50, s50, s26
	s_cmp_ge_i32 s24, s13
	s_cbranch_scc1 .LBB282_2
.LBB282_46:                             ;   Parent Loop BB282_3 Depth=1
                                        ; =>  This Loop Header: Depth=2
                                        ;       Child Loop BB282_59 Depth 3
                                        ;       Child Loop BB282_62 Depth 3
	s_wait_dscnt 0x0
	v_dual_mov_b32 v4, s25 :: v_dual_mov_b32 v5, s25
	s_and_saveexec_b32 s6, s4
	s_delay_alu instid0(SALU_CYCLE_1)
	s_xor_b32 s6, exec_lo, s6
	s_cbranch_execnz .LBB282_55
; %bb.47:                               ;   in Loop: Header=BB282_46 Depth=2
	s_and_not1_saveexec_b32 s9, s6
	s_cbranch_execnz .LBB282_56
.LBB282_48:                             ;   in Loop: Header=BB282_46 Depth=2
	s_or_b32 exec_lo, exec_lo, s9
	s_and_saveexec_b32 s6, s1
.LBB282_49:                             ;   in Loop: Header=BB282_46 Depth=2
	ds_store_b64 v50, v[34:35]
.LBB282_50:                             ;   in Loop: Header=BB282_46 Depth=2
	s_or_b32 exec_lo, exec_lo, s6
	ds_bpermute_b32 v6, v53, v4
	ds_bpermute_b32 v7, v53, v5
	s_wait_storecnt_dscnt 0x0
	s_barrier_signal -1
	s_barrier_wait -1
	v_add_f64_e32 v[4:5], v[4:5], v[6:7]
	ds_bpermute_b32 v6, v3, v4
	ds_bpermute_b32 v7, v3, v5
	s_wait_dscnt 0x0
	v_add_f64_e32 v[4:5], v[4:5], v[6:7]
	ds_bpermute_b32 v6, v8, v4
	ds_bpermute_b32 v7, v8, v5
	s_wait_dscnt 0x0
	;; [unrolled: 4-line block ×3, first 2 shown]
	v_add_f64_e32 v[4:5], v[4:5], v[6:7]
	ds_bpermute_b32 v6, v18, v4
	ds_bpermute_b32 v7, v18, v5
	s_and_saveexec_b32 s6, s3
	s_cbranch_execz .LBB282_52
; %bb.51:                               ;   in Loop: Header=BB282_46 Depth=2
	s_wait_dscnt 0x0
	v_add_f64_e32 v[4:5], v[4:5], v[6:7]
	ds_store_b64 v51, v[4:5]
.LBB282_52:                             ;   in Loop: Header=BB282_46 Depth=2
	s_or_b32 exec_lo, exec_lo, s6
	v_mov_b64_e32 v[4:5], 0
	s_wait_dscnt 0x0
	s_barrier_signal -1
	s_barrier_wait -1
	s_and_saveexec_b32 s6, s2
	s_cbranch_execnz .LBB282_64
; %bb.53:                               ;   in Loop: Header=BB282_46 Depth=2
	s_or_b32 exec_lo, exec_lo, s6
	s_and_saveexec_b32 s6, s1
	s_cbranch_execnz .LBB282_65
.LBB282_54:                             ;   in Loop: Header=BB282_46 Depth=2
	s_or_b32 exec_lo, exec_lo, s6
	s_and_saveexec_b32 s6, s0
	s_cbranch_execz .LBB282_45
	s_branch .LBB282_66
.LBB282_55:                             ;   in Loop: Header=BB282_46 Depth=2
	s_mul_i32 s8, s24, s26
	s_delay_alu instid0(SALU_CYCLE_1) | instskip(NEXT) | instid1(SALU_CYCLE_1)
	s_ashr_i32 s9, s8, 31
	v_lshl_add_u64 v[24:25], s[8:9], 3, v[38:39]
	flat_load_b128 v[4:7], v[24:25]
	s_clause 0x1
	flat_load_b64 v[10:11], v[40:41]
	flat_load_b64 v[12:13], v[42:43]
	flat_load_b128 v[20:23], v[24:25] offset:16
	s_clause 0x1
	flat_load_b64 v[14:15], v[44:45]
	flat_load_b64 v[16:17], v[46:47]
	s_wait_loadcnt_dscnt 0x404
	v_fma_f64 v[4:5], v[10:11], v[4:5], 0
	s_wait_loadcnt_dscnt 0x303
	s_delay_alu instid0(VALU_DEP_1) | instskip(SKIP_1) | instid1(VALU_DEP_1)
	v_fmac_f64_e32 v[4:5], v[12:13], v[6:7]
	s_wait_loadcnt_dscnt 0x101
	v_fmac_f64_e32 v[4:5], v[14:15], v[20:21]
	s_wait_loadcnt_dscnt 0x0
	s_delay_alu instid0(VALU_DEP_1)
	v_fmac_f64_e32 v[4:5], v[16:17], v[22:23]
	s_wait_xcnt 0x0
	s_and_not1_saveexec_b32 s9, s6
	s_cbranch_execz .LBB282_48
.LBB282_56:                             ;   in Loop: Header=BB282_46 Depth=2
	s_and_saveexec_b32 s11, s5
	s_cbranch_execz .LBB282_63
; %bb.57:                               ;   in Loop: Header=BB282_46 Depth=2
	s_and_not1_b32 vcc_lo, exec_lo, s66
	s_cbranch_vccnz .LBB282_60
; %bb.58:                               ;   in Loop: Header=BB282_46 Depth=2
	v_mov_b32_e32 v6, v26
	s_mov_b64 s[52:53], 0
.LBB282_59:                             ;   Parent Loop BB282_3 Depth=1
                                        ;     Parent Loop BB282_46 Depth=2
                                        ; =>    This Inner Loop Header: Depth=3
	v_readfirstlane_b32 s6, v36
	v_readfirstlane_b32 s7, v37
	s_cmp_eq_u32 s52, 3
	s_cselect_b32 vcc_lo, -1, 0
	s_cmp_eq_u32 s52, 2
	flat_load_b64 v[20:21], v6, s[6:7] scale_offset
	s_wait_xcnt 0x0
	s_cselect_b32 s6, -1, 0
	s_cmp_eq_u32 s52, 1
	v_add_nc_u32_e32 v6, s60, v6
	s_cselect_b32 s7, -1, 0
	s_cmp_eq_u32 s52, 0
	s_add_nc_u64 s[52:53], s[52:53], 1
	s_cselect_b32 s8, -1, 0
	s_cmp_eq_u32 s64, s52
	s_wait_loadcnt_dscnt 0x0
	v_dual_cndmask_b32 v17, v17, v21 :: v_dual_cndmask_b32 v16, v16, v20
	v_dual_cndmask_b32 v15, v15, v21, s6 :: v_dual_cndmask_b32 v14, v14, v20, s6
	v_dual_cndmask_b32 v13, v13, v21, s7 :: v_dual_cndmask_b32 v12, v12, v20, s7
	;; [unrolled: 1-line block ×3, first 2 shown]
	s_cbranch_scc0 .LBB282_59
.LBB282_60:                             ;   in Loop: Header=BB282_46 Depth=2
	s_and_not1_b32 vcc_lo, exec_lo, s66
	s_cbranch_vccnz .LBB282_63
; %bb.61:                               ;   in Loop: Header=BB282_46 Depth=2
	s_ashr_i32 s51, s50, 31
	s_mov_b64 s[6:7], 0
	v_lshl_add_u64 v[6:7], s[50:51], 3, v[48:49]
.LBB282_62:                             ;   Parent Loop BB282_3 Depth=1
                                        ;     Parent Loop BB282_46 Depth=2
                                        ; =>    This Inner Loop Header: Depth=3
	flat_load_b64 v[20:21], v[6:7]
	s_cmp_eq_u32 s6, 1
	s_wait_xcnt 0x0
	v_add_nc_u64_e32 v[6:7], 8, v[6:7]
	s_cselect_b32 vcc_lo, -1, 0
	s_cmp_eq_u32 s6, 2
	v_dual_cndmask_b32 v19, v11, v13 :: v_dual_cndmask_b32 v22, v10, v12
	s_cselect_b32 vcc_lo, -1, 0
	s_cmp_eq_u32 s6, 3
	s_add_nc_u64 s[6:7], s[6:7], 1
	s_delay_alu instid0(VALU_DEP_1) | instskip(SKIP_2) | instid1(VALU_DEP_1)
	v_dual_cndmask_b32 v19, v19, v15 :: v_dual_cndmask_b32 v22, v22, v14
	s_cselect_b32 vcc_lo, -1, 0
	s_cmp_lg_u32 s64, s6
	v_dual_cndmask_b32 v23, v19, v17 :: v_dual_cndmask_b32 v22, v22, v16
	s_wait_loadcnt_dscnt 0x0
	s_delay_alu instid0(VALU_DEP_1)
	v_fmac_f64_e32 v[4:5], v[22:23], v[20:21]
	s_cbranch_scc1 .LBB282_62
.LBB282_63:                             ;   in Loop: Header=BB282_46 Depth=2
	s_or_b32 exec_lo, exec_lo, s11
	s_delay_alu instid0(SALU_CYCLE_1)
	s_or_b32 exec_lo, exec_lo, s9
	s_and_saveexec_b32 s6, s1
	s_cbranch_execnz .LBB282_49
	s_branch .LBB282_50
.LBB282_64:                             ;   in Loop: Header=BB282_46 Depth=2
	ds_load_b64 v[4:5], v50
	s_or_b32 exec_lo, exec_lo, s6
	s_and_saveexec_b32 s6, s1
	s_cbranch_execz .LBB282_54
.LBB282_65:                             ;   in Loop: Header=BB282_46 Depth=2
	s_wait_dscnt 0x0
	ds_bpermute_b32 v6, v8, v4
	ds_bpermute_b32 v7, v8, v5
	s_wait_dscnt 0x0
	v_add_f64_e32 v[4:5], v[4:5], v[6:7]
	ds_bpermute_b32 v6, v9, v4
	ds_bpermute_b32 v7, v9, v5
	s_wait_dscnt 0x0
	v_add_f64_e32 v[4:5], v[4:5], v[6:7]
	;; [unrolled: 4-line block ×3, first 2 shown]
	s_or_b32 exec_lo, exec_lo, s6
	s_and_saveexec_b32 s6, s0
	s_cbranch_execz .LBB282_45
.LBB282_66:                             ;   in Loop: Header=BB282_46 Depth=2
	s_wait_dscnt 0x0
	s_delay_alu instid0(VALU_DEP_1) | instskip(SKIP_1) | instid1(SALU_CYCLE_1)
	v_mul_f64_e32 v[4:5], s[14:15], v[4:5]
	s_mul_u64 s[8:9], s[24:25], s[30:31]
	s_lshl_b64 s[8:9], s[8:9], 3
	s_delay_alu instid0(SALU_CYCLE_1)
	s_add_nc_u64 s[8:9], s[48:49], s[8:9]
	global_store_b64 v2, v[4:5], s[8:9]
	s_branch .LBB282_45
.LBB282_67:
	s_sendmsg sendmsg(MSG_DEALLOC_VGPRS)
	s_endpgm
	.section	.rodata,"a",@progbits
	.p2align	6, 0x0
	.amdhsa_kernel _ZL23rocblas_gemvt_sn_kernelILb1ELi256ELi4EiPKdddEviiT4_lPKT3_lilS5_lilPT5_i
		.amdhsa_group_segment_fixed_size 256
		.amdhsa_private_segment_fixed_size 0
		.amdhsa_kernarg_size 360
		.amdhsa_user_sgpr_count 2
		.amdhsa_user_sgpr_dispatch_ptr 0
		.amdhsa_user_sgpr_queue_ptr 0
		.amdhsa_user_sgpr_kernarg_segment_ptr 1
		.amdhsa_user_sgpr_dispatch_id 0
		.amdhsa_user_sgpr_kernarg_preload_length 0
		.amdhsa_user_sgpr_kernarg_preload_offset 0
		.amdhsa_user_sgpr_private_segment_size 0
		.amdhsa_wavefront_size32 1
		.amdhsa_uses_dynamic_stack 0
		.amdhsa_enable_private_segment 0
		.amdhsa_system_sgpr_workgroup_id_x 1
		.amdhsa_system_sgpr_workgroup_id_y 0
		.amdhsa_system_sgpr_workgroup_id_z 1
		.amdhsa_system_sgpr_workgroup_info 0
		.amdhsa_system_vgpr_workitem_id 0
		.amdhsa_next_free_vgpr 86
		.amdhsa_next_free_sgpr 72
		.amdhsa_named_barrier_count 0
		.amdhsa_reserve_vcc 1
		.amdhsa_float_round_mode_32 0
		.amdhsa_float_round_mode_16_64 0
		.amdhsa_float_denorm_mode_32 3
		.amdhsa_float_denorm_mode_16_64 3
		.amdhsa_fp16_overflow 0
		.amdhsa_memory_ordered 1
		.amdhsa_forward_progress 1
		.amdhsa_inst_pref_size 29
		.amdhsa_round_robin_scheduling 0
		.amdhsa_exception_fp_ieee_invalid_op 0
		.amdhsa_exception_fp_denorm_src 0
		.amdhsa_exception_fp_ieee_div_zero 0
		.amdhsa_exception_fp_ieee_overflow 0
		.amdhsa_exception_fp_ieee_underflow 0
		.amdhsa_exception_fp_ieee_inexact 0
		.amdhsa_exception_int_div_zero 0
	.end_amdhsa_kernel
	.section	.text._ZL23rocblas_gemvt_sn_kernelILb1ELi256ELi4EiPKdddEviiT4_lPKT3_lilS5_lilPT5_i,"axG",@progbits,_ZL23rocblas_gemvt_sn_kernelILb1ELi256ELi4EiPKdddEviiT4_lPKT3_lilS5_lilPT5_i,comdat
.Lfunc_end282:
	.size	_ZL23rocblas_gemvt_sn_kernelILb1ELi256ELi4EiPKdddEviiT4_lPKT3_lilS5_lilPT5_i, .Lfunc_end282-_ZL23rocblas_gemvt_sn_kernelILb1ELi256ELi4EiPKdddEviiT4_lPKT3_lilS5_lilPT5_i
                                        ; -- End function
	.set _ZL23rocblas_gemvt_sn_kernelILb1ELi256ELi4EiPKdddEviiT4_lPKT3_lilS5_lilPT5_i.num_vgpr, 86
	.set _ZL23rocblas_gemvt_sn_kernelILb1ELi256ELi4EiPKdddEviiT4_lPKT3_lilS5_lilPT5_i.num_agpr, 0
	.set _ZL23rocblas_gemvt_sn_kernelILb1ELi256ELi4EiPKdddEviiT4_lPKT3_lilS5_lilPT5_i.numbered_sgpr, 72
	.set _ZL23rocblas_gemvt_sn_kernelILb1ELi256ELi4EiPKdddEviiT4_lPKT3_lilS5_lilPT5_i.num_named_barrier, 0
	.set _ZL23rocblas_gemvt_sn_kernelILb1ELi256ELi4EiPKdddEviiT4_lPKT3_lilS5_lilPT5_i.private_seg_size, 0
	.set _ZL23rocblas_gemvt_sn_kernelILb1ELi256ELi4EiPKdddEviiT4_lPKT3_lilS5_lilPT5_i.uses_vcc, 1
	.set _ZL23rocblas_gemvt_sn_kernelILb1ELi256ELi4EiPKdddEviiT4_lPKT3_lilS5_lilPT5_i.uses_flat_scratch, 1
	.set _ZL23rocblas_gemvt_sn_kernelILb1ELi256ELi4EiPKdddEviiT4_lPKT3_lilS5_lilPT5_i.has_dyn_sized_stack, 0
	.set _ZL23rocblas_gemvt_sn_kernelILb1ELi256ELi4EiPKdddEviiT4_lPKT3_lilS5_lilPT5_i.has_recursion, 0
	.set _ZL23rocblas_gemvt_sn_kernelILb1ELi256ELi4EiPKdddEviiT4_lPKT3_lilS5_lilPT5_i.has_indirect_call, 0
	.section	.AMDGPU.csdata,"",@progbits
; Kernel info:
; codeLenInByte = 3600
; TotalNumSgprs: 74
; NumVgprs: 86
; ScratchSize: 0
; MemoryBound: 1
; FloatMode: 240
; IeeeMode: 1
; LDSByteSize: 256 bytes/workgroup (compile time only)
; SGPRBlocks: 0
; VGPRBlocks: 5
; NumSGPRsForWavesPerEU: 74
; NumVGPRsForWavesPerEU: 86
; NamedBarCnt: 0
; Occupancy: 10
; WaveLimiterHint : 0
; COMPUTE_PGM_RSRC2:SCRATCH_EN: 0
; COMPUTE_PGM_RSRC2:USER_SGPR: 2
; COMPUTE_PGM_RSRC2:TRAP_HANDLER: 0
; COMPUTE_PGM_RSRC2:TGID_X_EN: 1
; COMPUTE_PGM_RSRC2:TGID_Y_EN: 0
; COMPUTE_PGM_RSRC2:TGID_Z_EN: 1
; COMPUTE_PGM_RSRC2:TIDIG_COMP_CNT: 0
	.section	.text._ZL23rocblas_gemvt_sn_kernelILb1ELi256ELi4ElPKdddEviiT4_lPKT3_lilS5_lilPT5_i,"axG",@progbits,_ZL23rocblas_gemvt_sn_kernelILb1ELi256ELi4ElPKdddEviiT4_lPKT3_lilS5_lilPT5_i,comdat
	.globl	_ZL23rocblas_gemvt_sn_kernelILb1ELi256ELi4ElPKdddEviiT4_lPKT3_lilS5_lilPT5_i ; -- Begin function _ZL23rocblas_gemvt_sn_kernelILb1ELi256ELi4ElPKdddEviiT4_lPKT3_lilS5_lilPT5_i
	.p2align	8
	.type	_ZL23rocblas_gemvt_sn_kernelILb1ELi256ELi4ElPKdddEviiT4_lPKT3_lilS5_lilPT5_i,@function
_ZL23rocblas_gemvt_sn_kernelILb1ELi256ELi4ElPKdddEviiT4_lPKT3_lilS5_lilPT5_i: ; @_ZL23rocblas_gemvt_sn_kernelILb1ELi256ELi4ElPKdddEviiT4_lPKT3_lilS5_lilPT5_i
; %bb.0:
	s_load_b32 s33, s[0:1], 0x60
	s_bfe_u32 s2, ttmp6, 0x40014
	s_lshr_b32 s4, ttmp7, 16
	s_add_co_i32 s2, s2, 1
	s_bfe_u32 s5, ttmp6, 0x40008
	s_mul_i32 s2, s4, s2
	s_getreg_b32 s3, hwreg(HW_REG_IB_STS2, 6, 4)
	s_add_co_i32 s5, s5, s2
	s_cmp_eq_u32 s3, 0
	s_mov_b32 s25, 0
	s_cselect_b32 s10, s4, s5
	s_wait_kmcnt 0x0
	s_cmp_ge_u32 s10, s33
	s_cbranch_scc1 .LBB283_67
; %bb.1:
	s_clause 0x6
	s_load_b32 s26, s[0:1], 0x28
	s_load_b32 s4, s[0:1], 0x48
	s_load_b128 s[12:15], s[0:1], 0x0
	s_load_b128 s[16:19], s[0:1], 0x18
	;; [unrolled: 1-line block ×3, first 2 shown]
	s_load_b64 s[28:29], s[0:1], 0x58
	s_load_b32 s30, s[0:1], 0x68
	s_wait_xcnt 0x0
	v_cmp_eq_u32_e64 s0, 0, v0
	s_mov_b32 s31, s25
	v_dual_lshrrev_b32 v3, 2, v0 :: v_dual_bitop2_b32 v1, 31, v0 bitop3:0x40
	v_cmp_gt_u32_e64 s1, 32, v0
	v_cmp_gt_u32_e64 s2, 8, v0
	s_delay_alu instid0(VALU_DEP_3) | instskip(SKIP_2) | instid1(VALU_DEP_2)
	v_dual_mov_b32 v2, 0 :: v_dual_lshlrev_b32 v59, 3, v1
	v_mbcnt_lo_u32_b32 v58, -1, 0
	v_mov_b64_e32 v[38:39], 0
	v_lshl_or_b32 v61, v58, 2, 64
	s_wait_kmcnt 0x0
	s_ashr_i32 s27, s26, 31
	s_ashr_i32 s5, s4, 31
	;; [unrolled: 1-line block ×3, first 2 shown]
	s_cmp_gt_i32 s13, 0
	v_cmp_eq_f64_e64 s55, s[14:15], 0
	s_cselect_b32 s6, -1, 0
	s_bfe_u32 s8, ttmp6, 0x4000c
	s_and_b32 s9, ttmp6, 15
	s_add_co_i32 s8, s8, 1
	s_and_b32 s54, s0, s6
	s_mul_i32 s8, ttmp9, s8
	s_mov_b32 s6, s13
	s_add_co_i32 s9, s9, s8
	s_cmp_eq_u32 s3, 0
	s_mul_u64 s[34:35], s[6:7], s[30:31]
	s_cselect_b32 s24, ttmp9, s9
	s_ashr_i32 s6, s12, 31
	s_lshl_b32 s3, s24, 10
	s_lshr_b32 s6, s6, 30
	v_lshl_or_b32 v0, v0, 2, s3
	v_and_b32_e32 v60, 56, v3
	s_add_co_i32 s6, s12, s6
	v_cmp_eq_u32_e64 s3, 0, v1
	s_and_b32 s6, s6, -4
	v_dual_add_nc_u32 v3, 4, v0 :: v_dual_bitop2_b32 v6, 2, v0 bitop3:0x54
	v_dual_ashrrev_i32 v1, 31, v0 :: v_dual_bitop2_b32 v4, 1, v0 bitop3:0x54
	s_sub_co_i32 s58, s12, s6
	s_delay_alu instid0(VALU_DEP_2) | instskip(NEXT) | instid1(VALU_DEP_2)
	v_dual_ashrrev_i32 v7, 31, v6 :: v_dual_bitop2_b32 v8, 3, v0 bitop3:0x54
	v_ashrrev_i32_e32 v5, 31, v4
	s_delay_alu instid0(VALU_DEP_3)
	v_mul_u64_e32 v[26:27], s[4:5], v[0:1]
	v_cmp_neq_f64_e64 s56, s[14:15], 0
	s_lshr_b32 s7, s7, 30
	v_mul_u64_e32 v[30:31], s[4:5], v[6:7]
	v_mul_u64_e32 v[28:29], s[4:5], v[4:5]
	v_add_nc_u32_e32 v4, s58, v0
	v_ashrrev_i32_e32 v9, 31, v8
	s_add_co_i32 s7, s13, s7
	v_lshlrev_b64_e32 v[34:35], 3, v[0:1]
	s_and_b32 s57, s7, -4
	s_mul_u64 s[36:37], s[26:27], 24
	v_mul_u64_e32 v[32:33], s[4:5], v[8:9]
	s_cmp_gt_i32 s57, 0
	s_cselect_b32 s59, -1, 0
	s_cmp_gt_i32 s58, 0
	s_cselect_b32 s60, -1, 0
	s_lshl_b64 s[40:41], s[4:5], 3
	v_cmp_ge_i32_e64 s4, s12, v3
	v_cmp_ge_i32_e64 s5, s12, v4
	s_lshl_b64 s[38:39], s[30:31], 3
	s_lshl_b64 s[42:43], s[26:27], 5
	;; [unrolled: 1-line block ×7, first 2 shown]
	v_lshlrev_b64_e32 v[36:37], 3, v[26:27]
	s_branch .LBB283_3
.LBB283_2:                              ;   in Loop: Header=BB283_3 Depth=1
	s_add_co_i32 s10, s10, 0x10000
	s_delay_alu instid0(SALU_CYCLE_1)
	s_cmp_lt_u32 s10, s33
	s_cbranch_scc0 .LBB283_67
.LBB283_3:                              ; =>This Loop Header: Depth=1
                                        ;     Child Loop BB283_10 Depth 2
                                        ;     Child Loop BB283_16 Depth 2
                                        ;       Child Loop BB283_22 Depth 3
                                        ;       Child Loop BB283_25 Depth 3
	;; [unrolled: 1-line block ×3, first 2 shown]
                                        ;     Child Loop BB283_46 Depth 2
                                        ;       Child Loop BB283_59 Depth 3
                                        ;       Child Loop BB283_62 Depth 3
	s_mov_b32 s11, s25
	s_and_not1_b32 vcc_lo, exec_lo, s55
	s_mov_b32 s6, -1
	s_cbranch_vccz .LBB283_40
; %bb.4:                                ;   in Loop: Header=BB283_3 Depth=1
	v_mov_b64_e32 v[10:11], 0
	v_mov_b64_e32 v[52:53], 0
	s_and_not1_b32 vcc_lo, exec_lo, s6
	s_cbranch_vccz .LBB283_41
.LBB283_5:                              ;   in Loop: Header=BB283_3 Depth=1
	s_and_not1_b32 vcc_lo, exec_lo, s56
	s_cbranch_vccnz .LBB283_7
.LBB283_6:                              ;   in Loop: Header=BB283_3 Depth=1
	s_wait_xcnt 0x0
	s_lshl_b64 s[6:7], s[10:11], 3
	s_delay_alu instid0(SALU_CYCLE_1)
	s_add_nc_u64 s[6:7], s[20:21], s[6:7]
	global_load_b64 v[4:5], v2, s[6:7]
	s_wait_loadcnt 0x0
	v_add_nc_u64_e32 v[10:11], s[22:23], v[4:5]
.LBB283_7:                              ;   in Loop: Header=BB283_3 Depth=1
	s_wait_xcnt 0x0
	s_mul_u64 s[6:7], s[34:35], s[10:11]
	s_and_not1_b32 vcc_lo, exec_lo, s55
	s_lshl_b64 s[6:7], s[6:7], 3
	s_delay_alu instid0(SALU_CYCLE_1)
	s_add_nc_u64 s[50:51], s[28:29], s[6:7]
	s_mov_b32 s6, -1
	s_cbranch_vccnz .LBB283_12
; %bb.8:                                ;   in Loop: Header=BB283_3 Depth=1
	s_and_saveexec_b32 s8, s54
	s_cbranch_execz .LBB283_11
; %bb.9:                                ;   in Loop: Header=BB283_3 Depth=1
	s_add_nc_u64 s[6:7], s[50:51], s[48:49]
	s_mov_b32 s9, s13
.LBB283_10:                             ;   Parent Loop BB283_3 Depth=1
                                        ; =>  This Inner Loop Header: Depth=2
	s_delay_alu instid0(SALU_CYCLE_1)
	s_add_co_i32 s9, s9, -1
	global_store_b64 v2, v[38:39], s[6:7]
	s_cmp_eq_u32 s9, 0
	s_wait_xcnt 0x0
	s_add_nc_u64 s[6:7], s[6:7], s[38:39]
	s_cbranch_scc0 .LBB283_10
.LBB283_11:                             ;   in Loop: Header=BB283_3 Depth=1
	s_or_b32 exec_lo, exec_lo, s8
	s_mov_b32 s6, 0
.LBB283_12:                             ;   in Loop: Header=BB283_3 Depth=1
	s_delay_alu instid0(SALU_CYCLE_1)
	s_and_not1_b32 vcc_lo, exec_lo, s6
	s_cbranch_vccnz .LBB283_2
; %bb.13:                               ;   in Loop: Header=BB283_3 Depth=1
	v_add_nc_u64_e32 v[50:51], v[10:11], v[36:37]
	v_lshl_add_u64 v[40:41], v[0:1], 3, v[52:53]
	v_lshl_add_u64 v[42:43], v[26:27], 3, v[10:11]
	;; [unrolled: 1-line block ×5, first 2 shown]
	v_cmp_gt_u32_e64 s8, 24, v58
	v_cmp_gt_u32_e64 s6, 28, v58
	;; [unrolled: 1-line block ×3, first 2 shown]
	v_cmp_ne_u32_e64 s7, 31, v58
	s_and_not1_b32 vcc_lo, exec_lo, s59
	s_add_nc_u64 s[50:51], s[50:51], s[48:49]
	s_cbranch_vccnz .LBB283_42
; %bb.14:                               ;   in Loop: Header=BB283_3 Depth=1
	v_cndmask_b32_e64 v3, 0, 8, s8
	v_cndmask_b32_e64 v4, 0, 4, s6
	;; [unrolled: 1-line block ×3, first 2 shown]
	v_add_co_ci_u32_e64 v13, null, 0, v58, s7
	s_wait_dscnt 0x0
	v_dual_mov_b32 v7, v2 :: v_dual_mov_b32 v8, v2
	s_delay_alu instid0(VALU_DEP_2)
	v_dual_mov_b32 v9, v2 :: v_dual_lshlrev_b32 v65, 2, v13
	v_add_lshl_u32 v62, v3, v58, 2
	v_add_lshl_u32 v63, v4, v58, 2
	v_dual_mov_b32 v3, v2 :: v_dual_mov_b32 v4, v2
	v_dual_mov_b32 v5, v2 :: v_dual_mov_b32 v6, v2
	v_add_lshl_u32 v64, v12, v58, 2
	v_add_nc_u64_e32 v[54:55], v[10:11], v[36:37]
	v_mov_b64_e32 v[16:17], v[8:9]
	v_mov_b64_e32 v[56:57], v[40:41]
	;; [unrolled: 1-line block ×5, first 2 shown]
	s_mov_b32 s24, 0
	s_branch .LBB283_16
.LBB283_15:                             ;   in Loop: Header=BB283_16 Depth=2
	s_wait_xcnt 0x0
	s_or_b32 exec_lo, exec_lo, s6
	v_add_nc_u64_e32 v[56:57], s[42:43], v[56:57]
	s_add_co_i32 s24, s24, 4
	s_delay_alu instid0(SALU_CYCLE_1)
	s_cmp_ge_i32 s24, s57
	s_cbranch_scc1 .LBB283_43
.LBB283_16:                             ;   Parent Loop BB283_3 Depth=1
                                        ; =>  This Loop Header: Depth=2
                                        ;       Child Loop BB283_22 Depth 3
                                        ;       Child Loop BB283_25 Depth 3
	;; [unrolled: 1-line block ×3, first 2 shown]
                                        ; implicit-def: $vgpr18_vgpr19_vgpr20_vgpr21_vgpr22_vgpr23_vgpr24_vgpr25
	s_and_saveexec_b32 s6, s4
	s_delay_alu instid0(SALU_CYCLE_1)
	s_xor_b32 s6, exec_lo, s6
	s_cbranch_execz .LBB283_18
; %bb.17:                               ;   in Loop: Header=BB283_16 Depth=2
	s_or_b32 s8, s24, 1
	s_mov_b32 s9, s25
	s_mul_u64 s[52:53], s[24:25], s[26:27]
	s_mul_u64 s[8:9], s[8:9], s[26:27]
	v_lshl_add_u64 v[8:9], s[52:53], 3, v[40:41]
	v_lshl_add_u64 v[16:17], s[8:9], 3, v[40:41]
	s_or_b32 s8, s24, 2
	s_mov_b32 s9, s25
	s_or_b32 s52, s24, 3
	s_mov_b32 s53, s25
	s_mul_u64 s[8:9], s[8:9], s[26:27]
	s_mul_u64 s[52:53], s[52:53], s[26:27]
	v_lshl_add_u64 v[18:19], s[8:9], 3, v[40:41]
	v_lshl_add_u64 v[20:21], s[52:53], 3, v[40:41]
	flat_load_b64 v[10:11], v[42:43]
	s_clause 0x3
	flat_load_b128 v[4:7], v[8:9]
	flat_load_b128 v[66:69], v[16:17]
	;; [unrolled: 1-line block ×4, first 2 shown]
	s_clause 0x1
	flat_load_b64 v[12:13], v[44:45]
	flat_load_b64 v[14:15], v[46:47]
	s_clause 0x3
	flat_load_b128 v[78:81], v[8:9] offset:16
	flat_load_b128 v[82:85], v[16:17] offset:16
	;; [unrolled: 1-line block ×4, first 2 shown]
	flat_load_b64 v[16:17], v[48:49]
	s_wait_loadcnt_dscnt 0xa0a
	s_wait_xcnt 0x2
	v_fma_f64 v[18:19], v[10:11], v[4:5], 0
	s_wait_loadcnt_dscnt 0x909
	s_wait_xcnt 0x1
	v_fma_f64 v[20:21], v[10:11], v[66:67], 0
	s_wait_loadcnt_dscnt 0x808
	v_fma_f64 v[22:23], v[10:11], v[70:71], 0
	s_wait_loadcnt_dscnt 0x707
	;; [unrolled: 2-line block ×3, first 2 shown]
	s_delay_alu instid0(VALU_DEP_4) | instskip(NEXT) | instid1(VALU_DEP_4)
	v_fmac_f64_e32 v[18:19], v[12:13], v[6:7]
	v_fmac_f64_e32 v[20:21], v[12:13], v[68:69]
	s_delay_alu instid0(VALU_DEP_4) | instskip(NEXT) | instid1(VALU_DEP_4)
	v_fmac_f64_e32 v[22:23], v[12:13], v[72:73]
	v_fmac_f64_e32 v[24:25], v[12:13], v[76:77]
	s_wait_loadcnt_dscnt 0x404
	s_delay_alu instid0(VALU_DEP_4) | instskip(SKIP_1) | instid1(VALU_DEP_4)
	v_fmac_f64_e32 v[18:19], v[14:15], v[78:79]
	s_wait_loadcnt_dscnt 0x303
	v_fmac_f64_e32 v[20:21], v[14:15], v[82:83]
	s_wait_loadcnt_dscnt 0x202
	s_delay_alu instid0(VALU_DEP_4) | instskip(SKIP_1) | instid1(VALU_DEP_4)
	v_fmac_f64_e32 v[22:23], v[14:15], v[86:87]
	s_wait_loadcnt_dscnt 0x101
	v_fmac_f64_e32 v[24:25], v[14:15], v[90:91]
	s_wait_loadcnt_dscnt 0x0
	s_delay_alu instid0(VALU_DEP_4) | instskip(NEXT) | instid1(VALU_DEP_4)
	v_fmac_f64_e32 v[18:19], v[16:17], v[80:81]
	v_fmac_f64_e32 v[20:21], v[16:17], v[84:85]
	s_delay_alu instid0(VALU_DEP_4) | instskip(NEXT) | instid1(VALU_DEP_4)
	v_fmac_f64_e32 v[22:23], v[16:17], v[88:89]
	v_fmac_f64_e32 v[24:25], v[16:17], v[92:93]
.LBB283_18:                             ;   in Loop: Header=BB283_16 Depth=2
	s_wait_xcnt 0x0
	s_and_not1_saveexec_b32 s11, s6
	s_cbranch_execz .LBB283_28
; %bb.19:                               ;   in Loop: Header=BB283_16 Depth=2
	v_dual_mov_b32 v7, v2 :: v_dual_mov_b32 v8, v2
	v_dual_mov_b32 v9, v2 :: v_dual_mov_b32 v3, v2
	;; [unrolled: 1-line block ×3, first 2 shown]
	v_mov_b32_e32 v6, v2
	s_delay_alu instid0(VALU_DEP_3) | instskip(NEXT) | instid1(VALU_DEP_4)
	v_mov_b64_e32 v[24:25], v[8:9]
	v_mov_b64_e32 v[18:19], v[2:3]
	s_delay_alu instid0(VALU_DEP_4) | instskip(NEXT) | instid1(VALU_DEP_4)
	v_mov_b64_e32 v[20:21], v[4:5]
	v_mov_b64_e32 v[22:23], v[6:7]
	s_and_saveexec_b32 s12, s5
	s_cbranch_execz .LBB283_27
; %bb.20:                               ;   in Loop: Header=BB283_16 Depth=2
	s_and_not1_b32 vcc_lo, exec_lo, s60
	s_cbranch_vccnz .LBB283_23
; %bb.21:                               ;   in Loop: Header=BB283_16 Depth=2
	v_mov_b64_e32 v[4:5], v[54:55]
	s_mov_b64 s[52:53], 0
.LBB283_22:                             ;   Parent Loop BB283_3 Depth=1
                                        ;     Parent Loop BB283_16 Depth=2
                                        ; =>    This Inner Loop Header: Depth=3
	flat_load_b64 v[6:7], v[4:5]
	s_cmp_eq_u32 s52, 3
	s_wait_xcnt 0x0
	v_add_nc_u64_e32 v[4:5], s[40:41], v[4:5]
	s_cselect_b32 vcc_lo, -1, 0
	s_cmp_eq_u32 s52, 2
	s_cselect_b32 s6, -1, 0
	s_cmp_eq_u32 s52, 1
	s_cselect_b32 s7, -1, 0
	s_cmp_eq_u32 s52, 0
	s_add_nc_u64 s[52:53], s[52:53], 1
	s_cselect_b32 s8, -1, 0
	s_cmp_eq_u32 s58, s52
	s_wait_loadcnt_dscnt 0x0
	v_dual_cndmask_b32 v17, v17, v7 :: v_dual_cndmask_b32 v16, v16, v6
	v_dual_cndmask_b32 v15, v15, v7, s6 :: v_dual_cndmask_b32 v14, v14, v6, s6
	v_dual_cndmask_b32 v13, v13, v7, s7 :: v_dual_cndmask_b32 v12, v12, v6, s7
	;; [unrolled: 1-line block ×3, first 2 shown]
	s_cbranch_scc0 .LBB283_22
.LBB283_23:                             ;   in Loop: Header=BB283_16 Depth=2
	s_and_not1_b32 vcc_lo, exec_lo, s60
	s_cbranch_vccnz .LBB283_26
; %bb.24:                               ;   in Loop: Header=BB283_16 Depth=2
	v_mov_b64_e32 v[18:19], 0
	v_mov_b64_e32 v[20:21], 0
	;; [unrolled: 1-line block ×5, first 2 shown]
	s_mov_b64 s[8:9], 0
.LBB283_25:                             ;   Parent Loop BB283_3 Depth=1
                                        ;     Parent Loop BB283_16 Depth=2
                                        ; =>    This Inner Loop Header: Depth=3
	s_wait_xcnt 0x2
	s_delay_alu instid0(VALU_DEP_1)
	v_add_nc_u64_e32 v[6:7], s[46:47], v[4:5]
	s_wait_xcnt 0x1
	v_add_nc_u64_e32 v[8:9], s[44:45], v[4:5]
	s_wait_xcnt 0x0
	v_add_nc_u64_e32 v[66:67], s[36:37], v[4:5]
	s_cmp_eq_u32 s8, 1
	s_clause 0x3
	flat_load_b64 v[68:69], v[4:5]
	flat_load_b64 v[6:7], v[6:7]
	;; [unrolled: 1-line block ×4, first 2 shown]
	s_cselect_b32 vcc_lo, -1, 0
	s_cmp_eq_u32 s8, 2
	v_dual_cndmask_b32 v3, v11, v13 :: v_dual_cndmask_b32 v70, v10, v12
	s_cselect_b32 vcc_lo, -1, 0
	s_cmp_eq_u32 s8, 3
	s_wait_xcnt 0x3
	v_add_nc_u64_e32 v[4:5], 8, v[4:5]
	v_dual_cndmask_b32 v3, v3, v15 :: v_dual_cndmask_b32 v70, v70, v14
	s_cselect_b32 s6, -1, 0
	s_add_nc_u64 s[8:9], s[8:9], 1
	s_delay_alu instid0(VALU_DEP_1) | instskip(SKIP_2) | instid1(VALU_DEP_1)
	v_dual_cndmask_b32 v71, v3, v17, s6 :: v_dual_cndmask_b32 v70, v70, v16, s6
	s_cmp_lg_u32 s58, s8
	s_wait_loadcnt_dscnt 0x303
	v_fmac_f64_e32 v[18:19], v[70:71], v[68:69]
	s_wait_loadcnt_dscnt 0x202
	v_fmac_f64_e32 v[20:21], v[70:71], v[6:7]
	;; [unrolled: 2-line block ×4, first 2 shown]
	s_cbranch_scc1 .LBB283_25
	s_branch .LBB283_27
.LBB283_26:                             ;   in Loop: Header=BB283_16 Depth=2
	v_dual_mov_b32 v7, v2 :: v_dual_mov_b32 v8, v2
	v_dual_mov_b32 v9, v2 :: v_dual_mov_b32 v3, v2
	;; [unrolled: 1-line block ×3, first 2 shown]
	v_mov_b32_e32 v6, v2
	s_delay_alu instid0(VALU_DEP_3) | instskip(NEXT) | instid1(VALU_DEP_4)
	v_mov_b64_e32 v[24:25], v[8:9]
	v_mov_b64_e32 v[18:19], v[2:3]
	s_delay_alu instid0(VALU_DEP_4) | instskip(NEXT) | instid1(VALU_DEP_4)
	v_mov_b64_e32 v[20:21], v[4:5]
	v_mov_b64_e32 v[22:23], v[6:7]
.LBB283_27:                             ;   in Loop: Header=BB283_16 Depth=2
	s_wait_xcnt 0x0
	s_or_b32 exec_lo, exec_lo, s12
.LBB283_28:                             ;   in Loop: Header=BB283_16 Depth=2
	s_delay_alu instid0(SALU_CYCLE_1)
	s_or_b32 exec_lo, exec_lo, s11
	s_mov_b64 s[6:7], 0
	s_branch .LBB283_30
.LBB283_29:                             ;   in Loop: Header=BB283_30 Depth=3
	s_or_b32 exec_lo, exec_lo, s8
	s_cmp_eq_u32 s6, 3
	s_cselect_b32 vcc_lo, -1, 0
	s_cmp_eq_u32 s6, 2
	s_wait_dscnt 0x0
	s_delay_alu instid0(VALU_DEP_1)
	v_dual_cndmask_b32 v25, v25, v5 :: v_dual_cndmask_b32 v24, v24, v4
	s_cselect_b32 vcc_lo, -1, 0
	s_cmp_eq_u32 s6, 1
	v_dual_cndmask_b32 v23, v23, v5 :: v_dual_cndmask_b32 v22, v22, v4
	s_cselect_b32 vcc_lo, -1, 0
	s_cmp_eq_u32 s6, 0
	v_dual_cndmask_b32 v21, v21, v5 :: v_dual_cndmask_b32 v20, v20, v4
	s_cselect_b32 vcc_lo, -1, 0
	s_add_nc_u64 s[6:7], s[6:7], 1
	v_dual_cndmask_b32 v19, v19, v5 :: v_dual_cndmask_b32 v18, v18, v4
	s_cmp_eq_u32 s6, 4
	s_cbranch_scc1 .LBB283_38
.LBB283_30:                             ;   Parent Loop BB283_3 Depth=1
                                        ;     Parent Loop BB283_16 Depth=2
                                        ; =>    This Inner Loop Header: Depth=3
	s_and_saveexec_b32 s8, s1
; %bb.31:                               ;   in Loop: Header=BB283_30 Depth=3
	ds_store_b64 v59, v[38:39]
; %bb.32:                               ;   in Loop: Header=BB283_30 Depth=3
	s_or_b32 exec_lo, exec_lo, s8
	s_cmp_eq_u32 s6, 1
	s_wait_storecnt_dscnt 0x0
	s_cselect_b32 vcc_lo, -1, 0
	s_cmp_eq_u32 s6, 2
	v_dual_cndmask_b32 v3, v19, v21 :: v_dual_cndmask_b32 v4, v18, v20
	s_cselect_b32 vcc_lo, -1, 0
	s_cmp_eq_u32 s6, 3
	s_barrier_signal -1
	s_delay_alu instid0(VALU_DEP_1) | instskip(SKIP_2) | instid1(VALU_DEP_1)
	v_dual_cndmask_b32 v3, v3, v23 :: v_dual_cndmask_b32 v4, v4, v22
	s_cselect_b32 vcc_lo, -1, 0
	s_barrier_wait -1
	v_dual_cndmask_b32 v5, v3, v25 :: v_dual_cndmask_b32 v4, v4, v24
	ds_bpermute_b32 v7, v61, v5
	ds_bpermute_b32 v6, v61, v4
	s_wait_dscnt 0x0
	v_add_f64_e32 v[4:5], v[4:5], v[6:7]
	ds_bpermute_b32 v6, v62, v4
	ds_bpermute_b32 v7, v62, v5
	s_wait_dscnt 0x0
	v_add_f64_e32 v[4:5], v[4:5], v[6:7]
	;; [unrolled: 4-line block ×4, first 2 shown]
	ds_bpermute_b32 v6, v65, v4
	ds_bpermute_b32 v7, v65, v5
	s_and_saveexec_b32 s8, s3
	s_cbranch_execz .LBB283_34
; %bb.33:                               ;   in Loop: Header=BB283_30 Depth=3
	s_wait_dscnt 0x0
	v_add_f64_e32 v[4:5], v[4:5], v[6:7]
	ds_store_b64 v60, v[4:5]
.LBB283_34:                             ;   in Loop: Header=BB283_30 Depth=3
	s_or_b32 exec_lo, exec_lo, s8
	v_mov_b64_e32 v[4:5], 0
	s_wait_dscnt 0x0
	s_barrier_signal -1
	s_barrier_wait -1
	s_and_saveexec_b32 s8, s2
; %bb.35:                               ;   in Loop: Header=BB283_30 Depth=3
	ds_load_b64 v[4:5], v59
; %bb.36:                               ;   in Loop: Header=BB283_30 Depth=3
	s_or_b32 exec_lo, exec_lo, s8
	s_and_saveexec_b32 s8, s1
	s_cbranch_execz .LBB283_29
; %bb.37:                               ;   in Loop: Header=BB283_30 Depth=3
	s_wait_dscnt 0x0
	ds_bpermute_b32 v6, v63, v4
	ds_bpermute_b32 v7, v63, v5
	s_wait_dscnt 0x0
	v_add_f64_e32 v[4:5], v[4:5], v[6:7]
	ds_bpermute_b32 v6, v64, v4
	ds_bpermute_b32 v7, v64, v5
	s_wait_dscnt 0x0
	v_add_f64_e32 v[4:5], v[4:5], v[6:7]
	;; [unrolled: 4-line block ×3, first 2 shown]
	s_branch .LBB283_29
.LBB283_38:                             ;   in Loop: Header=BB283_16 Depth=2
	s_and_saveexec_b32 s6, s0
	s_cbranch_execz .LBB283_15
; %bb.39:                               ;   in Loop: Header=BB283_16 Depth=2
	v_mul_f64_e32 v[4:5], s[14:15], v[18:19]
	v_mul_f64_e32 v[6:7], s[14:15], v[20:21]
	;; [unrolled: 1-line block ×4, first 2 shown]
	s_or_b32 s52, s24, 1
	s_mov_b32 s53, s25
	s_mul_u64 s[8:9], s[24:25], s[30:31]
	s_or_b32 s62, s24, 2
	s_mov_b32 s63, s25
	s_or_b32 s64, s24, 3
	s_mov_b32 s65, s25
	s_mul_u64 s[52:53], s[52:53], s[30:31]
	s_lshl_b64 s[8:9], s[8:9], 3
	s_mul_u64 s[62:63], s[62:63], s[30:31]
	s_mul_u64 s[64:65], s[64:65], s[30:31]
	s_lshl_b64 s[52:53], s[52:53], 3
	s_add_nc_u64 s[8:9], s[50:51], s[8:9]
	s_lshl_b64 s[62:63], s[62:63], 3
	s_lshl_b64 s[64:65], s[64:65], 3
	s_add_nc_u64 s[52:53], s[50:51], s[52:53]
	s_add_nc_u64 s[62:63], s[50:51], s[62:63]
	;; [unrolled: 1-line block ×3, first 2 shown]
	s_clause 0x3
	global_store_b64 v2, v[4:5], s[8:9]
	global_store_b64 v2, v[6:7], s[52:53]
	;; [unrolled: 1-line block ×4, first 2 shown]
	s_branch .LBB283_15
.LBB283_40:                             ;   in Loop: Header=BB283_3 Depth=1
	v_mov_b64_e32 v[10:11], 0
	v_mov_b64_e32 v[52:53], 0
	s_cbranch_execnz .LBB283_5
.LBB283_41:                             ;   in Loop: Header=BB283_3 Depth=1
	s_lshl_b64 s[6:7], s[10:11], 3
	s_delay_alu instid0(SALU_CYCLE_1)
	s_add_nc_u64 s[6:7], s[16:17], s[6:7]
	global_load_b64 v[4:5], v2, s[6:7]
	s_wait_loadcnt 0x0
	v_add_nc_u64_e32 v[52:53], s[18:19], v[4:5]
	s_and_not1_b32 vcc_lo, exec_lo, s56
	s_cbranch_vccz .LBB283_6
	s_branch .LBB283_7
.LBB283_42:                             ;   in Loop: Header=BB283_3 Depth=1
	s_wait_dscnt 0x0
	v_dual_mov_b32 v7, v2 :: v_dual_mov_b32 v8, v2
	v_dual_mov_b32 v9, v2 :: v_dual_mov_b32 v3, v2
	;; [unrolled: 1-line block ×3, first 2 shown]
	v_mov_b32_e32 v6, v2
	s_delay_alu instid0(VALU_DEP_3) | instskip(NEXT) | instid1(VALU_DEP_4)
	v_mov_b64_e32 v[16:17], v[8:9]
	v_mov_b64_e32 v[10:11], v[2:3]
	s_mov_b32 s24, 0
	v_mov_b64_e32 v[12:13], v[4:5]
	v_mov_b64_e32 v[14:15], v[6:7]
.LBB283_43:                             ;   in Loop: Header=BB283_3 Depth=1
	s_cmp_ge_i32 s24, s13
	s_cbranch_scc1 .LBB283_2
; %bb.44:                               ;   in Loop: Header=BB283_3 Depth=1
	v_cmp_gt_u32_e32 vcc_lo, 24, v58
	v_add_nc_u64_e32 v[4:5], v[52:53], v[34:35]
	v_cndmask_b32_e64 v3, 0, 8, vcc_lo
	v_cmp_gt_u32_e32 vcc_lo, 28, v58
	s_delay_alu instid0(VALU_DEP_3) | instskip(NEXT) | instid1(VALU_DEP_3)
	v_mad_nc_u64_u32 v[4:5], s46, s24, v[4:5]
	v_add_lshl_u32 v3, v3, v58, 2
	v_cndmask_b32_e64 v6, 0, 4, vcc_lo
	v_cmp_gt_u32_e32 vcc_lo, 30, v58
	s_delay_alu instid0(VALU_DEP_2) | instskip(SKIP_3) | instid1(VALU_DEP_3)
	v_add_lshl_u32 v18, v6, v58, 2
	v_cndmask_b32_e64 v7, 0, 2, vcc_lo
	v_cmp_ne_u32_e32 vcc_lo, 31, v58
	v_mad_u32 v5, s47, s24, v5
	v_add_lshl_u32 v19, v7, v58, 2
	v_add_co_ci_u32_e64 v8, null, 0, v58, vcc_lo
	s_delay_alu instid0(VALU_DEP_1)
	v_lshlrev_b32_e32 v20, 2, v8
	s_branch .LBB283_46
.LBB283_45:                             ;   in Loop: Header=BB283_46 Depth=2
	s_wait_xcnt 0x0
	s_or_b32 exec_lo, exec_lo, s6
	v_add_nc_u64_e32 v[4:5], s[46:47], v[4:5]
	s_add_co_i32 s24, s24, 1
	s_delay_alu instid0(SALU_CYCLE_1)
	s_cmp_ge_i32 s24, s13
	s_cbranch_scc1 .LBB283_2
.LBB283_46:                             ;   Parent Loop BB283_3 Depth=1
                                        ; =>  This Loop Header: Depth=2
                                        ;       Child Loop BB283_59 Depth 3
                                        ;       Child Loop BB283_62 Depth 3
	s_wait_dscnt 0x0
	v_dual_mov_b32 v6, s25 :: v_dual_mov_b32 v7, s25
	s_and_saveexec_b32 s6, s4
	s_delay_alu instid0(SALU_CYCLE_1)
	s_xor_b32 s6, exec_lo, s6
	s_cbranch_execnz .LBB283_55
; %bb.47:                               ;   in Loop: Header=BB283_46 Depth=2
	s_and_not1_saveexec_b32 s9, s6
	s_cbranch_execnz .LBB283_56
.LBB283_48:                             ;   in Loop: Header=BB283_46 Depth=2
	s_or_b32 exec_lo, exec_lo, s9
	s_and_saveexec_b32 s6, s1
.LBB283_49:                             ;   in Loop: Header=BB283_46 Depth=2
	ds_store_b64 v59, v[38:39]
.LBB283_50:                             ;   in Loop: Header=BB283_46 Depth=2
	s_or_b32 exec_lo, exec_lo, s6
	ds_bpermute_b32 v8, v61, v6
	ds_bpermute_b32 v9, v61, v7
	s_wait_storecnt_dscnt 0x0
	s_barrier_signal -1
	s_barrier_wait -1
	v_add_f64_e32 v[6:7], v[6:7], v[8:9]
	ds_bpermute_b32 v8, v3, v6
	ds_bpermute_b32 v9, v3, v7
	s_wait_dscnt 0x0
	v_add_f64_e32 v[6:7], v[6:7], v[8:9]
	ds_bpermute_b32 v8, v18, v6
	ds_bpermute_b32 v9, v18, v7
	s_wait_dscnt 0x0
	;; [unrolled: 4-line block ×3, first 2 shown]
	v_add_f64_e32 v[6:7], v[6:7], v[8:9]
	ds_bpermute_b32 v8, v20, v6
	ds_bpermute_b32 v9, v20, v7
	s_and_saveexec_b32 s6, s3
	s_cbranch_execz .LBB283_52
; %bb.51:                               ;   in Loop: Header=BB283_46 Depth=2
	s_wait_dscnt 0x0
	v_add_f64_e32 v[6:7], v[6:7], v[8:9]
	ds_store_b64 v60, v[6:7]
.LBB283_52:                             ;   in Loop: Header=BB283_46 Depth=2
	s_or_b32 exec_lo, exec_lo, s6
	v_mov_b64_e32 v[6:7], 0
	s_wait_dscnt 0x0
	s_barrier_signal -1
	s_barrier_wait -1
	s_and_saveexec_b32 s6, s2
	s_cbranch_execnz .LBB283_64
; %bb.53:                               ;   in Loop: Header=BB283_46 Depth=2
	s_or_b32 exec_lo, exec_lo, s6
	s_and_saveexec_b32 s6, s1
	s_cbranch_execnz .LBB283_65
.LBB283_54:                             ;   in Loop: Header=BB283_46 Depth=2
	s_or_b32 exec_lo, exec_lo, s6
	s_and_saveexec_b32 s6, s0
	s_cbranch_execz .LBB283_45
	s_branch .LBB283_66
.LBB283_55:                             ;   in Loop: Header=BB283_46 Depth=2
	s_mul_u64 s[8:9], s[24:25], s[26:27]
	s_delay_alu instid0(SALU_CYCLE_1)
	v_lshl_add_u64 v[14:15], s[8:9], 3, v[40:41]
	flat_load_b128 v[6:9], v[14:15]
	s_clause 0x1
	flat_load_b64 v[10:11], v[42:43]
	flat_load_b64 v[12:13], v[44:45]
	flat_load_b128 v[22:25], v[14:15] offset:16
	s_clause 0x1
	flat_load_b64 v[14:15], v[46:47]
	flat_load_b64 v[16:17], v[48:49]
	s_wait_loadcnt_dscnt 0x404
	v_fma_f64 v[6:7], v[10:11], v[6:7], 0
	s_wait_loadcnt_dscnt 0x303
	s_delay_alu instid0(VALU_DEP_1) | instskip(SKIP_1) | instid1(VALU_DEP_1)
	v_fmac_f64_e32 v[6:7], v[12:13], v[8:9]
	s_wait_loadcnt_dscnt 0x101
	v_fmac_f64_e32 v[6:7], v[14:15], v[22:23]
	s_wait_loadcnt_dscnt 0x0
	s_delay_alu instid0(VALU_DEP_1)
	v_fmac_f64_e32 v[6:7], v[16:17], v[24:25]
	s_wait_xcnt 0x0
	s_and_not1_saveexec_b32 s9, s6
	s_cbranch_execz .LBB283_48
.LBB283_56:                             ;   in Loop: Header=BB283_46 Depth=2
	s_and_saveexec_b32 s11, s5
	s_cbranch_execz .LBB283_63
; %bb.57:                               ;   in Loop: Header=BB283_46 Depth=2
	s_and_not1_b32 vcc_lo, exec_lo, s60
	s_cbranch_vccnz .LBB283_60
; %bb.58:                               ;   in Loop: Header=BB283_46 Depth=2
	v_mov_b64_e32 v[8:9], v[50:51]
	s_mov_b64 s[52:53], 0
.LBB283_59:                             ;   Parent Loop BB283_3 Depth=1
                                        ;     Parent Loop BB283_46 Depth=2
                                        ; =>    This Inner Loop Header: Depth=3
	flat_load_b64 v[22:23], v[8:9]
	s_cmp_eq_u32 s52, 3
	s_wait_xcnt 0x0
	v_add_nc_u64_e32 v[8:9], s[40:41], v[8:9]
	s_cselect_b32 vcc_lo, -1, 0
	s_cmp_eq_u32 s52, 2
	s_cselect_b32 s6, -1, 0
	s_cmp_eq_u32 s52, 1
	s_cselect_b32 s7, -1, 0
	s_cmp_eq_u32 s52, 0
	s_add_nc_u64 s[52:53], s[52:53], 1
	s_cselect_b32 s8, -1, 0
	s_cmp_eq_u32 s58, s52
	s_wait_loadcnt_dscnt 0x0
	v_dual_cndmask_b32 v17, v17, v23 :: v_dual_cndmask_b32 v16, v16, v22
	v_dual_cndmask_b32 v15, v15, v23, s6 :: v_dual_cndmask_b32 v14, v14, v22, s6
	v_dual_cndmask_b32 v13, v13, v23, s7 :: v_dual_cndmask_b32 v12, v12, v22, s7
	;; [unrolled: 1-line block ×3, first 2 shown]
	s_cbranch_scc0 .LBB283_59
.LBB283_60:                             ;   in Loop: Header=BB283_46 Depth=2
	s_and_not1_b32 vcc_lo, exec_lo, s60
	s_cbranch_vccnz .LBB283_63
; %bb.61:                               ;   in Loop: Header=BB283_46 Depth=2
	v_mov_b64_e32 v[8:9], v[4:5]
	s_mov_b64 s[6:7], 0
.LBB283_62:                             ;   Parent Loop BB283_3 Depth=1
                                        ;     Parent Loop BB283_46 Depth=2
                                        ; =>    This Inner Loop Header: Depth=3
	flat_load_b64 v[22:23], v[8:9]
	s_cmp_eq_u32 s6, 1
	s_wait_xcnt 0x0
	v_add_nc_u64_e32 v[8:9], 8, v[8:9]
	s_cselect_b32 vcc_lo, -1, 0
	s_cmp_eq_u32 s6, 2
	v_dual_cndmask_b32 v21, v11, v13 :: v_dual_cndmask_b32 v24, v10, v12
	s_cselect_b32 vcc_lo, -1, 0
	s_cmp_eq_u32 s6, 3
	s_add_nc_u64 s[6:7], s[6:7], 1
	s_delay_alu instid0(VALU_DEP_1) | instskip(SKIP_2) | instid1(VALU_DEP_1)
	v_dual_cndmask_b32 v21, v21, v15 :: v_dual_cndmask_b32 v24, v24, v14
	s_cselect_b32 vcc_lo, -1, 0
	s_cmp_lg_u32 s58, s6
	v_dual_cndmask_b32 v25, v21, v17 :: v_dual_cndmask_b32 v24, v24, v16
	s_wait_loadcnt_dscnt 0x0
	s_delay_alu instid0(VALU_DEP_1)
	v_fmac_f64_e32 v[6:7], v[24:25], v[22:23]
	s_cbranch_scc1 .LBB283_62
.LBB283_63:                             ;   in Loop: Header=BB283_46 Depth=2
	s_or_b32 exec_lo, exec_lo, s11
	s_delay_alu instid0(SALU_CYCLE_1)
	s_or_b32 exec_lo, exec_lo, s9
	s_and_saveexec_b32 s6, s1
	s_cbranch_execnz .LBB283_49
	s_branch .LBB283_50
.LBB283_64:                             ;   in Loop: Header=BB283_46 Depth=2
	ds_load_b64 v[6:7], v59
	s_or_b32 exec_lo, exec_lo, s6
	s_and_saveexec_b32 s6, s1
	s_cbranch_execz .LBB283_54
.LBB283_65:                             ;   in Loop: Header=BB283_46 Depth=2
	s_wait_dscnt 0x0
	ds_bpermute_b32 v8, v18, v6
	ds_bpermute_b32 v9, v18, v7
	s_wait_dscnt 0x0
	v_add_f64_e32 v[6:7], v[6:7], v[8:9]
	ds_bpermute_b32 v8, v19, v6
	ds_bpermute_b32 v9, v19, v7
	s_wait_dscnt 0x0
	v_add_f64_e32 v[6:7], v[6:7], v[8:9]
	ds_bpermute_b32 v8, v20, v6
	ds_bpermute_b32 v9, v20, v7
	s_wait_dscnt 0x0
	v_add_f64_e32 v[6:7], v[6:7], v[8:9]
	s_or_b32 exec_lo, exec_lo, s6
	s_and_saveexec_b32 s6, s0
	s_cbranch_execz .LBB283_45
.LBB283_66:                             ;   in Loop: Header=BB283_46 Depth=2
	s_wait_dscnt 0x0
	s_delay_alu instid0(VALU_DEP_1) | instskip(SKIP_1) | instid1(SALU_CYCLE_1)
	v_mul_f64_e32 v[6:7], s[14:15], v[6:7]
	s_mul_u64 s[8:9], s[24:25], s[30:31]
	s_lshl_b64 s[8:9], s[8:9], 3
	s_delay_alu instid0(SALU_CYCLE_1)
	s_add_nc_u64 s[8:9], s[50:51], s[8:9]
	global_store_b64 v2, v[6:7], s[8:9]
	s_branch .LBB283_45
.LBB283_67:
	s_sendmsg sendmsg(MSG_DEALLOC_VGPRS)
	s_endpgm
	.section	.rodata,"a",@progbits
	.p2align	6, 0x0
	.amdhsa_kernel _ZL23rocblas_gemvt_sn_kernelILb1ELi256ELi4ElPKdddEviiT4_lPKT3_lilS5_lilPT5_i
		.amdhsa_group_segment_fixed_size 256
		.amdhsa_private_segment_fixed_size 0
		.amdhsa_kernarg_size 360
		.amdhsa_user_sgpr_count 2
		.amdhsa_user_sgpr_dispatch_ptr 0
		.amdhsa_user_sgpr_queue_ptr 0
		.amdhsa_user_sgpr_kernarg_segment_ptr 1
		.amdhsa_user_sgpr_dispatch_id 0
		.amdhsa_user_sgpr_kernarg_preload_length 0
		.amdhsa_user_sgpr_kernarg_preload_offset 0
		.amdhsa_user_sgpr_private_segment_size 0
		.amdhsa_wavefront_size32 1
		.amdhsa_uses_dynamic_stack 0
		.amdhsa_enable_private_segment 0
		.amdhsa_system_sgpr_workgroup_id_x 1
		.amdhsa_system_sgpr_workgroup_id_y 0
		.amdhsa_system_sgpr_workgroup_id_z 1
		.amdhsa_system_sgpr_workgroup_info 0
		.amdhsa_system_vgpr_workitem_id 0
		.amdhsa_next_free_vgpr 94
		.amdhsa_next_free_sgpr 66
		.amdhsa_named_barrier_count 0
		.amdhsa_reserve_vcc 1
		.amdhsa_float_round_mode_32 0
		.amdhsa_float_round_mode_16_64 0
		.amdhsa_float_denorm_mode_32 3
		.amdhsa_float_denorm_mode_16_64 3
		.amdhsa_fp16_overflow 0
		.amdhsa_memory_ordered 1
		.amdhsa_forward_progress 1
		.amdhsa_inst_pref_size 28
		.amdhsa_round_robin_scheduling 0
		.amdhsa_exception_fp_ieee_invalid_op 0
		.amdhsa_exception_fp_denorm_src 0
		.amdhsa_exception_fp_ieee_div_zero 0
		.amdhsa_exception_fp_ieee_overflow 0
		.amdhsa_exception_fp_ieee_underflow 0
		.amdhsa_exception_fp_ieee_inexact 0
		.amdhsa_exception_int_div_zero 0
	.end_amdhsa_kernel
	.section	.text._ZL23rocblas_gemvt_sn_kernelILb1ELi256ELi4ElPKdddEviiT4_lPKT3_lilS5_lilPT5_i,"axG",@progbits,_ZL23rocblas_gemvt_sn_kernelILb1ELi256ELi4ElPKdddEviiT4_lPKT3_lilS5_lilPT5_i,comdat
.Lfunc_end283:
	.size	_ZL23rocblas_gemvt_sn_kernelILb1ELi256ELi4ElPKdddEviiT4_lPKT3_lilS5_lilPT5_i, .Lfunc_end283-_ZL23rocblas_gemvt_sn_kernelILb1ELi256ELi4ElPKdddEviiT4_lPKT3_lilS5_lilPT5_i
                                        ; -- End function
	.set _ZL23rocblas_gemvt_sn_kernelILb1ELi256ELi4ElPKdddEviiT4_lPKT3_lilS5_lilPT5_i.num_vgpr, 94
	.set _ZL23rocblas_gemvt_sn_kernelILb1ELi256ELi4ElPKdddEviiT4_lPKT3_lilS5_lilPT5_i.num_agpr, 0
	.set _ZL23rocblas_gemvt_sn_kernelILb1ELi256ELi4ElPKdddEviiT4_lPKT3_lilS5_lilPT5_i.numbered_sgpr, 66
	.set _ZL23rocblas_gemvt_sn_kernelILb1ELi256ELi4ElPKdddEviiT4_lPKT3_lilS5_lilPT5_i.num_named_barrier, 0
	.set _ZL23rocblas_gemvt_sn_kernelILb1ELi256ELi4ElPKdddEviiT4_lPKT3_lilS5_lilPT5_i.private_seg_size, 0
	.set _ZL23rocblas_gemvt_sn_kernelILb1ELi256ELi4ElPKdddEviiT4_lPKT3_lilS5_lilPT5_i.uses_vcc, 1
	.set _ZL23rocblas_gemvt_sn_kernelILb1ELi256ELi4ElPKdddEviiT4_lPKT3_lilS5_lilPT5_i.uses_flat_scratch, 1
	.set _ZL23rocblas_gemvt_sn_kernelILb1ELi256ELi4ElPKdddEviiT4_lPKT3_lilS5_lilPT5_i.has_dyn_sized_stack, 0
	.set _ZL23rocblas_gemvt_sn_kernelILb1ELi256ELi4ElPKdddEviiT4_lPKT3_lilS5_lilPT5_i.has_recursion, 0
	.set _ZL23rocblas_gemvt_sn_kernelILb1ELi256ELi4ElPKdddEviiT4_lPKT3_lilS5_lilPT5_i.has_indirect_call, 0
	.section	.AMDGPU.csdata,"",@progbits
; Kernel info:
; codeLenInByte = 3532
; TotalNumSgprs: 68
; NumVgprs: 94
; ScratchSize: 0
; MemoryBound: 1
; FloatMode: 240
; IeeeMode: 1
; LDSByteSize: 256 bytes/workgroup (compile time only)
; SGPRBlocks: 0
; VGPRBlocks: 5
; NumSGPRsForWavesPerEU: 68
; NumVGPRsForWavesPerEU: 94
; NamedBarCnt: 0
; Occupancy: 10
; WaveLimiterHint : 0
; COMPUTE_PGM_RSRC2:SCRATCH_EN: 0
; COMPUTE_PGM_RSRC2:USER_SGPR: 2
; COMPUTE_PGM_RSRC2:TRAP_HANDLER: 0
; COMPUTE_PGM_RSRC2:TGID_X_EN: 1
; COMPUTE_PGM_RSRC2:TGID_Y_EN: 0
; COMPUTE_PGM_RSRC2:TGID_Z_EN: 1
; COMPUTE_PGM_RSRC2:TIDIG_COMP_CNT: 0
	.section	.text._ZL36rocblas_gemvt_double_buffered_kernelILb1ELi128ELi4ELi16EPKdS1_KPdEviiT4_lPKT3_lilS7_lilPT5_lili,"axG",@progbits,_ZL36rocblas_gemvt_double_buffered_kernelILb1ELi128ELi4ELi16EPKdS1_KPdEviiT4_lPKT3_lilS7_lilPT5_lili,comdat
	.globl	_ZL36rocblas_gemvt_double_buffered_kernelILb1ELi128ELi4ELi16EPKdS1_KPdEviiT4_lPKT3_lilS7_lilPT5_lili ; -- Begin function _ZL36rocblas_gemvt_double_buffered_kernelILb1ELi128ELi4ELi16EPKdS1_KPdEviiT4_lPKT3_lilS7_lilPT5_lili
	.p2align	8
	.type	_ZL36rocblas_gemvt_double_buffered_kernelILb1ELi128ELi4ELi16EPKdS1_KPdEviiT4_lPKT3_lilS7_lilPT5_lili,@function
_ZL36rocblas_gemvt_double_buffered_kernelILb1ELi128ELi4ELi16EPKdS1_KPdEviiT4_lPKT3_lilS7_lilPT5_lili: ; @_ZL36rocblas_gemvt_double_buffered_kernelILb1ELi128ELi4ELi16EPKdS1_KPdEviiT4_lPKT3_lilS7_lilPT5_lili
; %bb.0:
	s_load_b32 s33, s[0:1], 0x78
	s_bfe_u32 s2, ttmp6, 0x40014
	s_lshr_b32 s3, ttmp7, 16
	s_add_co_i32 s2, s2, 1
	s_bfe_u32 s4, ttmp6, 0x40008
	s_mul_i32 s2, s3, s2
	s_getreg_b32 s23, hwreg(HW_REG_IB_STS2, 6, 4)
	s_add_co_i32 s4, s4, s2
	s_cmp_eq_u32 s23, 0
	s_cselect_b32 s2, s3, s4
	s_mov_b32 s3, 0
	s_wait_kmcnt 0x0
	s_cmp_ge_u32 s2, s33
	s_cbranch_scc1 .LBB284_15
; %bb.1:
	s_clause 0x6
	s_load_b32 s22, s[0:1], 0x0
	s_load_b32 s30, s[0:1], 0x28
	s_load_b128 s[12:15], s[0:1], 0x38
	s_load_b32 s20, s[0:1], 0x48
	s_load_b128 s[16:19], s[0:1], 0x58
	s_load_b32 s34, s[0:1], 0x68
	s_load_b256 s[4:11], s[0:1], 0x8
	v_and_b32_e32 v8, 0x3ff, v0
	v_bfe_u32 v1, v0, 10, 10
	s_bfe_u32 s24, ttmp6, 0x4000c
	s_and_b32 s21, ttmp6, 15
	s_add_co_i32 s24, s24, 1
	s_bfe_u32 s26, ttmp6, 0x40010
	v_lshl_add_u32 v4, v1, 7, v8
	s_mul_i32 s24, ttmp9, s24
	s_and_b32 s25, ttmp7, 0xffff
	s_add_co_i32 s24, s21, s24
	s_add_co_i32 s26, s26, 1
	v_dual_lshrrev_b32 v5, 2, v4 :: v_dual_mov_b32 v3, 0
	s_wait_kmcnt 0x0
	s_ashr_i32 s21, s22, 31
	s_bfe_u32 s27, ttmp6, 0x40004
	s_lshr_b32 s28, s21, 25
	s_mul_i32 s26, s25, s26
	s_add_co_i32 s22, s22, s28
	v_and_b32_e32 v6, 0x7ff0, v5
	v_and_b32_e32 v2, 63, v0
	s_ashr_i32 s31, s30, 31
	s_ashr_i32 s21, s20, 31
	;; [unrolled: 1-line block ×4, first 2 shown]
	s_add_co_i32 s27, s27, s26
	s_cmp_eq_u32 s23, 0
	v_lshlrev_b32_e32 v40, 9, v6
	s_cselect_b32 s42, s25, s27
	s_cselect_b32 s23, ttmp9, s24
	s_add_nc_u64 s[24:25], s[0:1], 0x80
	v_mad_nc_i64_i32 v[10:11], s30, v6, v[2:3]
	v_lshlrev_b32_e32 v2, 3, v2
	v_lshl_or_b32 v41, v5, 9, 0x1e00
	v_dual_add_nc_u32 v5, 1, v8 :: v_dual_add_nc_u32 v6, 2, v8
	v_cmp_eq_u32_e64 s0, 0, v1
	v_dual_add_nc_u32 v1, 3, v8 :: v_dual_lshlrev_b32 v42, 9, v8
	s_delay_alu instid0(VALU_DEP_3) | instskip(SKIP_2) | instid1(VALU_DEP_4)
	v_and_b32_e32 v5, 63, v5
	v_bitop3_b32 v0, v0, 32, 63 bitop3:0x6c
	v_dual_add_nc_u32 v7, 4, v8 :: v_dual_bitop2_b32 v6, 63, v6 bitop3:0x40
	v_dual_add_nc_u32 v9, 5, v8 :: v_dual_bitop2_b32 v1, 63, v1 bitop3:0x40
	s_delay_alu instid0(VALU_DEP_4) | instskip(NEXT) | instid1(VALU_DEP_4)
	v_lshl_or_b32 v5, v5, 3, v42
	v_lshl_or_b32 v0, v0, 3, v42
	scratch_store_b64 off, v[10:11], off    ; 8-byte Folded Spill
	v_lshl_or_b32 v1, v1, 3, v42
	v_lshlrev_b32_e32 v4, 1, v4
	s_clause 0x1
	scratch_store_b32 off, v5, off offset:8
	scratch_store_b32 off, v0, off offset:132
	s_wait_xcnt 0x1
	v_lshl_or_b32 v5, v6, 3, v42
	scratch_store_b32 off, v1, off offset:16 ; 4-byte Folded Spill
	s_wait_xcnt 0x0
	v_dual_add_nc_u32 v0, 33, v8 :: v_dual_bitop2_b32 v1, 63, v9 bitop3:0x40
	v_add_nc_u32_e32 v6, 6, v8
	v_and_b32_e32 v4, 0x3ff80, v4
	s_lshl_b32 s40, s23, 7
	s_delay_alu instid0(VALU_DEP_3)
	v_lshl_or_b32 v1, v1, 3, v42
	scratch_store_b32 off, v5, off offset:12 ; 4-byte Folded Spill
	s_wait_xcnt 0x0
	v_and_b32_e32 v5, 63, v7
	v_and_b32_e32 v0, 63, v0
	v_add_nc_u32_e32 v7, 7, v8
	s_ashr_i32 s41, s40, 31
	s_lshl_b64 s[10:11], s[10:11], 3
	v_lshl_or_b32 v5, v5, 3, v42
	v_lshl_or_b32 v0, v0, 3, v42
	scratch_store_b32 off, v1, off offset:24 ; 4-byte Folded Spill
	s_wait_xcnt 0x0
	v_and_b32_e32 v1, 63, v6
	v_dual_add_nc_u32 v7, 8, v8 :: v_dual_bitop2_b32 v6, 63, v7 bitop3:0x40
	v_dual_add_nc_u32 v9, 9, v8 :: v_dual_add_nc_u32 v16, 10, v8
	s_delay_alu instid0(VALU_DEP_3)
	v_lshl_or_b32 v1, v1, 3, v42
	scratch_store_b32 off, v5, off offset:20 ; 4-byte Folded Spill
	s_wait_xcnt 0x0
	v_dual_mov_b32 v5, v3 :: v_dual_bitop2_b32 v9, 63, v9 bitop3:0x40
	v_add_nc_u32_e32 v17, 11, v8
	scratch_store_b32 off, v1, off offset:28 ; 4-byte Folded Spill
	s_wait_xcnt 0x0
	v_lshl_or_b32 v1, v6, 3, v42
	v_lshl_add_u64 v[4:5], s[40:41], 3, v[4:5]
	v_add_nc_u32_e32 v46, 12, v8
	scratch_store_b32 off, v0, off offset:136 ; 4-byte Folded Spill
	v_or_b32_e32 v233, v42, v2
	scratch_store_b32 off, v1, off offset:32 ; 4-byte Folded Spill
	s_wait_xcnt 0x0
	v_and_b32_e32 v1, 63, v7
	v_mul_lo_u32 v5, v5, s30
	v_mad_nc_u64_u32 v[6:7], v4, s30, s[10:11]
	v_or_b32_e32 v20, 8, v4
	v_or_b32_e32 v36, 0x48, v4
	v_lshl_or_b32 v1, v1, 3, v42
	v_or_b32_e32 v37, 0x50, v4
	v_or_b32_e32 v43, 0x60, v4
	;; [unrolled: 1-line block ×3, first 2 shown]
	v_mad_nc_u64_u32 v[26:27], v36, s30, s[10:11]
	v_or_b32_e32 v35, 64, v4
	scratch_store_b32 off, v1, off offset:36 ; 4-byte Folded Spill
	s_wait_xcnt 0x0
	v_lshl_or_b32 v1, v9, 3, v42
	v_add_nc_u32_e32 v7, v5, v7
	v_mad_nc_u64_u32 v[10:11], v20, s30, s[10:11]
	v_or_b32_e32 v21, 16, v4
	v_and_b32_e32 v9, 63, v17
	v_mad_nc_u64_u32 v[32:33], v43, s30, s[10:11]
	v_or_b32_e32 v44, 0x68, v4
	v_or_b32_e32 v45, 0x70, v4
	v_add_nc_u32_e32 v27, v5, v27
	v_mad_nc_u64_u32 v[24:25], v35, s30, s[10:11]
	v_or_b32_e32 v34, 56, v4
	v_lshl_or_b32 v9, v9, 3, v42
	scratch_store_b32 off, v1, off offset:40 ; 4-byte Folded Spill
	v_add_nc_u32_e32 v11, v5, v11
	v_mad_nc_u64_u32 v[12:13], v21, s30, s[10:11]
	v_dual_add_nc_u32 v33, v5, v33 :: v_dual_bitop2_b32 v22, 24, v4 bitop3:0x54
	v_mad_u32 v27, v36, s31, v27
	s_delay_alu instid0(VALU_DEP_4)
	v_mad_u32 v11, v20, s31, v11
	v_mad_u32 v7, v4, s31, v7
	v_add_nc_u32_e32 v25, v5, v25
	v_mad_u32 v33, v43, s31, v33
	s_mul_u64 s[36:37], s[30:31], s[40:41]
	s_mul_u64 s[38:39], s[34:35], s[40:41]
	;; [unrolled: 1-line block ×3, first 2 shown]
	v_add_nc_u32_e32 v13, v5, v13
	v_mad_nc_u64_u32 v[14:15], v22, s30, s[10:11]
	s_wait_xcnt 0x0
	v_and_b32_e32 v1, 63, v16
	v_mad_u32 v25, v35, s31, v25
	v_add_nc_u64_e32 v[10:11], 0x400, v[10:11]
	v_mad_u32 v13, v21, s31, v13
	v_add_nc_u64_e32 v[26:27], 0x400, v[26:27]
	v_add_nc_u64_e32 v[32:33], 0x400, v[32:33]
	s_lshl_b64 s[28:29], s[20:21], 10
	s_mov_b32 s23, s3
	s_lshl_b64 s[14:15], s[14:15], 3
	s_lshl_b64 s[36:37], s[36:37], 3
	v_add_nc_u32_e32 v15, v5, v15
	v_lshl_or_b32 v1, v1, 3, v42
	v_add_nc_u64_e32 v[24:25], 0x400, v[24:25]
	s_lshl_b64 s[18:19], s[18:19], 3
	v_add_nc_u64_e32 v[12:13], 0x400, v[12:13]
	v_mad_u32 v15, v22, s31, v15
	v_mad_nc_u64_u32 v[22:23], v34, s30, s[10:11]
	v_or_b32_e32 v30, 48, v4
	scratch_store_b32 off, v1, off offset:44 ; 4-byte Folded Spill
	s_wait_xcnt 0x0
	v_and_b32_e32 v1, 63, v46
	s_lshl_b64 s[38:39], s[38:39], 3
	v_dual_add_nc_u32 v235, v2, v41 :: v_dual_add_nc_u32 v48, -1, v8
	v_add_nc_u32_e32 v234, v2, v40
	s_delay_alu instid0(VALU_DEP_3)
	v_lshl_or_b32 v1, v1, 3, v42
	scratch_store_b32 off, v9, off offset:48 ; 4-byte Folded Spill
	v_add_nc_u64_e32 v[14:15], 0x400, v[14:15]
	v_add_nc_u32_e32 v23, v5, v23
	v_mad_nc_u64_u32 v[20:21], v30, s30, s[10:11]
	v_or_b32_e32 v29, 40, v4
	scratch_store_b32 off, v1, off offset:52 ; 4-byte Folded Spill
	v_and_b32_e32 v48, 63, v48
	v_mad_u32 v23, v34, s31, v23
	v_mad_nc_u64_u32 v[34:35], v44, s30, s[10:11]
	s_delay_alu instid0(VALU_DEP_3)
	v_lshl_or_b32 v232, v48, 3, v42
	v_add_nc_u32_e32 v21, v5, v21
	v_mad_nc_u64_u32 v[18:19], v29, s30, s[10:11]
	v_or_b32_e32 v28, 32, v4
	v_or_b32_e32 v4, 0x78, v4
	v_add_nc_u64_e32 v[22:23], 0x400, v[22:23]
	v_mad_u32 v21, v30, s31, v21
	v_mad_nc_u64_u32 v[30:31], v38, s30, s[10:11]
	v_add_nc_u32_e32 v35, v5, v35
	v_add_nc_u32_e32 v19, v5, v19
	v_mad_nc_u64_u32 v[16:17], v28, s30, s[10:11]
	s_delay_alu instid0(VALU_DEP_3) | instskip(SKIP_4) | instid1(VALU_DEP_1)
	v_mad_u32 v35, v44, s31, v35
	v_add_nc_u32_e32 v44, 16, v8
	v_add_nc_u64_e32 v[20:21], 0x400, v[20:21]
	v_mad_u32 v19, v29, s31, v19
	v_add_nc_u32_e32 v31, v5, v31
	v_mad_u32 v31, v38, s31, v31
	v_add_nc_u32_e32 v17, v5, v17
	v_mad_nc_u64_u32 v[38:39], v4, s30, s[10:11]
	v_add_nc_u64_e32 v[34:35], 0x400, v[34:35]
	v_add_nc_u64_e32 v[18:19], 0x400, v[18:19]
	s_delay_alu instid0(VALU_DEP_4) | instskip(SKIP_2) | instid1(VALU_DEP_3)
	v_mad_u32 v17, v28, s31, v17
	v_mad_nc_u64_u32 v[28:29], v37, s30, s[10:11]
	v_add_nc_u64_e32 v[30:31], 0x400, v[30:31]
	v_add_nc_u64_e32 v[16:17], 0x400, v[16:17]
	s_delay_alu instid0(VALU_DEP_3) | instskip(NEXT) | instid1(VALU_DEP_1)
	v_add_nc_u32_e32 v29, v5, v29
	v_mad_u32 v29, v37, s31, v29
	v_mad_nc_u64_u32 v[36:37], v45, s30, s[10:11]
	v_add_nc_u32_e32 v43, 13, v8
	s_delay_alu instid0(VALU_DEP_3) | instskip(SKIP_1) | instid1(VALU_DEP_2)
	v_add_nc_u64_e32 v[28:29], 0x400, v[28:29]
	s_wait_xcnt 0x0
	v_dual_add_nc_u32 v9, v5, v37 :: v_dual_bitop2_b32 v1, 63, v43 bitop3:0x40
	v_dual_add_nc_u32 v43, 14, v8 :: v_dual_add_nc_u32 v5, v5, v39
	s_delay_alu instid0(VALU_DEP_2) | instskip(NEXT) | instid1(VALU_DEP_3)
	v_mad_u32 v37, v45, s31, v9
	v_lshl_or_b32 v1, v1, 3, v42
	v_add_nc_u32_e32 v9, 15, v8
	s_delay_alu instid0(VALU_DEP_4)
	v_mad_u32 v39, v4, s31, v5
	v_add_nc_u32_e32 v4, 17, v8
	s_lshl_b64 s[30:31], s[30:31], 3
	scratch_store_b32 off, v1, off offset:56 ; 4-byte Folded Spill
	s_wait_xcnt 0x0
	v_dual_add_nc_u32 v43, 18, v8 :: v_dual_bitop2_b32 v1, 63, v43 bitop3:0x40
	v_and_b32_e32 v5, 63, v9
	v_and_b32_e32 v9, 63, v44
	;; [unrolled: 1-line block ×3, first 2 shown]
	s_delay_alu instid0(VALU_DEP_4) | instskip(SKIP_4) | instid1(VALU_DEP_4)
	v_lshl_or_b32 v1, v1, 3, v42
	v_and_b32_e32 v43, 63, v43
	v_cvt_f64_i32_e32 v[44:45], s42
	v_add_nc_u64_e32 v[36:37], 0x400, v[36:37]
	v_add_nc_u64_e32 v[38:39], 0x400, v[38:39]
	v_lshl_or_b32 v43, v43, 3, v42
	scratch_store_b32 off, v1, off offset:60 ; 4-byte Folded Spill
	s_wait_xcnt 0x0
	v_lshl_or_b32 v1, v5, 3, v42
	v_add_nc_u32_e32 v5, 21, v8
	scratch_store_b32 off, v43, off offset:76 ; 4-byte Folded Spill
	s_wait_xcnt 0x0
	v_dual_add_nc_u32 v43, 27, v8 :: v_dual_bitop2_b32 v5, 63, v5 bitop3:0x40
	s_delay_alu instid0(VALU_DEP_1) | instskip(NEXT) | instid1(VALU_DEP_1)
	v_and_b32_e32 v43, 63, v43
	v_lshl_or_b32 v43, v43, 3, v42
	scratch_store_b32 off, v1, off offset:64 ; 4-byte Folded Spill
	s_wait_xcnt 0x0
	v_lshl_or_b32 v1, v9, 3, v42
	scratch_store_b32 off, v1, off offset:68 ; 4-byte Folded Spill
	s_wait_xcnt 0x0
	v_lshl_or_b32 v1, v4, 3, v42
	v_add_nc_u32_e32 v4, 20, v8
	scratch_store_b32 off, v1, off offset:72 ; 4-byte Folded Spill
	s_wait_xcnt 0x0
	v_dual_add_nc_u32 v1, 19, v8 :: v_dual_add_nc_u32 v9, 22, v8
	v_and_b32_e32 v4, 63, v4
	s_delay_alu instid0(VALU_DEP_2) | instskip(NEXT) | instid1(VALU_DEP_3)
	v_and_b32_e32 v1, 63, v1
	v_and_b32_e32 v9, 63, v9
	s_delay_alu instid0(VALU_DEP_2)
	v_lshl_or_b32 v1, v1, 3, v42
	scratch_store_b32 off, v1, off offset:80 ; 4-byte Folded Spill
	s_wait_xcnt 0x0
	v_lshl_or_b32 v1, v4, 3, v42
	v_add_nc_u32_e32 v4, 24, v8
	scratch_store_b32 off, v1, off offset:84 ; 4-byte Folded Spill
	s_wait_xcnt 0x0
	v_lshl_or_b32 v1, v5, 3, v42
	v_add_nc_u32_e32 v5, 25, v8
	v_and_b32_e32 v4, 63, v4
	scratch_store_b32 off, v1, off offset:88 ; 4-byte Folded Spill
	s_wait_xcnt 0x0
	v_lshl_or_b32 v1, v9, 3, v42
	v_and_b32_e32 v5, 63, v5
	scratch_store_b32 off, v1, off offset:92 ; 4-byte Folded Spill
	s_wait_xcnt 0x0
	v_dual_add_nc_u32 v1, 23, v8 :: v_dual_add_nc_u32 v9, 26, v8
	s_delay_alu instid0(VALU_DEP_1) | instskip(NEXT) | instid1(VALU_DEP_2)
	v_and_b32_e32 v1, 63, v1
	v_and_b32_e32 v9, 63, v9
	s_delay_alu instid0(VALU_DEP_2)
	v_lshl_or_b32 v1, v1, 3, v42
	scratch_store_b32 off, v1, off offset:96 ; 4-byte Folded Spill
	s_wait_xcnt 0x0
	v_lshl_or_b32 v1, v4, 3, v42
	v_add_nc_u32_e32 v4, 29, v8
	scratch_store_b32 off, v1, off offset:100 ; 4-byte Folded Spill
	s_wait_xcnt 0x0
	v_lshl_or_b32 v1, v5, 3, v42
	v_add_nc_u32_e32 v5, 30, v8
	v_and_b32_e32 v4, 63, v4
	scratch_store_b32 off, v1, off offset:104 ; 4-byte Folded Spill
	s_wait_xcnt 0x0
	v_lshl_or_b32 v1, v9, 3, v42
	v_dual_add_nc_u32 v9, 31, v8 :: v_dual_bitop2_b32 v5, 63, v5 bitop3:0x40
	scratch_store_b32 off, v1, off offset:108 ; 4-byte Folded Spill
	s_wait_xcnt 0x0
	v_dual_add_nc_u32 v1, 28, v8 :: v_dual_bitop2_b32 v9, 63, v9 bitop3:0x40
	s_delay_alu instid0(VALU_DEP_1) | instskip(NEXT) | instid1(VALU_DEP_1)
	v_and_b32_e32 v1, 63, v1
	v_lshl_or_b32 v1, v1, 3, v42
	scratch_store_b32 off, v43, off offset:112 ; 4-byte Folded Spill
	s_wait_xcnt 0x0
	v_add_nc_u32_e32 v43, 57, v8
	scratch_store_b32 off, v1, off offset:116 ; 4-byte Folded Spill
	s_wait_xcnt 0x0
	v_lshl_or_b32 v1, v4, 3, v42
	v_dual_add_nc_u32 v4, 35, v8 :: v_dual_bitop2_b32 v43, 63, v43 bitop3:0x40
	scratch_store_b32 off, v1, off offset:120 ; 4-byte Folded Spill
	s_wait_xcnt 0x0
	v_lshl_or_b32 v1, v5, 3, v42
	v_add_nc_u32_e32 v5, 36, v8
	v_and_b32_e32 v4, 63, v4
	v_lshl_or_b32 v226, v43, 3, v42
	v_add_nc_u32_e32 v43, 61, v8
	scratch_store_b32 off, v1, off offset:124 ; 4-byte Folded Spill
	s_wait_xcnt 0x0
	v_lshl_or_b32 v1, v9, 3, v42
	v_dual_add_nc_u32 v9, 37, v8 :: v_dual_bitop2_b32 v5, 63, v5 bitop3:0x40
	v_lshl_or_b32 v248, v4, 3, v42
	v_add_nc_u32_e32 v4, 40, v8
	scratch_store_b32 off, v1, off offset:128 ; 4-byte Folded Spill
	s_wait_xcnt 0x0
	v_dual_add_nc_u32 v1, 34, v8 :: v_dual_bitop2_b32 v9, 63, v9 bitop3:0x40
	v_and_b32_e32 v43, 63, v43
	v_and_b32_e32 v4, 63, v4
	s_delay_alu instid0(VALU_DEP_3) | instskip(NEXT) | instid1(VALU_DEP_4)
	v_and_b32_e32 v1, 63, v1
	v_lshl_or_b32 v250, v9, 3, v42
	v_add_nc_u32_e32 v9, 42, v8
	s_delay_alu instid0(VALU_DEP_4)
	v_lshl_or_b32 v253, v4, 3, v42
	v_add_nc_u32_e32 v4, 45, v8
	v_lshl_or_b32 v0, v1, 3, v42
	v_add_nc_u32_e32 v1, 39, v8
	v_lshl_or_b32 v249, v5, 3, v42
	v_dual_add_nc_u32 v5, 41, v8 :: v_dual_bitop2_b32 v9, 63, v9 bitop3:0x40
	scratch_store_b32 off, v0, off offset:140 ; 4-byte Folded Spill
	s_wait_xcnt 0x0
	v_dual_add_nc_u32 v0, 38, v8 :: v_dual_bitop2_b32 v1, 63, v1 bitop3:0x40
	v_and_b32_e32 v5, 63, v5
	v_lshl_or_b32 v255, v9, 3, v42
	v_add_nc_u32_e32 v9, 47, v8
	s_delay_alu instid0(VALU_DEP_4) | instskip(SKIP_1) | instid1(VALU_DEP_3)
	v_and_b32_e32 v0, 63, v0
	v_and_b32_e32 v4, 63, v4
	;; [unrolled: 1-line block ×3, first 2 shown]
	s_delay_alu instid0(VALU_DEP_3)
	v_lshl_or_b32 v251, v0, 3, v42
	v_add_nc_u32_e32 v0, 43, v8
	v_lshl_or_b32 v252, v1, 3, v42
	v_add_nc_u32_e32 v1, 44, v8
	;; [unrolled: 2-line block ×3, first 2 shown]
	v_and_b32_e32 v0, 63, v0
	v_lshl_or_b32 v216, v4, 3, v42
	v_dual_add_nc_u32 v4, 50, v8 :: v_dual_bitop2_b32 v1, 63, v1 bitop3:0x40
	s_delay_alu instid0(VALU_DEP_4) | instskip(NEXT) | instid1(VALU_DEP_4)
	v_and_b32_e32 v5, 63, v5
	v_lshl_or_b32 v214, v0, 3, v42
	v_lshl_or_b32 v218, v9, 3, v42
	v_add_nc_u32_e32 v0, 48, v8
	v_lshl_or_b32 v215, v1, 3, v42
	v_add_nc_u32_e32 v1, 49, v8
	v_lshl_or_b32 v217, v5, 3, v42
	v_dual_add_nc_u32 v5, 51, v8 :: v_dual_add_nc_u32 v9, 52, v8
	v_and_b32_e32 v0, 63, v0
	s_delay_alu instid0(VALU_DEP_4) | instskip(SKIP_1) | instid1(VALU_DEP_4)
	v_and_b32_e32 v1, 63, v1
	v_and_b32_e32 v4, 63, v4
	;; [unrolled: 1-line block ×4, first 2 shown]
	v_lshl_or_b32 v219, v0, 3, v42
	v_add_nc_u32_e32 v0, 53, v8
	v_lshl_or_b32 v220, v1, 3, v42
	v_lshl_or_b32 v221, v4, 3, v42
	v_add_nc_u32_e32 v1, 54, v8
	v_lshl_or_b32 v222, v5, 3, v42
	v_add_nc_u32_e32 v5, 55, v8
	;; [unrolled: 2-line block ×3, first 2 shown]
	v_and_b32_e32 v0, 63, v0
	v_and_b32_e32 v1, 63, v1
	;; [unrolled: 1-line block ×3, first 2 shown]
	s_delay_alu instid0(VALU_DEP_4) | instskip(NEXT) | instid1(VALU_DEP_4)
	v_and_b32_e32 v9, 63, v9
	v_lshl_or_b32 v5, v0, 3, v42
	v_add_nc_u32_e32 v0, 58, v8
	v_lshl_or_b32 v223, v1, 3, v42
	v_add_nc_u32_e32 v1, 59, v8
	;; [unrolled: 2-line block ×3, first 2 shown]
	v_lshl_or_b32 v224, v46, 3, v42
	v_and_b32_e32 v0, 63, v0
	v_dual_add_nc_u32 v1, 62, v8 :: v_dual_bitop2_b32 v46, 63, v1 bitop3:0x40
	s_delay_alu instid0(VALU_DEP_4) | instskip(NEXT) | instid1(VALU_DEP_3)
	v_dual_mov_b32 v9, v3 :: v_dual_bitop2_b32 v47, 63, v9 bitop3:0x40
	v_lshl_or_b32 v227, v0, 3, v42
	s_delay_alu instid0(VALU_DEP_3) | instskip(NEXT) | instid1(VALU_DEP_4)
	v_lshl_or_b32 v228, v46, 3, v42
	v_and_b32_e32 v49, 63, v1
	s_delay_alu instid0(VALU_DEP_4)
	v_lshl_or_b32 v229, v47, 3, v42
	v_mul_u64_e32 v[0:1], s[34:35], v[8:9]
	v_max_num_f64_e32 v[8:9], v[44:45], v[44:45]
	v_lshl_or_b32 v230, v43, 3, v42
	v_lshl_or_b32 v231, v49, 3, v42
	s_sub_nc_u64 s[34:35], 0, s[30:31]
	s_branch .LBB284_4
.LBB284_2:                              ;   in Loop: Header=BB284_4 Depth=1
	s_wait_xcnt 0x0
	s_or_b32 exec_lo, exec_lo, s1
.LBB284_3:                              ;   in Loop: Header=BB284_4 Depth=1
	s_add_co_i32 s2, s2, 0x10000
	s_delay_alu instid0(SALU_CYCLE_1)
	s_cmp_lt_u32 s2, s33
	s_cbranch_scc0 .LBB284_15
.LBB284_4:                              ; =>This Loop Header: Depth=1
                                        ;     Child Loop BB284_8 Depth 2
	s_wait_xcnt 0x0
	s_mul_u64 s[40:41], s[6:7], s[2:3]
	s_delay_alu instid0(SALU_CYCLE_1) | instskip(NEXT) | instid1(SALU_CYCLE_1)
	s_lshl_b64 s[40:41], s[40:41], 3
	s_add_nc_u64 s[40:41], s[4:5], s[40:41]
	global_load_b64 v[40:41], v3, s[40:41]
	s_wait_loadcnt 0x0
	v_cmp_eq_f64_e32 vcc_lo, 0, v[40:41]
	s_cbranch_vccnz .LBB284_3
; %bb.5:                                ;   in Loop: Header=BB284_4 Depth=1
	s_load_b32 s1, s[24:25], 0x4
	s_wait_kmcnt 0x0
	s_cvt_f32_u32 s40, s1
	s_sub_co_i32 s41, 0, s1
	s_delay_alu instid0(SALU_CYCLE_2) | instskip(SKIP_1) | instid1(TRANS32_DEP_1)
	v_rcp_iflag_f32_e32 v42, s40
	v_nop
	v_readfirstlane_b32 s40, v42
	s_mul_f32 s40, s40, 0x4f7ffffe
	s_delay_alu instid0(SALU_CYCLE_3) | instskip(NEXT) | instid1(SALU_CYCLE_3)
	s_cvt_u32_f32 s40, s40
	s_mul_i32 s41, s41, s40
	s_delay_alu instid0(SALU_CYCLE_1) | instskip(NEXT) | instid1(SALU_CYCLE_1)
	s_mul_hi_u32 s41, s40, s41
	s_add_co_i32 s40, s40, s41
	s_mov_b32 s41, s3
	s_delay_alu instid0(SALU_CYCLE_1) | instskip(NEXT) | instid1(SALU_CYCLE_1)
	s_mul_u64 s[40:41], s[22:23], s[40:41]
	s_mul_i32 s40, s41, s1
	s_add_co_i32 s43, s41, 1
	s_sub_co_i32 s40, s22, s40
	s_delay_alu instid0(SALU_CYCLE_1)
	s_sub_co_i32 s44, s40, s1
	s_cmp_ge_u32 s40, s1
	s_cselect_b32 s41, s43, s41
	s_cselect_b32 s40, s44, s40
	s_add_co_i32 s43, s41, 1
	s_cmp_ge_u32 s40, s1
	s_cselect_b32 s43, s43, s41
	s_delay_alu instid0(SALU_CYCLE_1) | instskip(NEXT) | instid1(SALU_CYCLE_1)
	s_mul_i32 s1, s43, s1
	s_sub_co_i32 s44, s22, s1
	s_delay_alu instid0(SALU_CYCLE_1) | instskip(SKIP_1) | instid1(SALU_CYCLE_1)
	s_cmp_lt_u32 s42, s44
	s_cselect_b32 s1, -1, 0
	s_cmp_lg_u32 s1, 0
	s_add_co_ci_u32 s1, s43, 0
	s_delay_alu instid0(SALU_CYCLE_1)
	s_cmp_eq_u32 s1, 0
	s_cbranch_scc1 .LBB284_3
; %bb.6:                                ;   in Loop: Header=BB284_4 Depth=1
	s_lshl_b64 s[40:41], s[2:3], 3
	s_cmp_lt_i32 s1, 1
	s_add_nc_u64 s[46:47], s[16:17], s[40:41]
	global_load_b64 v[42:43], v3, s[46:47]
	s_cbranch_scc1 .LBB284_12
; %bb.7:                                ;   in Loop: Header=BB284_4 Depth=1
	s_wait_xcnt 0x0
	s_add_nc_u64 s[46:47], s[8:9], s[40:41]
	v_cvt_f64_u32_e32 v[44:45], s44
	global_load_b64 v[50:51], v3, s[46:47]
	s_mul_i32 s43, s43, s42
	s_add_nc_u64 s[40:41], s[12:13], s[40:41]
	v_cvt_f64_u32_e32 v[46:47], s43
	global_load_b64 v[112:113], v3, s[40:41]
	s_wait_xcnt 0x0
	s_add_co_i32 s40, s1, -1
	s_mov_b32 s41, 0
	v_min_num_f64_e32 v[44:45], v[8:9], v[44:45]
	s_delay_alu instid0(VALU_DEP_1) | instskip(NEXT) | instid1(VALU_DEP_1)
	v_add_f64_e32 v[44:45], v[44:45], v[46:47]
	v_cvt_i32_f64_e32 v44, v[44:45]
	s_delay_alu instid0(VALU_DEP_1) | instskip(NEXT) | instid1(VALU_DEP_1)
	v_lshlrev_b32_e32 v44, 7, v44
	v_ashrrev_i32_e32 v45, 31, v44
	s_delay_alu instid0(VALU_DEP_1)
	v_lshlrev_b64_e32 v[52:53], 3, v[44:45]
	s_wait_loadcnt 0x1
	v_add_nc_u64_e32 v[46:47], s[10:11], v[50:51]
	v_add_nc_u64_e32 v[96:97], v[50:51], v[28:29]
	;; [unrolled: 1-line block ×6, first 2 shown]
	s_wait_loadcnt 0x0
	v_add_nc_u64_e32 v[112:113], s[14:15], v[112:113]
	v_add_nc_u64_e32 v[44:45], s[36:37], v[46:47]
	scratch_load_b64 v[46:47], off, off     ; 8-byte Folded Reload
	v_add_nc_u64_e32 v[96:97], v[96:97], v[52:53]
	v_add_nc_u64_e32 v[98:99], v[98:99], v[52:53]
	;; [unrolled: 1-line block ×6, first 2 shown]
	s_wait_loadcnt 0x0
	s_delay_alu instid0(VALU_DEP_1) | instskip(NEXT) | instid1(VALU_DEP_1)
	v_lshl_add_u64 v[44:45], v[46:47], 3, v[44:45]
	v_lshl_add_u64 v[46:47], s[26:27], 3, v[44:45]
	s_delay_alu instid0(VALU_DEP_1) | instskip(NEXT) | instid1(VALU_DEP_1)
	v_add_nc_u64_e32 v[48:49], s[34:35], v[46:47]
	v_add_nc_u64_e32 v[54:55], s[34:35], v[48:49]
	s_delay_alu instid0(VALU_DEP_1) | instskip(NEXT) | instid1(VALU_DEP_1)
	v_add_nc_u64_e32 v[56:57], s[34:35], v[54:55]
	v_add_nc_u64_e32 v[58:59], s[34:35], v[56:57]
	;; [unrolled: 3-line block ×3, first 2 shown]
	s_delay_alu instid0(VALU_DEP_1)
	v_add_nc_u64_e32 v[64:65], s[34:35], v[62:63]
	s_clause 0x5
	flat_load_b64 v[146:147], v[44:45]
	flat_load_b64 v[148:149], v[48:49]
	;; [unrolled: 1-line block ×8, first 2 shown]
	s_wait_xcnt 0x4
	v_add_nc_u64_e32 v[56:57], v[50:51], v[6:7]
	s_wait_xcnt 0x3
	v_add_nc_u64_e32 v[58:59], v[50:51], v[10:11]
	;; [unrolled: 2-line block ×4, first 2 shown]
	v_or_b32_e32 v54, 0x200, v2
	v_add_nc_u64_e32 v[66:67], s[34:35], v[64:65]
	s_wait_xcnt 0x0
	v_add_nc_u64_e32 v[64:65], v[50:51], v[16:17]
	v_mov_b32_e32 v55, v53
	v_add_nc_u64_e32 v[78:79], v[58:59], v[52:53]
	v_or_b32_e32 v54, v54, v52
	v_add_nc_u64_e32 v[80:81], v[60:61], v[52:53]
	v_add_nc_u64_e32 v[82:83], v[62:63], v[52:53]
	v_add_nc_u64_e32 v[68:69], s[34:35], v[66:67]
	v_add_nc_u64_e32 v[84:85], v[64:65], v[52:53]
	v_mul_u64_e32 v[108:109], s[20:21], v[54:55]
	v_mov_b64_e32 v[48:49], 0
	v_mov_b64_e32 v[62:63], 0
	;; [unrolled: 1-line block ×4, first 2 shown]
	v_add_nc_u64_e32 v[70:71], s[34:35], v[68:69]
	v_mov_b64_e32 v[60:61], 0
	v_mov_b64_e32 v[54:55], 0
	s_delay_alu instid0(VALU_DEP_3) | instskip(NEXT) | instid1(VALU_DEP_1)
	v_add_nc_u64_e32 v[72:73], s[34:35], v[70:71]
	v_add_nc_u64_e32 v[74:75], s[34:35], v[72:73]
	s_delay_alu instid0(VALU_DEP_1) | instskip(NEXT) | instid1(VALU_DEP_1)
	v_add_nc_u64_e32 v[76:77], s[34:35], v[74:75]
	v_add_nc_u64_e32 v[44:45], s[34:35], v[76:77]
	flat_load_b64 v[162:163], v[66:67]
	flat_load_b64 v[164:165], v[68:69]
	;; [unrolled: 1-line block ×8, first 2 shown]
	s_wait_xcnt 0x7
	v_add_nc_u64_e32 v[66:67], v[50:51], v[18:19]
	s_wait_xcnt 0x6
	v_add_nc_u64_e32 v[68:69], v[50:51], v[20:21]
	;; [unrolled: 2-line block ×5, first 2 shown]
	v_add_nc_u64_e32 v[50:51], v[50:51], v[38:39]
	s_wait_xcnt 0x2
	v_add_nc_u64_e32 v[76:77], v[56:57], v[52:53]
	v_add_nc_u64_e32 v[86:87], v[66:67], v[52:53]
	;; [unrolled: 1-line block ×7, first 2 shown]
	v_or_b32_e32 v52, v2, v52
	s_wait_xcnt 0x0
	v_mov_b64_e32 v[46:47], 0
	v_mov_b64_e32 v[44:45], 0
	;; [unrolled: 1-line block ×4, first 2 shown]
	v_mul_u64_e32 v[110:111], s[20:21], v[52:53]
	v_mov_b64_e32 v[74:75], 0
	v_mov_b64_e32 v[66:67], 0
	v_mov_b64_e32 v[68:69], 0
	v_mov_b64_e32 v[56:57], 0
	v_mov_b64_e32 v[52:53], 0
	v_mov_b64_e32 v[50:51], 0
	s_wait_loadcnt_dscnt 0xf0f
	v_mov_b64_e32 v[114:115], v[146:147]
	s_wait_loadcnt_dscnt 0xe0e
	v_mov_b64_e32 v[142:143], v[148:149]
	;; [unrolled: 2-line block ×16, first 2 shown]
.LBB284_8:                              ;   Parent Loop BB284_4 Depth=1
                                        ; =>  This Inner Loop Header: Depth=2
	v_add_nc_u64_e32 v[212:213], v[76:77], v[2:3]
	v_add_nc_u64_e32 v[244:245], v[112:113], v[110:111]
	s_cmp_lg_u32 s40, s41
	s_delay_alu instid0(VALU_DEP_2) | instskip(NEXT) | instid1(VALU_DEP_1)
	v_add_nc_u64_e32 v[178:179], 0x200, v[212:213]
	v_add_nc_u64_e32 v[178:179], s[30:31], v[178:179]
	s_delay_alu instid0(VALU_DEP_1) | instskip(NEXT) | instid1(VALU_DEP_1)
	v_add_nc_u64_e32 v[180:181], s[30:31], v[178:179]
	v_add_nc_u64_e32 v[182:183], s[30:31], v[180:181]
	s_delay_alu instid0(VALU_DEP_1) | instskip(NEXT) | instid1(VALU_DEP_1)
	;; [unrolled: 3-line block ×3, first 2 shown]
	v_add_nc_u64_e32 v[188:189], s[30:31], v[186:187]
	v_add_nc_u64_e32 v[190:191], s[30:31], v[188:189]
	s_delay_alu instid0(VALU_DEP_1)
	v_add_nc_u64_e32 v[192:193], s[30:31], v[190:191]
	s_clause 0x8
	flat_load_b64 v[208:209], v[212:213] offset:512
	flat_load_b64 v[206:207], v[178:179]
	flat_load_b64 v[202:203], v[180:181]
	;; [unrolled: 1-line block ×8, first 2 shown]
	v_add_nc_u64_e32 v[210:211], s[30:31], v[192:193]
	s_delay_alu instid0(VALU_DEP_1) | instskip(NEXT) | instid1(VALU_DEP_1)
	v_add_nc_u64_e32 v[236:237], s[30:31], v[210:211]
	v_add_nc_u64_e32 v[238:239], s[30:31], v[236:237]
	s_delay_alu instid0(VALU_DEP_1) | instskip(NEXT) | instid1(VALU_DEP_1)
	v_add_nc_u64_e32 v[240:241], s[30:31], v[238:239]
	;; [unrolled: 3-line block ×3, first 2 shown]
	v_add_nc_u64_e32 v[178:179], s[30:31], v[246:247]
	flat_load_b64 v[192:193], v[210:211]
	flat_load_b64 v[188:189], v[236:237]
	;; [unrolled: 1-line block ×8, first 2 shown]
	s_cbranch_scc0 .LBB284_10
; %bb.9:                                ;   in Loop: Header=BB284_8 Depth=2
	v_add_nc_u64_e32 v[116:117], v[78:79], v[2:3]
	v_add_nc_u64_e32 v[118:119], v[80:81], v[2:3]
	;; [unrolled: 1-line block ×15, first 2 shown]
	flat_load_b64 v[114:115], v[212:213] offset:1024
	flat_load_b64 v[116:117], v[116:117]
	flat_load_b64 v[118:119], v[118:119]
	flat_load_b64 v[120:121], v[120:121]
	flat_load_b64 v[122:123], v[122:123]
	flat_load_b64 v[124:125], v[124:125]
	flat_load_b64 v[126:127], v[126:127]
	flat_load_b64 v[128:129], v[128:129]
	flat_load_b64 v[130:131], v[130:131]
	flat_load_b64 v[132:133], v[132:133]
	flat_load_b64 v[134:135], v[134:135]
	flat_load_b64 v[136:137], v[136:137]
	flat_load_b64 v[138:139], v[138:139]
	flat_load_b64 v[140:141], v[140:141]
	flat_load_b64 v[142:143], v[142:143]
	flat_load_b64 v[144:145], v[144:145]
.LBB284_10:                             ;   in Loop: Header=BB284_8 Depth=2
	s_wait_loadcnt_dscnt 0x0
	v_fmac_f64_e32 v[46:47], v[146:147], v[210:211]
	v_add_nc_u64_e32 v[146:147], v[112:113], v[108:109]
	v_fmac_f64_e32 v[48:49], v[174:175], v[210:211]
	v_fmac_f64_e32 v[44:45], v[172:173], v[210:211]
	;; [unrolled: 1-line block ×6, first 2 shown]
	flat_load_b64 v[146:147], v[146:147]
	v_fmac_f64_e32 v[74:75], v[162:163], v[210:211]
	v_fmac_f64_e32 v[66:67], v[160:161], v[210:211]
	;; [unrolled: 1-line block ×9, first 2 shown]
	v_add_nc_u64_e32 v[76:77], 0x400, v[76:77]
	v_add_nc_u64_e32 v[78:79], 0x400, v[78:79]
	;; [unrolled: 1-line block ×17, first 2 shown]
	s_add_co_i32 s41, s41, 1
	s_delay_alu instid0(SALU_CYCLE_1)
	s_cmp_ge_i32 s41, s1
	s_wait_loadcnt_dscnt 0x0
	v_fmac_f64_e32 v[46:47], v[208:209], v[146:147]
	v_fmac_f64_e32 v[48:49], v[206:207], v[146:147]
	;; [unrolled: 1-line block ×16, first 2 shown]
	s_cbranch_scc1 .LBB284_13
; %bb.11:                               ;   in Loop: Header=BB284_8 Depth=2
	s_wait_xcnt 0x0
	v_mov_b64_e32 v[146:147], v[114:115]
	v_mov_b64_e32 v[174:175], v[116:117]
	v_mov_b64_e32 v[172:173], v[118:119]
	v_mov_b64_e32 v[170:171], v[120:121]
	v_mov_b64_e32 v[168:169], v[122:123]
	v_mov_b64_e32 v[166:167], v[124:125]
	v_mov_b64_e32 v[164:165], v[126:127]
	v_mov_b64_e32 v[162:163], v[128:129]
	v_mov_b64_e32 v[160:161], v[130:131]
	v_mov_b64_e32 v[158:159], v[132:133]
	v_mov_b64_e32 v[156:157], v[134:135]
	v_mov_b64_e32 v[154:155], v[136:137]
	v_mov_b64_e32 v[152:153], v[138:139]
	v_mov_b64_e32 v[150:151], v[140:141]
	v_mov_b64_e32 v[148:149], v[142:143]
	v_mov_b64_e32 v[176:177], v[144:145]
	s_branch .LBB284_8
.LBB284_12:                             ;   in Loop: Header=BB284_4 Depth=1
	v_mov_b64_e32 v[50:51], 0
	v_mov_b64_e32 v[52:53], 0
	;; [unrolled: 1-line block ×16, first 2 shown]
.LBB284_13:                             ;   in Loop: Header=BB284_4 Depth=1
	ds_store_2addr_stride64_b64 v234, v[46:47], v[48:49] offset1:1
	ds_store_2addr_stride64_b64 v234, v[44:45], v[70:71] offset0:2 offset1:3
	ds_store_2addr_stride64_b64 v234, v[62:63], v[64:65] offset0:4 offset1:5
	;; [unrolled: 1-line block ×6, first 2 shown]
	ds_store_b64 v234, v[52:53] offset:7168
	ds_store_b64 v235, v[50:51]
	s_wait_storecnt 0x0
	s_wait_loadcnt_dscnt 0x0
	s_barrier_signal -1
	s_barrier_wait -1
	s_wait_xcnt 0x0
	s_and_saveexec_b32 s1, s0
	s_cbranch_execz .LBB284_2
; %bb.14:                               ;   in Loop: Header=BB284_4 Depth=1
	s_clause 0x3
	scratch_load_b32 v46, off, off offset:8
	scratch_load_b32 v48, off, off offset:12
	;; [unrolled: 1-line block ×4, first 2 shown]
	ds_load_b64 v[44:45], v233
	v_add_nc_u64_e32 v[42:43], s[18:19], v[42:43]
	s_delay_alu instid0(VALU_DEP_1) | instskip(NEXT) | instid1(VALU_DEP_1)
	v_add_nc_u64_e32 v[42:43], s[38:39], v[42:43]
	v_lshl_add_u64 v[42:43], v[0:1], 3, v[42:43]
	s_wait_dscnt 0x0
	v_add_f64_e32 v[44:45], 0, v[44:45]
	s_wait_loadcnt 0x3
	ds_load_b64 v[46:47], v46
	s_wait_loadcnt 0x2
	ds_load_b64 v[48:49], v48
	;; [unrolled: 2-line block ×4, first 2 shown]
	s_wait_dscnt 0x3
	v_add_f64_e32 v[44:45], v[44:45], v[46:47]
	scratch_load_b32 v46, off, off offset:20 ; 4-byte Folded Reload
	s_wait_dscnt 0x2
	v_add_f64_e32 v[44:45], v[44:45], v[48:49]
	scratch_load_b32 v48, off, off offset:24 ; 4-byte Folded Reload
	;; [unrolled: 3-line block ×3, first 2 shown]
	s_wait_loadcnt 0x2
	ds_load_b64 v[46:47], v46
	s_wait_loadcnt 0x1
	ds_load_b64 v[48:49], v48
	;; [unrolled: 2-line block ×3, first 2 shown]
	s_wait_dscnt 0x2
	v_add_f64_e32 v[44:45], v[44:45], v[46:47]
	scratch_load_b32 v46, off, off offset:36 ; 4-byte Folded Reload
	s_wait_dscnt 0x1
	v_add_f64_e32 v[44:45], v[44:45], v[48:49]
	scratch_load_b32 v48, off, off offset:40 ; 4-byte Folded Reload
	s_wait_dscnt 0x0
	v_add_f64_e32 v[44:45], v[44:45], v[50:51]
	scratch_load_b32 v50, off, off offset:44 ; 4-byte Folded Reload
	v_add_f64_e32 v[44:45], v[44:45], v[52:53]
	scratch_load_b32 v52, off, off offset:48 ; 4-byte Folded Reload
	s_wait_loadcnt 0x3
	ds_load_b64 v[46:47], v46
	s_wait_loadcnt 0x2
	ds_load_b64 v[48:49], v48
	s_wait_loadcnt 0x1
	ds_load_b64 v[50:51], v50
	s_wait_loadcnt 0x0
	ds_load_b64 v[52:53], v52
	s_wait_dscnt 0x3
	v_add_f64_e32 v[44:45], v[44:45], v[46:47]
	scratch_load_b32 v46, off, off offset:52 ; 4-byte Folded Reload
	s_wait_dscnt 0x2
	v_add_f64_e32 v[44:45], v[44:45], v[48:49]
	scratch_load_b32 v48, off, off offset:56 ; 4-byte Folded Reload
	s_wait_dscnt 0x1
	v_add_f64_e32 v[44:45], v[44:45], v[50:51]
	scratch_load_b32 v50, off, off offset:60 ; 4-byte Folded Reload
	s_wait_dscnt 0x0
	v_add_f64_e32 v[44:45], v[44:45], v[52:53]
	scratch_load_b32 v52, off, off offset:64 ; 4-byte Folded Reload
	s_wait_loadcnt 0x3
	ds_load_b64 v[46:47], v46
	s_wait_loadcnt 0x2
	ds_load_b64 v[48:49], v48
	s_wait_loadcnt 0x1
	ds_load_b64 v[50:51], v50
	s_wait_loadcnt 0x0
	ds_load_b64 v[52:53], v52
	s_wait_dscnt 0x3
	v_add_f64_e32 v[44:45], v[44:45], v[46:47]
	scratch_load_b32 v46, off, off offset:68 ; 4-byte Folded Reload
	s_wait_dscnt 0x2
	v_add_f64_e32 v[44:45], v[44:45], v[48:49]
	scratch_load_b32 v48, off, off offset:72 ; 4-byte Folded Reload
	s_wait_dscnt 0x1
	v_add_f64_e32 v[44:45], v[44:45], v[50:51]
	scratch_load_b32 v50, off, off offset:76 ; 4-byte Folded Reload
	s_wait_dscnt 0x0
	;; [unrolled: 20-line block ×5, first 2 shown]
	v_add_f64_e32 v[44:45], v[44:45], v[52:53]
	scratch_load_b32 v52, off, off offset:128 ; 4-byte Folded Reload
	s_wait_loadcnt 0x3
	ds_load_b64 v[46:47], v46
	s_wait_loadcnt 0x2
	ds_load_b64 v[48:49], v48
	;; [unrolled: 2-line block ×3, first 2 shown]
	s_wait_dscnt 0x2
	v_add_f64_e32 v[44:45], v[44:45], v[46:47]
	scratch_load_b32 v46, off, off offset:132 ; 4-byte Folded Reload
	s_wait_loadcnt 0x1
	ds_load_b64 v[52:53], v52
	s_wait_dscnt 0x2
	v_add_f64_e32 v[44:45], v[44:45], v[48:49]
	scratch_load_b32 v48, off, off offset:136 ; 4-byte Folded Reload
	s_wait_dscnt 0x1
	v_add_f64_e32 v[44:45], v[44:45], v[50:51]
	scratch_load_b32 v50, off, off offset:140 ; 4-byte Folded Reload
	s_wait_loadcnt 0x2
	ds_load_b64 v[46:47], v46
	s_wait_loadcnt 0x1
	ds_load_b64 v[48:49], v48
	s_wait_dscnt 0x2
	v_add_f64_e32 v[44:45], v[44:45], v[52:53]
	s_wait_loadcnt 0x0
	ds_load_b64 v[50:51], v50
	ds_load_b64 v[52:53], v248
	s_wait_dscnt 0x3
	v_add_f64_e32 v[44:45], v[44:45], v[46:47]
	s_wait_dscnt 0x2
	s_delay_alu instid0(VALU_DEP_1) | instskip(SKIP_1) | instid1(VALU_DEP_1)
	v_add_f64_e32 v[44:45], v[44:45], v[48:49]
	s_wait_dscnt 0x1
	v_add_f64_e32 v[44:45], v[44:45], v[50:51]
	s_wait_dscnt 0x0
	s_delay_alu instid0(VALU_DEP_1)
	v_add_f64_e32 v[44:45], v[44:45], v[52:53]
	ds_load_b64 v[46:47], v249
	ds_load_b64 v[48:49], v250
	ds_load_b64 v[50:51], v251
	ds_load_b64 v[52:53], v252
	s_wait_dscnt 0x3
	v_add_f64_e32 v[44:45], v[44:45], v[46:47]
	s_wait_dscnt 0x2
	s_delay_alu instid0(VALU_DEP_1) | instskip(SKIP_1) | instid1(VALU_DEP_1)
	v_add_f64_e32 v[44:45], v[44:45], v[48:49]
	s_wait_dscnt 0x1
	v_add_f64_e32 v[44:45], v[44:45], v[50:51]
	s_wait_dscnt 0x0
	s_delay_alu instid0(VALU_DEP_1)
	v_add_f64_e32 v[44:45], v[44:45], v[52:53]
	ds_load_b64 v[46:47], v253
	ds_load_b64 v[48:49], v254
	;; [unrolled: 14-line block ×7, first 2 shown]
	ds_load_b64 v[50:51], v231
	ds_load_b64 v[52:53], v232
	s_wait_dscnt 0x3
	v_add_f64_e32 v[44:45], v[44:45], v[46:47]
	s_wait_dscnt 0x2
	s_delay_alu instid0(VALU_DEP_1) | instskip(SKIP_1) | instid1(VALU_DEP_1)
	v_add_f64_e32 v[44:45], v[44:45], v[48:49]
	s_wait_dscnt 0x1
	v_add_f64_e32 v[44:45], v[44:45], v[50:51]
	s_wait_dscnt 0x0
	s_delay_alu instid0(VALU_DEP_1) | instskip(NEXT) | instid1(VALU_DEP_1)
	v_add_f64_e32 v[44:45], v[44:45], v[52:53]
	v_mul_f64_e32 v[40:41], v[40:41], v[44:45]
	flat_atomic_add_f64 v[42:43], v[40:41] scope:SCOPE_DEV
	s_branch .LBB284_2
.LBB284_15:
	s_sendmsg sendmsg(MSG_DEALLOC_VGPRS)
	s_endpgm
	.section	.rodata,"a",@progbits
	.p2align	6, 0x0
	.amdhsa_kernel _ZL36rocblas_gemvt_double_buffered_kernelILb1ELi128ELi4ELi16EPKdS1_KPdEviiT4_lPKT3_lilS7_lilPT5_lili
		.amdhsa_group_segment_fixed_size 65536
		.amdhsa_private_segment_fixed_size 148
		.amdhsa_kernarg_size 384
		.amdhsa_user_sgpr_count 2
		.amdhsa_user_sgpr_dispatch_ptr 0
		.amdhsa_user_sgpr_queue_ptr 0
		.amdhsa_user_sgpr_kernarg_segment_ptr 1
		.amdhsa_user_sgpr_dispatch_id 0
		.amdhsa_user_sgpr_kernarg_preload_length 0
		.amdhsa_user_sgpr_kernarg_preload_offset 0
		.amdhsa_user_sgpr_private_segment_size 0
		.amdhsa_wavefront_size32 1
		.amdhsa_uses_dynamic_stack 0
		.amdhsa_enable_private_segment 1
		.amdhsa_system_sgpr_workgroup_id_x 1
		.amdhsa_system_sgpr_workgroup_id_y 1
		.amdhsa_system_sgpr_workgroup_id_z 1
		.amdhsa_system_sgpr_workgroup_info 0
		.amdhsa_system_vgpr_workitem_id 1
		.amdhsa_next_free_vgpr 256
		.amdhsa_next_free_sgpr 48
		.amdhsa_named_barrier_count 0
		.amdhsa_reserve_vcc 1
		.amdhsa_float_round_mode_32 0
		.amdhsa_float_round_mode_16_64 0
		.amdhsa_float_denorm_mode_32 3
		.amdhsa_float_denorm_mode_16_64 3
		.amdhsa_fp16_overflow 0
		.amdhsa_memory_ordered 1
		.amdhsa_forward_progress 1
		.amdhsa_inst_pref_size 52
		.amdhsa_round_robin_scheduling 0
		.amdhsa_exception_fp_ieee_invalid_op 0
		.amdhsa_exception_fp_denorm_src 0
		.amdhsa_exception_fp_ieee_div_zero 0
		.amdhsa_exception_fp_ieee_overflow 0
		.amdhsa_exception_fp_ieee_underflow 0
		.amdhsa_exception_fp_ieee_inexact 0
		.amdhsa_exception_int_div_zero 0
	.end_amdhsa_kernel
	.section	.text._ZL36rocblas_gemvt_double_buffered_kernelILb1ELi128ELi4ELi16EPKdS1_KPdEviiT4_lPKT3_lilS7_lilPT5_lili,"axG",@progbits,_ZL36rocblas_gemvt_double_buffered_kernelILb1ELi128ELi4ELi16EPKdS1_KPdEviiT4_lPKT3_lilS7_lilPT5_lili,comdat
.Lfunc_end284:
	.size	_ZL36rocblas_gemvt_double_buffered_kernelILb1ELi128ELi4ELi16EPKdS1_KPdEviiT4_lPKT3_lilS7_lilPT5_lili, .Lfunc_end284-_ZL36rocblas_gemvt_double_buffered_kernelILb1ELi128ELi4ELi16EPKdS1_KPdEviiT4_lPKT3_lilS7_lilPT5_lili
                                        ; -- End function
	.set _ZL36rocblas_gemvt_double_buffered_kernelILb1ELi128ELi4ELi16EPKdS1_KPdEviiT4_lPKT3_lilS7_lilPT5_lili.num_vgpr, 256
	.set _ZL36rocblas_gemvt_double_buffered_kernelILb1ELi128ELi4ELi16EPKdS1_KPdEviiT4_lPKT3_lilS7_lilPT5_lili.num_agpr, 0
	.set _ZL36rocblas_gemvt_double_buffered_kernelILb1ELi128ELi4ELi16EPKdS1_KPdEviiT4_lPKT3_lilS7_lilPT5_lili.numbered_sgpr, 48
	.set _ZL36rocblas_gemvt_double_buffered_kernelILb1ELi128ELi4ELi16EPKdS1_KPdEviiT4_lPKT3_lilS7_lilPT5_lili.num_named_barrier, 0
	.set _ZL36rocblas_gemvt_double_buffered_kernelILb1ELi128ELi4ELi16EPKdS1_KPdEviiT4_lPKT3_lilS7_lilPT5_lili.private_seg_size, 148
	.set _ZL36rocblas_gemvt_double_buffered_kernelILb1ELi128ELi4ELi16EPKdS1_KPdEviiT4_lPKT3_lilS7_lilPT5_lili.uses_vcc, 1
	.set _ZL36rocblas_gemvt_double_buffered_kernelILb1ELi128ELi4ELi16EPKdS1_KPdEviiT4_lPKT3_lilS7_lilPT5_lili.uses_flat_scratch, 1
	.set _ZL36rocblas_gemvt_double_buffered_kernelILb1ELi128ELi4ELi16EPKdS1_KPdEviiT4_lPKT3_lilS7_lilPT5_lili.has_dyn_sized_stack, 0
	.set _ZL36rocblas_gemvt_double_buffered_kernelILb1ELi128ELi4ELi16EPKdS1_KPdEviiT4_lPKT3_lilS7_lilPT5_lili.has_recursion, 0
	.set _ZL36rocblas_gemvt_double_buffered_kernelILb1ELi128ELi4ELi16EPKdS1_KPdEviiT4_lPKT3_lilS7_lilPT5_lili.has_indirect_call, 0
	.section	.AMDGPU.csdata,"",@progbits
; Kernel info:
; codeLenInByte = 6648
; TotalNumSgprs: 50
; NumVgprs: 256
; ScratchSize: 148
; MemoryBound: 0
; FloatMode: 240
; IeeeMode: 1
; LDSByteSize: 65536 bytes/workgroup (compile time only)
; SGPRBlocks: 0
; VGPRBlocks: 15
; NumSGPRsForWavesPerEU: 50
; NumVGPRsForWavesPerEU: 256
; NamedBarCnt: 0
; Occupancy: 4
; WaveLimiterHint : 1
; COMPUTE_PGM_RSRC2:SCRATCH_EN: 1
; COMPUTE_PGM_RSRC2:USER_SGPR: 2
; COMPUTE_PGM_RSRC2:TRAP_HANDLER: 0
; COMPUTE_PGM_RSRC2:TGID_X_EN: 1
; COMPUTE_PGM_RSRC2:TGID_Y_EN: 1
; COMPUTE_PGM_RSRC2:TGID_Z_EN: 1
; COMPUTE_PGM_RSRC2:TIDIG_COMP_CNT: 1
	.section	.text._ZL36rocblas_gemvt_double_buffered_kernelILb1ELi128ELi4ELi16EPKddKPdEviiT4_lPKT3_lilS7_lilPT5_lili,"axG",@progbits,_ZL36rocblas_gemvt_double_buffered_kernelILb1ELi128ELi4ELi16EPKddKPdEviiT4_lPKT3_lilS7_lilPT5_lili,comdat
	.globl	_ZL36rocblas_gemvt_double_buffered_kernelILb1ELi128ELi4ELi16EPKddKPdEviiT4_lPKT3_lilS7_lilPT5_lili ; -- Begin function _ZL36rocblas_gemvt_double_buffered_kernelILb1ELi128ELi4ELi16EPKddKPdEviiT4_lPKT3_lilS7_lilPT5_lili
	.p2align	8
	.type	_ZL36rocblas_gemvt_double_buffered_kernelILb1ELi128ELi4ELi16EPKddKPdEviiT4_lPKT3_lilS7_lilPT5_lili,@function
_ZL36rocblas_gemvt_double_buffered_kernelILb1ELi128ELi4ELi16EPKddKPdEviiT4_lPKT3_lilS7_lilPT5_lili: ; @_ZL36rocblas_gemvt_double_buffered_kernelILb1ELi128ELi4ELi16EPKddKPdEviiT4_lPKT3_lilS7_lilPT5_lili
; %bb.0:
	s_load_b32 s33, s[0:1], 0x78
	s_bfe_u32 s2, ttmp6, 0x40014
	s_lshr_b32 s4, ttmp7, 16
	s_add_co_i32 s2, s2, 1
	s_bfe_u32 s5, ttmp6, 0x40008
	s_mul_i32 s2, s4, s2
	s_getreg_b32 s3, hwreg(HW_REG_IB_STS2, 6, 4)
	s_add_co_i32 s5, s5, s2
	s_cmp_eq_u32 s3, 0
	s_mov_b32 s17, 0
	s_cselect_b32 s2, s4, s5
	s_wait_kmcnt 0x0
	s_cmp_ge_u32 s2, s33
	s_cbranch_scc1 .LBB285_15
; %bb.1:
	s_clause 0x7
	s_load_b32 s16, s[0:1], 0x0
	s_load_b32 s30, s[0:1], 0x28
	s_load_b128 s[4:7], s[0:1], 0x18
	s_load_b32 s18, s[0:1], 0x48
	s_load_b128 s[8:11], s[0:1], 0x38
	;; [unrolled: 2-line block ×3, first 2 shown]
	s_load_b64 s[20:21], s[0:1], 0x8
	v_and_b32_e32 v8, 0x3ff, v0
	v_bfe_u32 v1, v0, 10, 10
	s_bfe_u32 s19, ttmp6, 0x4000c
	s_bfe_u32 s22, ttmp6, 0x40010
	s_add_co_i32 s19, s19, 1
	s_and_b32 s24, ttmp7, 0xffff
	v_lshl_add_u32 v4, v1, 7, v8
	s_add_co_i32 s22, s22, 1
	s_mul_i32 s26, ttmp9, s19
	s_mul_i32 s27, s24, s22
	s_and_b32 s23, ttmp6, 15
	v_dual_lshrrev_b32 v5, 2, v4 :: v_dual_mov_b32 v3, 0
	s_wait_kmcnt 0x0
	s_ashr_i32 s19, s16, 31
	s_bfe_u32 s25, ttmp6, 0x40004
	s_lshr_b32 s22, s19, 25
	s_ashr_i32 s31, s30, 31
	s_add_co_i32 s16, s16, s22
	s_ashr_i32 s19, s18, 31
	s_ashr_i32 s35, s34, 31
	;; [unrolled: 1-line block ×3, first 2 shown]
	s_add_co_i32 s23, s23, s26
	s_add_co_i32 s25, s25, s27
	s_cmp_eq_u32 s3, 0
	v_and_b32_e32 v6, 0x7ff0, v5
	v_and_b32_e32 v2, 63, v0
	s_cselect_b32 s42, s24, s25
	s_add_nc_u64 s[24:25], s[0:1], 0x80
	v_cmp_eq_u32_e64 s0, 0, v1
	v_dual_add_nc_u32 v1, 1, v8 :: v_dual_lshlrev_b32 v40, 9, v6
	v_mad_nc_i64_i32 v[10:11], s30, v6, v[2:3]
	v_dual_lshlrev_b32 v2, 3, v2 :: v_dual_lshlrev_b32 v42, 9, v8
	v_lshl_or_b32 v41, v5, 9, 0x1e00
	v_dual_add_nc_u32 v5, 2, v8 :: v_dual_add_nc_u32 v9, 5, v8
	v_dual_add_nc_u32 v6, 3, v8 :: v_dual_bitop2_b32 v1, 63, v1 bitop3:0x40
	s_delay_alu instid0(VALU_DEP_2) | instskip(SKIP_1) | instid1(VALU_DEP_3)
	v_dual_add_nc_u32 v7, 4, v8 :: v_dual_bitop2_b32 v5, 63, v5 bitop3:0x40
	v_bitop3_b32 v0, v0, 32, 63 bitop3:0x6c
	v_lshl_or_b32 v1, v1, 3, v42
	scratch_store_b64 off, v[10:11], off    ; 8-byte Folded Spill
	v_and_b32_e32 v6, 63, v6
	v_and_b32_e32 v7, 63, v7
	v_lshl_or_b32 v0, v0, 3, v42
	scratch_store_b32 off, v1, off offset:8 ; 4-byte Folded Spill
	s_wait_xcnt 0x0
	v_lshl_or_b32 v1, v5, 3, v42
	v_dual_add_nc_u32 v10, 9, v8 :: v_dual_bitop2_b32 v9, 63, v9 bitop3:0x40
	s_cselect_b32 s3, ttmp9, s23
	v_mov_b32_e32 v5, v3
	scratch_store_b32 off, v1, off offset:12 ; 4-byte Folded Spill
	s_wait_xcnt 0x0
	v_lshl_or_b32 v1, v6, 3, v42
	v_add_nc_u32_e32 v6, 6, v8
	s_lshl_b32 s40, s3, 7
	s_lshl_b64 s[6:7], s[6:7], 3
	s_ashr_i32 s41, s40, 31
	scratch_store_b32 off, v1, off offset:16 ; 4-byte Folded Spill
	s_wait_xcnt 0x0
	v_lshl_or_b32 v1, v7, 3, v42
	v_dual_add_nc_u32 v7, 7, v8 :: v_dual_add_nc_u32 v14, 11, v8
	scratch_store_b32 off, v0, off offset:132 ; 4-byte Folded Spill
	v_cmp_neq_f64_e64 s1, s[20:21], 0
	scratch_store_b32 off, v1, off offset:20 ; 4-byte Folded Spill
	s_wait_xcnt 0x0
	v_lshl_or_b32 v1, v9, 3, v42
	v_dual_add_nc_u32 v9, 8, v8 :: v_dual_bitop2_b32 v229, v42, v2 bitop3:0x54
	s_mul_u64 s[36:37], s[30:31], s[40:41]
	s_mul_u64 s[38:39], s[34:35], s[40:41]
	scratch_store_b32 off, v1, off offset:24 ; 4-byte Folded Spill
	s_wait_xcnt 0x0
	v_lshlrev_b32_e32 v1, 1, v4
	s_mul_u64 s[26:27], s[30:31], 15
	s_lshl_b64 s[28:29], s[18:19], 10
	s_mov_b32 s23, s17
	s_lshl_b64 s[10:11], s[10:11], 3
	v_and_b32_e32 v4, 0x3ff80, v1
	v_and_b32_e32 v1, 63, v6
	;; [unrolled: 1-line block ×3, first 2 shown]
	s_lshl_b64 s[36:37], s[36:37], 3
	s_lshl_b64 s[14:15], s[14:15], 3
	v_lshl_add_u64 v[4:5], s[40:41], 3, v[4:5]
	v_lshl_or_b32 v1, v1, 3, v42
	s_lshl_b64 s[38:39], s[38:39], 3
	v_dual_add_nc_u32 v44, 12, v8 :: v_dual_add_nc_u32 v231, v2, v41
	s_delay_alu instid0(VALU_DEP_3)
	v_mul_lo_u32 v5, v5, s30
	v_or_b32_e32 v26, 40, v4
	v_or_b32_e32 v32, 56, v4
	v_and_b32_e32 v7, 63, v9
	scratch_store_b32 off, v1, off offset:28 ; 4-byte Folded Spill
	s_wait_xcnt 0x0
	v_lshl_or_b32 v1, v6, 3, v42
	v_mad_nc_u64_u32 v[18:19], v26, s30, s[6:7]
	v_or_b32_e32 v25, 32, v4
	v_mad_nc_u64_u32 v[22:23], v32, s30, s[6:7]
	v_and_b32_e32 v43, 63, v14
	scratch_store_b32 off, v1, off offset:32 ; 4-byte Folded Spill
	s_wait_xcnt 0x0
	v_lshl_or_b32 v1, v7, 3, v42
	v_mad_nc_u64_u32 v[6:7], v4, s30, s[6:7]
	v_or_b32_e32 v36, 0x50, v4
	v_or_b32_e32 v35, 0x48, v4
	;; [unrolled: 1-line block ×3, first 2 shown]
	scratch_store_b32 off, v1, off offset:36 ; 4-byte Folded Spill
	v_add_nc_u32_e32 v19, v5, v19
	v_mad_nc_u64_u32 v[16:17], v25, s30, s[6:7]
	v_or_b32_e32 v24, 24, v4
	v_mad_nc_u64_u32 v[28:29], v36, s30, s[6:7]
	v_dual_add_nc_u32 v23, v5, v23 :: v_dual_bitop2_b32 v34, 64, v4 bitop3:0x54
	v_add_nc_u32_e32 v7, v5, v7
	v_or_b32_e32 v38, 0x60, v4
	v_mad_nc_u64_u32 v[30:31], v37, s30, s[6:7]
	v_or_b32_e32 v45, 0x68, v4
	v_or_b32_e32 v46, 0x70, v4
	v_mad_u32 v7, v4, s31, v7
	v_add_nc_u32_e32 v17, v5, v17
	v_mad_nc_u64_u32 v[14:15], v24, s30, s[6:7]
	v_or_b32_e32 v20, 16, v4
	v_add_nc_u32_e32 v0, 35, v8
	v_add_nc_u32_e32 v230, v2, v40
	v_mad_u32 v17, v25, s31, v17
	s_delay_alu instid0(VALU_DEP_3) | instskip(SKIP_2) | instid1(VALU_DEP_3)
	v_dual_add_nc_u32 v15, v5, v15 :: v_dual_bitop2_b32 v0, 63, v0 bitop3:0x40
	v_mad_nc_u64_u32 v[12:13], v20, s30, s[6:7]
	v_and_b32_e32 v9, 63, v10
	v_lshl_or_b32 v246, v0, 3, v42
	v_add_nc_u32_e32 v0, 40, v8
	v_mad_u32 v15, v24, s31, v15
	v_mad_nc_u64_u32 v[24:25], v34, s30, s[6:7]
	v_add_nc_u64_e32 v[16:17], 0x400, v[16:17]
	s_delay_alu instid0(VALU_DEP_4) | instskip(SKIP_3) | instid1(VALU_DEP_3)
	v_dual_add_nc_u32 v13, v5, v13 :: v_dual_bitop2_b32 v0, 63, v0 bitop3:0x40
	s_wait_xcnt 0x0
	v_lshl_or_b32 v1, v9, 3, v42
	v_add_nc_u32_e32 v9, 10, v8
	v_lshl_or_b32 v251, v0, 3, v42
	v_add_nc_u32_e32 v0, 45, v8
	v_mad_u32 v13, v20, s31, v13
	v_add_nc_u64_e32 v[14:15], 0x400, v[14:15]
	v_and_b32_e32 v9, 63, v9
	s_delay_alu instid0(VALU_DEP_4) | instskip(NEXT) | instid1(VALU_DEP_2)
	v_and_b32_e32 v0, 63, v0
	v_lshl_or_b32 v9, v9, 3, v42
	scratch_store_b32 off, v1, off offset:40 ; 4-byte Folded Spill
	s_wait_xcnt 0x0
	v_or_b32_e32 v1, 8, v4
	v_lshl_or_b32 v212, v0, 3, v42
	v_add_nc_u32_e32 v0, 50, v8
	v_add_nc_u64_e32 v[12:13], 0x400, v[12:13]
	s_delay_alu instid0(VALU_DEP_4) | instskip(NEXT) | instid1(VALU_DEP_3)
	v_mad_nc_u64_u32 v[10:11], v1, s30, s[6:7]
	v_and_b32_e32 v0, 63, v0
	s_delay_alu instid0(VALU_DEP_1) | instskip(NEXT) | instid1(VALU_DEP_3)
	v_lshl_or_b32 v217, v0, 3, v42
	v_dual_add_nc_u32 v0, 55, v8 :: v_dual_add_nc_u32 v11, v5, v11
	s_delay_alu instid0(VALU_DEP_1) | instskip(NEXT) | instid1(VALU_DEP_2)
	v_and_b32_e32 v0, 63, v0
	v_mad_u32 v11, v1, s31, v11
	v_or_b32_e32 v1, 48, v4
	v_or_b32_e32 v4, 0x78, v4
	s_delay_alu instid0(VALU_DEP_2) | instskip(NEXT) | instid1(VALU_DEP_4)
	v_mad_nc_u64_u32 v[20:21], v1, s30, s[6:7]
	v_add_nc_u64_e32 v[10:11], 0x400, v[10:11]
	s_delay_alu instid0(VALU_DEP_2) | instskip(SKIP_2) | instid1(VALU_DEP_2)
	v_add_nc_u32_e32 v21, v5, v21
	v_mad_u32 v19, v26, s31, v19
	v_mad_nc_u64_u32 v[26:27], v35, s30, s[6:7]
	v_add_nc_u64_e32 v[18:19], 0x400, v[18:19]
	s_delay_alu instid0(VALU_DEP_2)
	v_add_nc_u32_e32 v27, v5, v27
	v_mad_u32 v21, v1, s31, v21
	v_add_nc_u32_e32 v1, v5, v25
	v_mad_u32 v23, v32, s31, v23
	v_mad_nc_u64_u32 v[32:33], v38, s30, s[6:7]
	v_mad_u32 v27, v35, s31, v27
	v_add_nc_u32_e32 v31, v5, v31
	v_mad_u32 v25, v34, s31, v1
	v_mad_nc_u64_u32 v[34:35], v45, s30, s[6:7]
	v_dual_add_nc_u32 v1, v5, v29 :: v_dual_add_nc_u32 v47, 13, v8
	v_add_nc_u64_e32 v[20:21], 0x400, v[20:21]
	s_delay_alu instid0(VALU_DEP_2)
	v_mad_u32 v29, v36, s31, v1
	v_add_nc_u32_e32 v1, v5, v33
	v_mad_u32 v31, v37, s31, v31
	v_mad_nc_u64_u32 v[36:37], v46, s30, s[6:7]
	v_add_nc_u64_e32 v[22:23], 0x400, v[22:23]
	v_add_nc_u64_e32 v[24:25], 0x400, v[24:25]
	v_mad_u32 v33, v38, s31, v1
	v_add_nc_u32_e32 v1, v5, v35
	v_mad_nc_u64_u32 v[38:39], v4, s30, s[6:7]
	v_add_nc_u64_e32 v[26:27], 0x400, v[26:27]
	v_add_nc_u64_e32 v[28:29], 0x400, v[28:29]
	s_delay_alu instid0(VALU_DEP_4) | instskip(SKIP_3) | instid1(VALU_DEP_3)
	v_mad_u32 v35, v45, s31, v1
	v_dual_add_nc_u32 v1, 14, v8 :: v_dual_add_nc_u32 v37, v5, v37
	v_add_nc_u64_e32 v[30:31], 0x400, v[30:31]
	v_add_nc_u64_e32 v[32:33], 0x400, v[32:33]
	v_dual_add_nc_u32 v5, v5, v39 :: v_dual_bitop2_b32 v1, 63, v1 bitop3:0x40
	s_delay_alu instid0(VALU_DEP_4) | instskip(NEXT) | instid1(VALU_DEP_2)
	v_mad_u32 v37, v46, s31, v37
	v_lshl_or_b32 v1, v1, 3, v42
	scratch_store_b32 off, v9, off offset:44 ; 4-byte Folded Spill
	s_wait_xcnt 0x0
	v_lshl_or_b32 v9, v43, 3, v42
	v_and_b32_e32 v43, 63, v47
	v_mad_u32 v39, v4, s31, v5
	v_dual_add_nc_u32 v4, 17, v8 :: v_dual_add_nc_u32 v5, 18, v8
	scratch_store_b32 off, v1, off offset:60 ; 4-byte Folded Spill
	s_wait_xcnt 0x0
	v_add_nc_u32_e32 v1, 19, v8
	v_add_nc_u64_e32 v[34:35], 0x400, v[34:35]
	v_and_b32_e32 v4, 63, v4
	v_and_b32_e32 v5, 63, v5
	v_add_nc_u64_e32 v[36:37], 0x400, v[36:37]
	v_and_b32_e32 v1, 63, v1
	s_lshl_b64 s[30:31], s[30:31], 3
	v_lshl_or_b32 v4, v4, 3, v42
	scratch_store_b32 off, v9, off offset:48 ; 4-byte Folded Spill
	s_wait_xcnt 0x0
	v_and_b32_e32 v9, 63, v44
	v_cvt_f64_i32_e32 v[44:45], s42
	v_add_nc_u64_e32 v[38:39], 0x400, v[38:39]
	scratch_store_b32 off, v4, off offset:72 ; 4-byte Folded Spill
	s_wait_xcnt 0x0
	v_lshl_or_b32 v4, v5, 3, v42
	v_lshl_or_b32 v9, v9, 3, v42
	v_add_nc_u32_e32 v5, 22, v8
	v_lshl_or_b32 v1, v1, 3, v42
	s_clause 0x1
	scratch_store_b32 off, v4, off offset:76
	scratch_store_b32 off, v9, off offset:52
	s_wait_xcnt 0x0
	v_lshl_or_b32 v9, v43, 3, v42
	v_add_nc_u32_e32 v43, 16, v8
	scratch_store_b32 off, v1, off offset:80 ; 4-byte Folded Spill
	s_wait_xcnt 0x0
	v_dual_add_nc_u32 v1, 20, v8 :: v_dual_add_nc_u32 v4, 21, v8
	scratch_store_b32 off, v9, off offset:56 ; 4-byte Folded Spill
	s_wait_xcnt 0x0
	v_dual_add_nc_u32 v9, 15, v8 :: v_dual_bitop2_b32 v43, 63, v43 bitop3:0x40
	v_and_b32_e32 v1, 63, v1
	v_and_b32_e32 v4, 63, v4
	;; [unrolled: 1-line block ×3, first 2 shown]
	s_delay_alu instid0(VALU_DEP_4) | instskip(NEXT) | instid1(VALU_DEP_4)
	v_and_b32_e32 v9, 63, v9
	v_lshl_or_b32 v1, v1, 3, v42
	s_delay_alu instid0(VALU_DEP_2)
	v_lshl_or_b32 v9, v9, 3, v42
	scratch_store_b32 off, v1, off offset:84 ; 4-byte Folded Spill
	s_wait_xcnt 0x0
	v_lshl_or_b32 v1, v4, 3, v42
	v_add_nc_u32_e32 v4, 26, v8
	scratch_store_b32 off, v9, off offset:64 ; 4-byte Folded Spill
	s_wait_xcnt 0x0
	v_lshl_or_b32 v9, v43, 3, v42
	v_add_nc_u32_e32 v43, 24, v8
	;; [unrolled: 4-line block ×3, first 2 shown]
	scratch_store_b32 off, v9, off offset:68 ; 4-byte Folded Spill
	s_wait_xcnt 0x0
	v_dual_add_nc_u32 v9, 23, v8 :: v_dual_bitop2_b32 v43, 63, v43 bitop3:0x40
	scratch_store_b32 off, v1, off offset:92 ; 4-byte Folded Spill
	v_and_b32_e32 v4, 63, v4
	v_and_b32_e32 v5, 63, v5
	;; [unrolled: 1-line block ×3, first 2 shown]
	s_wait_xcnt 0x0
	s_delay_alu instid0(VALU_DEP_1)
	v_lshl_or_b32 v1, v9, 3, v42
	v_add_nc_u32_e32 v9, 28, v8
	scratch_store_b32 off, v1, off offset:96 ; 4-byte Folded Spill
	s_wait_xcnt 0x0
	v_lshl_or_b32 v1, v43, 3, v42
	v_dual_add_nc_u32 v43, 29, v8 :: v_dual_bitop2_b32 v9, 63, v9 bitop3:0x40
	scratch_store_b32 off, v1, off offset:100 ; 4-byte Folded Spill
	s_wait_xcnt 0x0
	v_dual_add_nc_u32 v1, 25, v8 :: v_dual_bitop2_b32 v43, 63, v43 bitop3:0x40
	s_delay_alu instid0(VALU_DEP_1) | instskip(NEXT) | instid1(VALU_DEP_1)
	v_and_b32_e32 v1, 63, v1
	v_lshl_or_b32 v1, v1, 3, v42
	scratch_store_b32 off, v1, off offset:104 ; 4-byte Folded Spill
	s_wait_xcnt 0x0
	v_lshl_or_b32 v1, v4, 3, v42
	v_add_nc_u32_e32 v4, 31, v8
	scratch_store_b32 off, v1, off offset:108 ; 4-byte Folded Spill
	s_wait_xcnt 0x0
	v_lshl_or_b32 v1, v5, 3, v42
	v_lshl_or_b32 v5, v43, 3, v42
	v_and_b32_e32 v4, 63, v4
	v_add_nc_u32_e32 v43, 59, v8
	scratch_store_b32 off, v1, off offset:112 ; 4-byte Folded Spill
	s_wait_xcnt 0x0
	v_lshl_or_b32 v1, v9, 3, v42
	v_dual_add_nc_u32 v9, 34, v8 :: v_dual_bitop2_b32 v43, 63, v43 bitop3:0x40
	scratch_store_b32 off, v1, off offset:116 ; 4-byte Folded Spill
	s_wait_xcnt 0x0
	v_dual_add_nc_u32 v1, 30, v8 :: v_dual_bitop2_b32 v9, 63, v9 bitop3:0x40
	s_delay_alu instid0(VALU_DEP_1) | instskip(NEXT) | instid1(VALU_DEP_1)
	v_and_b32_e32 v1, 63, v1
	v_lshl_or_b32 v1, v1, 3, v42
	scratch_store_b32 off, v5, off offset:120 ; 4-byte Folded Spill
	s_wait_xcnt 0x0
	v_add_nc_u32_e32 v5, 33, v8
	scratch_store_b32 off, v1, off offset:124 ; 4-byte Folded Spill
	s_wait_xcnt 0x0
	v_lshl_or_b32 v1, v4, 3, v42
	v_dual_add_nc_u32 v4, 37, v8 :: v_dual_bitop2_b32 v5, 63, v5 bitop3:0x40
	v_lshl_or_b32 v245, v9, 3, v42
	v_add_nc_u32_e32 v9, 39, v8
	scratch_store_b32 off, v1, off offset:128 ; 4-byte Folded Spill
	s_wait_xcnt 0x0
	v_add_nc_u32_e32 v1, 36, v8
	v_lshl_or_b32 v244, v5, 3, v42
	v_add_nc_u32_e32 v5, 38, v8
	v_and_b32_e32 v4, 63, v4
	v_and_b32_e32 v9, 63, v9
	;; [unrolled: 1-line block ×3, first 2 shown]
	s_delay_alu instid0(VALU_DEP_4) | instskip(NEXT) | instid1(VALU_DEP_4)
	v_and_b32_e32 v5, 63, v5
	v_lshl_or_b32 v248, v4, 3, v42
	v_add_nc_u32_e32 v4, 42, v8
	s_delay_alu instid0(VALU_DEP_4)
	v_lshl_or_b32 v247, v1, 3, v42
	v_lshl_or_b32 v250, v9, 3, v42
	v_add_nc_u32_e32 v1, 41, v8
	v_lshl_or_b32 v249, v5, 3, v42
	v_dual_add_nc_u32 v5, 43, v8 :: v_dual_add_nc_u32 v9, 44, v8
	v_and_b32_e32 v4, 63, v4
	s_delay_alu instid0(VALU_DEP_4) | instskip(NEXT) | instid1(VALU_DEP_3)
	v_and_b32_e32 v1, 63, v1
	v_and_b32_e32 v5, 63, v5
	s_delay_alu instid0(VALU_DEP_4) | instskip(NEXT) | instid1(VALU_DEP_4)
	v_and_b32_e32 v9, 63, v9
	v_lshl_or_b32 v253, v4, 3, v42
	s_delay_alu instid0(VALU_DEP_4)
	v_lshl_or_b32 v252, v1, 3, v42
	v_add_nc_u32_e32 v1, 46, v8
	v_lshl_or_b32 v254, v5, 3, v42
	v_add_nc_u32_e32 v4, 47, v8
	v_lshl_or_b32 v255, v9, 3, v42
	v_dual_add_nc_u32 v5, 48, v8 :: v_dual_add_nc_u32 v9, 49, v8
	v_and_b32_e32 v1, 63, v1
	s_delay_alu instid0(VALU_DEP_4) | instskip(NEXT) | instid1(VALU_DEP_3)
	v_and_b32_e32 v4, 63, v4
	v_and_b32_e32 v5, 63, v5
	s_delay_alu instid0(VALU_DEP_4) | instskip(NEXT) | instid1(VALU_DEP_4)
	v_and_b32_e32 v9, 63, v9
	v_lshl_or_b32 v213, v1, 3, v42
	s_delay_alu instid0(VALU_DEP_4)
	v_lshl_or_b32 v214, v4, 3, v42
	v_add_nc_u32_e32 v1, 51, v8
	v_lshl_or_b32 v215, v5, 3, v42
	v_add_nc_u32_e32 v4, 52, v8
	v_lshl_or_b32 v216, v9, 3, v42
	v_dual_add_nc_u32 v5, 53, v8 :: v_dual_add_nc_u32 v9, 54, v8
	v_and_b32_e32 v1, 63, v1
	s_delay_alu instid0(VALU_DEP_4) | instskip(NEXT) | instid1(VALU_DEP_3)
	v_and_b32_e32 v4, 63, v4
	v_and_b32_e32 v5, 63, v5
	s_delay_alu instid0(VALU_DEP_4) | instskip(NEXT) | instid1(VALU_DEP_4)
	v_and_b32_e32 v9, 63, v9
	v_lshl_or_b32 v218, v1, 3, v42
	s_delay_alu instid0(VALU_DEP_4) | instskip(SKIP_4) | instid1(VALU_DEP_4)
	v_lshl_or_b32 v219, v4, 3, v42
	v_add_nc_u32_e32 v1, 56, v8
	v_lshl_or_b32 v220, v5, 3, v42
	v_add_nc_u32_e32 v5, 57, v8
	v_lshl_or_b32 v4, v9, 3, v42
	v_dual_add_nc_u32 v9, 58, v8 :: v_dual_bitop2_b32 v1, 63, v1 bitop3:0x40
	s_delay_alu instid0(VALU_DEP_3) | instskip(SKIP_1) | instid1(VALU_DEP_3)
	v_and_b32_e32 v46, 63, v5
	v_lshl_or_b32 v5, v0, 3, v42
	v_dual_add_nc_u32 v0, 60, v8 :: v_dual_bitop2_b32 v9, 63, v9 bitop3:0x40
	s_delay_alu instid0(VALU_DEP_4)
	v_lshl_or_b32 v221, v1, 3, v42
	v_add_nc_u32_e32 v1, 61, v8
	v_lshl_or_b32 v222, v46, 3, v42
	v_add_nc_u32_e32 v46, -1, v8
	v_lshl_or_b32 v224, v43, 3, v42
	v_add_nc_u32_e32 v43, 62, v8
	v_lshl_or_b32 v223, v9, 3, v42
	v_dual_mov_b32 v9, v3 :: v_dual_bitop2_b32 v0, 63, v0 bitop3:0x40
	v_and_b32_e32 v47, 63, v1
	s_delay_alu instid0(VALU_DEP_4) | instskip(SKIP_1) | instid1(VALU_DEP_4)
	v_and_b32_e32 v43, 63, v43
	v_and_b32_e32 v46, 63, v46
	v_lshl_or_b32 v225, v0, 3, v42
	v_mul_u64_e32 v[0:1], s[34:35], v[8:9]
	v_max_num_f64_e32 v[8:9], v[44:45], v[44:45]
	v_lshl_or_b32 v226, v47, 3, v42
	v_lshl_or_b32 v227, v43, 3, v42
	v_lshl_or_b32 v228, v46, 3, v42
	s_sub_nc_u64 s[34:35], 0, s[30:31]
	s_branch .LBB285_4
.LBB285_2:                              ;   in Loop: Header=BB285_4 Depth=1
	s_wait_xcnt 0x0
	s_or_b32 exec_lo, exec_lo, s3
.LBB285_3:                              ;   in Loop: Header=BB285_4 Depth=1
	s_add_co_i32 s2, s2, 0x10000
	s_delay_alu instid0(SALU_CYCLE_1)
	s_cmp_lt_u32 s2, s33
	s_cbranch_scc0 .LBB285_15
.LBB285_4:                              ; =>This Loop Header: Depth=1
                                        ;     Child Loop BB285_8 Depth 2
	s_and_not1_b32 vcc_lo, exec_lo, s1
	s_cbranch_vccnz .LBB285_3
; %bb.5:                                ;   in Loop: Header=BB285_4 Depth=1
	s_load_b32 s3, s[24:25], 0x4
	s_wait_kmcnt 0x0
	s_cvt_f32_u32 s16, s3
	s_sub_co_i32 s40, 0, s3
	s_delay_alu instid0(SALU_CYCLE_2) | instskip(SKIP_1) | instid1(TRANS32_DEP_1)
	v_rcp_iflag_f32_e32 v40, s16
	v_nop
	v_readfirstlane_b32 s16, v40
	s_mul_f32 s16, s16, 0x4f7ffffe
	s_delay_alu instid0(SALU_CYCLE_3) | instskip(NEXT) | instid1(SALU_CYCLE_3)
	s_cvt_u32_f32 s16, s16
	s_mul_i32 s40, s40, s16
	s_delay_alu instid0(SALU_CYCLE_1) | instskip(NEXT) | instid1(SALU_CYCLE_1)
	s_mul_hi_u32 s40, s16, s40
	s_add_co_i32 s16, s16, s40
	s_delay_alu instid0(SALU_CYCLE_1) | instskip(NEXT) | instid1(SALU_CYCLE_1)
	s_mul_u64 s[40:41], s[22:23], s[16:17]
	s_mul_i32 s16, s41, s3
	s_add_co_i32 s40, s41, 1
	s_sub_co_i32 s16, s22, s16
	s_delay_alu instid0(SALU_CYCLE_1)
	s_sub_co_i32 s43, s16, s3
	s_cmp_ge_u32 s16, s3
	s_cselect_b32 s40, s40, s41
	s_cselect_b32 s16, s43, s16
	s_add_co_i32 s41, s40, 1
	s_cmp_ge_u32 s16, s3
	s_cselect_b32 s40, s41, s40
	s_delay_alu instid0(SALU_CYCLE_1) | instskip(NEXT) | instid1(SALU_CYCLE_1)
	s_mul_i32 s3, s40, s3
	s_sub_co_i32 s41, s22, s3
	s_delay_alu instid0(SALU_CYCLE_1) | instskip(SKIP_1) | instid1(SALU_CYCLE_1)
	s_cmp_lt_u32 s42, s41
	s_cselect_b32 s3, -1, 0
	s_cmp_lg_u32 s3, 0
	s_add_co_ci_u32 s16, s40, 0
	s_delay_alu instid0(SALU_CYCLE_1)
	s_cmp_eq_u32 s16, 0
	s_cbranch_scc1 .LBB285_3
; %bb.6:                                ;   in Loop: Header=BB285_4 Depth=1
	v_mov_b32_e32 v40, s2
	s_cmp_lt_i32 s16, 1
	global_load_b64 v[40:41], v40, s[12:13] scale_offset
	s_cbranch_scc1 .LBB285_12
; %bb.7:                                ;   in Loop: Header=BB285_4 Depth=1
	s_mov_b32 s3, s17
	v_cvt_f64_u32_e32 v[42:43], s41
	s_lshl_b64 s[44:45], s[2:3], 3
	s_mul_i32 s40, s40, s42
	s_add_nc_u64 s[46:47], s[4:5], s[44:45]
	v_cvt_f64_u32_e32 v[44:45], s40
	global_load_b64 v[48:49], v3, s[46:47]
	s_add_nc_u64 s[40:41], s[8:9], s[44:45]
	s_add_co_i32 s3, s16, -1
	global_load_b64 v[110:111], v3, s[40:41]
	s_wait_xcnt 0x0
	s_mov_b32 s40, 0
	v_min_num_f64_e32 v[42:43], v[8:9], v[42:43]
	s_delay_alu instid0(VALU_DEP_1) | instskip(NEXT) | instid1(VALU_DEP_1)
	v_add_f64_e32 v[42:43], v[42:43], v[44:45]
	v_cvt_i32_f64_e32 v42, v[42:43]
	s_delay_alu instid0(VALU_DEP_1) | instskip(NEXT) | instid1(VALU_DEP_1)
	v_lshlrev_b32_e32 v42, 7, v42
	v_ashrrev_i32_e32 v43, 31, v42
	s_delay_alu instid0(VALU_DEP_1)
	v_lshlrev_b64_e32 v[50:51], 3, v[42:43]
	s_wait_loadcnt 0x1
	v_add_nc_u64_e32 v[44:45], s[6:7], v[48:49]
	v_add_nc_u64_e32 v[94:95], v[48:49], v[28:29]
	;; [unrolled: 1-line block ×6, first 2 shown]
	s_wait_loadcnt 0x0
	v_add_nc_u64_e32 v[110:111], s[10:11], v[110:111]
	v_add_nc_u64_e32 v[42:43], s[36:37], v[44:45]
	scratch_load_b64 v[44:45], off, off     ; 8-byte Folded Reload
	v_add_nc_u64_e32 v[94:95], v[94:95], v[50:51]
	v_add_nc_u64_e32 v[96:97], v[96:97], v[50:51]
	;; [unrolled: 1-line block ×6, first 2 shown]
	s_wait_loadcnt 0x0
	s_delay_alu instid0(VALU_DEP_1) | instskip(NEXT) | instid1(VALU_DEP_1)
	v_lshl_add_u64 v[42:43], v[44:45], 3, v[42:43]
	v_lshl_add_u64 v[44:45], s[26:27], 3, v[42:43]
	s_delay_alu instid0(VALU_DEP_1) | instskip(NEXT) | instid1(VALU_DEP_1)
	v_add_nc_u64_e32 v[46:47], s[34:35], v[44:45]
	v_add_nc_u64_e32 v[52:53], s[34:35], v[46:47]
	s_delay_alu instid0(VALU_DEP_1) | instskip(NEXT) | instid1(VALU_DEP_1)
	v_add_nc_u64_e32 v[54:55], s[34:35], v[52:53]
	v_add_nc_u64_e32 v[56:57], s[34:35], v[54:55]
	;; [unrolled: 3-line block ×3, first 2 shown]
	s_delay_alu instid0(VALU_DEP_1)
	v_add_nc_u64_e32 v[62:63], s[34:35], v[60:61]
	s_clause 0x5
	flat_load_b64 v[144:145], v[42:43]
	flat_load_b64 v[146:147], v[46:47]
	;; [unrolled: 1-line block ×8, first 2 shown]
	s_wait_xcnt 0x4
	v_add_nc_u64_e32 v[54:55], v[48:49], v[6:7]
	s_wait_xcnt 0x3
	v_add_nc_u64_e32 v[56:57], v[48:49], v[10:11]
	;; [unrolled: 2-line block ×4, first 2 shown]
	v_or_b32_e32 v52, 0x200, v2
	v_add_nc_u64_e32 v[64:65], s[34:35], v[62:63]
	s_wait_xcnt 0x0
	v_add_nc_u64_e32 v[62:63], v[48:49], v[16:17]
	v_mov_b32_e32 v53, v51
	v_add_nc_u64_e32 v[76:77], v[56:57], v[50:51]
	v_or_b32_e32 v52, v52, v50
	v_add_nc_u64_e32 v[78:79], v[58:59], v[50:51]
	v_add_nc_u64_e32 v[80:81], v[60:61], v[50:51]
	;; [unrolled: 1-line block ×4, first 2 shown]
	v_mul_u64_e32 v[106:107], s[18:19], v[52:53]
	v_mov_b64_e32 v[46:47], 0
	v_mov_b64_e32 v[60:61], 0
	;; [unrolled: 1-line block ×4, first 2 shown]
	v_add_nc_u64_e32 v[68:69], s[34:35], v[66:67]
	v_mov_b64_e32 v[58:59], 0
	v_mov_b64_e32 v[52:53], 0
	s_delay_alu instid0(VALU_DEP_3) | instskip(NEXT) | instid1(VALU_DEP_1)
	v_add_nc_u64_e32 v[70:71], s[34:35], v[68:69]
	v_add_nc_u64_e32 v[72:73], s[34:35], v[70:71]
	s_delay_alu instid0(VALU_DEP_1) | instskip(NEXT) | instid1(VALU_DEP_1)
	v_add_nc_u64_e32 v[74:75], s[34:35], v[72:73]
	v_add_nc_u64_e32 v[42:43], s[34:35], v[74:75]
	flat_load_b64 v[160:161], v[64:65]
	flat_load_b64 v[162:163], v[66:67]
	;; [unrolled: 1-line block ×8, first 2 shown]
	s_wait_xcnt 0x7
	v_add_nc_u64_e32 v[64:65], v[48:49], v[18:19]
	s_wait_xcnt 0x6
	v_add_nc_u64_e32 v[66:67], v[48:49], v[20:21]
	;; [unrolled: 2-line block ×5, first 2 shown]
	v_add_nc_u64_e32 v[48:49], v[48:49], v[38:39]
	s_wait_xcnt 0x2
	v_add_nc_u64_e32 v[74:75], v[54:55], v[50:51]
	v_add_nc_u64_e32 v[84:85], v[64:65], v[50:51]
	;; [unrolled: 1-line block ×7, first 2 shown]
	v_or_b32_e32 v50, v2, v50
	s_wait_xcnt 0x0
	v_mov_b64_e32 v[44:45], 0
	v_mov_b64_e32 v[42:43], 0
	;; [unrolled: 1-line block ×4, first 2 shown]
	v_mul_u64_e32 v[108:109], s[18:19], v[50:51]
	v_mov_b64_e32 v[72:73], 0
	v_mov_b64_e32 v[64:65], 0
	;; [unrolled: 1-line block ×6, first 2 shown]
	s_wait_loadcnt_dscnt 0xf0f
	v_mov_b64_e32 v[112:113], v[144:145]
	s_wait_loadcnt_dscnt 0xe0e
	v_mov_b64_e32 v[140:141], v[146:147]
	;; [unrolled: 2-line block ×16, first 2 shown]
.LBB285_8:                              ;   Parent Loop BB285_4 Depth=1
                                        ; =>  This Inner Loop Header: Depth=2
	v_add_nc_u64_e32 v[210:211], v[74:75], v[2:3]
	v_add_nc_u64_e32 v[240:241], v[110:111], v[108:109]
	s_cmp_lg_u32 s3, s40
	s_delay_alu instid0(VALU_DEP_2) | instskip(NEXT) | instid1(VALU_DEP_1)
	v_add_nc_u64_e32 v[176:177], 0x200, v[210:211]
	v_add_nc_u64_e32 v[176:177], s[30:31], v[176:177]
	s_delay_alu instid0(VALU_DEP_1) | instskip(NEXT) | instid1(VALU_DEP_1)
	v_add_nc_u64_e32 v[178:179], s[30:31], v[176:177]
	v_add_nc_u64_e32 v[180:181], s[30:31], v[178:179]
	s_delay_alu instid0(VALU_DEP_1) | instskip(NEXT) | instid1(VALU_DEP_1)
	v_add_nc_u64_e32 v[182:183], s[30:31], v[180:181]
	v_add_nc_u64_e32 v[184:185], s[30:31], v[182:183]
	s_delay_alu instid0(VALU_DEP_1) | instskip(NEXT) | instid1(VALU_DEP_1)
	v_add_nc_u64_e32 v[186:187], s[30:31], v[184:185]
	v_add_nc_u64_e32 v[188:189], s[30:31], v[186:187]
	s_delay_alu instid0(VALU_DEP_1)
	v_add_nc_u64_e32 v[190:191], s[30:31], v[188:189]
	s_clause 0x8
	flat_load_b64 v[206:207], v[210:211] offset:512
	flat_load_b64 v[204:205], v[176:177]
	flat_load_b64 v[200:201], v[178:179]
	;; [unrolled: 1-line block ×8, first 2 shown]
	v_add_nc_u64_e32 v[208:209], s[30:31], v[190:191]
	s_delay_alu instid0(VALU_DEP_1) | instskip(NEXT) | instid1(VALU_DEP_1)
	v_add_nc_u64_e32 v[232:233], s[30:31], v[208:209]
	v_add_nc_u64_e32 v[234:235], s[30:31], v[232:233]
	s_delay_alu instid0(VALU_DEP_1) | instskip(NEXT) | instid1(VALU_DEP_1)
	v_add_nc_u64_e32 v[236:237], s[30:31], v[234:235]
	;; [unrolled: 3-line block ×3, first 2 shown]
	v_add_nc_u64_e32 v[176:177], s[30:31], v[242:243]
	flat_load_b64 v[190:191], v[208:209]
	flat_load_b64 v[186:187], v[232:233]
	;; [unrolled: 1-line block ×8, first 2 shown]
	s_cbranch_scc0 .LBB285_10
; %bb.9:                                ;   in Loop: Header=BB285_8 Depth=2
	v_add_nc_u64_e32 v[114:115], v[76:77], v[2:3]
	v_add_nc_u64_e32 v[116:117], v[78:79], v[2:3]
	;; [unrolled: 1-line block ×15, first 2 shown]
	flat_load_b64 v[112:113], v[210:211] offset:1024
	flat_load_b64 v[114:115], v[114:115]
	flat_load_b64 v[116:117], v[116:117]
	;; [unrolled: 1-line block ×15, first 2 shown]
.LBB285_10:                             ;   in Loop: Header=BB285_8 Depth=2
	s_wait_loadcnt_dscnt 0x0
	v_fmac_f64_e32 v[44:45], v[144:145], v[208:209]
	v_add_nc_u64_e32 v[144:145], v[110:111], v[106:107]
	v_fmac_f64_e32 v[46:47], v[172:173], v[208:209]
	v_fmac_f64_e32 v[42:43], v[170:171], v[208:209]
	;; [unrolled: 1-line block ×6, first 2 shown]
	flat_load_b64 v[144:145], v[144:145]
	v_fmac_f64_e32 v[72:73], v[160:161], v[208:209]
	v_fmac_f64_e32 v[64:65], v[158:159], v[208:209]
	;; [unrolled: 1-line block ×9, first 2 shown]
	v_add_nc_u64_e32 v[74:75], 0x400, v[74:75]
	v_add_nc_u64_e32 v[76:77], 0x400, v[76:77]
	;; [unrolled: 1-line block ×17, first 2 shown]
	s_add_co_i32 s40, s40, 1
	s_delay_alu instid0(SALU_CYCLE_1)
	s_cmp_ge_i32 s40, s16
	s_wait_loadcnt_dscnt 0x0
	v_fmac_f64_e32 v[44:45], v[206:207], v[144:145]
	v_fmac_f64_e32 v[46:47], v[204:205], v[144:145]
	;; [unrolled: 1-line block ×16, first 2 shown]
	s_cbranch_scc1 .LBB285_13
; %bb.11:                               ;   in Loop: Header=BB285_8 Depth=2
	s_wait_xcnt 0x0
	v_mov_b64_e32 v[144:145], v[112:113]
	v_mov_b64_e32 v[172:173], v[114:115]
	;; [unrolled: 1-line block ×16, first 2 shown]
	s_branch .LBB285_8
.LBB285_12:                             ;   in Loop: Header=BB285_4 Depth=1
	v_mov_b64_e32 v[48:49], 0
	v_mov_b64_e32 v[50:51], 0
	;; [unrolled: 1-line block ×16, first 2 shown]
.LBB285_13:                             ;   in Loop: Header=BB285_4 Depth=1
	ds_store_2addr_stride64_b64 v230, v[44:45], v[46:47] offset1:1
	ds_store_2addr_stride64_b64 v230, v[42:43], v[68:69] offset0:2 offset1:3
	ds_store_2addr_stride64_b64 v230, v[60:61], v[62:63] offset0:4 offset1:5
	ds_store_2addr_stride64_b64 v230, v[70:71], v[72:73] offset0:6 offset1:7
	ds_store_2addr_stride64_b64 v230, v[64:65], v[66:67] offset0:8 offset1:9
	ds_store_2addr_stride64_b64 v230, v[56:57], v[58:59] offset0:10 offset1:11
	ds_store_2addr_stride64_b64 v230, v[52:53], v[54:55] offset0:12 offset1:13
	ds_store_b64 v230, v[50:51] offset:7168
	ds_store_b64 v231, v[48:49]
	s_wait_storecnt 0x0
	s_wait_loadcnt_dscnt 0x0
	s_barrier_signal -1
	s_barrier_wait -1
	s_wait_xcnt 0x0
	s_and_saveexec_b32 s3, s0
	s_cbranch_execz .LBB285_2
; %bb.14:                               ;   in Loop: Header=BB285_4 Depth=1
	s_clause 0x3
	scratch_load_b32 v44, off, off offset:8
	scratch_load_b32 v46, off, off offset:12
	;; [unrolled: 1-line block ×4, first 2 shown]
	ds_load_b64 v[42:43], v229
	v_add_nc_u64_e32 v[40:41], s[14:15], v[40:41]
	s_delay_alu instid0(VALU_DEP_1) | instskip(NEXT) | instid1(VALU_DEP_1)
	v_add_nc_u64_e32 v[40:41], s[38:39], v[40:41]
	v_lshl_add_u64 v[40:41], v[0:1], 3, v[40:41]
	s_wait_dscnt 0x0
	v_add_f64_e32 v[42:43], 0, v[42:43]
	s_wait_loadcnt 0x3
	ds_load_b64 v[44:45], v44
	s_wait_loadcnt 0x2
	ds_load_b64 v[46:47], v46
	;; [unrolled: 2-line block ×4, first 2 shown]
	s_wait_dscnt 0x3
	v_add_f64_e32 v[42:43], v[42:43], v[44:45]
	scratch_load_b32 v44, off, off offset:20 ; 4-byte Folded Reload
	s_wait_dscnt 0x2
	v_add_f64_e32 v[42:43], v[42:43], v[46:47]
	scratch_load_b32 v46, off, off offset:24 ; 4-byte Folded Reload
	;; [unrolled: 3-line block ×3, first 2 shown]
	s_wait_loadcnt 0x2
	ds_load_b64 v[44:45], v44
	s_wait_loadcnt 0x1
	ds_load_b64 v[46:47], v46
	;; [unrolled: 2-line block ×3, first 2 shown]
	s_wait_dscnt 0x2
	v_add_f64_e32 v[42:43], v[42:43], v[44:45]
	scratch_load_b32 v44, off, off offset:36 ; 4-byte Folded Reload
	s_wait_dscnt 0x1
	v_add_f64_e32 v[42:43], v[42:43], v[46:47]
	scratch_load_b32 v46, off, off offset:40 ; 4-byte Folded Reload
	;; [unrolled: 3-line block ×3, first 2 shown]
	v_add_f64_e32 v[42:43], v[42:43], v[50:51]
	scratch_load_b32 v50, off, off offset:48 ; 4-byte Folded Reload
	s_wait_loadcnt 0x3
	ds_load_b64 v[44:45], v44
	s_wait_loadcnt 0x2
	ds_load_b64 v[46:47], v46
	s_wait_loadcnt 0x1
	ds_load_b64 v[48:49], v48
	s_wait_loadcnt 0x0
	ds_load_b64 v[50:51], v50
	s_wait_dscnt 0x3
	v_add_f64_e32 v[42:43], v[42:43], v[44:45]
	scratch_load_b32 v44, off, off offset:52 ; 4-byte Folded Reload
	s_wait_dscnt 0x2
	v_add_f64_e32 v[42:43], v[42:43], v[46:47]
	scratch_load_b32 v46, off, off offset:56 ; 4-byte Folded Reload
	s_wait_dscnt 0x1
	v_add_f64_e32 v[42:43], v[42:43], v[48:49]
	scratch_load_b32 v48, off, off offset:60 ; 4-byte Folded Reload
	s_wait_dscnt 0x0
	v_add_f64_e32 v[42:43], v[42:43], v[50:51]
	scratch_load_b32 v50, off, off offset:64 ; 4-byte Folded Reload
	s_wait_loadcnt 0x3
	ds_load_b64 v[44:45], v44
	s_wait_loadcnt 0x2
	ds_load_b64 v[46:47], v46
	s_wait_loadcnt 0x1
	ds_load_b64 v[48:49], v48
	s_wait_loadcnt 0x0
	ds_load_b64 v[50:51], v50
	s_wait_dscnt 0x3
	v_add_f64_e32 v[42:43], v[42:43], v[44:45]
	scratch_load_b32 v44, off, off offset:68 ; 4-byte Folded Reload
	s_wait_dscnt 0x2
	v_add_f64_e32 v[42:43], v[42:43], v[46:47]
	scratch_load_b32 v46, off, off offset:72 ; 4-byte Folded Reload
	s_wait_dscnt 0x1
	v_add_f64_e32 v[42:43], v[42:43], v[48:49]
	scratch_load_b32 v48, off, off offset:76 ; 4-byte Folded Reload
	s_wait_dscnt 0x0
	;; [unrolled: 20-line block ×5, first 2 shown]
	v_add_f64_e32 v[42:43], v[42:43], v[50:51]
	scratch_load_b32 v50, off, off offset:128 ; 4-byte Folded Reload
	s_wait_loadcnt 0x3
	ds_load_b64 v[44:45], v44
	s_wait_loadcnt 0x2
	ds_load_b64 v[46:47], v46
	;; [unrolled: 2-line block ×4, first 2 shown]
	s_wait_dscnt 0x3
	v_add_f64_e32 v[42:43], v[42:43], v[44:45]
	scratch_load_b32 v44, off, off offset:132 ; 4-byte Folded Reload
	s_wait_dscnt 0x2
	v_add_f64_e32 v[42:43], v[42:43], v[46:47]
	s_wait_dscnt 0x1
	s_delay_alu instid0(VALU_DEP_1) | instskip(SKIP_1) | instid1(VALU_DEP_1)
	v_add_f64_e32 v[42:43], v[42:43], v[48:49]
	s_wait_dscnt 0x0
	v_add_f64_e32 v[42:43], v[42:43], v[50:51]
	s_wait_loadcnt 0x0
	ds_load_b64 v[44:45], v44
	ds_load_b64 v[46:47], v244
	ds_load_b64 v[48:49], v245
	ds_load_b64 v[50:51], v246
	s_wait_dscnt 0x3
	v_add_f64_e32 v[42:43], v[42:43], v[44:45]
	s_wait_dscnt 0x2
	s_delay_alu instid0(VALU_DEP_1) | instskip(SKIP_1) | instid1(VALU_DEP_1)
	v_add_f64_e32 v[42:43], v[42:43], v[46:47]
	s_wait_dscnt 0x1
	v_add_f64_e32 v[42:43], v[42:43], v[48:49]
	s_wait_dscnt 0x0
	s_delay_alu instid0(VALU_DEP_1)
	v_add_f64_e32 v[42:43], v[42:43], v[50:51]
	ds_load_b64 v[44:45], v247
	ds_load_b64 v[46:47], v248
	ds_load_b64 v[48:49], v249
	ds_load_b64 v[50:51], v250
	s_wait_dscnt 0x3
	v_add_f64_e32 v[42:43], v[42:43], v[44:45]
	s_wait_dscnt 0x2
	s_delay_alu instid0(VALU_DEP_1) | instskip(SKIP_1) | instid1(VALU_DEP_1)
	v_add_f64_e32 v[42:43], v[42:43], v[46:47]
	s_wait_dscnt 0x1
	v_add_f64_e32 v[42:43], v[42:43], v[48:49]
	s_wait_dscnt 0x0
	s_delay_alu instid0(VALU_DEP_1)
	v_add_f64_e32 v[42:43], v[42:43], v[50:51]
	;; [unrolled: 14-line block ×7, first 2 shown]
	ds_load_b64 v[44:45], v225
	ds_load_b64 v[46:47], v226
	;; [unrolled: 1-line block ×4, first 2 shown]
	s_wait_dscnt 0x3
	v_add_f64_e32 v[42:43], v[42:43], v[44:45]
	s_wait_dscnt 0x2
	s_delay_alu instid0(VALU_DEP_1) | instskip(SKIP_1) | instid1(VALU_DEP_1)
	v_add_f64_e32 v[42:43], v[42:43], v[46:47]
	s_wait_dscnt 0x1
	v_add_f64_e32 v[42:43], v[42:43], v[48:49]
	s_wait_dscnt 0x0
	s_delay_alu instid0(VALU_DEP_1) | instskip(NEXT) | instid1(VALU_DEP_1)
	v_add_f64_e32 v[42:43], v[42:43], v[50:51]
	v_mul_f64_e32 v[42:43], s[20:21], v[42:43]
	flat_atomic_add_f64 v[40:41], v[42:43] scope:SCOPE_DEV
	s_branch .LBB285_2
.LBB285_15:
	s_sendmsg sendmsg(MSG_DEALLOC_VGPRS)
	s_endpgm
	.section	.rodata,"a",@progbits
	.p2align	6, 0x0
	.amdhsa_kernel _ZL36rocblas_gemvt_double_buffered_kernelILb1ELi128ELi4ELi16EPKddKPdEviiT4_lPKT3_lilS7_lilPT5_lili
		.amdhsa_group_segment_fixed_size 65536
		.amdhsa_private_segment_fixed_size 140
		.amdhsa_kernarg_size 384
		.amdhsa_user_sgpr_count 2
		.amdhsa_user_sgpr_dispatch_ptr 0
		.amdhsa_user_sgpr_queue_ptr 0
		.amdhsa_user_sgpr_kernarg_segment_ptr 1
		.amdhsa_user_sgpr_dispatch_id 0
		.amdhsa_user_sgpr_kernarg_preload_length 0
		.amdhsa_user_sgpr_kernarg_preload_offset 0
		.amdhsa_user_sgpr_private_segment_size 0
		.amdhsa_wavefront_size32 1
		.amdhsa_uses_dynamic_stack 0
		.amdhsa_enable_private_segment 1
		.amdhsa_system_sgpr_workgroup_id_x 1
		.amdhsa_system_sgpr_workgroup_id_y 1
		.amdhsa_system_sgpr_workgroup_id_z 1
		.amdhsa_system_sgpr_workgroup_info 0
		.amdhsa_system_vgpr_workitem_id 1
		.amdhsa_next_free_vgpr 256
		.amdhsa_next_free_sgpr 48
		.amdhsa_named_barrier_count 0
		.amdhsa_reserve_vcc 1
		.amdhsa_float_round_mode_32 0
		.amdhsa_float_round_mode_16_64 0
		.amdhsa_float_denorm_mode_32 3
		.amdhsa_float_denorm_mode_16_64 3
		.amdhsa_fp16_overflow 0
		.amdhsa_memory_ordered 1
		.amdhsa_forward_progress 1
		.amdhsa_inst_pref_size 52
		.amdhsa_round_robin_scheduling 0
		.amdhsa_exception_fp_ieee_invalid_op 0
		.amdhsa_exception_fp_denorm_src 0
		.amdhsa_exception_fp_ieee_div_zero 0
		.amdhsa_exception_fp_ieee_overflow 0
		.amdhsa_exception_fp_ieee_underflow 0
		.amdhsa_exception_fp_ieee_inexact 0
		.amdhsa_exception_int_div_zero 0
	.end_amdhsa_kernel
	.section	.text._ZL36rocblas_gemvt_double_buffered_kernelILb1ELi128ELi4ELi16EPKddKPdEviiT4_lPKT3_lilS7_lilPT5_lili,"axG",@progbits,_ZL36rocblas_gemvt_double_buffered_kernelILb1ELi128ELi4ELi16EPKddKPdEviiT4_lPKT3_lilS7_lilPT5_lili,comdat
.Lfunc_end285:
	.size	_ZL36rocblas_gemvt_double_buffered_kernelILb1ELi128ELi4ELi16EPKddKPdEviiT4_lPKT3_lilS7_lilPT5_lili, .Lfunc_end285-_ZL36rocblas_gemvt_double_buffered_kernelILb1ELi128ELi4ELi16EPKddKPdEviiT4_lPKT3_lilS7_lilPT5_lili
                                        ; -- End function
	.set _ZL36rocblas_gemvt_double_buffered_kernelILb1ELi128ELi4ELi16EPKddKPdEviiT4_lPKT3_lilS7_lilPT5_lili.num_vgpr, 256
	.set _ZL36rocblas_gemvt_double_buffered_kernelILb1ELi128ELi4ELi16EPKddKPdEviiT4_lPKT3_lilS7_lilPT5_lili.num_agpr, 0
	.set _ZL36rocblas_gemvt_double_buffered_kernelILb1ELi128ELi4ELi16EPKddKPdEviiT4_lPKT3_lilS7_lilPT5_lili.numbered_sgpr, 48
	.set _ZL36rocblas_gemvt_double_buffered_kernelILb1ELi128ELi4ELi16EPKddKPdEviiT4_lPKT3_lilS7_lilPT5_lili.num_named_barrier, 0
	.set _ZL36rocblas_gemvt_double_buffered_kernelILb1ELi128ELi4ELi16EPKddKPdEviiT4_lPKT3_lilS7_lilPT5_lili.private_seg_size, 140
	.set _ZL36rocblas_gemvt_double_buffered_kernelILb1ELi128ELi4ELi16EPKddKPdEviiT4_lPKT3_lilS7_lilPT5_lili.uses_vcc, 1
	.set _ZL36rocblas_gemvt_double_buffered_kernelILb1ELi128ELi4ELi16EPKddKPdEviiT4_lPKT3_lilS7_lilPT5_lili.uses_flat_scratch, 1
	.set _ZL36rocblas_gemvt_double_buffered_kernelILb1ELi128ELi4ELi16EPKddKPdEviiT4_lPKT3_lilS7_lilPT5_lili.has_dyn_sized_stack, 0
	.set _ZL36rocblas_gemvt_double_buffered_kernelILb1ELi128ELi4ELi16EPKddKPdEviiT4_lPKT3_lilS7_lilPT5_lili.has_recursion, 0
	.set _ZL36rocblas_gemvt_double_buffered_kernelILb1ELi128ELi4ELi16EPKddKPdEviiT4_lPKT3_lilS7_lilPT5_lili.has_indirect_call, 0
	.section	.AMDGPU.csdata,"",@progbits
; Kernel info:
; codeLenInByte = 6596
; TotalNumSgprs: 50
; NumVgprs: 256
; ScratchSize: 140
; MemoryBound: 0
; FloatMode: 240
; IeeeMode: 1
; LDSByteSize: 65536 bytes/workgroup (compile time only)
; SGPRBlocks: 0
; VGPRBlocks: 15
; NumSGPRsForWavesPerEU: 50
; NumVGPRsForWavesPerEU: 256
; NamedBarCnt: 0
; Occupancy: 4
; WaveLimiterHint : 1
; COMPUTE_PGM_RSRC2:SCRATCH_EN: 1
; COMPUTE_PGM_RSRC2:USER_SGPR: 2
; COMPUTE_PGM_RSRC2:TRAP_HANDLER: 0
; COMPUTE_PGM_RSRC2:TGID_X_EN: 1
; COMPUTE_PGM_RSRC2:TGID_Y_EN: 1
; COMPUTE_PGM_RSRC2:TGID_Z_EN: 1
; COMPUTE_PGM_RSRC2:TIDIG_COMP_CNT: 1
	.section	.text._ZL20rocblas_gemvt_kernelILb1ELi256EPKdS1_KPdEviiT2_lPKT1_lilS7_lilS4_lPT3_lili,"axG",@progbits,_ZL20rocblas_gemvt_kernelILb1ELi256EPKdS1_KPdEviiT2_lPKT1_lilS7_lilS4_lPT3_lili,comdat
	.globl	_ZL20rocblas_gemvt_kernelILb1ELi256EPKdS1_KPdEviiT2_lPKT1_lilS7_lilS4_lPT3_lili ; -- Begin function _ZL20rocblas_gemvt_kernelILb1ELi256EPKdS1_KPdEviiT2_lPKT1_lilS7_lilS4_lPT3_lili
	.p2align	8
	.type	_ZL20rocblas_gemvt_kernelILb1ELi256EPKdS1_KPdEviiT2_lPKT1_lilS7_lilS4_lPT3_lili,@function
_ZL20rocblas_gemvt_kernelILb1ELi256EPKdS1_KPdEviiT2_lPKT1_lilS7_lilS4_lPT3_lili: ; @_ZL20rocblas_gemvt_kernelILb1ELi256EPKdS1_KPdEviiT2_lPKT1_lilS7_lilS4_lPT3_lili
; %bb.0:
	s_load_b32 s11, s[0:1], 0x88
	s_bfe_u32 s2, ttmp6, 0x40014
	s_lshr_b32 s3, ttmp7, 16
	s_add_co_i32 s2, s2, 1
	s_bfe_u32 s5, ttmp6, 0x40008
	s_mul_i32 s4, s3, s2
	s_getreg_b32 s2, hwreg(HW_REG_IB_STS2, 6, 4)
	s_add_co_i32 s5, s5, s4
	s_cmp_eq_u32 s2, 0
	s_mov_b32 s35, 0
	s_cselect_b32 s34, s3, s5
	s_wait_kmcnt 0x0
	s_cmp_ge_u32 s34, s11
	s_cbranch_scc1 .LBB286_44
; %bb.1:
	s_clause 0x3
	s_load_b32 s4, s[0:1], 0x28
	s_load_b32 s40, s[0:1], 0x48
	;; [unrolled: 1-line block ×4, first 2 shown]
	s_bfe_u32 s3, ttmp6, 0x4000c
	s_and_b32 s5, ttmp6, 15
	s_add_co_i32 s3, s3, 1
	s_load_b128 s[28:31], s[0:1], 0x38
	s_mul_i32 s3, ttmp9, s3
	s_clause 0x1
	s_load_b256 s[12:19], s[0:1], 0x8
	s_load_b256 s[20:27], s[0:1], 0x58
	s_add_co_i32 s3, s5, s3
	s_wait_xcnt 0x0
	v_cmp_eq_u32_e64 s0, 0, v0
	v_lshlrev_b32_e32 v22, 3, v0
	s_wait_kmcnt 0x0
	s_ashr_i32 s5, s4, 31
	s_ashr_i32 s41, s40, 31
	;; [unrolled: 1-line block ×3, first 2 shown]
	s_cmp_eq_u32 s2, 0
	v_cmp_gt_i32_e32 vcc_lo, s8, v0
	s_cselect_b32 s2, ttmp9, s3
	s_ashr_i32 s3, s8, 31
	s_delay_alu instid0(SALU_CYCLE_1) | instskip(SKIP_2) | instid1(SALU_CYCLE_1)
	s_lshr_b32 s3, s3, 24
	v_cndmask_b32_e32 v8, 0, v0, vcc_lo
	s_add_co_i32 s3, s8, s3
	s_and_b32 s36, s3, 0xffffff00
	s_delay_alu instid0(SALU_CYCLE_1) | instskip(SKIP_3) | instid1(VALU_DEP_1)
	v_dual_mov_b32 v1, 0 :: v_dual_bitop2_b32 v4, s36, v0 bitop3:0x54
	s_ashr_i32 s3, s2, 31
	s_cmp_gt_i32 s8, 0xff
	s_mul_u64 s[42:43], s[6:7], s[2:3]
	v_mul_u64_e32 v[6:7], s[40:41], v[0:1]
	v_ashrrev_i32_e32 v5, 31, v4
	v_cmp_gt_i32_e64 s1, s8, v4
	s_mul_u64 s[38:39], s[4:5], s[2:3]
	v_cmp_gt_u32_e64 s2, 0x80, v0
	v_cmp_gt_u32_e64 s3, 64, v0
	v_mul_u64_e32 v[2:3], s[40:41], v[4:5]
	v_cmp_gt_u32_e64 s4, 32, v0
	v_cmp_gt_u32_e64 s5, 16, v0
	;; [unrolled: 1-line block ×5, first 2 shown]
	v_lshlrev_b32_e32 v0, 3, v8
	s_cselect_b32 s33, -1, 0
	s_ashr_i32 s37, s36, 31
	s_lshl_b64 s[40:41], s[40:41], 11
	s_lshl_b64 s[18:19], s[18:19], 3
	;; [unrolled: 1-line block ×5, first 2 shown]
	v_lshlrev_b64_e32 v[4:5], 3, v[6:7]
	s_branch .LBB286_4
.LBB286_2:                              ;   in Loop: Header=BB286_4 Depth=1
	s_wait_xcnt 0x0
	s_or_b32 exec_lo, exec_lo, s10
.LBB286_3:                              ;   in Loop: Header=BB286_4 Depth=1
	s_add_co_i32 s34, s34, 0x10000
	s_delay_alu instid0(SALU_CYCLE_1)
	s_cmp_lt_u32 s34, s11
	s_cbranch_scc0 .LBB286_44
.LBB286_4:                              ; =>This Loop Header: Depth=1
                                        ;     Child Loop BB286_18 Depth 2
	s_wait_xcnt 0x1
	s_mul_u64 s[44:45], s[14:15], s[34:35]
	s_wait_xcnt 0x0
	s_mul_u64 s[46:47], s[22:23], s[34:35]
	s_lshl_b64 s[44:45], s[44:45], 3
	s_lshl_b64 s[46:47], s[46:47], 3
	s_add_nc_u64 s[44:45], s[12:13], s[44:45]
	s_add_nc_u64 s[46:47], s[20:21], s[46:47]
	s_clause 0x1
	global_load_b64 v[8:9], v1, s[44:45]
	global_load_b64 v[6:7], v1, s[46:47]
	s_wait_loadcnt 0x1
	v_cmp_eq_f64_e64 s9, 0, v[8:9]
	s_wait_loadcnt 0x0
	v_cmp_eq_f64_e32 vcc_lo, 1.0, v[6:7]
	s_and_b32 s10, s9, vcc_lo
	s_delay_alu instid0(SALU_CYCLE_1)
	s_and_b32 vcc_lo, exec_lo, s10
	s_cbranch_vccnz .LBB286_3
; %bb.5:                                ;   in Loop: Header=BB286_4 Depth=1
	v_cmp_neq_f64_e64 s10, 0, v[8:9]
	v_mov_b64_e32 v[12:13], 0
	v_mov_b64_e32 v[14:15], 0
	s_and_b32 vcc_lo, exec_lo, s9
	s_cbranch_vccnz .LBB286_7
; %bb.6:                                ;   in Loop: Header=BB286_4 Depth=1
	s_wait_xcnt 0x1
	s_lshl_b64 s[44:45], s[34:35], 3
	s_delay_alu instid0(SALU_CYCLE_1)
	s_add_nc_u64 s[44:45], s[16:17], s[44:45]
	global_load_b64 v[10:11], v1, s[44:45]
	s_wait_loadcnt 0x0
	v_add_nc_u64_e32 v[14:15], s[18:19], v[10:11]
.LBB286_7:                              ;   in Loop: Header=BB286_4 Depth=1
	s_and_not1_b32 vcc_lo, exec_lo, s10
	s_cbranch_vccnz .LBB286_9
; %bb.8:                                ;   in Loop: Header=BB286_4 Depth=1
	s_wait_xcnt 0x0
	s_lshl_b64 s[44:45], s[34:35], 3
	s_delay_alu instid0(SALU_CYCLE_1)
	s_add_nc_u64 s[44:45], s[28:29], s[44:45]
	global_load_b64 v[10:11], v1, s[44:45]
	s_wait_loadcnt 0x0
	v_add_nc_u64_e32 v[12:13], s[30:31], v[10:11]
.LBB286_9:                              ;   in Loop: Header=BB286_4 Depth=1
	s_wait_xcnt 0x0
	s_lshl_b64 s[44:45], s[34:35], 3
	s_and_not1_b32 vcc_lo, exec_lo, s9
	s_add_nc_u64 s[44:45], s[24:25], s[44:45]
	global_load_b64 v[10:11], v1, s[44:45]
	s_wait_loadcnt 0x0
	v_add_nc_u64_e32 v[10:11], s[26:27], v[10:11]
	s_cbranch_vccnz .LBB286_14
; %bb.10:                               ;   in Loop: Header=BB286_4 Depth=1
	s_mov_b32 s10, 0
	s_mov_b32 s9, 0
                                        ; implicit-def: $vgpr16_vgpr17
	s_wait_xcnt 0x0
	s_and_saveexec_b32 s44, s0
	s_cbranch_execz .LBB286_15
; %bb.11:                               ;   in Loop: Header=BB286_4 Depth=1
	v_cmp_eq_f64_e32 vcc_lo, 0, v[6:7]
	v_mov_b64_e32 v[16:17], 0
	s_cbranch_vccnz .LBB286_13
; %bb.12:                               ;   in Loop: Header=BB286_4 Depth=1
	v_add_nc_u64_e32 v[16:17], s[42:43], v[10:11]
	flat_load_b64 v[16:17], v[16:17]
	s_wait_loadcnt_dscnt 0x0
	s_wait_xcnt 0x0
	v_mul_f64_e32 v[16:17], v[6:7], v[16:17]
.LBB286_13:                             ;   in Loop: Header=BB286_4 Depth=1
	s_mov_b32 s9, exec_lo
	s_or_b32 exec_lo, exec_lo, s44
	s_delay_alu instid0(SALU_CYCLE_1)
	s_and_b32 vcc_lo, exec_lo, s10
	s_cbranch_vccnz .LBB286_16
	s_branch .LBB286_42
.LBB286_14:                             ;   in Loop: Header=BB286_4 Depth=1
	s_mov_b32 s9, 0
                                        ; implicit-def: $vgpr16_vgpr17
	s_cbranch_execnz .LBB286_16
	s_branch .LBB286_42
.LBB286_15:                             ;   in Loop: Header=BB286_4 Depth=1
	s_or_b32 exec_lo, exec_lo, s44
	s_delay_alu instid0(SALU_CYCLE_1)
	s_and_b32 vcc_lo, exec_lo, s10
	s_cbranch_vccz .LBB286_42
.LBB286_16:                             ;   in Loop: Header=BB286_4 Depth=1
	v_add_nc_u64_e32 v[16:17], v[14:15], v[0:1]
	v_mov_b64_e32 v[14:15], 0
	s_and_not1_b32 vcc_lo, exec_lo, s33
	s_delay_alu instid0(VALU_DEP_2)
	v_lshl_add_u64 v[16:17], s[38:39], 3, v[16:17]
	s_cbranch_vccnz .LBB286_19
; %bb.17:                               ;   in Loop: Header=BB286_4 Depth=1
	v_add_nc_u64_e32 v[18:19], v[12:13], v[4:5]
	v_mov_b64_e32 v[14:15], 0
	s_delay_alu instid0(VALU_DEP_3)
	v_mov_b64_e32 v[20:21], v[16:17]
	s_mov_b32 s10, 0
.LBB286_18:                             ;   Parent Loop BB286_4 Depth=1
                                        ; =>  This Inner Loop Header: Depth=2
	flat_load_b64 v[24:25], v[20:21]
	flat_load_b64 v[26:27], v[18:19]
	s_wait_xcnt 0x0
	v_add_nc_u64_e32 v[18:19], s[40:41], v[18:19]
	v_add_nc_u64_e32 v[20:21], 0x800, v[20:21]
	s_addk_co_i32 s10, 0x100
	s_delay_alu instid0(SALU_CYCLE_1)
	s_cmp_ge_i32 s10, s36
	s_wait_loadcnt_dscnt 0x0
	v_fmac_f64_e32 v[14:15], v[24:25], v[26:27]
	s_cbranch_scc0 .LBB286_18
.LBB286_19:                             ;   in Loop: Header=BB286_4 Depth=1
	s_wait_xcnt 0x0
	s_and_saveexec_b32 s10, s1
	s_cbranch_execz .LBB286_21
; %bb.20:                               ;   in Loop: Header=BB286_4 Depth=1
	v_lshl_add_u64 v[16:17], s[36:37], 3, v[16:17]
	v_lshl_add_u64 v[12:13], v[2:3], 3, v[12:13]
	flat_load_b64 v[18:19], v[16:17]
	flat_load_b64 v[20:21], v[12:13]
	s_wait_loadcnt_dscnt 0x0
	v_fmac_f64_e32 v[14:15], v[18:19], v[20:21]
.LBB286_21:                             ;   in Loop: Header=BB286_4 Depth=1
	s_wait_xcnt 0x0
	s_or_b32 exec_lo, exec_lo, s10
	ds_store_b64 v22, v[14:15]
	s_wait_dscnt 0x0
	s_barrier_signal -1
	s_barrier_wait -1
	s_and_saveexec_b32 s10, s2
	s_cbranch_execz .LBB286_23
; %bb.22:                               ;   in Loop: Header=BB286_4 Depth=1
	ds_load_2addr_stride64_b64 v[12:15], v22 offset1:2
	s_wait_dscnt 0x0
	v_add_f64_e32 v[12:13], v[14:15], v[12:13]
	ds_store_b64 v22, v[12:13]
.LBB286_23:                             ;   in Loop: Header=BB286_4 Depth=1
	s_or_b32 exec_lo, exec_lo, s10
	s_wait_dscnt 0x0
	s_barrier_signal -1
	s_barrier_wait -1
	s_and_saveexec_b32 s10, s3
	s_cbranch_execz .LBB286_25
; %bb.24:                               ;   in Loop: Header=BB286_4 Depth=1
	ds_load_2addr_stride64_b64 v[12:15], v22 offset1:1
	s_wait_dscnt 0x0
	v_add_f64_e32 v[12:13], v[14:15], v[12:13]
	ds_store_b64 v22, v[12:13]
.LBB286_25:                             ;   in Loop: Header=BB286_4 Depth=1
	s_or_b32 exec_lo, exec_lo, s10
	s_wait_dscnt 0x0
	s_barrier_signal -1
	s_barrier_wait -1
	s_and_saveexec_b32 s10, s4
	s_cbranch_execz .LBB286_27
; %bb.26:                               ;   in Loop: Header=BB286_4 Depth=1
	ds_load_2addr_b64 v[12:15], v22 offset1:32
	s_wait_dscnt 0x0
	v_add_f64_e32 v[12:13], v[14:15], v[12:13]
	ds_store_b64 v22, v[12:13]
.LBB286_27:                             ;   in Loop: Header=BB286_4 Depth=1
	s_or_b32 exec_lo, exec_lo, s10
	s_wait_dscnt 0x0
	s_barrier_signal -1
	s_barrier_wait -1
	s_and_saveexec_b32 s10, s5
	s_cbranch_execz .LBB286_29
; %bb.28:                               ;   in Loop: Header=BB286_4 Depth=1
	ds_load_2addr_b64 v[12:15], v22 offset1:16
	s_wait_dscnt 0x0
	v_add_f64_e32 v[12:13], v[14:15], v[12:13]
	ds_store_b64 v22, v[12:13]
.LBB286_29:                             ;   in Loop: Header=BB286_4 Depth=1
	;; [unrolled: 12-line block ×5, first 2 shown]
	s_or_b32 exec_lo, exec_lo, s10
	s_wait_dscnt 0x0
	s_barrier_signal -1
	s_barrier_wait -1
	s_and_saveexec_b32 s10, s0
	s_cbranch_execz .LBB286_37
; %bb.36:                               ;   in Loop: Header=BB286_4 Depth=1
	ds_load_b128 v[12:15], v1
	s_wait_dscnt 0x0
	v_add_f64_e32 v[12:13], v[14:15], v[12:13]
	ds_store_b64 v1, v[12:13]
.LBB286_37:                             ;   in Loop: Header=BB286_4 Depth=1
	s_or_b32 exec_lo, exec_lo, s10
	s_wait_dscnt 0x0
	s_barrier_signal -1
	s_barrier_wait -1
                                        ; implicit-def: $vgpr16_vgpr17
	s_and_saveexec_b32 s10, s0
	s_cbranch_execz .LBB286_41
; %bb.38:                               ;   in Loop: Header=BB286_4 Depth=1
	ds_load_b64 v[12:13], v1
	v_cmp_eq_f64_e32 vcc_lo, 0, v[6:7]
	s_wait_dscnt 0x0
	v_mul_f64_e32 v[16:17], v[8:9], v[12:13]
	s_cbranch_vccnz .LBB286_40
; %bb.39:                               ;   in Loop: Header=BB286_4 Depth=1
	v_add_nc_u64_e32 v[8:9], s[42:43], v[10:11]
	flat_load_b64 v[8:9], v[8:9]
	s_wait_loadcnt_dscnt 0x0
	v_fmac_f64_e32 v[16:17], v[6:7], v[8:9]
.LBB286_40:                             ;   in Loop: Header=BB286_4 Depth=1
	s_or_b32 s9, s9, exec_lo
.LBB286_41:                             ;   in Loop: Header=BB286_4 Depth=1
	s_wait_xcnt 0x0
	s_or_b32 exec_lo, exec_lo, s10
.LBB286_42:                             ;   in Loop: Header=BB286_4 Depth=1
	s_wait_xcnt 0x0
	s_and_saveexec_b32 s10, s9
	s_cbranch_execz .LBB286_2
; %bb.43:                               ;   in Loop: Header=BB286_4 Depth=1
	v_add_nc_u64_e32 v[6:7], s[42:43], v[10:11]
	flat_store_b64 v[6:7], v[16:17]
	s_branch .LBB286_2
.LBB286_44:
	s_endpgm
	.section	.rodata,"a",@progbits
	.p2align	6, 0x0
	.amdhsa_kernel _ZL20rocblas_gemvt_kernelILb1ELi256EPKdS1_KPdEviiT2_lPKT1_lilS7_lilS4_lPT3_lili
		.amdhsa_group_segment_fixed_size 2048
		.amdhsa_private_segment_fixed_size 0
		.amdhsa_kernarg_size 140
		.amdhsa_user_sgpr_count 2
		.amdhsa_user_sgpr_dispatch_ptr 0
		.amdhsa_user_sgpr_queue_ptr 0
		.amdhsa_user_sgpr_kernarg_segment_ptr 1
		.amdhsa_user_sgpr_dispatch_id 0
		.amdhsa_user_sgpr_kernarg_preload_length 0
		.amdhsa_user_sgpr_kernarg_preload_offset 0
		.amdhsa_user_sgpr_private_segment_size 0
		.amdhsa_wavefront_size32 1
		.amdhsa_uses_dynamic_stack 0
		.amdhsa_enable_private_segment 0
		.amdhsa_system_sgpr_workgroup_id_x 1
		.amdhsa_system_sgpr_workgroup_id_y 0
		.amdhsa_system_sgpr_workgroup_id_z 1
		.amdhsa_system_sgpr_workgroup_info 0
		.amdhsa_system_vgpr_workitem_id 0
		.amdhsa_next_free_vgpr 28
		.amdhsa_next_free_sgpr 48
		.amdhsa_named_barrier_count 0
		.amdhsa_reserve_vcc 1
		.amdhsa_float_round_mode_32 0
		.amdhsa_float_round_mode_16_64 0
		.amdhsa_float_denorm_mode_32 3
		.amdhsa_float_denorm_mode_16_64 3
		.amdhsa_fp16_overflow 0
		.amdhsa_memory_ordered 1
		.amdhsa_forward_progress 1
		.amdhsa_inst_pref_size 12
		.amdhsa_round_robin_scheduling 0
		.amdhsa_exception_fp_ieee_invalid_op 0
		.amdhsa_exception_fp_denorm_src 0
		.amdhsa_exception_fp_ieee_div_zero 0
		.amdhsa_exception_fp_ieee_overflow 0
		.amdhsa_exception_fp_ieee_underflow 0
		.amdhsa_exception_fp_ieee_inexact 0
		.amdhsa_exception_int_div_zero 0
	.end_amdhsa_kernel
	.section	.text._ZL20rocblas_gemvt_kernelILb1ELi256EPKdS1_KPdEviiT2_lPKT1_lilS7_lilS4_lPT3_lili,"axG",@progbits,_ZL20rocblas_gemvt_kernelILb1ELi256EPKdS1_KPdEviiT2_lPKT1_lilS7_lilS4_lPT3_lili,comdat
.Lfunc_end286:
	.size	_ZL20rocblas_gemvt_kernelILb1ELi256EPKdS1_KPdEviiT2_lPKT1_lilS7_lilS4_lPT3_lili, .Lfunc_end286-_ZL20rocblas_gemvt_kernelILb1ELi256EPKdS1_KPdEviiT2_lPKT1_lilS7_lilS4_lPT3_lili
                                        ; -- End function
	.set _ZL20rocblas_gemvt_kernelILb1ELi256EPKdS1_KPdEviiT2_lPKT1_lilS7_lilS4_lPT3_lili.num_vgpr, 28
	.set _ZL20rocblas_gemvt_kernelILb1ELi256EPKdS1_KPdEviiT2_lPKT1_lilS7_lilS4_lPT3_lili.num_agpr, 0
	.set _ZL20rocblas_gemvt_kernelILb1ELi256EPKdS1_KPdEviiT2_lPKT1_lilS7_lilS4_lPT3_lili.numbered_sgpr, 48
	.set _ZL20rocblas_gemvt_kernelILb1ELi256EPKdS1_KPdEviiT2_lPKT1_lilS7_lilS4_lPT3_lili.num_named_barrier, 0
	.set _ZL20rocblas_gemvt_kernelILb1ELi256EPKdS1_KPdEviiT2_lPKT1_lilS7_lilS4_lPT3_lili.private_seg_size, 0
	.set _ZL20rocblas_gemvt_kernelILb1ELi256EPKdS1_KPdEviiT2_lPKT1_lilS7_lilS4_lPT3_lili.uses_vcc, 1
	.set _ZL20rocblas_gemvt_kernelILb1ELi256EPKdS1_KPdEviiT2_lPKT1_lilS7_lilS4_lPT3_lili.uses_flat_scratch, 0
	.set _ZL20rocblas_gemvt_kernelILb1ELi256EPKdS1_KPdEviiT2_lPKT1_lilS7_lilS4_lPT3_lili.has_dyn_sized_stack, 0
	.set _ZL20rocblas_gemvt_kernelILb1ELi256EPKdS1_KPdEviiT2_lPKT1_lilS7_lilS4_lPT3_lili.has_recursion, 0
	.set _ZL20rocblas_gemvt_kernelILb1ELi256EPKdS1_KPdEviiT2_lPKT1_lilS7_lilS4_lPT3_lili.has_indirect_call, 0
	.section	.AMDGPU.csdata,"",@progbits
; Kernel info:
; codeLenInByte = 1452
; TotalNumSgprs: 50
; NumVgprs: 28
; ScratchSize: 0
; MemoryBound: 1
; FloatMode: 240
; IeeeMode: 1
; LDSByteSize: 2048 bytes/workgroup (compile time only)
; SGPRBlocks: 0
; VGPRBlocks: 1
; NumSGPRsForWavesPerEU: 50
; NumVGPRsForWavesPerEU: 28
; NamedBarCnt: 0
; Occupancy: 16
; WaveLimiterHint : 1
; COMPUTE_PGM_RSRC2:SCRATCH_EN: 0
; COMPUTE_PGM_RSRC2:USER_SGPR: 2
; COMPUTE_PGM_RSRC2:TRAP_HANDLER: 0
; COMPUTE_PGM_RSRC2:TGID_X_EN: 1
; COMPUTE_PGM_RSRC2:TGID_Y_EN: 0
; COMPUTE_PGM_RSRC2:TGID_Z_EN: 1
; COMPUTE_PGM_RSRC2:TIDIG_COMP_CNT: 0
	.section	.text._ZL20rocblas_gemvt_kernelILb1ELi256EPKddKPdEviiT2_lPKT1_lilS7_lilS4_lPT3_lili,"axG",@progbits,_ZL20rocblas_gemvt_kernelILb1ELi256EPKddKPdEviiT2_lPKT1_lilS7_lilS4_lPT3_lili,comdat
	.globl	_ZL20rocblas_gemvt_kernelILb1ELi256EPKddKPdEviiT2_lPKT1_lilS7_lilS4_lPT3_lili ; -- Begin function _ZL20rocblas_gemvt_kernelILb1ELi256EPKddKPdEviiT2_lPKT1_lilS7_lilS4_lPT3_lili
	.p2align	8
	.type	_ZL20rocblas_gemvt_kernelILb1ELi256EPKddKPdEviiT2_lPKT1_lilS7_lilS4_lPT3_lili,@function
_ZL20rocblas_gemvt_kernelILb1ELi256EPKddKPdEviiT2_lPKT1_lilS7_lilS4_lPT3_lili: ; @_ZL20rocblas_gemvt_kernelILb1ELi256EPKddKPdEviiT2_lPKT1_lilS7_lilS4_lPT3_lili
; %bb.0:
	s_load_b32 s9, s[0:1], 0x88
	s_bfe_u32 s2, ttmp6, 0x40014
	s_lshr_b32 s3, ttmp7, 16
	s_add_co_i32 s2, s2, 1
	s_bfe_u32 s5, ttmp6, 0x40008
	s_mul_i32 s4, s3, s2
	s_getreg_b32 s2, hwreg(HW_REG_IB_STS2, 6, 4)
	s_add_co_i32 s5, s5, s4
	s_cmp_eq_u32 s2, 0
	s_mov_b32 s11, 0
	s_cselect_b32 s10, s3, s5
	s_wait_kmcnt 0x0
	s_cmp_ge_u32 s10, s9
	s_cbranch_scc1 .LBB287_47
; %bb.1:
	s_clause 0x6
	s_load_b64 s[24:25], s[0:1], 0x58
	s_load_b64 s[26:27], s[0:1], 0x8
	s_load_b128 s[12:15], s[0:1], 0x68
	s_load_b32 s4, s[0:1], 0x28
	s_load_b32 s34, s[0:1], 0x48
	;; [unrolled: 1-line block ×4, first 2 shown]
	s_bfe_u32 s5, ttmp6, 0x4000c
	s_and_b32 s7, ttmp6, 15
	s_add_co_i32 s5, s5, 1
	v_lshlrev_b32_e32 v19, 3, v0
	s_mul_i32 s5, ttmp9, s5
	s_delay_alu instid0(SALU_CYCLE_1)
	s_add_co_i32 s16, s7, s5
	s_wait_kmcnt 0x0
	s_ashr_i32 s5, s4, 31
	v_cmp_neq_f64_e64 s3, s[24:25], 1.0
	v_cmp_neq_f64_e64 s8, s[26:27], 0
	s_ashr_i32 s35, s34, 31
	s_ashr_i32 s7, s6, 31
	v_cmp_gt_i32_e32 vcc_lo, s29, v0
	v_cmp_eq_f64_e64 s39, s[26:27], 0
	v_cmp_neq_f64_e64 s40, s[24:25], 0
	v_cndmask_b32_e32 v8, 0, v0, vcc_lo
	s_or_b32 s33, s8, s3
	s_cmp_eq_u32 s2, 0
	v_cndmask_b32_e64 v18, 0, 1, s8
	s_cselect_b32 s2, ttmp9, s16
	s_ashr_i32 s3, s29, 31
	s_clause 0x1
	s_load_b128 s[16:19], s[0:1], 0x18
	s_load_b128 s[20:23], s[0:1], 0x38
	s_lshr_b32 s3, s3, 24
	s_wait_xcnt 0x0
	v_cmp_eq_u32_e64 s0, 0, v0
	s_add_co_i32 s3, s29, s3
	v_cmp_gt_u32_e64 s8, 2, v0
	s_and_b32 s28, s3, 0xffffff00
	s_delay_alu instid0(SALU_CYCLE_1) | instskip(SKIP_3) | instid1(VALU_DEP_1)
	v_dual_mov_b32 v1, 0 :: v_dual_bitop2_b32 v6, s28, v0 bitop3:0x54
	s_ashr_i32 s3, s2, 31
	s_cmp_gt_i32 s29, 0xff
	s_mul_u64 s[36:37], s[6:7], s[2:3]
	v_mul_u64_e32 v[4:5], s[34:35], v[0:1]
	v_ashrrev_i32_e32 v7, 31, v6
	s_mul_u64 s[30:31], s[4:5], s[2:3]
	v_cmp_gt_i32_e64 s1, s29, v6
	v_cmp_gt_u32_e64 s2, 0x80, v0
	v_cmp_gt_u32_e64 s3, 64, v0
	v_mul_u64_e32 v[2:3], s[34:35], v[6:7]
	v_cmp_gt_u32_e64 s4, 32, v0
	v_cmp_gt_u32_e64 s5, 16, v0
	;; [unrolled: 1-line block ×4, first 2 shown]
	v_lshlrev_b32_e32 v0, 3, v8
	s_cselect_b32 s38, -1, 0
	s_ashr_i32 s29, s28, 31
	s_lshl_b64 s[34:35], s[34:35], 11
	s_wait_kmcnt 0x0
	s_lshl_b64 s[18:19], s[18:19], 3
	s_lshl_b64 s[22:23], s[22:23], 3
	;; [unrolled: 1-line block ×4, first 2 shown]
	v_lshlrev_b64_e32 v[4:5], 3, v[4:5]
	s_branch .LBB287_4
.LBB287_2:                              ;   in Loop: Header=BB287_4 Depth=1
	s_wait_xcnt 0x0
	s_or_b32 exec_lo, exec_lo, s42
.LBB287_3:                              ;   in Loop: Header=BB287_4 Depth=1
	s_add_co_i32 s10, s10, 0x10000
	s_delay_alu instid0(SALU_CYCLE_1)
	s_cmp_lt_u32 s10, s9
	s_cbranch_scc0 .LBB287_47
.LBB287_4:                              ; =>This Loop Header: Depth=1
                                        ;     Child Loop BB287_21 Depth 2
	s_and_not1_b32 vcc_lo, exec_lo, s33
	s_cbranch_vccnz .LBB287_3
; %bb.5:                                ;   in Loop: Header=BB287_4 Depth=1
	s_and_not1_b32 vcc_lo, exec_lo, s39
	s_cbranch_vccnz .LBB287_7
; %bb.6:                                ;   in Loop: Header=BB287_4 Depth=1
	v_mov_b64_e32 v[8:9], 0
	v_mov_b64_e32 v[10:11], 0
	s_cbranch_execz .LBB287_8
	s_branch .LBB287_9
.LBB287_7:                              ;   in Loop: Header=BB287_4 Depth=1
	v_mov_b64_e32 v[8:9], 0
	v_mov_b64_e32 v[10:11], 0
.LBB287_8:                              ;   in Loop: Header=BB287_4 Depth=1
	s_lshl_b64 s[42:43], s[10:11], 3
	s_delay_alu instid0(SALU_CYCLE_1)
	s_add_nc_u64 s[42:43], s[16:17], s[42:43]
	global_load_b64 v[6:7], v1, s[42:43]
	s_wait_loadcnt 0x0
	v_add_nc_u64_e32 v[10:11], s[18:19], v[6:7]
.LBB287_9:                              ;   in Loop: Header=BB287_4 Depth=1
	v_cmp_ne_u32_e32 vcc_lo, 1, v18
	s_cbranch_vccnz .LBB287_11
; %bb.10:                               ;   in Loop: Header=BB287_4 Depth=1
	s_wait_xcnt 0x0
	s_lshl_b64 s[42:43], s[10:11], 3
	s_delay_alu instid0(SALU_CYCLE_1)
	s_add_nc_u64 s[42:43], s[20:21], s[42:43]
	global_load_b64 v[6:7], v1, s[42:43]
	s_wait_loadcnt 0x0
	v_add_nc_u64_e32 v[8:9], s[22:23], v[6:7]
.LBB287_11:                             ;   in Loop: Header=BB287_4 Depth=1
	s_wait_xcnt 0x0
	s_lshl_b64 s[42:43], s[10:11], 3
	s_and_not1_b32 vcc_lo, exec_lo, s39
	s_add_nc_u64 s[42:43], s[12:13], s[42:43]
	global_load_b64 v[6:7], v1, s[42:43]
	s_wait_loadcnt 0x0
	v_add_nc_u64_e32 v[6:7], s[14:15], v[6:7]
	s_cbranch_vccnz .LBB287_15
; %bb.12:                               ;   in Loop: Header=BB287_4 Depth=1
	s_wait_xcnt 0x0
	s_mov_b32 s42, 0
	s_mov_b32 s41, 0
                                        ; implicit-def: $vgpr12_vgpr13
	s_and_saveexec_b32 s43, s0
	s_cbranch_execz .LBB287_16
; %bb.13:                               ;   in Loop: Header=BB287_4 Depth=1
	s_and_not1_b32 vcc_lo, exec_lo, s40
	s_cbranch_vccnz .LBB287_17
; %bb.14:                               ;   in Loop: Header=BB287_4 Depth=1
	v_add_nc_u64_e32 v[12:13], s[36:37], v[6:7]
	flat_load_b64 v[12:13], v[12:13]
	s_wait_loadcnt_dscnt 0x0
	s_wait_xcnt 0x0
	v_mul_f64_e32 v[12:13], s[24:25], v[12:13]
	s_branch .LBB287_18
.LBB287_15:                             ;   in Loop: Header=BB287_4 Depth=1
	s_wait_xcnt 0x0
	s_mov_b32 s41, 0
                                        ; implicit-def: $vgpr12_vgpr13
	s_cbranch_execnz .LBB287_19
	s_branch .LBB287_45
.LBB287_16:                             ;   in Loop: Header=BB287_4 Depth=1
	s_or_b32 exec_lo, exec_lo, s43
	s_delay_alu instid0(SALU_CYCLE_1)
	s_and_b32 vcc_lo, exec_lo, s42
	s_cbranch_vccnz .LBB287_19
	s_branch .LBB287_45
.LBB287_17:                             ;   in Loop: Header=BB287_4 Depth=1
	v_mov_b64_e32 v[12:13], 0
.LBB287_18:                             ;   in Loop: Header=BB287_4 Depth=1
	s_mov_b32 s41, exec_lo
	s_or_b32 exec_lo, exec_lo, s43
	s_delay_alu instid0(SALU_CYCLE_1)
	s_and_b32 vcc_lo, exec_lo, s42
	s_cbranch_vccz .LBB287_45
.LBB287_19:                             ;   in Loop: Header=BB287_4 Depth=1
	v_add_nc_u64_e32 v[12:13], v[10:11], v[0:1]
	v_mov_b64_e32 v[10:11], 0
	s_and_not1_b32 vcc_lo, exec_lo, s38
	s_delay_alu instid0(VALU_DEP_2)
	v_lshl_add_u64 v[12:13], s[30:31], 3, v[12:13]
	s_cbranch_vccnz .LBB287_22
; %bb.20:                               ;   in Loop: Header=BB287_4 Depth=1
	v_add_nc_u64_e32 v[14:15], v[8:9], v[4:5]
	v_mov_b64_e32 v[10:11], 0
	s_delay_alu instid0(VALU_DEP_3)
	v_mov_b64_e32 v[16:17], v[12:13]
	s_mov_b32 s42, 0
.LBB287_21:                             ;   Parent Loop BB287_4 Depth=1
                                        ; =>  This Inner Loop Header: Depth=2
	flat_load_b64 v[20:21], v[16:17]
	flat_load_b64 v[22:23], v[14:15]
	s_wait_xcnt 0x0
	v_add_nc_u64_e32 v[14:15], s[34:35], v[14:15]
	v_add_nc_u64_e32 v[16:17], 0x800, v[16:17]
	s_addk_co_i32 s42, 0x100
	s_delay_alu instid0(SALU_CYCLE_1)
	s_cmp_ge_i32 s42, s28
	s_wait_loadcnt_dscnt 0x0
	v_fmac_f64_e32 v[10:11], v[20:21], v[22:23]
	s_cbranch_scc0 .LBB287_21
.LBB287_22:                             ;   in Loop: Header=BB287_4 Depth=1
	s_and_saveexec_b32 s42, s1
	s_cbranch_execz .LBB287_24
; %bb.23:                               ;   in Loop: Header=BB287_4 Depth=1
	s_delay_alu instid0(VALU_DEP_1)
	v_lshl_add_u64 v[12:13], s[28:29], 3, v[12:13]
	v_lshl_add_u64 v[8:9], v[2:3], 3, v[8:9]
	flat_load_b64 v[14:15], v[12:13]
	flat_load_b64 v[16:17], v[8:9]
	s_wait_loadcnt_dscnt 0x0
	v_fmac_f64_e32 v[10:11], v[14:15], v[16:17]
.LBB287_24:                             ;   in Loop: Header=BB287_4 Depth=1
	s_wait_xcnt 0x0
	s_or_b32 exec_lo, exec_lo, s42
	ds_store_b64 v19, v[10:11]
	s_wait_dscnt 0x0
	s_barrier_signal -1
	s_barrier_wait -1
	s_and_saveexec_b32 s42, s2
	s_cbranch_execz .LBB287_26
; %bb.25:                               ;   in Loop: Header=BB287_4 Depth=1
	ds_load_2addr_stride64_b64 v[8:11], v19 offset1:2
	s_wait_dscnt 0x0
	v_add_f64_e32 v[8:9], v[10:11], v[8:9]
	ds_store_b64 v19, v[8:9]
.LBB287_26:                             ;   in Loop: Header=BB287_4 Depth=1
	s_or_b32 exec_lo, exec_lo, s42
	s_wait_dscnt 0x0
	s_barrier_signal -1
	s_barrier_wait -1
	s_and_saveexec_b32 s42, s3
	s_cbranch_execz .LBB287_28
; %bb.27:                               ;   in Loop: Header=BB287_4 Depth=1
	ds_load_2addr_stride64_b64 v[8:11], v19 offset1:1
	s_wait_dscnt 0x0
	v_add_f64_e32 v[8:9], v[10:11], v[8:9]
	ds_store_b64 v19, v[8:9]
.LBB287_28:                             ;   in Loop: Header=BB287_4 Depth=1
	s_or_b32 exec_lo, exec_lo, s42
	s_wait_dscnt 0x0
	s_barrier_signal -1
	s_barrier_wait -1
	s_and_saveexec_b32 s42, s4
	s_cbranch_execz .LBB287_30
; %bb.29:                               ;   in Loop: Header=BB287_4 Depth=1
	ds_load_2addr_b64 v[8:11], v19 offset1:32
	s_wait_dscnt 0x0
	v_add_f64_e32 v[8:9], v[10:11], v[8:9]
	ds_store_b64 v19, v[8:9]
.LBB287_30:                             ;   in Loop: Header=BB287_4 Depth=1
	s_or_b32 exec_lo, exec_lo, s42
	s_wait_dscnt 0x0
	s_barrier_signal -1
	s_barrier_wait -1
	s_and_saveexec_b32 s42, s5
	s_cbranch_execz .LBB287_32
; %bb.31:                               ;   in Loop: Header=BB287_4 Depth=1
	ds_load_2addr_b64 v[8:11], v19 offset1:16
	s_wait_dscnt 0x0
	v_add_f64_e32 v[8:9], v[10:11], v[8:9]
	ds_store_b64 v19, v[8:9]
.LBB287_32:                             ;   in Loop: Header=BB287_4 Depth=1
	;; [unrolled: 12-line block ×5, first 2 shown]
	s_or_b32 exec_lo, exec_lo, s42
	s_wait_dscnt 0x0
	s_barrier_signal -1
	s_barrier_wait -1
	s_and_saveexec_b32 s42, s0
	s_cbranch_execz .LBB287_40
; %bb.39:                               ;   in Loop: Header=BB287_4 Depth=1
	ds_load_b128 v[8:11], v1
	s_wait_dscnt 0x0
	v_add_f64_e32 v[8:9], v[10:11], v[8:9]
	ds_store_b64 v1, v[8:9]
.LBB287_40:                             ;   in Loop: Header=BB287_4 Depth=1
	s_or_b32 exec_lo, exec_lo, s42
	s_wait_dscnt 0x0
	s_barrier_signal -1
	s_barrier_wait -1
                                        ; implicit-def: $vgpr12_vgpr13
	s_and_saveexec_b32 s42, s0
	s_cbranch_execz .LBB287_44
; %bb.41:                               ;   in Loop: Header=BB287_4 Depth=1
	ds_load_b64 v[8:9], v1
	s_and_not1_b32 vcc_lo, exec_lo, s40
	s_wait_dscnt 0x0
	v_mul_f64_e32 v[12:13], s[26:27], v[8:9]
	s_cbranch_vccnz .LBB287_43
; %bb.42:                               ;   in Loop: Header=BB287_4 Depth=1
	v_add_nc_u64_e32 v[8:9], s[36:37], v[6:7]
	flat_load_b64 v[8:9], v[8:9]
	s_wait_loadcnt_dscnt 0x0
	v_fmac_f64_e32 v[12:13], s[24:25], v[8:9]
.LBB287_43:                             ;   in Loop: Header=BB287_4 Depth=1
	s_or_b32 s41, s41, exec_lo
.LBB287_44:                             ;   in Loop: Header=BB287_4 Depth=1
	s_wait_xcnt 0x0
	s_or_b32 exec_lo, exec_lo, s42
.LBB287_45:                             ;   in Loop: Header=BB287_4 Depth=1
	s_and_saveexec_b32 s42, s41
	s_cbranch_execz .LBB287_2
; %bb.46:                               ;   in Loop: Header=BB287_4 Depth=1
	v_add_nc_u64_e32 v[6:7], s[36:37], v[6:7]
	flat_store_b64 v[6:7], v[12:13]
	s_branch .LBB287_2
.LBB287_47:
	s_endpgm
	.section	.rodata,"a",@progbits
	.p2align	6, 0x0
	.amdhsa_kernel _ZL20rocblas_gemvt_kernelILb1ELi256EPKddKPdEviiT2_lPKT1_lilS7_lilS4_lPT3_lili
		.amdhsa_group_segment_fixed_size 2048
		.amdhsa_private_segment_fixed_size 0
		.amdhsa_kernarg_size 140
		.amdhsa_user_sgpr_count 2
		.amdhsa_user_sgpr_dispatch_ptr 0
		.amdhsa_user_sgpr_queue_ptr 0
		.amdhsa_user_sgpr_kernarg_segment_ptr 1
		.amdhsa_user_sgpr_dispatch_id 0
		.amdhsa_user_sgpr_kernarg_preload_length 0
		.amdhsa_user_sgpr_kernarg_preload_offset 0
		.amdhsa_user_sgpr_private_segment_size 0
		.amdhsa_wavefront_size32 1
		.amdhsa_uses_dynamic_stack 0
		.amdhsa_enable_private_segment 0
		.amdhsa_system_sgpr_workgroup_id_x 1
		.amdhsa_system_sgpr_workgroup_id_y 0
		.amdhsa_system_sgpr_workgroup_id_z 1
		.amdhsa_system_sgpr_workgroup_info 0
		.amdhsa_system_vgpr_workitem_id 0
		.amdhsa_next_free_vgpr 24
		.amdhsa_next_free_sgpr 44
		.amdhsa_named_barrier_count 0
		.amdhsa_reserve_vcc 1
		.amdhsa_float_round_mode_32 0
		.amdhsa_float_round_mode_16_64 0
		.amdhsa_float_denorm_mode_32 3
		.amdhsa_float_denorm_mode_16_64 3
		.amdhsa_fp16_overflow 0
		.amdhsa_memory_ordered 1
		.amdhsa_forward_progress 1
		.amdhsa_inst_pref_size 12
		.amdhsa_round_robin_scheduling 0
		.amdhsa_exception_fp_ieee_invalid_op 0
		.amdhsa_exception_fp_denorm_src 0
		.amdhsa_exception_fp_ieee_div_zero 0
		.amdhsa_exception_fp_ieee_overflow 0
		.amdhsa_exception_fp_ieee_underflow 0
		.amdhsa_exception_fp_ieee_inexact 0
		.amdhsa_exception_int_div_zero 0
	.end_amdhsa_kernel
	.section	.text._ZL20rocblas_gemvt_kernelILb1ELi256EPKddKPdEviiT2_lPKT1_lilS7_lilS4_lPT3_lili,"axG",@progbits,_ZL20rocblas_gemvt_kernelILb1ELi256EPKddKPdEviiT2_lPKT1_lilS7_lilS4_lPT3_lili,comdat
.Lfunc_end287:
	.size	_ZL20rocblas_gemvt_kernelILb1ELi256EPKddKPdEviiT2_lPKT1_lilS7_lilS4_lPT3_lili, .Lfunc_end287-_ZL20rocblas_gemvt_kernelILb1ELi256EPKddKPdEviiT2_lPKT1_lilS7_lilS4_lPT3_lili
                                        ; -- End function
	.set _ZL20rocblas_gemvt_kernelILb1ELi256EPKddKPdEviiT2_lPKT1_lilS7_lilS4_lPT3_lili.num_vgpr, 24
	.set _ZL20rocblas_gemvt_kernelILb1ELi256EPKddKPdEviiT2_lPKT1_lilS7_lilS4_lPT3_lili.num_agpr, 0
	.set _ZL20rocblas_gemvt_kernelILb1ELi256EPKddKPdEviiT2_lPKT1_lilS7_lilS4_lPT3_lili.numbered_sgpr, 44
	.set _ZL20rocblas_gemvt_kernelILb1ELi256EPKddKPdEviiT2_lPKT1_lilS7_lilS4_lPT3_lili.num_named_barrier, 0
	.set _ZL20rocblas_gemvt_kernelILb1ELi256EPKddKPdEviiT2_lPKT1_lilS7_lilS4_lPT3_lili.private_seg_size, 0
	.set _ZL20rocblas_gemvt_kernelILb1ELi256EPKddKPdEviiT2_lPKT1_lilS7_lilS4_lPT3_lili.uses_vcc, 1
	.set _ZL20rocblas_gemvt_kernelILb1ELi256EPKddKPdEviiT2_lPKT1_lilS7_lilS4_lPT3_lili.uses_flat_scratch, 0
	.set _ZL20rocblas_gemvt_kernelILb1ELi256EPKddKPdEviiT2_lPKT1_lilS7_lilS4_lPT3_lili.has_dyn_sized_stack, 0
	.set _ZL20rocblas_gemvt_kernelILb1ELi256EPKddKPdEviiT2_lPKT1_lilS7_lilS4_lPT3_lili.has_recursion, 0
	.set _ZL20rocblas_gemvt_kernelILb1ELi256EPKddKPdEviiT2_lPKT1_lilS7_lilS4_lPT3_lili.has_indirect_call, 0
	.section	.AMDGPU.csdata,"",@progbits
; Kernel info:
; codeLenInByte = 1436
; TotalNumSgprs: 46
; NumVgprs: 24
; ScratchSize: 0
; MemoryBound: 1
; FloatMode: 240
; IeeeMode: 1
; LDSByteSize: 2048 bytes/workgroup (compile time only)
; SGPRBlocks: 0
; VGPRBlocks: 1
; NumSGPRsForWavesPerEU: 46
; NumVGPRsForWavesPerEU: 24
; NamedBarCnt: 0
; Occupancy: 16
; WaveLimiterHint : 1
; COMPUTE_PGM_RSRC2:SCRATCH_EN: 0
; COMPUTE_PGM_RSRC2:USER_SGPR: 2
; COMPUTE_PGM_RSRC2:TRAP_HANDLER: 0
; COMPUTE_PGM_RSRC2:TGID_X_EN: 1
; COMPUTE_PGM_RSRC2:TGID_Y_EN: 0
; COMPUTE_PGM_RSRC2:TGID_Z_EN: 1
; COMPUTE_PGM_RSRC2:TIDIG_COMP_CNT: 0
	.section	.text._ZL32rocblas_gemvt_warp_reduce_kernelILb1ELi1024EiPKdS1_KPdEviiT3_lPKT2_lT1_lS7_lS8_lS4_lPT4_lS8_li,"axG",@progbits,_ZL32rocblas_gemvt_warp_reduce_kernelILb1ELi1024EiPKdS1_KPdEviiT3_lPKT2_lT1_lS7_lS8_lS4_lPT4_lS8_li,comdat
	.globl	_ZL32rocblas_gemvt_warp_reduce_kernelILb1ELi1024EiPKdS1_KPdEviiT3_lPKT2_lT1_lS7_lS8_lS4_lPT4_lS8_li ; -- Begin function _ZL32rocblas_gemvt_warp_reduce_kernelILb1ELi1024EiPKdS1_KPdEviiT3_lPKT2_lT1_lS7_lS8_lS4_lPT4_lS8_li
	.p2align	8
	.type	_ZL32rocblas_gemvt_warp_reduce_kernelILb1ELi1024EiPKdS1_KPdEviiT3_lPKT2_lT1_lS7_lS8_lS4_lPT4_lS8_li,@function
_ZL32rocblas_gemvt_warp_reduce_kernelILb1ELi1024EiPKdS1_KPdEviiT3_lPKT2_lT1_lS7_lS8_lS4_lPT4_lS8_li: ; @_ZL32rocblas_gemvt_warp_reduce_kernelILb1ELi1024EiPKdS1_KPdEviiT3_lPKT2_lT1_lS7_lS8_lS4_lPT4_lS8_li
; %bb.0:
	s_load_b32 s7, s[0:1], 0x88
	s_bfe_u32 s2, ttmp6, 0x40014
	s_lshr_b32 s3, ttmp7, 16
	s_add_co_i32 s2, s2, 1
	s_bfe_u32 s5, ttmp6, 0x40008
	s_mul_i32 s4, s3, s2
	s_getreg_b32 s2, hwreg(HW_REG_IB_STS2, 6, 4)
	s_add_co_i32 s5, s5, s4
	s_cmp_eq_u32 s2, 0
	s_mov_b32 s29, 0
	s_cselect_b32 s28, s3, s5
	s_wait_kmcnt 0x0
	s_cmp_ge_u32 s28, s7
	s_cbranch_scc1 .LBB288_37
; %bb.1:
	s_clause 0x6
	s_load_b32 s4, s[0:1], 0x0
	s_load_b256 s[8:15], s[0:1], 0x8
	s_load_b32 s3, s[0:1], 0x28
	s_load_b128 s[24:27], s[0:1], 0x38
	s_load_b32 s5, s[0:1], 0x48
	s_load_b256 s[16:23], s[0:1], 0x58
	s_load_b32 s6, s[0:1], 0x78
	s_wait_xcnt 0x0
	s_bfe_u32 s1, ttmp6, 0x4000c
	s_and_b32 s30, ttmp6, 15
	s_add_co_i32 s1, s1, 1
	v_dual_mov_b32 v3, 0 :: v_dual_bitop2_b32 v2, 31, v0 bitop3:0x40
	s_mul_i32 s31, ttmp9, s1
	v_lshrrev_b32_e32 v6, 2, v0
	s_add_co_i32 s30, s30, s31
	s_cmp_eq_u32 s2, 0
	v_lshlrev_b32_e32 v22, 3, v2
	s_cselect_b32 s31, ttmp9, s30
	v_and_b32_e32 v23, 0xf8, v6
	v_mbcnt_lo_u32_b32 v1, -1, 0
	s_wait_kmcnt 0x0
	s_ashr_i32 s2, s4, 31
	v_cmp_gt_i32_e32 vcc_lo, s4, v0
	s_lshr_b32 s2, s2, 22
	v_mov_b64_e32 v[4:5], 0
	s_add_co_i32 s2, s4, s2
	v_mul_lo_u32 v24, v0, s5
	s_and_b32 s30, s2, 0xfffffc00
	v_cmp_eq_u32_e64 s2, 0, v2
	v_dual_cndmask_b32 v2, 0, v0, vcc_lo :: v_dual_bitop2_b32 v7, s30, v0 bitop3:0x54
	s_mul_i32 s36, s6, s31
	v_cmp_eq_u32_e64 s0, 0, v0
	v_cmp_gt_u32_e64 s1, 32, v0
	s_delay_alu instid0(VALU_DEP_3)
	v_mul_lo_u32 v6, s5, v7
	s_mul_i32 s34, s3, s31
	v_lshlrev_b32_e32 v2, 3, v2
	v_cmp_gt_i32_e64 s3, s30, v0
	v_cmp_gt_i32_e64 s4, s4, v7
	v_lshl_or_b32 v25, v1, 2, 64
	s_ashr_i32 s37, s36, 31
	s_lshl_b32 s33, s5, 10
	s_lshl_b64 s[14:15], s[14:15], 3
	s_ashr_i32 s35, s34, 31
	s_ashr_i32 s31, s30, 31
	v_ashrrev_i32_e32 v7, 31, v6
	s_lshl_b64 s[26:27], s[26:27], 3
	s_lshl_b64 s[22:23], s[22:23], 3
	;; [unrolled: 1-line block ×3, first 2 shown]
	s_branch .LBB288_4
.LBB288_2:                              ;   in Loop: Header=BB288_4 Depth=1
	s_wait_xcnt 0x0
	s_or_b32 exec_lo, exec_lo, s6
.LBB288_3:                              ;   in Loop: Header=BB288_4 Depth=1
	s_add_co_i32 s28, s28, 0x10000
	s_delay_alu instid0(SALU_CYCLE_1)
	s_cmp_lt_u32 s28, s7
	s_cbranch_scc0 .LBB288_37
.LBB288_4:                              ; =>This Loop Header: Depth=1
                                        ;     Child Loop BB288_26 Depth 2
	s_wait_xcnt 0x1
	s_mul_u64 s[38:39], s[10:11], s[28:29]
	s_wait_xcnt 0x0
	s_mul_u64 s[40:41], s[18:19], s[28:29]
	s_lshl_b64 s[38:39], s[38:39], 3
	s_lshl_b64 s[40:41], s[40:41], 3
	s_add_nc_u64 s[38:39], s[8:9], s[38:39]
	s_add_nc_u64 s[40:41], s[16:17], s[40:41]
	s_clause 0x1
	global_load_b64 v[10:11], v3, s[38:39]
	global_load_b64 v[8:9], v3, s[40:41]
	s_wait_loadcnt 0x1
	v_cmp_eq_f64_e64 s5, 0, v[10:11]
	s_wait_loadcnt 0x0
	v_cmp_eq_f64_e32 vcc_lo, 1.0, v[8:9]
	s_and_b32 s6, s5, vcc_lo
	s_delay_alu instid0(SALU_CYCLE_1)
	s_and_b32 vcc_lo, exec_lo, s6
	s_cbranch_vccnz .LBB288_3
; %bb.5:                                ;   in Loop: Header=BB288_4 Depth=1
	v_cmp_neq_f64_e64 s6, 0, v[10:11]
	s_wait_dscnt 0x0
	v_mov_b64_e32 v[14:15], 0
	v_mov_b64_e32 v[16:17], 0
	s_and_b32 vcc_lo, exec_lo, s5
	s_cbranch_vccnz .LBB288_7
; %bb.6:                                ;   in Loop: Header=BB288_4 Depth=1
	s_wait_xcnt 0x1
	s_lshl_b64 s[38:39], s[28:29], 3
	s_delay_alu instid0(SALU_CYCLE_1)
	s_add_nc_u64 s[38:39], s[12:13], s[38:39]
	global_load_b64 v[12:13], v3, s[38:39]
	s_wait_loadcnt 0x0
	v_add_nc_u64_e32 v[16:17], s[14:15], v[12:13]
.LBB288_7:                              ;   in Loop: Header=BB288_4 Depth=1
	s_and_not1_b32 vcc_lo, exec_lo, s6
	s_cbranch_vccnz .LBB288_9
; %bb.8:                                ;   in Loop: Header=BB288_4 Depth=1
	s_wait_xcnt 0x0
	s_lshl_b64 s[38:39], s[28:29], 3
	s_delay_alu instid0(SALU_CYCLE_1)
	s_add_nc_u64 s[38:39], s[24:25], s[38:39]
	global_load_b64 v[12:13], v3, s[38:39]
	s_wait_loadcnt 0x0
	v_add_nc_u64_e32 v[14:15], s[26:27], v[12:13]
.LBB288_9:                              ;   in Loop: Header=BB288_4 Depth=1
	s_wait_xcnt 0x0
	s_lshl_b64 s[38:39], s[28:29], 3
	s_and_not1_b32 vcc_lo, exec_lo, s5
	s_add_nc_u64 s[38:39], s[20:21], s[38:39]
	global_load_b64 v[12:13], v3, s[38:39]
	s_wait_loadcnt 0x0
	v_add_nc_u64_e32 v[12:13], s[22:23], v[12:13]
	s_cbranch_vccnz .LBB288_14
; %bb.10:                               ;   in Loop: Header=BB288_4 Depth=1
	s_mov_b32 s6, 0
	s_mov_b32 s5, 0
                                        ; implicit-def: $vgpr18_vgpr19
	s_wait_xcnt 0x0
	s_and_saveexec_b32 s38, s0
	s_cbranch_execz .LBB288_15
; %bb.11:                               ;   in Loop: Header=BB288_4 Depth=1
	v_cmp_eq_f64_e32 vcc_lo, 0, v[8:9]
	v_mov_b64_e32 v[18:19], 0
	s_cbranch_vccnz .LBB288_13
; %bb.12:                               ;   in Loop: Header=BB288_4 Depth=1
	v_add_nc_u64_e32 v[18:19], s[36:37], v[12:13]
	flat_load_b64 v[18:19], v[18:19]
	s_wait_loadcnt_dscnt 0x0
	s_wait_xcnt 0x0
	v_mul_f64_e32 v[18:19], v[8:9], v[18:19]
.LBB288_13:                             ;   in Loop: Header=BB288_4 Depth=1
	s_mov_b32 s5, exec_lo
	s_or_b32 exec_lo, exec_lo, s38
	s_delay_alu instid0(SALU_CYCLE_1)
	s_and_b32 vcc_lo, exec_lo, s6
	s_cbranch_vccnz .LBB288_16
	s_branch .LBB288_35
.LBB288_14:                             ;   in Loop: Header=BB288_4 Depth=1
	s_mov_b32 s5, 0
                                        ; implicit-def: $vgpr18_vgpr19
	s_cbranch_execnz .LBB288_16
	s_branch .LBB288_35
.LBB288_15:                             ;   in Loop: Header=BB288_4 Depth=1
	s_or_b32 exec_lo, exec_lo, s38
	s_delay_alu instid0(SALU_CYCLE_1)
	s_and_b32 vcc_lo, exec_lo, s6
	s_cbranch_vccz .LBB288_35
.LBB288_16:                             ;   in Loop: Header=BB288_4 Depth=1
	v_add_nc_u64_e32 v[18:19], v[16:17], v[2:3]
	v_mov_b64_e32 v[16:17], 0
	s_delay_alu instid0(VALU_DEP_2)
	v_lshl_add_u64 v[18:19], s[34:35], 3, v[18:19]
	s_wait_xcnt 0x0
	s_and_saveexec_b32 s6, s3
	s_cbranch_execnz .LBB288_25
; %bb.17:                               ;   in Loop: Header=BB288_4 Depth=1
	s_or_b32 exec_lo, exec_lo, s6
	s_and_saveexec_b32 s6, s4
	s_cbranch_execnz .LBB288_28
.LBB288_18:                             ;   in Loop: Header=BB288_4 Depth=1
	s_or_b32 exec_lo, exec_lo, s6
	s_and_saveexec_b32 s6, s1
.LBB288_19:                             ;   in Loop: Header=BB288_4 Depth=1
	ds_store_b64 v22, v[4:5]
.LBB288_20:                             ;   in Loop: Header=BB288_4 Depth=1
	s_or_b32 exec_lo, exec_lo, s6
	ds_bpermute_b32 v14, v25, v16
	ds_bpermute_b32 v15, v25, v17
	v_cmp_gt_u32_e32 vcc_lo, 24, v1
	s_wait_dscnt 0x0
	s_barrier_signal -1
	s_barrier_wait -1
	v_add_f64_e32 v[14:15], v[16:17], v[14:15]
	v_cndmask_b32_e64 v16, 0, 8, vcc_lo
	v_cmp_gt_u32_e32 vcc_lo, 28, v1
	s_delay_alu instid0(VALU_DEP_2)
	v_add_lshl_u32 v18, v16, v1, 2
	ds_bpermute_b32 v16, v18, v14
	ds_bpermute_b32 v17, v18, v15
	s_wait_dscnt 0x0
	v_add_f64_e32 v[14:15], v[14:15], v[16:17]
	v_cndmask_b32_e64 v16, 0, 4, vcc_lo
	v_cmp_gt_u32_e32 vcc_lo, 30, v1
	s_delay_alu instid0(VALU_DEP_2)
	v_add_lshl_u32 v19, v16, v1, 2
	ds_bpermute_b32 v16, v19, v14
	ds_bpermute_b32 v17, v19, v15
	s_wait_dscnt 0x0
	v_add_f64_e32 v[14:15], v[14:15], v[16:17]
	v_cndmask_b32_e64 v16, 0, 2, vcc_lo
	v_cmp_ne_u32_e32 vcc_lo, 31, v1
	s_delay_alu instid0(VALU_DEP_2)
	v_add_lshl_u32 v20, v16, v1, 2
	ds_bpermute_b32 v16, v20, v14
	ds_bpermute_b32 v17, v20, v15
	s_wait_dscnt 0x0
	v_add_f64_e32 v[14:15], v[14:15], v[16:17]
	v_add_co_ci_u32_e64 v16, null, 0, v1, vcc_lo
	s_delay_alu instid0(VALU_DEP_1)
	v_lshlrev_b32_e32 v21, 2, v16
	ds_bpermute_b32 v16, v21, v14
	ds_bpermute_b32 v17, v21, v15
	s_and_saveexec_b32 s6, s2
	s_cbranch_execz .LBB288_22
; %bb.21:                               ;   in Loop: Header=BB288_4 Depth=1
	s_wait_dscnt 0x0
	v_add_f64_e32 v[14:15], v[14:15], v[16:17]
	ds_store_b64 v23, v[14:15]
.LBB288_22:                             ;   in Loop: Header=BB288_4 Depth=1
	s_or_b32 exec_lo, exec_lo, s6
	v_mov_b64_e32 v[14:15], 0
	s_wait_dscnt 0x0
	s_barrier_signal -1
	s_barrier_wait -1
	s_and_saveexec_b32 s6, s1
	s_cbranch_execnz .LBB288_29
; %bb.23:                               ;   in Loop: Header=BB288_4 Depth=1
	s_or_b32 exec_lo, exec_lo, s6
	s_and_saveexec_b32 s6, s1
	s_cbranch_execnz .LBB288_30
.LBB288_24:                             ;   in Loop: Header=BB288_4 Depth=1
	s_or_b32 exec_lo, exec_lo, s6
                                        ; implicit-def: $vgpr18_vgpr19
	s_and_saveexec_b32 s6, s0
	s_cbranch_execnz .LBB288_31
	s_branch .LBB288_34
.LBB288_25:                             ;   in Loop: Header=BB288_4 Depth=1
	v_mov_b64_e32 v[16:17], 0
	v_mov_b64_e32 v[20:21], v[18:19]
	v_dual_mov_b32 v26, v0 :: v_dual_mov_b32 v27, v24
	s_mov_b32 s38, 0
.LBB288_26:                             ;   Parent Loop BB288_4 Depth=1
                                        ; =>  This Inner Loop Header: Depth=2
	v_readfirstlane_b32 s40, v14
	v_readfirstlane_b32 s41, v15
	s_delay_alu instid0(VALU_DEP_3)
	v_add_nc_u32_e32 v26, 0x400, v26
	flat_load_b64 v[28:29], v[20:21]
	flat_load_b64 v[30:31], v27, s[40:41] scale_offset
	s_wait_xcnt 0x1
	v_add_nc_u64_e32 v[20:21], 0x2000, v[20:21]
	v_cmp_le_i32_e32 vcc_lo, s30, v26
	s_wait_xcnt 0x0
	v_add_nc_u32_e32 v27, s33, v27
	s_or_b32 s38, vcc_lo, s38
	s_wait_loadcnt_dscnt 0x0
	v_fmac_f64_e32 v[16:17], v[28:29], v[30:31]
	s_and_not1_b32 exec_lo, exec_lo, s38
	s_cbranch_execnz .LBB288_26
; %bb.27:                               ;   in Loop: Header=BB288_4 Depth=1
	s_or_b32 exec_lo, exec_lo, s38
	s_delay_alu instid0(SALU_CYCLE_1)
	s_or_b32 exec_lo, exec_lo, s6
	s_and_saveexec_b32 s6, s4
	s_cbranch_execz .LBB288_18
.LBB288_28:                             ;   in Loop: Header=BB288_4 Depth=1
	v_lshl_add_u64 v[18:19], s[30:31], 3, v[18:19]
	v_lshl_add_u64 v[14:15], v[6:7], 3, v[14:15]
	flat_load_b64 v[20:21], v[18:19]
	flat_load_b64 v[26:27], v[14:15]
	s_wait_loadcnt_dscnt 0x0
	v_fmac_f64_e32 v[16:17], v[20:21], v[26:27]
	s_wait_xcnt 0x0
	s_or_b32 exec_lo, exec_lo, s6
	s_and_saveexec_b32 s6, s1
	s_cbranch_execnz .LBB288_19
	s_branch .LBB288_20
.LBB288_29:                             ;   in Loop: Header=BB288_4 Depth=1
	ds_load_b64 v[14:15], v22
	s_or_b32 exec_lo, exec_lo, s6
	s_and_saveexec_b32 s6, s1
	s_cbranch_execz .LBB288_24
.LBB288_30:                             ;   in Loop: Header=BB288_4 Depth=1
	s_wait_dscnt 0x0
	ds_bpermute_b32 v16, v25, v14
	ds_bpermute_b32 v17, v25, v15
	s_wait_dscnt 0x0
	v_add_f64_e32 v[14:15], v[14:15], v[16:17]
	ds_bpermute_b32 v16, v18, v14
	ds_bpermute_b32 v17, v18, v15
	s_wait_dscnt 0x0
	v_add_f64_e32 v[14:15], v[14:15], v[16:17]
	ds_bpermute_b32 v16, v19, v14
	ds_bpermute_b32 v17, v19, v15
	s_wait_dscnt 0x0
	v_add_f64_e32 v[14:15], v[14:15], v[16:17]
	ds_bpermute_b32 v16, v20, v14
	ds_bpermute_b32 v17, v20, v15
	s_wait_dscnt 0x0
	v_add_f64_e32 v[14:15], v[14:15], v[16:17]
	ds_bpermute_b32 v16, v21, v14
	ds_bpermute_b32 v17, v21, v15
	s_wait_dscnt 0x0
	v_add_f64_e32 v[14:15], v[14:15], v[16:17]
	s_or_b32 exec_lo, exec_lo, s6
                                        ; implicit-def: $vgpr18_vgpr19
	s_and_saveexec_b32 s6, s0
	s_cbranch_execz .LBB288_34
.LBB288_31:                             ;   in Loop: Header=BB288_4 Depth=1
	v_cmp_eq_f64_e32 vcc_lo, 0, v[8:9]
	s_wait_dscnt 0x0
	s_delay_alu instid0(VALU_DEP_2)
	v_mul_f64_e32 v[18:19], v[10:11], v[14:15]
	s_cbranch_vccnz .LBB288_33
; %bb.32:                               ;   in Loop: Header=BB288_4 Depth=1
	v_add_nc_u64_e32 v[10:11], s[36:37], v[12:13]
	flat_load_b64 v[10:11], v[10:11]
	s_wait_loadcnt_dscnt 0x0
	v_fmac_f64_e32 v[18:19], v[8:9], v[10:11]
.LBB288_33:                             ;   in Loop: Header=BB288_4 Depth=1
	s_or_b32 s5, s5, exec_lo
.LBB288_34:                             ;   in Loop: Header=BB288_4 Depth=1
	s_wait_xcnt 0x0
	s_or_b32 exec_lo, exec_lo, s6
.LBB288_35:                             ;   in Loop: Header=BB288_4 Depth=1
	s_wait_xcnt 0x0
	s_and_saveexec_b32 s6, s5
	s_cbranch_execz .LBB288_2
; %bb.36:                               ;   in Loop: Header=BB288_4 Depth=1
	v_add_nc_u64_e32 v[8:9], s[36:37], v[12:13]
	flat_store_b64 v[8:9], v[18:19]
	s_branch .LBB288_2
.LBB288_37:
	s_endpgm
	.section	.rodata,"a",@progbits
	.p2align	6, 0x0
	.amdhsa_kernel _ZL32rocblas_gemvt_warp_reduce_kernelILb1ELi1024EiPKdS1_KPdEviiT3_lPKT2_lT1_lS7_lS8_lS4_lPT4_lS8_li
		.amdhsa_group_segment_fixed_size 256
		.amdhsa_private_segment_fixed_size 0
		.amdhsa_kernarg_size 140
		.amdhsa_user_sgpr_count 2
		.amdhsa_user_sgpr_dispatch_ptr 0
		.amdhsa_user_sgpr_queue_ptr 0
		.amdhsa_user_sgpr_kernarg_segment_ptr 1
		.amdhsa_user_sgpr_dispatch_id 0
		.amdhsa_user_sgpr_kernarg_preload_length 0
		.amdhsa_user_sgpr_kernarg_preload_offset 0
		.amdhsa_user_sgpr_private_segment_size 0
		.amdhsa_wavefront_size32 1
		.amdhsa_uses_dynamic_stack 0
		.amdhsa_enable_private_segment 0
		.amdhsa_system_sgpr_workgroup_id_x 1
		.amdhsa_system_sgpr_workgroup_id_y 0
		.amdhsa_system_sgpr_workgroup_id_z 1
		.amdhsa_system_sgpr_workgroup_info 0
		.amdhsa_system_vgpr_workitem_id 0
		.amdhsa_next_free_vgpr 32
		.amdhsa_next_free_sgpr 42
		.amdhsa_named_barrier_count 0
		.amdhsa_reserve_vcc 1
		.amdhsa_float_round_mode_32 0
		.amdhsa_float_round_mode_16_64 0
		.amdhsa_float_denorm_mode_32 3
		.amdhsa_float_denorm_mode_16_64 3
		.amdhsa_fp16_overflow 0
		.amdhsa_memory_ordered 1
		.amdhsa_forward_progress 1
		.amdhsa_inst_pref_size 13
		.amdhsa_round_robin_scheduling 0
		.amdhsa_exception_fp_ieee_invalid_op 0
		.amdhsa_exception_fp_denorm_src 0
		.amdhsa_exception_fp_ieee_div_zero 0
		.amdhsa_exception_fp_ieee_overflow 0
		.amdhsa_exception_fp_ieee_underflow 0
		.amdhsa_exception_fp_ieee_inexact 0
		.amdhsa_exception_int_div_zero 0
	.end_amdhsa_kernel
	.section	.text._ZL32rocblas_gemvt_warp_reduce_kernelILb1ELi1024EiPKdS1_KPdEviiT3_lPKT2_lT1_lS7_lS8_lS4_lPT4_lS8_li,"axG",@progbits,_ZL32rocblas_gemvt_warp_reduce_kernelILb1ELi1024EiPKdS1_KPdEviiT3_lPKT2_lT1_lS7_lS8_lS4_lPT4_lS8_li,comdat
.Lfunc_end288:
	.size	_ZL32rocblas_gemvt_warp_reduce_kernelILb1ELi1024EiPKdS1_KPdEviiT3_lPKT2_lT1_lS7_lS8_lS4_lPT4_lS8_li, .Lfunc_end288-_ZL32rocblas_gemvt_warp_reduce_kernelILb1ELi1024EiPKdS1_KPdEviiT3_lPKT2_lT1_lS7_lS8_lS4_lPT4_lS8_li
                                        ; -- End function
	.set _ZL32rocblas_gemvt_warp_reduce_kernelILb1ELi1024EiPKdS1_KPdEviiT3_lPKT2_lT1_lS7_lS8_lS4_lPT4_lS8_li.num_vgpr, 32
	.set _ZL32rocblas_gemvt_warp_reduce_kernelILb1ELi1024EiPKdS1_KPdEviiT3_lPKT2_lT1_lS7_lS8_lS4_lPT4_lS8_li.num_agpr, 0
	.set _ZL32rocblas_gemvt_warp_reduce_kernelILb1ELi1024EiPKdS1_KPdEviiT3_lPKT2_lT1_lS7_lS8_lS4_lPT4_lS8_li.numbered_sgpr, 42
	.set _ZL32rocblas_gemvt_warp_reduce_kernelILb1ELi1024EiPKdS1_KPdEviiT3_lPKT2_lT1_lS7_lS8_lS4_lPT4_lS8_li.num_named_barrier, 0
	.set _ZL32rocblas_gemvt_warp_reduce_kernelILb1ELi1024EiPKdS1_KPdEviiT3_lPKT2_lT1_lS7_lS8_lS4_lPT4_lS8_li.private_seg_size, 0
	.set _ZL32rocblas_gemvt_warp_reduce_kernelILb1ELi1024EiPKdS1_KPdEviiT3_lPKT2_lT1_lS7_lS8_lS4_lPT4_lS8_li.uses_vcc, 1
	.set _ZL32rocblas_gemvt_warp_reduce_kernelILb1ELi1024EiPKdS1_KPdEviiT3_lPKT2_lT1_lS7_lS8_lS4_lPT4_lS8_li.uses_flat_scratch, 0
	.set _ZL32rocblas_gemvt_warp_reduce_kernelILb1ELi1024EiPKdS1_KPdEviiT3_lPKT2_lT1_lS7_lS8_lS4_lPT4_lS8_li.has_dyn_sized_stack, 0
	.set _ZL32rocblas_gemvt_warp_reduce_kernelILb1ELi1024EiPKdS1_KPdEviiT3_lPKT2_lT1_lS7_lS8_lS4_lPT4_lS8_li.has_recursion, 0
	.set _ZL32rocblas_gemvt_warp_reduce_kernelILb1ELi1024EiPKdS1_KPdEviiT3_lPKT2_lT1_lS7_lS8_lS4_lPT4_lS8_li.has_indirect_call, 0
	.section	.AMDGPU.csdata,"",@progbits
; Kernel info:
; codeLenInByte = 1548
; TotalNumSgprs: 44
; NumVgprs: 32
; ScratchSize: 0
; MemoryBound: 1
; FloatMode: 240
; IeeeMode: 1
; LDSByteSize: 256 bytes/workgroup (compile time only)
; SGPRBlocks: 0
; VGPRBlocks: 1
; NumSGPRsForWavesPerEU: 44
; NumVGPRsForWavesPerEU: 32
; NamedBarCnt: 0
; Occupancy: 16
; WaveLimiterHint : 1
; COMPUTE_PGM_RSRC2:SCRATCH_EN: 0
; COMPUTE_PGM_RSRC2:USER_SGPR: 2
; COMPUTE_PGM_RSRC2:TRAP_HANDLER: 0
; COMPUTE_PGM_RSRC2:TGID_X_EN: 1
; COMPUTE_PGM_RSRC2:TGID_Y_EN: 0
; COMPUTE_PGM_RSRC2:TGID_Z_EN: 1
; COMPUTE_PGM_RSRC2:TIDIG_COMP_CNT: 0
	.section	.text._ZL32rocblas_gemvt_warp_reduce_kernelILb1ELi1024ElPKdS1_KPdEviiT3_lPKT2_lT1_lS7_lS8_lS4_lPT4_lS8_li,"axG",@progbits,_ZL32rocblas_gemvt_warp_reduce_kernelILb1ELi1024ElPKdS1_KPdEviiT3_lPKT2_lT1_lS7_lS8_lS4_lPT4_lS8_li,comdat
	.globl	_ZL32rocblas_gemvt_warp_reduce_kernelILb1ELi1024ElPKdS1_KPdEviiT3_lPKT2_lT1_lS7_lS8_lS4_lPT4_lS8_li ; -- Begin function _ZL32rocblas_gemvt_warp_reduce_kernelILb1ELi1024ElPKdS1_KPdEviiT3_lPKT2_lT1_lS7_lS8_lS4_lPT4_lS8_li
	.p2align	8
	.type	_ZL32rocblas_gemvt_warp_reduce_kernelILb1ELi1024ElPKdS1_KPdEviiT3_lPKT2_lT1_lS7_lS8_lS4_lPT4_lS8_li,@function
_ZL32rocblas_gemvt_warp_reduce_kernelILb1ELi1024ElPKdS1_KPdEviiT3_lPKT2_lT1_lS7_lS8_lS4_lPT4_lS8_li: ; @_ZL32rocblas_gemvt_warp_reduce_kernelILb1ELi1024ElPKdS1_KPdEviiT3_lPKT2_lT1_lS7_lS8_lS4_lPT4_lS8_li
; %bb.0:
	s_load_b32 s7, s[0:1], 0x88
	s_bfe_u32 s2, ttmp6, 0x40014
	s_lshr_b32 s3, ttmp7, 16
	s_add_co_i32 s2, s2, 1
	s_bfe_u32 s5, ttmp6, 0x40008
	s_mul_i32 s4, s3, s2
	s_getreg_b32 s2, hwreg(HW_REG_IB_STS2, 6, 4)
	s_add_co_i32 s5, s5, s4
	s_cmp_eq_u32 s2, 0
	s_mov_b32 s29, 0
	s_cselect_b32 s28, s3, s5
	s_wait_kmcnt 0x0
	s_cmp_ge_u32 s28, s7
	s_cbranch_scc1 .LBB289_37
; %bb.1:
	s_clause 0x1
	s_load_b32 s6, s[0:1], 0x0
	s_load_b64 s[36:37], s[0:1], 0x48
	s_bfe_u32 s3, ttmp6, 0x4000c
	s_and_b32 s4, ttmp6, 15
	s_add_co_i32 s3, s3, 1
	s_clause 0x2
	s_load_b256 s[8:15], s[0:1], 0x8
	s_load_b128 s[24:27], s[0:1], 0x38
	s_load_b256 s[16:23], s[0:1], 0x58
	s_mul_i32 s3, ttmp9, s3
	v_mbcnt_lo_u32_b32 v27, -1, 0
	s_add_co_i32 s4, s4, s3
	s_cmp_eq_u32 s2, 0
	s_load_b64 s[34:35], s[0:1], 0x28
	s_cselect_b32 s2, ttmp9, s4
	s_load_b64 s[4:5], s[0:1], 0x78
	s_wait_xcnt 0x0
	v_cmp_eq_u32_e64 s0, 0, v0
	v_lshl_or_b32 v28, v27, 2, 64
	s_wait_kmcnt 0x0
	s_ashr_i32 s3, s6, 31
	v_cmp_gt_i32_e32 vcc_lo, s6, v0
	s_lshr_b32 s3, s3, 22
	s_lshl_b64 s[14:15], s[14:15], 3
	s_add_co_i32 s3, s6, s3
	s_lshl_b64 s[26:27], s[26:27], 3
	s_and_b32 s30, s3, 0xfffffc00
	s_delay_alu instid0(SALU_CYCLE_1) | instskip(SKIP_3) | instid1(VALU_DEP_2)
	v_dual_mov_b32 v3, 0 :: v_dual_bitop2_b32 v8, s30, v0 bitop3:0x54
	s_ashr_i32 s3, s2, 31
	v_cndmask_b32_e32 v2, 0, v0, vcc_lo
	s_mul_u64 s[34:35], s[34:35], s[2:3]
	v_dual_mov_b32 v1, v3 :: v_dual_ashrrev_i32 v9, 31, v8
	s_mul_u64 s[38:39], s[4:5], s[2:3]
	v_cmp_gt_i32_e64 s2, s6, v8
	v_cmp_gt_i32_e64 s1, s30, v0
	s_delay_alu instid0(VALU_DEP_3)
	v_mul_u64_e32 v[6:7], s[36:37], v[0:1]
	v_mul_u64_e32 v[4:5], s[36:37], v[8:9]
	v_dual_lshrrev_b32 v8, 2, v0 :: v_dual_bitop2_b32 v9, 31, v0 bitop3:0x40
	v_cmp_gt_u32_e64 s3, 32, v0
	v_lshlrev_b32_e32 v2, 3, v2
	s_ashr_i32 s31, s30, 31
	v_lshlrev_b32_e32 v1, 3, v9
	v_cmp_eq_u32_e64 s4, 0, v9
	v_and_b32_e32 v26, 0xf8, v8
	v_mov_b64_e32 v[8:9], 0
	s_lshl_b64 s[36:37], s[36:37], 13
	s_lshl_b64 s[22:23], s[22:23], 3
	;; [unrolled: 1-line block ×3, first 2 shown]
	v_lshlrev_b64_e32 v[6:7], 3, v[6:7]
	s_branch .LBB289_4
.LBB289_2:                              ;   in Loop: Header=BB289_4 Depth=1
	s_wait_xcnt 0x0
	s_or_b32 exec_lo, exec_lo, s6
.LBB289_3:                              ;   in Loop: Header=BB289_4 Depth=1
	s_add_co_i32 s28, s28, 0x10000
	s_delay_alu instid0(SALU_CYCLE_1)
	s_cmp_lt_u32 s28, s7
	s_cbranch_scc0 .LBB289_37
.LBB289_4:                              ; =>This Loop Header: Depth=1
                                        ;     Child Loop BB289_26 Depth 2
	s_wait_xcnt 0x1
	s_mul_u64 s[40:41], s[10:11], s[28:29]
	s_wait_xcnt 0x0
	s_mul_u64 s[42:43], s[18:19], s[28:29]
	s_lshl_b64 s[40:41], s[40:41], 3
	s_lshl_b64 s[42:43], s[42:43], 3
	s_add_nc_u64 s[40:41], s[8:9], s[40:41]
	s_add_nc_u64 s[42:43], s[16:17], s[42:43]
	s_clause 0x1
	global_load_b64 v[12:13], v3, s[40:41]
	global_load_b64 v[10:11], v3, s[42:43]
	s_wait_loadcnt 0x1
	v_cmp_eq_f64_e64 s5, 0, v[12:13]
	s_wait_loadcnt 0x0
	v_cmp_eq_f64_e32 vcc_lo, 1.0, v[10:11]
	s_and_b32 s6, s5, vcc_lo
	s_delay_alu instid0(SALU_CYCLE_1)
	s_and_b32 vcc_lo, exec_lo, s6
	s_cbranch_vccnz .LBB289_3
; %bb.5:                                ;   in Loop: Header=BB289_4 Depth=1
	v_cmp_neq_f64_e64 s6, 0, v[12:13]
	s_wait_dscnt 0x0
	v_mov_b64_e32 v[16:17], 0
	v_mov_b64_e32 v[18:19], 0
	s_and_b32 vcc_lo, exec_lo, s5
	s_cbranch_vccnz .LBB289_7
; %bb.6:                                ;   in Loop: Header=BB289_4 Depth=1
	s_wait_xcnt 0x1
	s_lshl_b64 s[40:41], s[28:29], 3
	s_delay_alu instid0(SALU_CYCLE_1)
	s_add_nc_u64 s[40:41], s[12:13], s[40:41]
	global_load_b64 v[14:15], v3, s[40:41]
	s_wait_loadcnt 0x0
	v_add_nc_u64_e32 v[18:19], s[14:15], v[14:15]
.LBB289_7:                              ;   in Loop: Header=BB289_4 Depth=1
	s_and_not1_b32 vcc_lo, exec_lo, s6
	s_cbranch_vccnz .LBB289_9
; %bb.8:                                ;   in Loop: Header=BB289_4 Depth=1
	s_wait_xcnt 0x0
	s_lshl_b64 s[40:41], s[28:29], 3
	s_delay_alu instid0(SALU_CYCLE_1)
	s_add_nc_u64 s[40:41], s[24:25], s[40:41]
	global_load_b64 v[14:15], v3, s[40:41]
	s_wait_loadcnt 0x0
	v_add_nc_u64_e32 v[16:17], s[26:27], v[14:15]
.LBB289_9:                              ;   in Loop: Header=BB289_4 Depth=1
	s_wait_xcnt 0x0
	s_lshl_b64 s[40:41], s[28:29], 3
	s_and_not1_b32 vcc_lo, exec_lo, s5
	s_add_nc_u64 s[40:41], s[20:21], s[40:41]
	global_load_b64 v[14:15], v3, s[40:41]
	s_wait_loadcnt 0x0
	v_add_nc_u64_e32 v[14:15], s[22:23], v[14:15]
	s_cbranch_vccnz .LBB289_14
; %bb.10:                               ;   in Loop: Header=BB289_4 Depth=1
	s_mov_b32 s6, 0
	s_mov_b32 s5, 0
                                        ; implicit-def: $vgpr20_vgpr21
	s_wait_xcnt 0x0
	s_and_saveexec_b32 s33, s0
	s_cbranch_execz .LBB289_15
; %bb.11:                               ;   in Loop: Header=BB289_4 Depth=1
	v_cmp_eq_f64_e32 vcc_lo, 0, v[10:11]
	v_mov_b64_e32 v[20:21], 0
	s_cbranch_vccnz .LBB289_13
; %bb.12:                               ;   in Loop: Header=BB289_4 Depth=1
	v_add_nc_u64_e32 v[20:21], s[38:39], v[14:15]
	flat_load_b64 v[20:21], v[20:21]
	s_wait_loadcnt_dscnt 0x0
	s_wait_xcnt 0x0
	v_mul_f64_e32 v[20:21], v[10:11], v[20:21]
.LBB289_13:                             ;   in Loop: Header=BB289_4 Depth=1
	s_mov_b32 s5, exec_lo
	s_or_b32 exec_lo, exec_lo, s33
	s_delay_alu instid0(SALU_CYCLE_1)
	s_and_b32 vcc_lo, exec_lo, s6
	s_cbranch_vccnz .LBB289_16
	s_branch .LBB289_35
.LBB289_14:                             ;   in Loop: Header=BB289_4 Depth=1
	s_mov_b32 s5, 0
                                        ; implicit-def: $vgpr20_vgpr21
	s_cbranch_execnz .LBB289_16
	s_branch .LBB289_35
.LBB289_15:                             ;   in Loop: Header=BB289_4 Depth=1
	s_or_b32 exec_lo, exec_lo, s33
	s_delay_alu instid0(SALU_CYCLE_1)
	s_and_b32 vcc_lo, exec_lo, s6
	s_cbranch_vccz .LBB289_35
.LBB289_16:                             ;   in Loop: Header=BB289_4 Depth=1
	v_add_nc_u64_e32 v[20:21], v[18:19], v[2:3]
	v_mov_b64_e32 v[18:19], 0
	s_delay_alu instid0(VALU_DEP_2)
	v_lshl_add_u64 v[20:21], s[34:35], 3, v[20:21]
	s_wait_xcnt 0x0
	s_and_saveexec_b32 s6, s1
	s_cbranch_execnz .LBB289_25
; %bb.17:                               ;   in Loop: Header=BB289_4 Depth=1
	s_or_b32 exec_lo, exec_lo, s6
	s_and_saveexec_b32 s6, s2
	s_cbranch_execnz .LBB289_28
.LBB289_18:                             ;   in Loop: Header=BB289_4 Depth=1
	s_or_b32 exec_lo, exec_lo, s6
	s_and_saveexec_b32 s6, s3
.LBB289_19:                             ;   in Loop: Header=BB289_4 Depth=1
	ds_store_b64 v1, v[8:9]
.LBB289_20:                             ;   in Loop: Header=BB289_4 Depth=1
	s_or_b32 exec_lo, exec_lo, s6
	ds_bpermute_b32 v16, v28, v18
	ds_bpermute_b32 v17, v28, v19
	v_cmp_gt_u32_e32 vcc_lo, 24, v27
	s_wait_dscnt 0x0
	s_barrier_signal -1
	s_barrier_wait -1
	v_add_f64_e32 v[16:17], v[18:19], v[16:17]
	v_cndmask_b32_e64 v18, 0, 8, vcc_lo
	v_cmp_gt_u32_e32 vcc_lo, 28, v27
	s_delay_alu instid0(VALU_DEP_2)
	v_add_lshl_u32 v20, v18, v27, 2
	ds_bpermute_b32 v18, v20, v16
	ds_bpermute_b32 v19, v20, v17
	s_wait_dscnt 0x0
	v_add_f64_e32 v[16:17], v[16:17], v[18:19]
	v_cndmask_b32_e64 v18, 0, 4, vcc_lo
	v_cmp_gt_u32_e32 vcc_lo, 30, v27
	s_delay_alu instid0(VALU_DEP_2)
	v_add_lshl_u32 v21, v18, v27, 2
	ds_bpermute_b32 v18, v21, v16
	ds_bpermute_b32 v19, v21, v17
	s_wait_dscnt 0x0
	v_add_f64_e32 v[16:17], v[16:17], v[18:19]
	v_cndmask_b32_e64 v18, 0, 2, vcc_lo
	v_cmp_ne_u32_e32 vcc_lo, 31, v27
	s_delay_alu instid0(VALU_DEP_2)
	v_add_lshl_u32 v22, v18, v27, 2
	ds_bpermute_b32 v18, v22, v16
	ds_bpermute_b32 v19, v22, v17
	s_wait_dscnt 0x0
	v_add_f64_e32 v[16:17], v[16:17], v[18:19]
	v_add_co_ci_u32_e64 v18, null, 0, v27, vcc_lo
	s_delay_alu instid0(VALU_DEP_1)
	v_lshlrev_b32_e32 v23, 2, v18
	ds_bpermute_b32 v18, v23, v16
	ds_bpermute_b32 v19, v23, v17
	s_and_saveexec_b32 s6, s4
	s_cbranch_execz .LBB289_22
; %bb.21:                               ;   in Loop: Header=BB289_4 Depth=1
	s_wait_dscnt 0x0
	v_add_f64_e32 v[16:17], v[16:17], v[18:19]
	ds_store_b64 v26, v[16:17]
.LBB289_22:                             ;   in Loop: Header=BB289_4 Depth=1
	s_or_b32 exec_lo, exec_lo, s6
	v_mov_b64_e32 v[16:17], 0
	s_wait_dscnt 0x0
	s_barrier_signal -1
	s_barrier_wait -1
	s_and_saveexec_b32 s6, s3
	s_cbranch_execnz .LBB289_29
; %bb.23:                               ;   in Loop: Header=BB289_4 Depth=1
	s_or_b32 exec_lo, exec_lo, s6
	s_and_saveexec_b32 s6, s3
	s_cbranch_execnz .LBB289_30
.LBB289_24:                             ;   in Loop: Header=BB289_4 Depth=1
	s_or_b32 exec_lo, exec_lo, s6
                                        ; implicit-def: $vgpr20_vgpr21
	s_and_saveexec_b32 s6, s0
	s_cbranch_execnz .LBB289_31
	s_branch .LBB289_34
.LBB289_25:                             ;   in Loop: Header=BB289_4 Depth=1
	v_add_nc_u64_e32 v[22:23], v[16:17], v[6:7]
	v_mov_b64_e32 v[18:19], 0
	v_mov_b64_e32 v[24:25], v[20:21]
	v_mov_b32_e32 v29, v0
	s_mov_b32 s33, 0
.LBB289_26:                             ;   Parent Loop BB289_4 Depth=1
                                        ; =>  This Inner Loop Header: Depth=2
	flat_load_b64 v[30:31], v[24:25]
	flat_load_b64 v[32:33], v[22:23]
	v_add_nc_u32_e32 v29, 0x400, v29
	s_wait_xcnt 0x1
	v_add_nc_u64_e32 v[24:25], 0x2000, v[24:25]
	s_wait_xcnt 0x0
	v_add_nc_u64_e32 v[22:23], s[36:37], v[22:23]
	v_cmp_le_i32_e32 vcc_lo, s30, v29
	s_or_b32 s33, vcc_lo, s33
	s_wait_loadcnt_dscnt 0x0
	v_fmac_f64_e32 v[18:19], v[30:31], v[32:33]
	s_and_not1_b32 exec_lo, exec_lo, s33
	s_cbranch_execnz .LBB289_26
; %bb.27:                               ;   in Loop: Header=BB289_4 Depth=1
	s_or_b32 exec_lo, exec_lo, s33
	s_delay_alu instid0(SALU_CYCLE_1)
	s_or_b32 exec_lo, exec_lo, s6
	s_and_saveexec_b32 s6, s2
	s_cbranch_execz .LBB289_18
.LBB289_28:                             ;   in Loop: Header=BB289_4 Depth=1
	v_lshl_add_u64 v[20:21], s[30:31], 3, v[20:21]
	v_lshl_add_u64 v[16:17], v[4:5], 3, v[16:17]
	flat_load_b64 v[22:23], v[20:21]
	flat_load_b64 v[24:25], v[16:17]
	s_wait_loadcnt_dscnt 0x0
	v_fmac_f64_e32 v[18:19], v[22:23], v[24:25]
	s_wait_xcnt 0x0
	s_or_b32 exec_lo, exec_lo, s6
	s_and_saveexec_b32 s6, s3
	s_cbranch_execnz .LBB289_19
	s_branch .LBB289_20
.LBB289_29:                             ;   in Loop: Header=BB289_4 Depth=1
	ds_load_b64 v[16:17], v1
	s_or_b32 exec_lo, exec_lo, s6
	s_and_saveexec_b32 s6, s3
	s_cbranch_execz .LBB289_24
.LBB289_30:                             ;   in Loop: Header=BB289_4 Depth=1
	s_wait_dscnt 0x0
	ds_bpermute_b32 v18, v28, v16
	ds_bpermute_b32 v19, v28, v17
	s_wait_dscnt 0x0
	v_add_f64_e32 v[16:17], v[16:17], v[18:19]
	ds_bpermute_b32 v18, v20, v16
	ds_bpermute_b32 v19, v20, v17
	s_wait_dscnt 0x0
	v_add_f64_e32 v[16:17], v[16:17], v[18:19]
	;; [unrolled: 4-line block ×5, first 2 shown]
	s_or_b32 exec_lo, exec_lo, s6
                                        ; implicit-def: $vgpr20_vgpr21
	s_and_saveexec_b32 s6, s0
	s_cbranch_execz .LBB289_34
.LBB289_31:                             ;   in Loop: Header=BB289_4 Depth=1
	v_cmp_eq_f64_e32 vcc_lo, 0, v[10:11]
	s_wait_dscnt 0x0
	s_delay_alu instid0(VALU_DEP_2)
	v_mul_f64_e32 v[20:21], v[12:13], v[16:17]
	s_cbranch_vccnz .LBB289_33
; %bb.32:                               ;   in Loop: Header=BB289_4 Depth=1
	v_add_nc_u64_e32 v[12:13], s[38:39], v[14:15]
	flat_load_b64 v[12:13], v[12:13]
	s_wait_loadcnt_dscnt 0x0
	v_fmac_f64_e32 v[20:21], v[10:11], v[12:13]
.LBB289_33:                             ;   in Loop: Header=BB289_4 Depth=1
	s_or_b32 s5, s5, exec_lo
.LBB289_34:                             ;   in Loop: Header=BB289_4 Depth=1
	s_wait_xcnt 0x0
	s_or_b32 exec_lo, exec_lo, s6
.LBB289_35:                             ;   in Loop: Header=BB289_4 Depth=1
	s_wait_xcnt 0x0
	s_and_saveexec_b32 s6, s5
	s_cbranch_execz .LBB289_2
; %bb.36:                               ;   in Loop: Header=BB289_4 Depth=1
	v_add_nc_u64_e32 v[10:11], s[38:39], v[14:15]
	flat_store_b64 v[10:11], v[20:21]
	s_branch .LBB289_2
.LBB289_37:
	s_endpgm
	.section	.rodata,"a",@progbits
	.p2align	6, 0x0
	.amdhsa_kernel _ZL32rocblas_gemvt_warp_reduce_kernelILb1ELi1024ElPKdS1_KPdEviiT3_lPKT2_lT1_lS7_lS8_lS4_lPT4_lS8_li
		.amdhsa_group_segment_fixed_size 256
		.amdhsa_private_segment_fixed_size 0
		.amdhsa_kernarg_size 140
		.amdhsa_user_sgpr_count 2
		.amdhsa_user_sgpr_dispatch_ptr 0
		.amdhsa_user_sgpr_queue_ptr 0
		.amdhsa_user_sgpr_kernarg_segment_ptr 1
		.amdhsa_user_sgpr_dispatch_id 0
		.amdhsa_user_sgpr_kernarg_preload_length 0
		.amdhsa_user_sgpr_kernarg_preload_offset 0
		.amdhsa_user_sgpr_private_segment_size 0
		.amdhsa_wavefront_size32 1
		.amdhsa_uses_dynamic_stack 0
		.amdhsa_enable_private_segment 0
		.amdhsa_system_sgpr_workgroup_id_x 1
		.amdhsa_system_sgpr_workgroup_id_y 0
		.amdhsa_system_sgpr_workgroup_id_z 1
		.amdhsa_system_sgpr_workgroup_info 0
		.amdhsa_system_vgpr_workitem_id 0
		.amdhsa_next_free_vgpr 34
		.amdhsa_next_free_sgpr 44
		.amdhsa_named_barrier_count 0
		.amdhsa_reserve_vcc 1
		.amdhsa_float_round_mode_32 0
		.amdhsa_float_round_mode_16_64 0
		.amdhsa_float_denorm_mode_32 3
		.amdhsa_float_denorm_mode_16_64 3
		.amdhsa_fp16_overflow 0
		.amdhsa_memory_ordered 1
		.amdhsa_forward_progress 1
		.amdhsa_inst_pref_size 13
		.amdhsa_round_robin_scheduling 0
		.amdhsa_exception_fp_ieee_invalid_op 0
		.amdhsa_exception_fp_denorm_src 0
		.amdhsa_exception_fp_ieee_div_zero 0
		.amdhsa_exception_fp_ieee_overflow 0
		.amdhsa_exception_fp_ieee_underflow 0
		.amdhsa_exception_fp_ieee_inexact 0
		.amdhsa_exception_int_div_zero 0
	.end_amdhsa_kernel
	.section	.text._ZL32rocblas_gemvt_warp_reduce_kernelILb1ELi1024ElPKdS1_KPdEviiT3_lPKT2_lT1_lS7_lS8_lS4_lPT4_lS8_li,"axG",@progbits,_ZL32rocblas_gemvt_warp_reduce_kernelILb1ELi1024ElPKdS1_KPdEviiT3_lPKT2_lT1_lS7_lS8_lS4_lPT4_lS8_li,comdat
.Lfunc_end289:
	.size	_ZL32rocblas_gemvt_warp_reduce_kernelILb1ELi1024ElPKdS1_KPdEviiT3_lPKT2_lT1_lS7_lS8_lS4_lPT4_lS8_li, .Lfunc_end289-_ZL32rocblas_gemvt_warp_reduce_kernelILb1ELi1024ElPKdS1_KPdEviiT3_lPKT2_lT1_lS7_lS8_lS4_lPT4_lS8_li
                                        ; -- End function
	.set _ZL32rocblas_gemvt_warp_reduce_kernelILb1ELi1024ElPKdS1_KPdEviiT3_lPKT2_lT1_lS7_lS8_lS4_lPT4_lS8_li.num_vgpr, 34
	.set _ZL32rocblas_gemvt_warp_reduce_kernelILb1ELi1024ElPKdS1_KPdEviiT3_lPKT2_lT1_lS7_lS8_lS4_lPT4_lS8_li.num_agpr, 0
	.set _ZL32rocblas_gemvt_warp_reduce_kernelILb1ELi1024ElPKdS1_KPdEviiT3_lPKT2_lT1_lS7_lS8_lS4_lPT4_lS8_li.numbered_sgpr, 44
	.set _ZL32rocblas_gemvt_warp_reduce_kernelILb1ELi1024ElPKdS1_KPdEviiT3_lPKT2_lT1_lS7_lS8_lS4_lPT4_lS8_li.num_named_barrier, 0
	.set _ZL32rocblas_gemvt_warp_reduce_kernelILb1ELi1024ElPKdS1_KPdEviiT3_lPKT2_lT1_lS7_lS8_lS4_lPT4_lS8_li.private_seg_size, 0
	.set _ZL32rocblas_gemvt_warp_reduce_kernelILb1ELi1024ElPKdS1_KPdEviiT3_lPKT2_lT1_lS7_lS8_lS4_lPT4_lS8_li.uses_vcc, 1
	.set _ZL32rocblas_gemvt_warp_reduce_kernelILb1ELi1024ElPKdS1_KPdEviiT3_lPKT2_lT1_lS7_lS8_lS4_lPT4_lS8_li.uses_flat_scratch, 0
	.set _ZL32rocblas_gemvt_warp_reduce_kernelILb1ELi1024ElPKdS1_KPdEviiT3_lPKT2_lT1_lS7_lS8_lS4_lPT4_lS8_li.has_dyn_sized_stack, 0
	.set _ZL32rocblas_gemvt_warp_reduce_kernelILb1ELi1024ElPKdS1_KPdEviiT3_lPKT2_lT1_lS7_lS8_lS4_lPT4_lS8_li.has_recursion, 0
	.set _ZL32rocblas_gemvt_warp_reduce_kernelILb1ELi1024ElPKdS1_KPdEviiT3_lPKT2_lT1_lS7_lS8_lS4_lPT4_lS8_li.has_indirect_call, 0
	.section	.AMDGPU.csdata,"",@progbits
; Kernel info:
; codeLenInByte = 1544
; TotalNumSgprs: 46
; NumVgprs: 34
; ScratchSize: 0
; MemoryBound: 1
; FloatMode: 240
; IeeeMode: 1
; LDSByteSize: 256 bytes/workgroup (compile time only)
; SGPRBlocks: 0
; VGPRBlocks: 2
; NumSGPRsForWavesPerEU: 46
; NumVGPRsForWavesPerEU: 34
; NamedBarCnt: 0
; Occupancy: 16
; WaveLimiterHint : 1
; COMPUTE_PGM_RSRC2:SCRATCH_EN: 0
; COMPUTE_PGM_RSRC2:USER_SGPR: 2
; COMPUTE_PGM_RSRC2:TRAP_HANDLER: 0
; COMPUTE_PGM_RSRC2:TGID_X_EN: 1
; COMPUTE_PGM_RSRC2:TGID_Y_EN: 0
; COMPUTE_PGM_RSRC2:TGID_Z_EN: 1
; COMPUTE_PGM_RSRC2:TIDIG_COMP_CNT: 0
	.section	.text._ZL32rocblas_gemvt_warp_reduce_kernelILb1ELi1024EiPKddKPdEviiT3_lPKT2_lT1_lS7_lS8_lS4_lPT4_lS8_li,"axG",@progbits,_ZL32rocblas_gemvt_warp_reduce_kernelILb1ELi1024EiPKddKPdEviiT3_lPKT2_lT1_lS7_lS8_lS4_lPT4_lS8_li,comdat
	.globl	_ZL32rocblas_gemvt_warp_reduce_kernelILb1ELi1024EiPKddKPdEviiT3_lPKT2_lT1_lS7_lS8_lS4_lPT4_lS8_li ; -- Begin function _ZL32rocblas_gemvt_warp_reduce_kernelILb1ELi1024EiPKddKPdEviiT3_lPKT2_lT1_lS7_lS8_lS4_lPT4_lS8_li
	.p2align	8
	.type	_ZL32rocblas_gemvt_warp_reduce_kernelILb1ELi1024EiPKddKPdEviiT3_lPKT2_lT1_lS7_lS8_lS4_lPT4_lS8_li,@function
_ZL32rocblas_gemvt_warp_reduce_kernelILb1ELi1024EiPKddKPdEviiT3_lPKT2_lT1_lS7_lS8_lS4_lPT4_lS8_li: ; @_ZL32rocblas_gemvt_warp_reduce_kernelILb1ELi1024EiPKddKPdEviiT3_lPKT2_lT1_lS7_lS8_lS4_lPT4_lS8_li
; %bb.0:
	s_load_b32 s5, s[0:1], 0x88
	s_bfe_u32 s2, ttmp6, 0x40014
	s_lshr_b32 s3, ttmp7, 16
	s_add_co_i32 s2, s2, 1
	s_bfe_u32 s6, ttmp6, 0x40008
	s_mul_i32 s4, s3, s2
	s_getreg_b32 s2, hwreg(HW_REG_IB_STS2, 6, 4)
	s_add_co_i32 s6, s6, s4
	s_cmp_eq_u32 s2, 0
	s_mov_b32 s7, 0
	s_cselect_b32 s6, s3, s6
	s_wait_kmcnt 0x0
	s_cmp_ge_u32 s6, s5
	s_cbranch_scc1 .LBB290_40
; %bb.1:
	s_clause 0x8
	s_load_b64 s[20:21], s[0:1], 0x58
	s_load_b64 s[22:23], s[0:1], 0x8
	s_load_b128 s[8:11], s[0:1], 0x68
	s_load_b32 s35, s[0:1], 0x0
	s_load_b128 s[12:15], s[0:1], 0x18
	s_load_b32 s25, s[0:1], 0x28
	;; [unrolled: 2-line block ×3, first 2 shown]
	s_load_b32 s27, s[0:1], 0x78
	s_bfe_u32 s28, ttmp6, 0x4000c
	s_and_b32 s24, ttmp6, 15
	s_add_co_i32 s28, s28, 1
	v_dual_mov_b32 v3, 0 :: v_dual_bitop2_b32 v2, 31, v0 bitop3:0x40
	s_mul_i32 s28, ttmp9, s28
	v_lshrrev_b32_e32 v6, 2, v0
	s_add_co_i32 s24, s24, s28
	v_mbcnt_lo_u32_b32 v1, -1, 0
	v_lshlrev_b32_e32 v19, 3, v2
	v_mov_b64_e32 v[4:5], 0
	v_and_b32_e32 v20, 0xf8, v6
	s_wait_xcnt 0x0
	v_cmp_eq_u32_e64 s0, 0, v0
	v_cmp_gt_u32_e64 s1, 32, v0
	s_wait_kmcnt 0x0
	v_cmp_gt_i32_e32 vcc_lo, s35, v0
	v_lshl_or_b32 v22, v1, 2, 64
	v_cmp_neq_f64_e64 s3, s[20:21], 1.0
	v_cmp_neq_f64_e64 s4, s[22:23], 0
	v_cmp_eq_f64_e64 s31, s[22:23], 0
	v_cmp_neq_f64_e64 s33, s[20:21], 0
	v_mul_lo_u32 v21, v0, s26
	s_or_b32 s30, s4, s3
	s_cmp_eq_u32 s2, 0
	v_cndmask_b32_e64 v18, 0, 1, s4
	s_cselect_b32 s3, ttmp9, s24
	s_ashr_i32 s4, s35, 31
	v_cmp_eq_u32_e64 s2, 0, v2
	s_lshr_b32 s4, s4, 22
	s_mul_i32 s28, s27, s3
	s_add_co_i32 s4, s35, s4
	s_lshl_b32 s34, s26, 10
	s_and_b32 s24, s4, 0xfffffc00
	s_delay_alu instid0(SALU_CYCLE_1) | instskip(SKIP_3) | instid1(VALU_DEP_1)
	v_dual_cndmask_b32 v2, 0, v0, vcc_lo :: v_dual_bitop2_b32 v7, s24, v0 bitop3:0x54
	s_ashr_i32 s29, s28, 31
	s_lshl_b64 s[14:15], s[14:15], 3
	s_lshl_b64 s[18:19], s[18:19], 3
	v_lshlrev_b32_e32 v2, 3, v2
	v_mul_lo_u32 v6, s26, v7
	s_mul_i32 s26, s25, s3
	v_cmp_gt_i32_e64 s3, s24, v0
	v_cmp_gt_i32_e64 s4, s35, v7
	s_ashr_i32 s27, s26, 31
	s_ashr_i32 s25, s24, 31
	s_lshl_b64 s[10:11], s[10:11], 3
	s_lshl_b64 s[28:29], s[28:29], 3
	v_ashrrev_i32_e32 v7, 31, v6
	s_branch .LBB290_4
.LBB290_2:                              ;   in Loop: Header=BB290_4 Depth=1
	s_wait_xcnt 0x0
	s_or_b32 exec_lo, exec_lo, s36
.LBB290_3:                              ;   in Loop: Header=BB290_4 Depth=1
	s_add_co_i32 s6, s6, 0x10000
	s_delay_alu instid0(SALU_CYCLE_1)
	s_cmp_lt_u32 s6, s5
	s_cbranch_scc0 .LBB290_40
.LBB290_4:                              ; =>This Loop Header: Depth=1
                                        ;     Child Loop BB290_29 Depth 2
	s_and_not1_b32 vcc_lo, exec_lo, s30
	s_cbranch_vccnz .LBB290_3
; %bb.5:                                ;   in Loop: Header=BB290_4 Depth=1
	s_and_not1_b32 vcc_lo, exec_lo, s31
	s_cbranch_vccnz .LBB290_7
; %bb.6:                                ;   in Loop: Header=BB290_4 Depth=1
	s_wait_dscnt 0x0
	v_mov_b64_e32 v[10:11], 0
	v_mov_b64_e32 v[12:13], 0
	s_cbranch_execz .LBB290_8
	s_branch .LBB290_9
.LBB290_7:                              ;   in Loop: Header=BB290_4 Depth=1
	s_wait_dscnt 0x0
	v_mov_b64_e32 v[10:11], 0
	v_mov_b64_e32 v[12:13], 0
.LBB290_8:                              ;   in Loop: Header=BB290_4 Depth=1
	s_lshl_b64 s[36:37], s[6:7], 3
	s_delay_alu instid0(SALU_CYCLE_1)
	s_add_nc_u64 s[36:37], s[12:13], s[36:37]
	global_load_b64 v[8:9], v3, s[36:37]
	s_wait_loadcnt 0x0
	v_add_nc_u64_e32 v[12:13], s[14:15], v[8:9]
.LBB290_9:                              ;   in Loop: Header=BB290_4 Depth=1
	v_cmp_ne_u32_e32 vcc_lo, 1, v18
	s_cbranch_vccnz .LBB290_11
; %bb.10:                               ;   in Loop: Header=BB290_4 Depth=1
	s_wait_xcnt 0x0
	s_lshl_b64 s[36:37], s[6:7], 3
	s_delay_alu instid0(SALU_CYCLE_1)
	s_add_nc_u64 s[36:37], s[16:17], s[36:37]
	global_load_b64 v[8:9], v3, s[36:37]
	s_wait_loadcnt 0x0
	v_add_nc_u64_e32 v[10:11], s[18:19], v[8:9]
.LBB290_11:                             ;   in Loop: Header=BB290_4 Depth=1
	s_wait_xcnt 0x0
	s_lshl_b64 s[36:37], s[6:7], 3
	s_and_not1_b32 vcc_lo, exec_lo, s31
	s_add_nc_u64 s[36:37], s[8:9], s[36:37]
	global_load_b64 v[8:9], v3, s[36:37]
	s_wait_loadcnt 0x0
	v_add_nc_u64_e32 v[8:9], s[10:11], v[8:9]
	s_cbranch_vccnz .LBB290_15
; %bb.12:                               ;   in Loop: Header=BB290_4 Depth=1
	s_wait_xcnt 0x0
	s_mov_b32 s36, 0
	s_mov_b32 s35, 0
                                        ; implicit-def: $vgpr14_vgpr15
	s_and_saveexec_b32 s37, s0
	s_cbranch_execz .LBB290_16
; %bb.13:                               ;   in Loop: Header=BB290_4 Depth=1
	s_and_not1_b32 vcc_lo, exec_lo, s33
	s_cbranch_vccnz .LBB290_17
; %bb.14:                               ;   in Loop: Header=BB290_4 Depth=1
	v_add_nc_u64_e32 v[14:15], s[28:29], v[8:9]
	flat_load_b64 v[14:15], v[14:15]
	s_wait_loadcnt_dscnt 0x0
	s_wait_xcnt 0x0
	v_mul_f64_e32 v[14:15], s[20:21], v[14:15]
	s_branch .LBB290_18
.LBB290_15:                             ;   in Loop: Header=BB290_4 Depth=1
	s_wait_xcnt 0x0
	s_mov_b32 s35, 0
                                        ; implicit-def: $vgpr14_vgpr15
	s_cbranch_execnz .LBB290_19
	s_branch .LBB290_38
.LBB290_16:                             ;   in Loop: Header=BB290_4 Depth=1
	s_or_b32 exec_lo, exec_lo, s37
	s_delay_alu instid0(SALU_CYCLE_1)
	s_and_b32 vcc_lo, exec_lo, s36
	s_cbranch_vccnz .LBB290_19
	s_branch .LBB290_38
.LBB290_17:                             ;   in Loop: Header=BB290_4 Depth=1
	v_mov_b64_e32 v[14:15], 0
.LBB290_18:                             ;   in Loop: Header=BB290_4 Depth=1
	s_mov_b32 s35, exec_lo
	s_or_b32 exec_lo, exec_lo, s37
	s_delay_alu instid0(SALU_CYCLE_1)
	s_and_b32 vcc_lo, exec_lo, s36
	s_cbranch_vccz .LBB290_38
.LBB290_19:                             ;   in Loop: Header=BB290_4 Depth=1
	v_add_nc_u64_e32 v[14:15], v[12:13], v[2:3]
	v_mov_b64_e32 v[12:13], 0
	s_delay_alu instid0(VALU_DEP_2)
	v_lshl_add_u64 v[14:15], s[26:27], 3, v[14:15]
	s_and_saveexec_b32 s36, s3
	s_cbranch_execnz .LBB290_28
; %bb.20:                               ;   in Loop: Header=BB290_4 Depth=1
	s_or_b32 exec_lo, exec_lo, s36
	s_and_saveexec_b32 s36, s4
	s_cbranch_execnz .LBB290_31
.LBB290_21:                             ;   in Loop: Header=BB290_4 Depth=1
	s_or_b32 exec_lo, exec_lo, s36
	s_and_saveexec_b32 s36, s1
.LBB290_22:                             ;   in Loop: Header=BB290_4 Depth=1
	ds_store_b64 v19, v[4:5]
.LBB290_23:                             ;   in Loop: Header=BB290_4 Depth=1
	s_or_b32 exec_lo, exec_lo, s36
	ds_bpermute_b32 v10, v22, v12
	ds_bpermute_b32 v11, v22, v13
	v_cmp_gt_u32_e32 vcc_lo, 24, v1
	s_wait_dscnt 0x0
	s_barrier_signal -1
	s_barrier_wait -1
	v_add_f64_e32 v[10:11], v[12:13], v[10:11]
	v_cndmask_b32_e64 v12, 0, 8, vcc_lo
	v_cmp_gt_u32_e32 vcc_lo, 28, v1
	s_delay_alu instid0(VALU_DEP_2)
	v_add_lshl_u32 v14, v12, v1, 2
	ds_bpermute_b32 v12, v14, v10
	ds_bpermute_b32 v13, v14, v11
	s_wait_dscnt 0x0
	v_add_f64_e32 v[10:11], v[10:11], v[12:13]
	v_cndmask_b32_e64 v12, 0, 4, vcc_lo
	v_cmp_gt_u32_e32 vcc_lo, 30, v1
	s_delay_alu instid0(VALU_DEP_2)
	v_add_lshl_u32 v15, v12, v1, 2
	ds_bpermute_b32 v12, v15, v10
	ds_bpermute_b32 v13, v15, v11
	s_wait_dscnt 0x0
	v_add_f64_e32 v[10:11], v[10:11], v[12:13]
	v_cndmask_b32_e64 v12, 0, 2, vcc_lo
	v_cmp_ne_u32_e32 vcc_lo, 31, v1
	s_delay_alu instid0(VALU_DEP_2)
	v_add_lshl_u32 v16, v12, v1, 2
	ds_bpermute_b32 v12, v16, v10
	ds_bpermute_b32 v13, v16, v11
	s_wait_dscnt 0x0
	v_add_f64_e32 v[10:11], v[10:11], v[12:13]
	v_add_co_ci_u32_e64 v12, null, 0, v1, vcc_lo
	s_delay_alu instid0(VALU_DEP_1)
	v_lshlrev_b32_e32 v17, 2, v12
	ds_bpermute_b32 v12, v17, v10
	ds_bpermute_b32 v13, v17, v11
	s_and_saveexec_b32 s36, s2
	s_cbranch_execz .LBB290_25
; %bb.24:                               ;   in Loop: Header=BB290_4 Depth=1
	s_wait_dscnt 0x0
	v_add_f64_e32 v[10:11], v[10:11], v[12:13]
	ds_store_b64 v20, v[10:11]
.LBB290_25:                             ;   in Loop: Header=BB290_4 Depth=1
	s_or_b32 exec_lo, exec_lo, s36
	v_mov_b64_e32 v[10:11], 0
	s_wait_dscnt 0x0
	s_barrier_signal -1
	s_barrier_wait -1
	s_and_saveexec_b32 s36, s1
	s_cbranch_execnz .LBB290_32
; %bb.26:                               ;   in Loop: Header=BB290_4 Depth=1
	s_or_b32 exec_lo, exec_lo, s36
	s_and_saveexec_b32 s36, s1
	s_cbranch_execnz .LBB290_33
.LBB290_27:                             ;   in Loop: Header=BB290_4 Depth=1
	s_or_b32 exec_lo, exec_lo, s36
                                        ; implicit-def: $vgpr14_vgpr15
	s_and_saveexec_b32 s36, s0
	s_cbranch_execnz .LBB290_34
	s_branch .LBB290_37
.LBB290_28:                             ;   in Loop: Header=BB290_4 Depth=1
	v_mov_b64_e32 v[12:13], 0
	s_delay_alu instid0(VALU_DEP_2)
	v_mov_b64_e32 v[16:17], v[14:15]
	v_dual_mov_b32 v23, v0 :: v_dual_mov_b32 v24, v21
	s_mov_b32 s37, 0
.LBB290_29:                             ;   Parent Loop BB290_4 Depth=1
                                        ; =>  This Inner Loop Header: Depth=2
	v_readfirstlane_b32 s38, v10
	v_readfirstlane_b32 s39, v11
	s_delay_alu instid0(VALU_DEP_3)
	v_add_nc_u32_e32 v23, 0x400, v23
	flat_load_b64 v[26:27], v[16:17]
	flat_load_b64 v[28:29], v24, s[38:39] scale_offset
	s_wait_xcnt 0x1
	v_add_nc_u64_e32 v[16:17], 0x2000, v[16:17]
	v_cmp_le_i32_e32 vcc_lo, s24, v23
	s_wait_xcnt 0x0
	v_add_nc_u32_e32 v24, s34, v24
	s_or_b32 s37, vcc_lo, s37
	s_wait_loadcnt_dscnt 0x0
	v_fmac_f64_e32 v[12:13], v[26:27], v[28:29]
	s_and_not1_b32 exec_lo, exec_lo, s37
	s_cbranch_execnz .LBB290_29
; %bb.30:                               ;   in Loop: Header=BB290_4 Depth=1
	s_or_b32 exec_lo, exec_lo, s37
	s_delay_alu instid0(SALU_CYCLE_1)
	s_or_b32 exec_lo, exec_lo, s36
	s_and_saveexec_b32 s36, s4
	s_cbranch_execz .LBB290_21
.LBB290_31:                             ;   in Loop: Header=BB290_4 Depth=1
	v_lshl_add_u64 v[14:15], s[24:25], 3, v[14:15]
	v_lshl_add_u64 v[10:11], v[6:7], 3, v[10:11]
	flat_load_b64 v[16:17], v[14:15]
	flat_load_b64 v[24:25], v[10:11]
	s_wait_loadcnt_dscnt 0x0
	v_fmac_f64_e32 v[12:13], v[16:17], v[24:25]
	s_wait_xcnt 0x0
	s_or_b32 exec_lo, exec_lo, s36
	s_and_saveexec_b32 s36, s1
	s_cbranch_execnz .LBB290_22
	s_branch .LBB290_23
.LBB290_32:                             ;   in Loop: Header=BB290_4 Depth=1
	ds_load_b64 v[10:11], v19
	s_or_b32 exec_lo, exec_lo, s36
	s_and_saveexec_b32 s36, s1
	s_cbranch_execz .LBB290_27
.LBB290_33:                             ;   in Loop: Header=BB290_4 Depth=1
	s_wait_dscnt 0x0
	ds_bpermute_b32 v12, v22, v10
	ds_bpermute_b32 v13, v22, v11
	s_wait_dscnt 0x0
	v_add_f64_e32 v[10:11], v[10:11], v[12:13]
	ds_bpermute_b32 v12, v14, v10
	ds_bpermute_b32 v13, v14, v11
	s_wait_dscnt 0x0
	v_add_f64_e32 v[10:11], v[10:11], v[12:13]
	;; [unrolled: 4-line block ×5, first 2 shown]
	s_or_b32 exec_lo, exec_lo, s36
                                        ; implicit-def: $vgpr14_vgpr15
	s_and_saveexec_b32 s36, s0
	s_cbranch_execz .LBB290_37
.LBB290_34:                             ;   in Loop: Header=BB290_4 Depth=1
	s_wait_dscnt 0x0
	s_delay_alu instid0(VALU_DEP_1)
	v_mul_f64_e32 v[14:15], s[22:23], v[10:11]
	s_and_not1_b32 vcc_lo, exec_lo, s33
	s_cbranch_vccnz .LBB290_36
; %bb.35:                               ;   in Loop: Header=BB290_4 Depth=1
	v_add_nc_u64_e32 v[10:11], s[28:29], v[8:9]
	flat_load_b64 v[10:11], v[10:11]
	s_wait_loadcnt_dscnt 0x0
	v_fmac_f64_e32 v[14:15], s[20:21], v[10:11]
.LBB290_36:                             ;   in Loop: Header=BB290_4 Depth=1
	s_or_b32 s35, s35, exec_lo
.LBB290_37:                             ;   in Loop: Header=BB290_4 Depth=1
	s_wait_xcnt 0x0
	s_or_b32 exec_lo, exec_lo, s36
.LBB290_38:                             ;   in Loop: Header=BB290_4 Depth=1
	s_and_saveexec_b32 s36, s35
	s_cbranch_execz .LBB290_2
; %bb.39:                               ;   in Loop: Header=BB290_4 Depth=1
	v_add_nc_u64_e32 v[8:9], s[28:29], v[8:9]
	flat_store_b64 v[8:9], v[14:15]
	s_branch .LBB290_2
.LBB290_40:
	s_endpgm
	.section	.rodata,"a",@progbits
	.p2align	6, 0x0
	.amdhsa_kernel _ZL32rocblas_gemvt_warp_reduce_kernelILb1ELi1024EiPKddKPdEviiT3_lPKT2_lT1_lS7_lS8_lS4_lPT4_lS8_li
		.amdhsa_group_segment_fixed_size 256
		.amdhsa_private_segment_fixed_size 0
		.amdhsa_kernarg_size 140
		.amdhsa_user_sgpr_count 2
		.amdhsa_user_sgpr_dispatch_ptr 0
		.amdhsa_user_sgpr_queue_ptr 0
		.amdhsa_user_sgpr_kernarg_segment_ptr 1
		.amdhsa_user_sgpr_dispatch_id 0
		.amdhsa_user_sgpr_kernarg_preload_length 0
		.amdhsa_user_sgpr_kernarg_preload_offset 0
		.amdhsa_user_sgpr_private_segment_size 0
		.amdhsa_wavefront_size32 1
		.amdhsa_uses_dynamic_stack 0
		.amdhsa_enable_private_segment 0
		.amdhsa_system_sgpr_workgroup_id_x 1
		.amdhsa_system_sgpr_workgroup_id_y 0
		.amdhsa_system_sgpr_workgroup_id_z 1
		.amdhsa_system_sgpr_workgroup_info 0
		.amdhsa_system_vgpr_workitem_id 0
		.amdhsa_next_free_vgpr 30
		.amdhsa_next_free_sgpr 40
		.amdhsa_named_barrier_count 0
		.amdhsa_reserve_vcc 1
		.amdhsa_float_round_mode_32 0
		.amdhsa_float_round_mode_16_64 0
		.amdhsa_float_denorm_mode_32 3
		.amdhsa_float_denorm_mode_16_64 3
		.amdhsa_fp16_overflow 0
		.amdhsa_memory_ordered 1
		.amdhsa_forward_progress 1
		.amdhsa_inst_pref_size 12
		.amdhsa_round_robin_scheduling 0
		.amdhsa_exception_fp_ieee_invalid_op 0
		.amdhsa_exception_fp_denorm_src 0
		.amdhsa_exception_fp_ieee_div_zero 0
		.amdhsa_exception_fp_ieee_overflow 0
		.amdhsa_exception_fp_ieee_underflow 0
		.amdhsa_exception_fp_ieee_inexact 0
		.amdhsa_exception_int_div_zero 0
	.end_amdhsa_kernel
	.section	.text._ZL32rocblas_gemvt_warp_reduce_kernelILb1ELi1024EiPKddKPdEviiT3_lPKT2_lT1_lS7_lS8_lS4_lPT4_lS8_li,"axG",@progbits,_ZL32rocblas_gemvt_warp_reduce_kernelILb1ELi1024EiPKddKPdEviiT3_lPKT2_lT1_lS7_lS8_lS4_lPT4_lS8_li,comdat
.Lfunc_end290:
	.size	_ZL32rocblas_gemvt_warp_reduce_kernelILb1ELi1024EiPKddKPdEviiT3_lPKT2_lT1_lS7_lS8_lS4_lPT4_lS8_li, .Lfunc_end290-_ZL32rocblas_gemvt_warp_reduce_kernelILb1ELi1024EiPKddKPdEviiT3_lPKT2_lT1_lS7_lS8_lS4_lPT4_lS8_li
                                        ; -- End function
	.set _ZL32rocblas_gemvt_warp_reduce_kernelILb1ELi1024EiPKddKPdEviiT3_lPKT2_lT1_lS7_lS8_lS4_lPT4_lS8_li.num_vgpr, 30
	.set _ZL32rocblas_gemvt_warp_reduce_kernelILb1ELi1024EiPKddKPdEviiT3_lPKT2_lT1_lS7_lS8_lS4_lPT4_lS8_li.num_agpr, 0
	.set _ZL32rocblas_gemvt_warp_reduce_kernelILb1ELi1024EiPKddKPdEviiT3_lPKT2_lT1_lS7_lS8_lS4_lPT4_lS8_li.numbered_sgpr, 40
	.set _ZL32rocblas_gemvt_warp_reduce_kernelILb1ELi1024EiPKddKPdEviiT3_lPKT2_lT1_lS7_lS8_lS4_lPT4_lS8_li.num_named_barrier, 0
	.set _ZL32rocblas_gemvt_warp_reduce_kernelILb1ELi1024EiPKddKPdEviiT3_lPKT2_lT1_lS7_lS8_lS4_lPT4_lS8_li.private_seg_size, 0
	.set _ZL32rocblas_gemvt_warp_reduce_kernelILb1ELi1024EiPKddKPdEviiT3_lPKT2_lT1_lS7_lS8_lS4_lPT4_lS8_li.uses_vcc, 1
	.set _ZL32rocblas_gemvt_warp_reduce_kernelILb1ELi1024EiPKddKPdEviiT3_lPKT2_lT1_lS7_lS8_lS4_lPT4_lS8_li.uses_flat_scratch, 0
	.set _ZL32rocblas_gemvt_warp_reduce_kernelILb1ELi1024EiPKddKPdEviiT3_lPKT2_lT1_lS7_lS8_lS4_lPT4_lS8_li.has_dyn_sized_stack, 0
	.set _ZL32rocblas_gemvt_warp_reduce_kernelILb1ELi1024EiPKddKPdEviiT3_lPKT2_lT1_lS7_lS8_lS4_lPT4_lS8_li.has_recursion, 0
	.set _ZL32rocblas_gemvt_warp_reduce_kernelILb1ELi1024EiPKddKPdEviiT3_lPKT2_lT1_lS7_lS8_lS4_lPT4_lS8_li.has_indirect_call, 0
	.section	.AMDGPU.csdata,"",@progbits
; Kernel info:
; codeLenInByte = 1532
; TotalNumSgprs: 42
; NumVgprs: 30
; ScratchSize: 0
; MemoryBound: 1
; FloatMode: 240
; IeeeMode: 1
; LDSByteSize: 256 bytes/workgroup (compile time only)
; SGPRBlocks: 0
; VGPRBlocks: 1
; NumSGPRsForWavesPerEU: 42
; NumVGPRsForWavesPerEU: 30
; NamedBarCnt: 0
; Occupancy: 16
; WaveLimiterHint : 1
; COMPUTE_PGM_RSRC2:SCRATCH_EN: 0
; COMPUTE_PGM_RSRC2:USER_SGPR: 2
; COMPUTE_PGM_RSRC2:TRAP_HANDLER: 0
; COMPUTE_PGM_RSRC2:TGID_X_EN: 1
; COMPUTE_PGM_RSRC2:TGID_Y_EN: 0
; COMPUTE_PGM_RSRC2:TGID_Z_EN: 1
; COMPUTE_PGM_RSRC2:TIDIG_COMP_CNT: 0
	.section	.text._ZL32rocblas_gemvt_warp_reduce_kernelILb1ELi1024ElPKddKPdEviiT3_lPKT2_lT1_lS7_lS8_lS4_lPT4_lS8_li,"axG",@progbits,_ZL32rocblas_gemvt_warp_reduce_kernelILb1ELi1024ElPKddKPdEviiT3_lPKT2_lT1_lS7_lS8_lS4_lPT4_lS8_li,comdat
	.globl	_ZL32rocblas_gemvt_warp_reduce_kernelILb1ELi1024ElPKddKPdEviiT3_lPKT2_lT1_lS7_lS8_lS4_lPT4_lS8_li ; -- Begin function _ZL32rocblas_gemvt_warp_reduce_kernelILb1ELi1024ElPKddKPdEviiT3_lPKT2_lT1_lS7_lS8_lS4_lPT4_lS8_li
	.p2align	8
	.type	_ZL32rocblas_gemvt_warp_reduce_kernelILb1ELi1024ElPKddKPdEviiT3_lPKT2_lT1_lS7_lS8_lS4_lPT4_lS8_li,@function
_ZL32rocblas_gemvt_warp_reduce_kernelILb1ELi1024ElPKddKPdEviiT3_lPKT2_lT1_lS7_lS8_lS4_lPT4_lS8_li: ; @_ZL32rocblas_gemvt_warp_reduce_kernelILb1ELi1024ElPKddKPdEviiT3_lPKT2_lT1_lS7_lS8_lS4_lPT4_lS8_li
; %bb.0:
	s_load_b32 s5, s[0:1], 0x88
	s_bfe_u32 s2, ttmp6, 0x40014
	s_lshr_b32 s3, ttmp7, 16
	s_add_co_i32 s2, s2, 1
	s_bfe_u32 s6, ttmp6, 0x40008
	s_mul_i32 s4, s3, s2
	s_getreg_b32 s2, hwreg(HW_REG_IB_STS2, 6, 4)
	s_add_co_i32 s6, s6, s4
	s_cmp_eq_u32 s2, 0
	s_mov_b32 s7, 0
	s_cselect_b32 s6, s3, s6
	s_wait_kmcnt 0x0
	s_cmp_ge_u32 s6, s5
	s_cbranch_scc1 .LBB291_40
; %bb.1:
	s_clause 0x4
	s_load_b64 s[20:21], s[0:1], 0x58
	s_load_b64 s[22:23], s[0:1], 0x8
	s_load_b128 s[8:11], s[0:1], 0x68
	s_load_b32 s25, s[0:1], 0x0
	s_load_b64 s[28:29], s[0:1], 0x48
	s_bfe_u32 s12, ttmp6, 0x4000c
	s_and_b32 s13, ttmp6, 15
	s_add_co_i32 s12, s12, 1
	s_clause 0x1
	s_load_b64 s[26:27], s[0:1], 0x78
	s_load_b64 s[30:31], s[0:1], 0x28
	s_mul_i32 s12, ttmp9, s12
	v_mbcnt_lo_u32_b32 v24, -1, 0
	s_add_co_i32 s13, s13, s12
	s_delay_alu instid0(VALU_DEP_1)
	v_lshl_or_b32 v25, v24, 2, 64
	s_wait_kmcnt 0x0
	v_cmp_neq_f64_e64 s3, s[20:21], 1.0
	v_cmp_neq_f64_e64 s4, s[22:23], 0
	v_cmp_eq_f64_e64 s34, s[22:23], 0
	v_cmp_neq_f64_e64 s35, s[20:21], 0
	v_cmp_gt_i32_e32 vcc_lo, s25, v0
	v_cndmask_b32_e32 v2, 0, v0, vcc_lo
	s_or_b32 s33, s4, s3
	s_cmp_eq_u32 s2, 0
	v_cndmask_b32_e64 v22, 0, 1, s4
	s_cselect_b32 s2, ttmp9, s13
	s_ashr_i32 s3, s25, 31
	s_clause 0x1
	s_load_b128 s[12:15], s[0:1], 0x18
	s_load_b128 s[16:19], s[0:1], 0x38
	s_lshr_b32 s3, s3, 22
	s_wait_xcnt 0x0
	v_cmp_eq_u32_e64 s0, 0, v0
	s_add_co_i32 s3, s25, s3
	s_lshl_b64 s[10:11], s[10:11], 3
	s_and_b32 s24, s3, 0xfffffc00
	s_delay_alu instid0(SALU_CYCLE_1)
	v_dual_mov_b32 v3, 0 :: v_dual_bitop2_b32 v8, s24, v0 bitop3:0x54
	s_ashr_i32 s3, s2, 31
	v_cmp_gt_i32_e64 s1, s24, v0
	s_mul_u64 s[36:37], s[26:27], s[2:3]
	v_dual_mov_b32 v1, v3 :: v_dual_ashrrev_i32 v9, 31, v8
	s_mul_u64 s[26:27], s[30:31], s[2:3]
	v_cmp_gt_i32_e64 s2, s25, v8
	v_cmp_gt_u32_e64 s3, 32, v0
	s_delay_alu instid0(VALU_DEP_3)
	v_mul_u64_e32 v[6:7], s[28:29], v[0:1]
	v_mul_u64_e32 v[4:5], s[28:29], v[8:9]
	v_dual_lshrrev_b32 v8, 2, v0 :: v_dual_bitop2_b32 v9, 31, v0 bitop3:0x40
	v_lshlrev_b32_e32 v2, 3, v2
	s_ashr_i32 s25, s24, 31
	s_lshl_b64 s[28:29], s[28:29], 13
	s_delay_alu instid0(VALU_DEP_2)
	v_lshlrev_b32_e32 v1, 3, v9
	v_cmp_eq_u32_e64 s4, 0, v9
	v_and_b32_e32 v23, 0xf8, v8
	v_mov_b64_e32 v[8:9], 0
	s_wait_kmcnt 0x0
	s_lshl_b64 s[14:15], s[14:15], 3
	s_lshl_b64 s[18:19], s[18:19], 3
	;; [unrolled: 1-line block ×3, first 2 shown]
	v_lshlrev_b64_e32 v[6:7], 3, v[6:7]
	s_branch .LBB291_4
.LBB291_2:                              ;   in Loop: Header=BB291_4 Depth=1
	s_wait_xcnt 0x0
	s_or_b32 exec_lo, exec_lo, s37
.LBB291_3:                              ;   in Loop: Header=BB291_4 Depth=1
	s_add_co_i32 s6, s6, 0x10000
	s_delay_alu instid0(SALU_CYCLE_1)
	s_cmp_lt_u32 s6, s5
	s_cbranch_scc0 .LBB291_40
.LBB291_4:                              ; =>This Loop Header: Depth=1
                                        ;     Child Loop BB291_29 Depth 2
	s_and_not1_b32 vcc_lo, exec_lo, s33
	s_cbranch_vccnz .LBB291_3
; %bb.5:                                ;   in Loop: Header=BB291_4 Depth=1
	s_and_not1_b32 vcc_lo, exec_lo, s34
	s_cbranch_vccnz .LBB291_7
; %bb.6:                                ;   in Loop: Header=BB291_4 Depth=1
	s_wait_dscnt 0x0
	v_mov_b64_e32 v[12:13], 0
	v_mov_b64_e32 v[14:15], 0
	s_cbranch_execz .LBB291_8
	s_branch .LBB291_9
.LBB291_7:                              ;   in Loop: Header=BB291_4 Depth=1
	s_wait_dscnt 0x0
	v_mov_b64_e32 v[12:13], 0
	v_mov_b64_e32 v[14:15], 0
.LBB291_8:                              ;   in Loop: Header=BB291_4 Depth=1
	s_lshl_b64 s[36:37], s[6:7], 3
	s_delay_alu instid0(SALU_CYCLE_1)
	s_add_nc_u64 s[36:37], s[12:13], s[36:37]
	global_load_b64 v[10:11], v3, s[36:37]
	s_wait_loadcnt 0x0
	v_add_nc_u64_e32 v[14:15], s[14:15], v[10:11]
.LBB291_9:                              ;   in Loop: Header=BB291_4 Depth=1
	v_cmp_ne_u32_e32 vcc_lo, 1, v22
	s_cbranch_vccnz .LBB291_11
; %bb.10:                               ;   in Loop: Header=BB291_4 Depth=1
	s_wait_xcnt 0x0
	s_lshl_b64 s[36:37], s[6:7], 3
	s_delay_alu instid0(SALU_CYCLE_1)
	s_add_nc_u64 s[36:37], s[16:17], s[36:37]
	global_load_b64 v[10:11], v3, s[36:37]
	s_wait_loadcnt 0x0
	v_add_nc_u64_e32 v[12:13], s[18:19], v[10:11]
.LBB291_11:                             ;   in Loop: Header=BB291_4 Depth=1
	s_wait_xcnt 0x0
	s_lshl_b64 s[36:37], s[6:7], 3
	s_and_not1_b32 vcc_lo, exec_lo, s34
	s_add_nc_u64 s[36:37], s[8:9], s[36:37]
	global_load_b64 v[10:11], v3, s[36:37]
	s_wait_loadcnt 0x0
	v_add_nc_u64_e32 v[10:11], s[10:11], v[10:11]
	s_cbranch_vccnz .LBB291_15
; %bb.12:                               ;   in Loop: Header=BB291_4 Depth=1
	s_wait_xcnt 0x0
	s_mov_b32 s37, 0
	s_mov_b32 s36, 0
                                        ; implicit-def: $vgpr16_vgpr17
	s_and_saveexec_b32 s38, s0
	s_cbranch_execz .LBB291_16
; %bb.13:                               ;   in Loop: Header=BB291_4 Depth=1
	s_and_not1_b32 vcc_lo, exec_lo, s35
	s_cbranch_vccnz .LBB291_17
; %bb.14:                               ;   in Loop: Header=BB291_4 Depth=1
	v_add_nc_u64_e32 v[16:17], s[30:31], v[10:11]
	flat_load_b64 v[16:17], v[16:17]
	s_wait_loadcnt_dscnt 0x0
	s_wait_xcnt 0x0
	v_mul_f64_e32 v[16:17], s[20:21], v[16:17]
	s_branch .LBB291_18
.LBB291_15:                             ;   in Loop: Header=BB291_4 Depth=1
	s_wait_xcnt 0x0
	s_mov_b32 s36, 0
                                        ; implicit-def: $vgpr16_vgpr17
	s_cbranch_execnz .LBB291_19
	s_branch .LBB291_38
.LBB291_16:                             ;   in Loop: Header=BB291_4 Depth=1
	s_or_b32 exec_lo, exec_lo, s38
	s_delay_alu instid0(SALU_CYCLE_1)
	s_and_b32 vcc_lo, exec_lo, s37
	s_cbranch_vccnz .LBB291_19
	s_branch .LBB291_38
.LBB291_17:                             ;   in Loop: Header=BB291_4 Depth=1
	v_mov_b64_e32 v[16:17], 0
.LBB291_18:                             ;   in Loop: Header=BB291_4 Depth=1
	s_mov_b32 s36, exec_lo
	s_or_b32 exec_lo, exec_lo, s38
	s_delay_alu instid0(SALU_CYCLE_1)
	s_and_b32 vcc_lo, exec_lo, s37
	s_cbranch_vccz .LBB291_38
.LBB291_19:                             ;   in Loop: Header=BB291_4 Depth=1
	v_add_nc_u64_e32 v[16:17], v[14:15], v[2:3]
	v_mov_b64_e32 v[14:15], 0
	s_delay_alu instid0(VALU_DEP_2)
	v_lshl_add_u64 v[16:17], s[26:27], 3, v[16:17]
	s_and_saveexec_b32 s37, s1
	s_cbranch_execnz .LBB291_28
; %bb.20:                               ;   in Loop: Header=BB291_4 Depth=1
	s_or_b32 exec_lo, exec_lo, s37
	s_and_saveexec_b32 s37, s2
	s_cbranch_execnz .LBB291_31
.LBB291_21:                             ;   in Loop: Header=BB291_4 Depth=1
	s_or_b32 exec_lo, exec_lo, s37
	s_and_saveexec_b32 s37, s3
.LBB291_22:                             ;   in Loop: Header=BB291_4 Depth=1
	ds_store_b64 v1, v[8:9]
.LBB291_23:                             ;   in Loop: Header=BB291_4 Depth=1
	s_or_b32 exec_lo, exec_lo, s37
	ds_bpermute_b32 v12, v25, v14
	ds_bpermute_b32 v13, v25, v15
	v_cmp_gt_u32_e32 vcc_lo, 24, v24
	s_wait_dscnt 0x0
	s_barrier_signal -1
	s_barrier_wait -1
	v_add_f64_e32 v[12:13], v[14:15], v[12:13]
	v_cndmask_b32_e64 v14, 0, 8, vcc_lo
	v_cmp_gt_u32_e32 vcc_lo, 28, v24
	s_delay_alu instid0(VALU_DEP_2)
	v_add_lshl_u32 v16, v14, v24, 2
	ds_bpermute_b32 v14, v16, v12
	ds_bpermute_b32 v15, v16, v13
	s_wait_dscnt 0x0
	v_add_f64_e32 v[12:13], v[12:13], v[14:15]
	v_cndmask_b32_e64 v14, 0, 4, vcc_lo
	v_cmp_gt_u32_e32 vcc_lo, 30, v24
	s_delay_alu instid0(VALU_DEP_2)
	v_add_lshl_u32 v17, v14, v24, 2
	ds_bpermute_b32 v14, v17, v12
	ds_bpermute_b32 v15, v17, v13
	s_wait_dscnt 0x0
	v_add_f64_e32 v[12:13], v[12:13], v[14:15]
	v_cndmask_b32_e64 v14, 0, 2, vcc_lo
	v_cmp_ne_u32_e32 vcc_lo, 31, v24
	s_delay_alu instid0(VALU_DEP_2)
	v_add_lshl_u32 v18, v14, v24, 2
	ds_bpermute_b32 v14, v18, v12
	ds_bpermute_b32 v15, v18, v13
	s_wait_dscnt 0x0
	v_add_f64_e32 v[12:13], v[12:13], v[14:15]
	v_add_co_ci_u32_e64 v14, null, 0, v24, vcc_lo
	s_delay_alu instid0(VALU_DEP_1)
	v_lshlrev_b32_e32 v19, 2, v14
	ds_bpermute_b32 v14, v19, v12
	ds_bpermute_b32 v15, v19, v13
	s_and_saveexec_b32 s37, s4
	s_cbranch_execz .LBB291_25
; %bb.24:                               ;   in Loop: Header=BB291_4 Depth=1
	s_wait_dscnt 0x0
	v_add_f64_e32 v[12:13], v[12:13], v[14:15]
	ds_store_b64 v23, v[12:13]
.LBB291_25:                             ;   in Loop: Header=BB291_4 Depth=1
	s_or_b32 exec_lo, exec_lo, s37
	v_mov_b64_e32 v[12:13], 0
	s_wait_dscnt 0x0
	s_barrier_signal -1
	s_barrier_wait -1
	s_and_saveexec_b32 s37, s3
	s_cbranch_execnz .LBB291_32
; %bb.26:                               ;   in Loop: Header=BB291_4 Depth=1
	s_or_b32 exec_lo, exec_lo, s37
	s_and_saveexec_b32 s37, s3
	s_cbranch_execnz .LBB291_33
.LBB291_27:                             ;   in Loop: Header=BB291_4 Depth=1
	s_or_b32 exec_lo, exec_lo, s37
                                        ; implicit-def: $vgpr16_vgpr17
	s_and_saveexec_b32 s37, s0
	s_cbranch_execnz .LBB291_34
	s_branch .LBB291_37
.LBB291_28:                             ;   in Loop: Header=BB291_4 Depth=1
	v_add_nc_u64_e32 v[18:19], v[12:13], v[6:7]
	v_mov_b64_e32 v[14:15], 0
	v_mov_b64_e32 v[20:21], v[16:17]
	v_mov_b32_e32 v26, v0
	s_mov_b32 s38, 0
.LBB291_29:                             ;   Parent Loop BB291_4 Depth=1
                                        ; =>  This Inner Loop Header: Depth=2
	flat_load_b64 v[28:29], v[20:21]
	flat_load_b64 v[30:31], v[18:19]
	v_add_nc_u32_e32 v26, 0x400, v26
	s_wait_xcnt 0x1
	v_add_nc_u64_e32 v[20:21], 0x2000, v[20:21]
	s_wait_xcnt 0x0
	v_add_nc_u64_e32 v[18:19], s[28:29], v[18:19]
	v_cmp_le_i32_e32 vcc_lo, s24, v26
	s_or_b32 s38, vcc_lo, s38
	s_wait_loadcnt_dscnt 0x0
	v_fmac_f64_e32 v[14:15], v[28:29], v[30:31]
	s_and_not1_b32 exec_lo, exec_lo, s38
	s_cbranch_execnz .LBB291_29
; %bb.30:                               ;   in Loop: Header=BB291_4 Depth=1
	s_or_b32 exec_lo, exec_lo, s38
	s_delay_alu instid0(SALU_CYCLE_1)
	s_or_b32 exec_lo, exec_lo, s37
	s_and_saveexec_b32 s37, s2
	s_cbranch_execz .LBB291_21
.LBB291_31:                             ;   in Loop: Header=BB291_4 Depth=1
	v_lshl_add_u64 v[16:17], s[24:25], 3, v[16:17]
	v_lshl_add_u64 v[12:13], v[4:5], 3, v[12:13]
	flat_load_b64 v[18:19], v[16:17]
	flat_load_b64 v[20:21], v[12:13]
	s_wait_loadcnt_dscnt 0x0
	v_fmac_f64_e32 v[14:15], v[18:19], v[20:21]
	s_wait_xcnt 0x0
	s_or_b32 exec_lo, exec_lo, s37
	s_and_saveexec_b32 s37, s3
	s_cbranch_execnz .LBB291_22
	s_branch .LBB291_23
.LBB291_32:                             ;   in Loop: Header=BB291_4 Depth=1
	ds_load_b64 v[12:13], v1
	s_or_b32 exec_lo, exec_lo, s37
	s_and_saveexec_b32 s37, s3
	s_cbranch_execz .LBB291_27
.LBB291_33:                             ;   in Loop: Header=BB291_4 Depth=1
	s_wait_dscnt 0x0
	ds_bpermute_b32 v14, v25, v12
	ds_bpermute_b32 v15, v25, v13
	s_wait_dscnt 0x0
	v_add_f64_e32 v[12:13], v[12:13], v[14:15]
	ds_bpermute_b32 v14, v16, v12
	ds_bpermute_b32 v15, v16, v13
	s_wait_dscnt 0x0
	v_add_f64_e32 v[12:13], v[12:13], v[14:15]
	;; [unrolled: 4-line block ×5, first 2 shown]
	s_or_b32 exec_lo, exec_lo, s37
                                        ; implicit-def: $vgpr16_vgpr17
	s_and_saveexec_b32 s37, s0
	s_cbranch_execz .LBB291_37
.LBB291_34:                             ;   in Loop: Header=BB291_4 Depth=1
	s_wait_dscnt 0x0
	s_delay_alu instid0(VALU_DEP_1)
	v_mul_f64_e32 v[16:17], s[22:23], v[12:13]
	s_and_not1_b32 vcc_lo, exec_lo, s35
	s_cbranch_vccnz .LBB291_36
; %bb.35:                               ;   in Loop: Header=BB291_4 Depth=1
	v_add_nc_u64_e32 v[12:13], s[30:31], v[10:11]
	flat_load_b64 v[12:13], v[12:13]
	s_wait_loadcnt_dscnt 0x0
	v_fmac_f64_e32 v[16:17], s[20:21], v[12:13]
.LBB291_36:                             ;   in Loop: Header=BB291_4 Depth=1
	s_or_b32 s36, s36, exec_lo
.LBB291_37:                             ;   in Loop: Header=BB291_4 Depth=1
	s_wait_xcnt 0x0
	s_or_b32 exec_lo, exec_lo, s37
.LBB291_38:                             ;   in Loop: Header=BB291_4 Depth=1
	s_and_saveexec_b32 s37, s36
	s_cbranch_execz .LBB291_2
; %bb.39:                               ;   in Loop: Header=BB291_4 Depth=1
	v_add_nc_u64_e32 v[10:11], s[30:31], v[10:11]
	flat_store_b64 v[10:11], v[16:17]
	s_branch .LBB291_2
.LBB291_40:
	s_endpgm
	.section	.rodata,"a",@progbits
	.p2align	6, 0x0
	.amdhsa_kernel _ZL32rocblas_gemvt_warp_reduce_kernelILb1ELi1024ElPKddKPdEviiT3_lPKT2_lT1_lS7_lS8_lS4_lPT4_lS8_li
		.amdhsa_group_segment_fixed_size 256
		.amdhsa_private_segment_fixed_size 0
		.amdhsa_kernarg_size 140
		.amdhsa_user_sgpr_count 2
		.amdhsa_user_sgpr_dispatch_ptr 0
		.amdhsa_user_sgpr_queue_ptr 0
		.amdhsa_user_sgpr_kernarg_segment_ptr 1
		.amdhsa_user_sgpr_dispatch_id 0
		.amdhsa_user_sgpr_kernarg_preload_length 0
		.amdhsa_user_sgpr_kernarg_preload_offset 0
		.amdhsa_user_sgpr_private_segment_size 0
		.amdhsa_wavefront_size32 1
		.amdhsa_uses_dynamic_stack 0
		.amdhsa_enable_private_segment 0
		.amdhsa_system_sgpr_workgroup_id_x 1
		.amdhsa_system_sgpr_workgroup_id_y 0
		.amdhsa_system_sgpr_workgroup_id_z 1
		.amdhsa_system_sgpr_workgroup_info 0
		.amdhsa_system_vgpr_workitem_id 0
		.amdhsa_next_free_vgpr 32
		.amdhsa_next_free_sgpr 39
		.amdhsa_named_barrier_count 0
		.amdhsa_reserve_vcc 1
		.amdhsa_float_round_mode_32 0
		.amdhsa_float_round_mode_16_64 0
		.amdhsa_float_denorm_mode_32 3
		.amdhsa_float_denorm_mode_16_64 3
		.amdhsa_fp16_overflow 0
		.amdhsa_memory_ordered 1
		.amdhsa_forward_progress 1
		.amdhsa_inst_pref_size 13
		.amdhsa_round_robin_scheduling 0
		.amdhsa_exception_fp_ieee_invalid_op 0
		.amdhsa_exception_fp_denorm_src 0
		.amdhsa_exception_fp_ieee_div_zero 0
		.amdhsa_exception_fp_ieee_overflow 0
		.amdhsa_exception_fp_ieee_underflow 0
		.amdhsa_exception_fp_ieee_inexact 0
		.amdhsa_exception_int_div_zero 0
	.end_amdhsa_kernel
	.section	.text._ZL32rocblas_gemvt_warp_reduce_kernelILb1ELi1024ElPKddKPdEviiT3_lPKT2_lT1_lS7_lS8_lS4_lPT4_lS8_li,"axG",@progbits,_ZL32rocblas_gemvt_warp_reduce_kernelILb1ELi1024ElPKddKPdEviiT3_lPKT2_lT1_lS7_lS8_lS4_lPT4_lS8_li,comdat
.Lfunc_end291:
	.size	_ZL32rocblas_gemvt_warp_reduce_kernelILb1ELi1024ElPKddKPdEviiT3_lPKT2_lT1_lS7_lS8_lS4_lPT4_lS8_li, .Lfunc_end291-_ZL32rocblas_gemvt_warp_reduce_kernelILb1ELi1024ElPKddKPdEviiT3_lPKT2_lT1_lS7_lS8_lS4_lPT4_lS8_li
                                        ; -- End function
	.set _ZL32rocblas_gemvt_warp_reduce_kernelILb1ELi1024ElPKddKPdEviiT3_lPKT2_lT1_lS7_lS8_lS4_lPT4_lS8_li.num_vgpr, 32
	.set _ZL32rocblas_gemvt_warp_reduce_kernelILb1ELi1024ElPKddKPdEviiT3_lPKT2_lT1_lS7_lS8_lS4_lPT4_lS8_li.num_agpr, 0
	.set _ZL32rocblas_gemvt_warp_reduce_kernelILb1ELi1024ElPKddKPdEviiT3_lPKT2_lT1_lS7_lS8_lS4_lPT4_lS8_li.numbered_sgpr, 39
	.set _ZL32rocblas_gemvt_warp_reduce_kernelILb1ELi1024ElPKddKPdEviiT3_lPKT2_lT1_lS7_lS8_lS4_lPT4_lS8_li.num_named_barrier, 0
	.set _ZL32rocblas_gemvt_warp_reduce_kernelILb1ELi1024ElPKddKPdEviiT3_lPKT2_lT1_lS7_lS8_lS4_lPT4_lS8_li.private_seg_size, 0
	.set _ZL32rocblas_gemvt_warp_reduce_kernelILb1ELi1024ElPKddKPdEviiT3_lPKT2_lT1_lS7_lS8_lS4_lPT4_lS8_li.uses_vcc, 1
	.set _ZL32rocblas_gemvt_warp_reduce_kernelILb1ELi1024ElPKddKPdEviiT3_lPKT2_lT1_lS7_lS8_lS4_lPT4_lS8_li.uses_flat_scratch, 0
	.set _ZL32rocblas_gemvt_warp_reduce_kernelILb1ELi1024ElPKddKPdEviiT3_lPKT2_lT1_lS7_lS8_lS4_lPT4_lS8_li.has_dyn_sized_stack, 0
	.set _ZL32rocblas_gemvt_warp_reduce_kernelILb1ELi1024ElPKddKPdEviiT3_lPKT2_lT1_lS7_lS8_lS4_lPT4_lS8_li.has_recursion, 0
	.set _ZL32rocblas_gemvt_warp_reduce_kernelILb1ELi1024ElPKddKPdEviiT3_lPKT2_lT1_lS7_lS8_lS4_lPT4_lS8_li.has_indirect_call, 0
	.section	.AMDGPU.csdata,"",@progbits
; Kernel info:
; codeLenInByte = 1540
; TotalNumSgprs: 41
; NumVgprs: 32
; ScratchSize: 0
; MemoryBound: 1
; FloatMode: 240
; IeeeMode: 1
; LDSByteSize: 256 bytes/workgroup (compile time only)
; SGPRBlocks: 0
; VGPRBlocks: 1
; NumSGPRsForWavesPerEU: 41
; NumVGPRsForWavesPerEU: 32
; NamedBarCnt: 0
; Occupancy: 16
; WaveLimiterHint : 1
; COMPUTE_PGM_RSRC2:SCRATCH_EN: 0
; COMPUTE_PGM_RSRC2:USER_SGPR: 2
; COMPUTE_PGM_RSRC2:TRAP_HANDLER: 0
; COMPUTE_PGM_RSRC2:TGID_X_EN: 1
; COMPUTE_PGM_RSRC2:TGID_Y_EN: 0
; COMPUTE_PGM_RSRC2:TGID_Z_EN: 1
; COMPUTE_PGM_RSRC2:TIDIG_COMP_CNT: 0
	.section	.text._ZL34rocblas_gemvn_sm_mn_batched_kernelILi32ELi24EPK19rocblas_complex_numIfES3_KPS1_EviiT2_lPKT1_lilS9_lilS6_lPT3_lili,"axG",@progbits,_ZL34rocblas_gemvn_sm_mn_batched_kernelILi32ELi24EPK19rocblas_complex_numIfES3_KPS1_EviiT2_lPKT1_lilS9_lilS6_lPT3_lili,comdat
	.globl	_ZL34rocblas_gemvn_sm_mn_batched_kernelILi32ELi24EPK19rocblas_complex_numIfES3_KPS1_EviiT2_lPKT1_lilS9_lilS6_lPT3_lili ; -- Begin function _ZL34rocblas_gemvn_sm_mn_batched_kernelILi32ELi24EPK19rocblas_complex_numIfES3_KPS1_EviiT2_lPKT1_lilS9_lilS6_lPT3_lili
	.p2align	8
	.type	_ZL34rocblas_gemvn_sm_mn_batched_kernelILi32ELi24EPK19rocblas_complex_numIfES3_KPS1_EviiT2_lPKT1_lilS9_lilS6_lPT3_lili,@function
_ZL34rocblas_gemvn_sm_mn_batched_kernelILi32ELi24EPK19rocblas_complex_numIfES3_KPS1_EviiT2_lPKT1_lilS9_lilS6_lPT3_lili: ; @_ZL34rocblas_gemvn_sm_mn_batched_kernelILi32ELi24EPK19rocblas_complex_numIfES3_KPS1_EviiT2_lPKT1_lilS9_lilS6_lPT3_lili
; %bb.0:
	s_endpgm
	.section	.rodata,"a",@progbits
	.p2align	6, 0x0
	.amdhsa_kernel _ZL34rocblas_gemvn_sm_mn_batched_kernelILi32ELi24EPK19rocblas_complex_numIfES3_KPS1_EviiT2_lPKT1_lilS9_lilS6_lPT3_lili
		.amdhsa_group_segment_fixed_size 0
		.amdhsa_private_segment_fixed_size 0
		.amdhsa_kernarg_size 140
		.amdhsa_user_sgpr_count 2
		.amdhsa_user_sgpr_dispatch_ptr 0
		.amdhsa_user_sgpr_queue_ptr 0
		.amdhsa_user_sgpr_kernarg_segment_ptr 1
		.amdhsa_user_sgpr_dispatch_id 0
		.amdhsa_user_sgpr_kernarg_preload_length 0
		.amdhsa_user_sgpr_kernarg_preload_offset 0
		.amdhsa_user_sgpr_private_segment_size 0
		.amdhsa_wavefront_size32 1
		.amdhsa_uses_dynamic_stack 0
		.amdhsa_enable_private_segment 0
		.amdhsa_system_sgpr_workgroup_id_x 1
		.amdhsa_system_sgpr_workgroup_id_y 0
		.amdhsa_system_sgpr_workgroup_id_z 0
		.amdhsa_system_sgpr_workgroup_info 0
		.amdhsa_system_vgpr_workitem_id 0
		.amdhsa_next_free_vgpr 1
		.amdhsa_next_free_sgpr 1
		.amdhsa_named_barrier_count 0
		.amdhsa_reserve_vcc 0
		.amdhsa_float_round_mode_32 0
		.amdhsa_float_round_mode_16_64 0
		.amdhsa_float_denorm_mode_32 3
		.amdhsa_float_denorm_mode_16_64 3
		.amdhsa_fp16_overflow 0
		.amdhsa_memory_ordered 1
		.amdhsa_forward_progress 1
		.amdhsa_inst_pref_size 1
		.amdhsa_round_robin_scheduling 0
		.amdhsa_exception_fp_ieee_invalid_op 0
		.amdhsa_exception_fp_denorm_src 0
		.amdhsa_exception_fp_ieee_div_zero 0
		.amdhsa_exception_fp_ieee_overflow 0
		.amdhsa_exception_fp_ieee_underflow 0
		.amdhsa_exception_fp_ieee_inexact 0
		.amdhsa_exception_int_div_zero 0
	.end_amdhsa_kernel
	.section	.text._ZL34rocblas_gemvn_sm_mn_batched_kernelILi32ELi24EPK19rocblas_complex_numIfES3_KPS1_EviiT2_lPKT1_lilS9_lilS6_lPT3_lili,"axG",@progbits,_ZL34rocblas_gemvn_sm_mn_batched_kernelILi32ELi24EPK19rocblas_complex_numIfES3_KPS1_EviiT2_lPKT1_lilS9_lilS6_lPT3_lili,comdat
.Lfunc_end292:
	.size	_ZL34rocblas_gemvn_sm_mn_batched_kernelILi32ELi24EPK19rocblas_complex_numIfES3_KPS1_EviiT2_lPKT1_lilS9_lilS6_lPT3_lili, .Lfunc_end292-_ZL34rocblas_gemvn_sm_mn_batched_kernelILi32ELi24EPK19rocblas_complex_numIfES3_KPS1_EviiT2_lPKT1_lilS9_lilS6_lPT3_lili
                                        ; -- End function
	.set _ZL34rocblas_gemvn_sm_mn_batched_kernelILi32ELi24EPK19rocblas_complex_numIfES3_KPS1_EviiT2_lPKT1_lilS9_lilS6_lPT3_lili.num_vgpr, 0
	.set _ZL34rocblas_gemvn_sm_mn_batched_kernelILi32ELi24EPK19rocblas_complex_numIfES3_KPS1_EviiT2_lPKT1_lilS9_lilS6_lPT3_lili.num_agpr, 0
	.set _ZL34rocblas_gemvn_sm_mn_batched_kernelILi32ELi24EPK19rocblas_complex_numIfES3_KPS1_EviiT2_lPKT1_lilS9_lilS6_lPT3_lili.numbered_sgpr, 0
	.set _ZL34rocblas_gemvn_sm_mn_batched_kernelILi32ELi24EPK19rocblas_complex_numIfES3_KPS1_EviiT2_lPKT1_lilS9_lilS6_lPT3_lili.num_named_barrier, 0
	.set _ZL34rocblas_gemvn_sm_mn_batched_kernelILi32ELi24EPK19rocblas_complex_numIfES3_KPS1_EviiT2_lPKT1_lilS9_lilS6_lPT3_lili.private_seg_size, 0
	.set _ZL34rocblas_gemvn_sm_mn_batched_kernelILi32ELi24EPK19rocblas_complex_numIfES3_KPS1_EviiT2_lPKT1_lilS9_lilS6_lPT3_lili.uses_vcc, 0
	.set _ZL34rocblas_gemvn_sm_mn_batched_kernelILi32ELi24EPK19rocblas_complex_numIfES3_KPS1_EviiT2_lPKT1_lilS9_lilS6_lPT3_lili.uses_flat_scratch, 0
	.set _ZL34rocblas_gemvn_sm_mn_batched_kernelILi32ELi24EPK19rocblas_complex_numIfES3_KPS1_EviiT2_lPKT1_lilS9_lilS6_lPT3_lili.has_dyn_sized_stack, 0
	.set _ZL34rocblas_gemvn_sm_mn_batched_kernelILi32ELi24EPK19rocblas_complex_numIfES3_KPS1_EviiT2_lPKT1_lilS9_lilS6_lPT3_lili.has_recursion, 0
	.set _ZL34rocblas_gemvn_sm_mn_batched_kernelILi32ELi24EPK19rocblas_complex_numIfES3_KPS1_EviiT2_lPKT1_lilS9_lilS6_lPT3_lili.has_indirect_call, 0
	.section	.AMDGPU.csdata,"",@progbits
; Kernel info:
; codeLenInByte = 4
; TotalNumSgprs: 0
; NumVgprs: 0
; ScratchSize: 0
; MemoryBound: 0
; FloatMode: 240
; IeeeMode: 1
; LDSByteSize: 0 bytes/workgroup (compile time only)
; SGPRBlocks: 0
; VGPRBlocks: 0
; NumSGPRsForWavesPerEU: 1
; NumVGPRsForWavesPerEU: 1
; NamedBarCnt: 0
; Occupancy: 16
; WaveLimiterHint : 0
; COMPUTE_PGM_RSRC2:SCRATCH_EN: 0
; COMPUTE_PGM_RSRC2:USER_SGPR: 2
; COMPUTE_PGM_RSRC2:TRAP_HANDLER: 0
; COMPUTE_PGM_RSRC2:TGID_X_EN: 1
; COMPUTE_PGM_RSRC2:TGID_Y_EN: 0
; COMPUTE_PGM_RSRC2:TGID_Z_EN: 0
; COMPUTE_PGM_RSRC2:TIDIG_COMP_CNT: 0
	.section	.text._ZL34rocblas_gemvn_sm_mn_batched_kernelILi32ELi24EPK19rocblas_complex_numIfES1_KPS1_EviiT2_lPKT1_lilS9_lilS6_lPT3_lili,"axG",@progbits,_ZL34rocblas_gemvn_sm_mn_batched_kernelILi32ELi24EPK19rocblas_complex_numIfES1_KPS1_EviiT2_lPKT1_lilS9_lilS6_lPT3_lili,comdat
	.globl	_ZL34rocblas_gemvn_sm_mn_batched_kernelILi32ELi24EPK19rocblas_complex_numIfES1_KPS1_EviiT2_lPKT1_lilS9_lilS6_lPT3_lili ; -- Begin function _ZL34rocblas_gemvn_sm_mn_batched_kernelILi32ELi24EPK19rocblas_complex_numIfES1_KPS1_EviiT2_lPKT1_lilS9_lilS6_lPT3_lili
	.p2align	8
	.type	_ZL34rocblas_gemvn_sm_mn_batched_kernelILi32ELi24EPK19rocblas_complex_numIfES1_KPS1_EviiT2_lPKT1_lilS9_lilS6_lPT3_lili,@function
_ZL34rocblas_gemvn_sm_mn_batched_kernelILi32ELi24EPK19rocblas_complex_numIfES1_KPS1_EviiT2_lPKT1_lilS9_lilS6_lPT3_lili: ; @_ZL34rocblas_gemvn_sm_mn_batched_kernelILi32ELi24EPK19rocblas_complex_numIfES1_KPS1_EviiT2_lPKT1_lilS9_lilS6_lPT3_lili
; %bb.0:
	s_endpgm
	.section	.rodata,"a",@progbits
	.p2align	6, 0x0
	.amdhsa_kernel _ZL34rocblas_gemvn_sm_mn_batched_kernelILi32ELi24EPK19rocblas_complex_numIfES1_KPS1_EviiT2_lPKT1_lilS9_lilS6_lPT3_lili
		.amdhsa_group_segment_fixed_size 0
		.amdhsa_private_segment_fixed_size 0
		.amdhsa_kernarg_size 140
		.amdhsa_user_sgpr_count 2
		.amdhsa_user_sgpr_dispatch_ptr 0
		.amdhsa_user_sgpr_queue_ptr 0
		.amdhsa_user_sgpr_kernarg_segment_ptr 1
		.amdhsa_user_sgpr_dispatch_id 0
		.amdhsa_user_sgpr_kernarg_preload_length 0
		.amdhsa_user_sgpr_kernarg_preload_offset 0
		.amdhsa_user_sgpr_private_segment_size 0
		.amdhsa_wavefront_size32 1
		.amdhsa_uses_dynamic_stack 0
		.amdhsa_enable_private_segment 0
		.amdhsa_system_sgpr_workgroup_id_x 1
		.amdhsa_system_sgpr_workgroup_id_y 0
		.amdhsa_system_sgpr_workgroup_id_z 0
		.amdhsa_system_sgpr_workgroup_info 0
		.amdhsa_system_vgpr_workitem_id 0
		.amdhsa_next_free_vgpr 1
		.amdhsa_next_free_sgpr 1
		.amdhsa_named_barrier_count 0
		.amdhsa_reserve_vcc 0
		.amdhsa_float_round_mode_32 0
		.amdhsa_float_round_mode_16_64 0
		.amdhsa_float_denorm_mode_32 3
		.amdhsa_float_denorm_mode_16_64 3
		.amdhsa_fp16_overflow 0
		.amdhsa_memory_ordered 1
		.amdhsa_forward_progress 1
		.amdhsa_inst_pref_size 1
		.amdhsa_round_robin_scheduling 0
		.amdhsa_exception_fp_ieee_invalid_op 0
		.amdhsa_exception_fp_denorm_src 0
		.amdhsa_exception_fp_ieee_div_zero 0
		.amdhsa_exception_fp_ieee_overflow 0
		.amdhsa_exception_fp_ieee_underflow 0
		.amdhsa_exception_fp_ieee_inexact 0
		.amdhsa_exception_int_div_zero 0
	.end_amdhsa_kernel
	.section	.text._ZL34rocblas_gemvn_sm_mn_batched_kernelILi32ELi24EPK19rocblas_complex_numIfES1_KPS1_EviiT2_lPKT1_lilS9_lilS6_lPT3_lili,"axG",@progbits,_ZL34rocblas_gemvn_sm_mn_batched_kernelILi32ELi24EPK19rocblas_complex_numIfES1_KPS1_EviiT2_lPKT1_lilS9_lilS6_lPT3_lili,comdat
.Lfunc_end293:
	.size	_ZL34rocblas_gemvn_sm_mn_batched_kernelILi32ELi24EPK19rocblas_complex_numIfES1_KPS1_EviiT2_lPKT1_lilS9_lilS6_lPT3_lili, .Lfunc_end293-_ZL34rocblas_gemvn_sm_mn_batched_kernelILi32ELi24EPK19rocblas_complex_numIfES1_KPS1_EviiT2_lPKT1_lilS9_lilS6_lPT3_lili
                                        ; -- End function
	.set _ZL34rocblas_gemvn_sm_mn_batched_kernelILi32ELi24EPK19rocblas_complex_numIfES1_KPS1_EviiT2_lPKT1_lilS9_lilS6_lPT3_lili.num_vgpr, 0
	.set _ZL34rocblas_gemvn_sm_mn_batched_kernelILi32ELi24EPK19rocblas_complex_numIfES1_KPS1_EviiT2_lPKT1_lilS9_lilS6_lPT3_lili.num_agpr, 0
	.set _ZL34rocblas_gemvn_sm_mn_batched_kernelILi32ELi24EPK19rocblas_complex_numIfES1_KPS1_EviiT2_lPKT1_lilS9_lilS6_lPT3_lili.numbered_sgpr, 0
	.set _ZL34rocblas_gemvn_sm_mn_batched_kernelILi32ELi24EPK19rocblas_complex_numIfES1_KPS1_EviiT2_lPKT1_lilS9_lilS6_lPT3_lili.num_named_barrier, 0
	.set _ZL34rocblas_gemvn_sm_mn_batched_kernelILi32ELi24EPK19rocblas_complex_numIfES1_KPS1_EviiT2_lPKT1_lilS9_lilS6_lPT3_lili.private_seg_size, 0
	.set _ZL34rocblas_gemvn_sm_mn_batched_kernelILi32ELi24EPK19rocblas_complex_numIfES1_KPS1_EviiT2_lPKT1_lilS9_lilS6_lPT3_lili.uses_vcc, 0
	.set _ZL34rocblas_gemvn_sm_mn_batched_kernelILi32ELi24EPK19rocblas_complex_numIfES1_KPS1_EviiT2_lPKT1_lilS9_lilS6_lPT3_lili.uses_flat_scratch, 0
	.set _ZL34rocblas_gemvn_sm_mn_batched_kernelILi32ELi24EPK19rocblas_complex_numIfES1_KPS1_EviiT2_lPKT1_lilS9_lilS6_lPT3_lili.has_dyn_sized_stack, 0
	.set _ZL34rocblas_gemvn_sm_mn_batched_kernelILi32ELi24EPK19rocblas_complex_numIfES1_KPS1_EviiT2_lPKT1_lilS9_lilS6_lPT3_lili.has_recursion, 0
	.set _ZL34rocblas_gemvn_sm_mn_batched_kernelILi32ELi24EPK19rocblas_complex_numIfES1_KPS1_EviiT2_lPKT1_lilS9_lilS6_lPT3_lili.has_indirect_call, 0
	.section	.AMDGPU.csdata,"",@progbits
; Kernel info:
; codeLenInByte = 4
; TotalNumSgprs: 0
; NumVgprs: 0
; ScratchSize: 0
; MemoryBound: 0
; FloatMode: 240
; IeeeMode: 1
; LDSByteSize: 0 bytes/workgroup (compile time only)
; SGPRBlocks: 0
; VGPRBlocks: 0
; NumSGPRsForWavesPerEU: 1
; NumVGPRsForWavesPerEU: 1
; NamedBarCnt: 0
; Occupancy: 16
; WaveLimiterHint : 0
; COMPUTE_PGM_RSRC2:SCRATCH_EN: 0
; COMPUTE_PGM_RSRC2:USER_SGPR: 2
; COMPUTE_PGM_RSRC2:TRAP_HANDLER: 0
; COMPUTE_PGM_RSRC2:TGID_X_EN: 1
; COMPUTE_PGM_RSRC2:TGID_Y_EN: 0
; COMPUTE_PGM_RSRC2:TGID_Z_EN: 0
; COMPUTE_PGM_RSRC2:TIDIG_COMP_CNT: 0
	.section	.text._ZL20rocblas_gemvn_kernelILi64ELi4EiPK19rocblas_complex_numIfES3_KPS1_EviiT3_lPKT2_lT1_lS9_lSA_lS6_lPT4_lSA_li,"axG",@progbits,_ZL20rocblas_gemvn_kernelILi64ELi4EiPK19rocblas_complex_numIfES3_KPS1_EviiT3_lPKT2_lT1_lS9_lSA_lS6_lPT4_lSA_li,comdat
	.globl	_ZL20rocblas_gemvn_kernelILi64ELi4EiPK19rocblas_complex_numIfES3_KPS1_EviiT3_lPKT2_lT1_lS9_lSA_lS6_lPT4_lSA_li ; -- Begin function _ZL20rocblas_gemvn_kernelILi64ELi4EiPK19rocblas_complex_numIfES3_KPS1_EviiT3_lPKT2_lT1_lS9_lSA_lS6_lPT4_lSA_li
	.p2align	8
	.type	_ZL20rocblas_gemvn_kernelILi64ELi4EiPK19rocblas_complex_numIfES3_KPS1_EviiT3_lPKT2_lT1_lS9_lSA_lS6_lPT4_lSA_li,@function
_ZL20rocblas_gemvn_kernelILi64ELi4EiPK19rocblas_complex_numIfES3_KPS1_EviiT3_lPKT2_lT1_lS9_lSA_lS6_lPT4_lSA_li: ; @_ZL20rocblas_gemvn_kernelILi64ELi4EiPK19rocblas_complex_numIfES3_KPS1_EviiT3_lPKT2_lT1_lS9_lSA_lS6_lPT4_lSA_li
; %bb.0:
	s_clause 0x1
	s_load_b64 s[4:5], s[0:1], 0x9c
	s_load_b32 s33, s[0:1], 0x88
	s_bfe_u32 s2, ttmp6, 0x40014
	s_lshr_b32 s3, ttmp7, 16
	s_add_co_i32 s2, s2, 1
	s_bfe_u32 s6, ttmp6, 0x40008
	s_mul_i32 s7, s3, s2
	s_getreg_b32 s2, hwreg(HW_REG_IB_STS2, 6, 4)
	s_add_co_i32 s6, s6, s7
	s_mov_b32 s29, 0
	s_wait_kmcnt 0x0
	s_lshr_b32 s7, s4, 16
	s_and_b32 s4, s4, 0xffff
	s_and_b32 s5, s5, 0xffff
	s_mul_i32 s4, s7, s4
	s_cmp_eq_u32 s2, 0
	s_mul_i32 s4, s4, s5
	s_cselect_b32 s28, s3, s6
	s_cmp_lg_u32 s4, 0x100
	s_cselect_b32 s3, -1, 0
	s_cmp_ge_u32 s28, s33
	s_cselect_b32 s4, -1, 0
	s_delay_alu instid0(SALU_CYCLE_1) | instskip(NEXT) | instid1(SALU_CYCLE_1)
	s_or_b32 s3, s3, s4
	s_and_b32 vcc_lo, exec_lo, s3
	s_cbranch_vccnz .LBB294_51
; %bb.1:
	s_clause 0x6
	s_load_b32 s4, s[0:1], 0x78
	s_load_b64 s[30:31], s[0:1], 0x0
	s_load_b256 s[8:15], s[0:1], 0x8
	s_load_b32 s36, s[0:1], 0x28
	s_load_b128 s[24:27], s[0:1], 0x38
	s_load_b32 s37, s[0:1], 0x48
	s_load_b256 s[16:23], s[0:1], 0x58
	s_wait_xcnt 0x0
	s_bfe_u32 s0, ttmp6, 0x4000c
	v_and_b32_e32 v6, 0x3ff, v0
	s_add_co_i32 s0, s0, 1
	v_bfe_u32 v7, v0, 10, 10
	s_and_b32 s1, ttmp6, 15
	s_mul_i32 s0, ttmp9, s0
	v_mov_b32_e32 v1, 0
	s_add_co_i32 s1, s1, s0
	v_lshl_add_u32 v5, v7, 6, v6
	v_lshlrev_b32_e32 v66, 2, v7
	s_wait_kmcnt 0x0
	s_ashr_i32 s5, s4, 31
	s_cmp_eq_u32 s2, 0
	s_mov_b32 s2, s30
	s_cselect_b32 s0, ttmp9, s1
	s_ashr_i32 s3, s30, 31
	s_lshl_b32 s38, s0, 8
	s_ashr_i32 s1, s31, 31
	v_dual_add_nc_u32 v0, s38, v5 :: v_dual_bitop2_b32 v67, s38, v6 bitop3:0x54
	v_or_b32_e32 v8, s38, v5
	s_lshr_b32 s0, s1, 28
	v_mul_lo_u32 v11, v7, s36
	s_delay_alu instid0(VALU_DEP_3)
	v_cmp_gt_i64_e32 vcc_lo, s[2:3], v[0:1]
	v_add_nc_u32_e32 v4, 64, v67
	v_add_nc_u32_e32 v9, 0x80, v67
	v_mul_u64_e32 v[2:3], s[4:5], v[0:1]
	v_add_nc_u32_e32 v0, 0xc0, v67
	s_add_co_i32 s0, s31, s0
	v_cmp_gt_i32_e64 s2, s30, v4
	v_mul_lo_u32 v4, s4, v8
	v_cmp_gt_i32_e64 s3, s30, v9
	v_lshlrev_b32_e32 v9, 3, v6
	v_cmp_gt_i32_e64 s4, s30, v0
	v_cmp_gt_u32_e64 s5, 0x100, v5
	s_and_b32 s39, s0, -16
	v_or_b32_e32 v10, 3, v66
	s_sub_co_i32 s6, s31, s39
	v_mad_u32 v71, s37, v66, s37
	s_cmp_gt_i32 s6, 0
	v_cmp_gt_i32_e64 s6, s30, v8
	v_ashrrev_i32_e32 v5, 31, v4
	v_lshl_add_u32 v0, v7, 11, v9
	v_lshl_add_u32 v68, v7, 9, v9
	v_mul_lo_u32 v7, v7, s37
	v_mul_lo_u32 v8, s36, v66
	v_or_b32_e32 v9, 2, v66
	v_mad_u32 v70, s36, v10, v6
	v_mul_lo_u32 v73, s37, v10
	v_cmp_gt_i32_e64 s0, s39, v66
	v_cmp_gt_i32_e64 s1, s30, v67
	v_lshl_add_u32 v75, v11, 2, v6
	s_cselect_b32 s40, -1, 0
	s_and_b32 s30, s5, vcc_lo
	s_lshl_b32 s41, s36, 4
	v_lshlrev_b32_e32 v76, 2, v7
	v_mad_u32 v69, s36, v9, v6
	v_mul_lo_u32 v72, s37, v9
	v_add3_u32 v74, v8, s36, v6
	s_lshl_b32 s42, s37, 4
	s_lshl_b64 s[14:15], s[14:15], 3
	s_lshl_b64 s[26:27], s[26:27], 3
	;; [unrolled: 1-line block ×3, first 2 shown]
	s_branch .LBB294_5
.LBB294_2:                              ;   in Loop: Header=BB294_5 Depth=1
	s_delay_alu instid0(VALU_DEP_1)
	v_mov_b32_e32 v11, v13
	flat_store_b64 v[8:9], v[10:11]
.LBB294_3:                              ;   in Loop: Header=BB294_5 Depth=1
	s_wait_xcnt 0x0
	s_or_b32 exec_lo, exec_lo, s43
.LBB294_4:                              ;   in Loop: Header=BB294_5 Depth=1
	s_add_co_i32 s28, s28, 0x10000
	s_delay_alu instid0(SALU_CYCLE_1)
	s_cmp_lt_u32 s28, s33
	s_cbranch_scc0 .LBB294_51
.LBB294_5:                              ; =>This Loop Header: Depth=1
                                        ;     Child Loop BB294_23 Depth 2
	s_mul_u64 s[34:35], s[10:11], s[28:29]
	s_delay_alu instid0(SALU_CYCLE_1) | instskip(NEXT) | instid1(SALU_CYCLE_1)
	s_lshl_b64 s[34:35], s[34:35], 3
	s_add_nc_u64 s[34:35], s[8:9], s[34:35]
	global_load_b64 v[8:9], v1, s[34:35]
	s_wait_xcnt 0x0
	s_mul_u64 s[34:35], s[18:19], s[28:29]
	s_delay_alu instid0(SALU_CYCLE_1) | instskip(NEXT) | instid1(SALU_CYCLE_1)
	s_lshl_b64 s[34:35], s[34:35], 3
	s_add_nc_u64 s[34:35], s[16:17], s[34:35]
	global_load_b64 v[6:7], v1, s[34:35]
	s_wait_loadcnt 0x1
	s_wait_xcnt 0x0
	v_readfirstlane_b32 s34, v8
	v_readfirstlane_b32 s35, v9
	s_cmp_eq_f32 s34, 0
	s_wait_loadcnt 0x0
	v_cmp_eq_f32_e32 vcc_lo, 1.0, v6
	v_cmp_eq_f32_e64 s7, 0, v7
	s_cselect_b32 s43, -1, 0
	s_cmp_eq_f32 s35, 0
	s_cselect_b32 s44, -1, 0
	s_and_b32 s7, vcc_lo, s7
	s_and_b32 s43, s43, s44
	s_delay_alu instid0(SALU_CYCLE_1) | instskip(NEXT) | instid1(SALU_CYCLE_1)
	s_and_b32 s7, s43, s7
	s_and_b32 vcc_lo, exec_lo, s7
	s_cbranch_vccnz .LBB294_4
; %bb.6:                                ;   in Loop: Header=BB294_5 Depth=1
	s_or_b32 s7, s34, s35
	v_mov_b64_e32 v[20:21], 0
	s_bitset0_b32 s7, 31
	v_mov_b64_e32 v[18:19], 0
	s_cmp_lg_u32 s7, 0
	s_cselect_b32 s43, -1, 0
	s_cmp_eq_u32 s7, 0
	s_cselect_b32 s7, -1, 0
	s_delay_alu instid0(SALU_CYCLE_1)
	s_and_b32 vcc_lo, exec_lo, s7
	s_cbranch_vccnz .LBB294_8
; %bb.7:                                ;   in Loop: Header=BB294_5 Depth=1
	s_lshl_b64 s[44:45], s[28:29], 3
	s_delay_alu instid0(SALU_CYCLE_1)
	s_add_nc_u64 s[44:45], s[12:13], s[44:45]
	global_load_b64 v[8:9], v1, s[44:45]
	s_wait_loadcnt 0x0
	v_add_nc_u64_e32 v[18:19], s[14:15], v[8:9]
.LBB294_8:                              ;   in Loop: Header=BB294_5 Depth=1
	s_and_not1_b32 vcc_lo, exec_lo, s43
	s_cbranch_vccnz .LBB294_10
; %bb.9:                                ;   in Loop: Header=BB294_5 Depth=1
	s_wait_xcnt 0x0
	s_lshl_b64 s[44:45], s[28:29], 3
	s_delay_alu instid0(SALU_CYCLE_1)
	s_add_nc_u64 s[44:45], s[24:25], s[44:45]
	global_load_b64 v[8:9], v1, s[44:45]
	s_wait_loadcnt 0x0
	v_add_nc_u64_e32 v[20:21], s[26:27], v[8:9]
.LBB294_10:                             ;   in Loop: Header=BB294_5 Depth=1
	s_wait_xcnt 0x0
	s_lshl_b64 s[44:45], s[28:29], 3
	s_and_not1_b32 vcc_lo, exec_lo, s7
	s_add_nc_u64 s[44:45], s[20:21], s[44:45]
	s_mov_b32 s7, -1
	global_load_b64 v[8:9], v1, s[44:45]
	s_wait_loadcnt 0x0
	v_add_nc_u64_e32 v[8:9], s[22:23], v[8:9]
	s_cbranch_vccnz .LBB294_16
; %bb.11:                               ;   in Loop: Header=BB294_5 Depth=1
	s_wait_xcnt 0x0
	s_and_saveexec_b32 s43, s30
	s_cbranch_execz .LBB294_15
; %bb.12:                               ;   in Loop: Header=BB294_5 Depth=1
	v_cmp_neq_f32_e32 vcc_lo, 0, v6
	v_cmp_neq_f32_e64 s7, 0, v7
	v_dual_mov_b32 v12, 0 :: v_dual_mov_b32 v13, 0
	v_lshl_add_u64 v[10:11], v[2:3], 3, v[8:9]
	s_or_b32 s7, vcc_lo, s7
	s_delay_alu instid0(SALU_CYCLE_1)
	s_and_not1_b32 vcc_lo, exec_lo, s7
	s_cbranch_vccnz .LBB294_14
; %bb.13:                               ;   in Loop: Header=BB294_5 Depth=1
	flat_load_b64 v[12:13], v[10:11]
	s_wait_loadcnt_dscnt 0x0
	v_pk_mul_f32 v[14:15], v[6:7], v[12:13] op_sel:[1,1] op_sel_hi:[0,1]
	s_delay_alu instid0(VALU_DEP_1) | instskip(SKIP_1) | instid1(VALU_DEP_2)
	v_pk_fma_f32 v[16:17], v[6:7], v[12:13], v[14:15] op_sel_hi:[1,0,1]
	v_pk_fma_f32 v[12:13], v[6:7], v[12:13], v[14:15] neg_lo:[0,0,1] neg_hi:[0,0,1]
	v_mov_b32_e32 v13, v17
.LBB294_14:                             ;   in Loop: Header=BB294_5 Depth=1
	flat_store_b64 v[10:11], v[12:13]
.LBB294_15:                             ;   in Loop: Header=BB294_5 Depth=1
	s_wait_xcnt 0x0
	s_or_b32 exec_lo, exec_lo, s43
	s_mov_b32 s7, 0
.LBB294_16:                             ;   in Loop: Header=BB294_5 Depth=1
	s_delay_alu instid0(SALU_CYCLE_1)
	s_and_not1_b32 vcc_lo, exec_lo, s7
	s_cbranch_vccnz .LBB294_4
; %bb.17:                               ;   in Loop: Header=BB294_5 Depth=1
	v_mov_b64_e32 v[12:13], 0
	v_mov_b64_e32 v[14:15], 0
	;; [unrolled: 1-line block ×4, first 2 shown]
	v_mov_b32_e32 v77, v66
	s_wait_xcnt 0x0
	s_and_saveexec_b32 s7, s0
	s_cbranch_execz .LBB294_29
; %bb.18:                               ;   in Loop: Header=BB294_5 Depth=1
	v_mov_b64_e32 v[10:11], 0
	v_mov_b64_e32 v[16:17], 0
	;; [unrolled: 1-line block ×4, first 2 shown]
	v_dual_mov_b32 v78, v75 :: v_dual_mov_b32 v79, v70
	v_dual_mov_b32 v80, v69 :: v_dual_mov_b32 v81, v74
	v_mov_b32_e32 v77, v66
	s_mov_b32 s43, 0
	s_mov_b32 s44, 0
	s_branch .LBB294_23
.LBB294_19:                             ;   in Loop: Header=BB294_23 Depth=2
	s_or_b32 exec_lo, exec_lo, s48
	s_wait_loadcnt_dscnt 0x303
	v_dual_mul_f32 v58, v33, v57 :: v_dual_mul_f32 v59, v32, v57
	s_wait_loadcnt_dscnt 0x202
	v_dual_mul_f32 v62, v31, v55 :: v_dual_mul_f32 v57, v30, v55
	s_wait_loadcnt_dscnt 0x101
	v_pk_mul_f32 v[60:61], v[48:49], v[52:53] op_sel:[0,1]
	v_dual_fma_f32 v58, v32, v56, -v58 :: v_dual_fmac_f32 v59, v33, v56
	s_delay_alu instid0(VALU_DEP_3) | instskip(NEXT) | instid1(VALU_DEP_3)
	v_dual_fma_f32 v56, v30, v54, -v62 :: v_dual_fmac_f32 v57, v31, v54
	v_pk_fma_f32 v[54:55], v[24:25], v[52:53], v[60:61] op_sel_hi:[1,0,1]
	v_pk_fma_f32 v[52:53], v[24:25], v[52:53], v[60:61] neg_lo:[0,0,1] neg_hi:[0,0,1]
	s_delay_alu instid0(VALU_DEP_4) | instskip(SKIP_3) | instid1(VALU_DEP_3)
	v_pk_add_f32 v[14:15], v[14:15], v[58:59]
	s_wait_loadcnt_dscnt 0x0
	v_pk_mul_f32 v[58:59], v[42:43], v[50:51] op_sel:[0,1]
	v_mov_b32_e32 v53, v55
	v_pk_add_f32 v[14:15], v[56:57], v[14:15]
	s_delay_alu instid0(VALU_DEP_3) | instskip(SKIP_1) | instid1(VALU_DEP_2)
	v_pk_fma_f32 v[54:55], v[22:23], v[50:51], v[58:59] op_sel_hi:[1,0,1]
	v_pk_fma_f32 v[50:51], v[22:23], v[50:51], v[58:59] neg_lo:[0,0,1] neg_hi:[0,0,1]
	v_mov_b32_e32 v51, v55
	s_delay_alu instid0(VALU_DEP_4) | instskip(NEXT) | instid1(VALU_DEP_1)
	v_pk_add_f32 v[14:15], v[52:53], v[14:15]
	v_pk_add_f32 v[14:15], v[50:51], v[14:15]
.LBB294_20:                             ;   in Loop: Header=BB294_23 Depth=2
	s_or_b32 exec_lo, exec_lo, s47
	s_wait_loadcnt_dscnt 0x303
	v_dual_mul_f32 v50, v33, v47 :: v_dual_mul_f32 v51, v32, v47
	s_wait_loadcnt_dscnt 0x202
	v_dual_mul_f32 v52, v31, v45 :: v_dual_mul_f32 v47, v30, v45
	s_wait_loadcnt_dscnt 0x101
	v_pk_mul_f32 v[48:49], v[48:49], v[40:41] op_sel:[0,1]
	v_dual_fma_f32 v50, v32, v46, -v50 :: v_dual_fmac_f32 v51, v33, v46
	s_delay_alu instid0(VALU_DEP_3) | instskip(NEXT) | instid1(VALU_DEP_3)
	v_dual_fma_f32 v46, v30, v44, -v52 :: v_dual_fmac_f32 v47, v31, v44
	v_pk_fma_f32 v[44:45], v[24:25], v[40:41], v[48:49] op_sel_hi:[1,0,1]
	s_wait_loadcnt_dscnt 0x0
	v_pk_mul_f32 v[42:43], v[42:43], v[38:39] op_sel:[0,1]
	v_pk_add_f32 v[16:17], v[16:17], v[50:51]
	v_pk_fma_f32 v[40:41], v[24:25], v[40:41], v[48:49] neg_lo:[0,0,1] neg_hi:[0,0,1]
	v_mov_b32_e32 v41, v45
	s_delay_alu instid0(VALU_DEP_4) | instskip(NEXT) | instid1(VALU_DEP_4)
	v_pk_fma_f32 v[44:45], v[22:23], v[38:39], v[42:43] op_sel_hi:[1,0,1]
	v_pk_add_f32 v[16:17], v[46:47], v[16:17]
	v_pk_fma_f32 v[38:39], v[22:23], v[38:39], v[42:43] neg_lo:[0,0,1] neg_hi:[0,0,1]
	s_delay_alu instid0(VALU_DEP_3) | instskip(NEXT) | instid1(VALU_DEP_3)
	v_mov_b32_e32 v39, v45
	v_pk_add_f32 v[16:17], v[40:41], v[16:17]
	s_delay_alu instid0(VALU_DEP_1)
	v_pk_add_f32 v[16:17], v[38:39], v[16:17]
.LBB294_21:                             ;   in Loop: Header=BB294_23 Depth=2
	s_or_b32 exec_lo, exec_lo, s46
	s_wait_loadcnt_dscnt 0x303
	v_dual_mul_f32 v38, v33, v37 :: v_dual_mul_f32 v39, v32, v37
	s_wait_loadcnt_dscnt 0x202
	v_dual_mul_f32 v42, v31, v35 :: v_dual_mul_f32 v37, v30, v35
	s_wait_loadcnt_dscnt 0x101
	v_pk_mul_f32 v[40:41], v[24:25], v[28:29] op_sel:[1,1] op_sel_hi:[0,1]
	v_dual_fma_f32 v38, v32, v36, -v38 :: v_dual_fmac_f32 v39, v33, v36
	s_delay_alu instid0(VALU_DEP_3) | instskip(NEXT) | instid1(VALU_DEP_3)
	v_dual_fma_f32 v36, v30, v34, -v42 :: v_dual_fmac_f32 v37, v31, v34
	v_pk_fma_f32 v[30:31], v[24:25], v[28:29], v[40:41] op_sel_hi:[1,0,1]
	s_wait_loadcnt_dscnt 0x0
	v_pk_mul_f32 v[32:33], v[22:23], v[26:27] op_sel:[1,1] op_sel_hi:[0,1]
	v_pk_add_f32 v[10:11], v[10:11], v[38:39]
	v_pk_fma_f32 v[24:25], v[24:25], v[28:29], v[40:41] neg_lo:[0,0,1] neg_hi:[0,0,1]
	s_delay_alu instid0(VALU_DEP_3) | instskip(SKIP_1) | instid1(VALU_DEP_4)
	v_pk_fma_f32 v[28:29], v[22:23], v[26:27], v[32:33] op_sel_hi:[1,0,1]
	v_mov_b32_e32 v25, v31
	v_pk_add_f32 v[10:11], v[36:37], v[10:11]
	v_pk_fma_f32 v[22:23], v[22:23], v[26:27], v[32:33] neg_lo:[0,0,1] neg_hi:[0,0,1]
	s_delay_alu instid0(VALU_DEP_4) | instskip(NEXT) | instid1(VALU_DEP_3)
	v_mov_b32_e32 v23, v29
	v_pk_add_f32 v[10:11], v[24:25], v[10:11]
	s_delay_alu instid0(VALU_DEP_1)
	v_pk_add_f32 v[10:11], v[22:23], v[10:11]
.LBB294_22:                             ;   in Loop: Header=BB294_23 Depth=2
	s_or_b32 exec_lo, exec_lo, s45
	v_dual_add_nc_u32 v77, 16, v77 :: v_dual_add_nc_u32 v80, s41, v80
	v_dual_add_nc_u32 v81, s41, v81 :: v_dual_add_nc_u32 v79, s41, v79
	v_add_nc_u32_e32 v78, s41, v78
	s_delay_alu instid0(VALU_DEP_3) | instskip(SKIP_2) | instid1(SALU_CYCLE_1)
	v_cmp_le_i32_e32 vcc_lo, s39, v77
	s_add_co_i32 s44, s44, s42
	s_or_b32 s43, vcc_lo, s43
	s_and_not1_b32 exec_lo, exec_lo, s43
	s_cbranch_execz .LBB294_28
.LBB294_23:                             ;   Parent Loop BB294_5 Depth=1
                                        ; =>  This Inner Loop Header: Depth=2
	s_and_saveexec_b32 s45, s1
	s_cbranch_execz .LBB294_22
; %bb.24:                               ;   in Loop: Header=BB294_23 Depth=2
	v_dual_add_nc_u32 v39, s44, v76 :: v_dual_add_nc_u32 v41, s44, v71
	v_readfirstlane_b32 s46, v20
	v_readfirstlane_b32 s47, v21
	v_dual_add_nc_u32 v43, s44, v72 :: v_dual_add_nc_u32 v45, s44, v73
	v_dual_add_nc_u32 v38, s38, v78 :: v_dual_add_nc_u32 v40, s38, v81
	v_readfirstlane_b32 s48, v18
	v_readfirstlane_b32 s49, v19
	v_dual_add_nc_u32 v44, s38, v80 :: v_dual_add_nc_u32 v42, s38, v79
	s_clause 0x3
	flat_load_b64 v[32:33], v39, s[46:47] scale_offset
	flat_load_b64 v[30:31], v41, s[46:47] scale_offset
	;; [unrolled: 1-line block ×4, first 2 shown]
	s_clause 0x3
	flat_load_b64 v[36:37], v38, s[48:49] scale_offset
	flat_load_b64 v[34:35], v40, s[48:49] scale_offset
	;; [unrolled: 1-line block ×4, first 2 shown]
	s_wait_xcnt 0x0
	s_and_saveexec_b32 s46, s2
	s_cbranch_execz .LBB294_21
; %bb.25:                               ;   in Loop: Header=BB294_23 Depth=2
	v_dual_ashrrev_i32 v39, 31, v38 :: v_dual_ashrrev_i32 v41, 31, v40
	v_dual_ashrrev_i32 v45, 31, v44 :: v_dual_ashrrev_i32 v43, 31, v42
	s_wait_loadcnt_dscnt 0x505
	v_dual_mov_b32 v48, v25 :: v_dual_mov_b32 v49, v24
	s_delay_alu instid0(VALU_DEP_3)
	v_lshl_add_u64 v[58:59], v[38:39], 3, v[18:19]
	v_lshl_add_u64 v[60:61], v[40:41], 3, v[18:19]
	;; [unrolled: 1-line block ×4, first 2 shown]
	s_clause 0x3
	flat_load_b64 v[46:47], v[58:59] offset:512
	flat_load_b64 v[44:45], v[60:61] offset:512
	;; [unrolled: 1-line block ×4, first 2 shown]
	s_wait_loadcnt_dscnt 0x808
	v_dual_mov_b32 v42, v23 :: v_dual_mov_b32 v43, v22
	s_wait_xcnt 0x0
	s_and_saveexec_b32 s47, s3
	s_cbranch_execz .LBB294_20
; %bb.26:                               ;   in Loop: Header=BB294_23 Depth=2
	s_clause 0x3
	flat_load_b64 v[56:57], v[58:59] offset:1024
	flat_load_b64 v[54:55], v[60:61] offset:1024
	;; [unrolled: 1-line block ×4, first 2 shown]
	s_wait_xcnt 0x0
	s_and_saveexec_b32 s48, s4
	s_cbranch_execz .LBB294_19
; %bb.27:                               ;   in Loop: Header=BB294_23 Depth=2
	s_clause 0x3
	flat_load_b64 v[82:83], v[58:59] offset:1536
	flat_load_b64 v[84:85], v[60:61] offset:1536
	;; [unrolled: 1-line block ×4, first 2 shown]
	s_wait_loadcnt_dscnt 0x303
	s_wait_xcnt 0x3
	v_dual_mul_f32 v58, v33, v83 :: v_dual_mul_f32 v59, v32, v83
	s_wait_loadcnt_dscnt 0x202
	s_wait_xcnt 0x2
	v_dual_mul_f32 v60, v31, v85 :: v_dual_mul_f32 v61, v30, v85
	s_wait_loadcnt_dscnt 0x101
	s_wait_xcnt 0x1
	v_pk_mul_f32 v[62:63], v[48:49], v[86:87] op_sel:[0,1]
	v_dual_fma_f32 v58, v32, v82, -v58 :: v_dual_fmac_f32 v59, v33, v82
	v_dual_fma_f32 v60, v30, v84, -v60 :: v_dual_fmac_f32 v61, v31, v84
	s_wait_xcnt 0x0
	s_delay_alu instid0(VALU_DEP_3) | instskip(SKIP_4) | instid1(VALU_DEP_2)
	v_pk_fma_f32 v[64:65], v[24:25], v[86:87], v[62:63] op_sel_hi:[1,0,1]
	v_pk_fma_f32 v[62:63], v[24:25], v[86:87], v[62:63] neg_lo:[0,0,1] neg_hi:[0,0,1]
	v_pk_add_f32 v[12:13], v[12:13], v[58:59]
	s_wait_loadcnt_dscnt 0x0
	v_pk_mul_f32 v[58:59], v[42:43], v[88:89] op_sel:[0,1]
	v_pk_add_f32 v[12:13], v[60:61], v[12:13]
	s_delay_alu instid0(VALU_DEP_2) | instskip(SKIP_2) | instid1(VALU_DEP_3)
	v_pk_fma_f32 v[60:61], v[22:23], v[88:89], v[58:59] op_sel_hi:[1,0,1]
	v_mov_b32_e32 v63, v65
	v_pk_fma_f32 v[58:59], v[22:23], v[88:89], v[58:59] neg_lo:[0,0,1] neg_hi:[0,0,1]
	v_mov_b32_e32 v59, v61
	s_delay_alu instid0(VALU_DEP_3) | instskip(NEXT) | instid1(VALU_DEP_1)
	v_pk_add_f32 v[12:13], v[62:63], v[12:13]
	v_pk_add_f32 v[12:13], v[58:59], v[12:13]
	s_branch .LBB294_19
.LBB294_28:                             ;   in Loop: Header=BB294_5 Depth=1
	s_or_b32 exec_lo, exec_lo, s43
.LBB294_29:                             ;   in Loop: Header=BB294_5 Depth=1
	s_delay_alu instid0(SALU_CYCLE_1) | instskip(NEXT) | instid1(SALU_CYCLE_1)
	s_or_b32 exec_lo, exec_lo, s7
	s_and_not1_b32 vcc_lo, exec_lo, s40
	s_cbranch_vccnz .LBB294_47
; %bb.30:                               ;   in Loop: Header=BB294_5 Depth=1
	v_dual_mov_b32 v28, 0 :: v_dual_bitop2_b32 v30, 1, v77 bitop3:0x54
	v_cmp_gt_i32_e32 vcc_lo, s31, v77
	s_delay_alu instid0(VALU_DEP_2)
	v_dual_mov_b32 v29, v28 :: v_dual_mov_b32 v26, v28
	v_dual_mov_b32 v27, v28 :: v_dual_mov_b32 v24, v28
	;; [unrolled: 1-line block ×3, first 2 shown]
	v_mov_b32_e32 v23, v28
	s_and_saveexec_b32 s43, vcc_lo
	s_cbranch_execz .LBB294_38
; %bb.31:                               ;   in Loop: Header=BB294_5 Depth=1
	v_mul_lo_u32 v22, v77, s37
	v_readfirstlane_b32 s44, v20
	v_readfirstlane_b32 s45, v21
	v_dual_mov_b32 v25, 0 :: v_dual_mov_b32 v24, 0
	v_dual_mov_b32 v27, 0 :: v_dual_mov_b32 v26, 0
	;; [unrolled: 1-line block ×3, first 2 shown]
	flat_load_b64 v[22:23], v22, s[44:45] scale_offset
	s_wait_xcnt 0x0
	s_mov_b32 s44, exec_lo
	v_cmpx_gt_i32_e64 s31, v30
	s_cbranch_execz .LBB294_37
; %bb.32:                               ;   in Loop: Header=BB294_5 Depth=1
	v_mul_lo_u32 v24, v30, s37
	v_readfirstlane_b32 s46, v20
	v_readfirstlane_b32 s47, v21
	v_dual_mov_b32 v27, 0 :: v_dual_bitop2_b32 v31, 2, v77 bitop3:0x54
	v_dual_mov_b32 v26, 0 :: v_dual_mov_b32 v29, 0
	v_mov_b32_e32 v28, 0
	s_mov_b32 s45, exec_lo
	flat_load_b64 v[24:25], v24, s[46:47] scale_offset
	s_wait_xcnt 0x0
	v_cmpx_gt_i32_e64 s31, v31
	s_cbranch_execz .LBB294_36
; %bb.33:                               ;   in Loop: Header=BB294_5 Depth=1
	v_mul_lo_u32 v26, v31, s37
	v_readfirstlane_b32 s46, v20
	v_readfirstlane_b32 s47, v21
	v_dual_mov_b32 v29, 0 :: v_dual_bitop2_b32 v31, 3, v77 bitop3:0x54
	v_mov_b32_e32 v28, 0
	flat_load_b64 v[26:27], v26, s[46:47] scale_offset
	s_wait_xcnt 0x0
	s_mov_b32 s46, exec_lo
	v_cmpx_gt_i32_e64 s31, v31
	s_cbranch_execz .LBB294_35
; %bb.34:                               ;   in Loop: Header=BB294_5 Depth=1
	v_mul_lo_u32 v28, v31, s37
	v_readfirstlane_b32 s48, v20
	v_readfirstlane_b32 s49, v21
	flat_load_b64 v[28:29], v28, s[48:49] scale_offset
.LBB294_35:                             ;   in Loop: Header=BB294_5 Depth=1
	s_wait_xcnt 0x0
	s_or_b32 exec_lo, exec_lo, s46
.LBB294_36:                             ;   in Loop: Header=BB294_5 Depth=1
	s_delay_alu instid0(SALU_CYCLE_1)
	s_or_b32 exec_lo, exec_lo, s45
.LBB294_37:                             ;   in Loop: Header=BB294_5 Depth=1
	s_delay_alu instid0(SALU_CYCLE_1)
	s_or_b32 exec_lo, exec_lo, s44
.LBB294_38:                             ;   in Loop: Header=BB294_5 Depth=1
	s_delay_alu instid0(SALU_CYCLE_1)
	s_or_b32 exec_lo, exec_lo, s43
	s_and_saveexec_b32 s7, s1
	s_cbranch_execz .LBB294_46
; %bb.39:                               ;   in Loop: Header=BB294_5 Depth=1
	v_mul_lo_u32 v21, v77, s36
	v_mul_lo_u32 v32, v30, s36
	v_readfirstlane_b32 s44, v18
	v_readfirstlane_b32 s45, v19
	s_wait_loadcnt_dscnt 0x0
	v_dual_mov_b32 v42, v23 :: v_dual_mov_b32 v43, v22
	v_dual_mov_b32 v40, v25 :: v_dual_mov_b32 v41, v24
	;; [unrolled: 1-line block ×4, first 2 shown]
	v_cndmask_b32_e32 v21, 0, v21, vcc_lo
	v_cmp_gt_i32_e32 vcc_lo, s31, v30
	v_or_b32_e32 v20, 2, v77
	s_delay_alu instid0(VALU_DEP_3) | instskip(SKIP_1) | instid1(VALU_DEP_3)
	v_dual_add_nc_u32 v46, v21, v67 :: v_dual_bitop2_b32 v31, 3, v77 bitop3:0x54
	v_cndmask_b32_e32 v30, 0, v32, vcc_lo
	v_mul_lo_u32 v33, v20, s36
	s_delay_alu instid0(VALU_DEP_3) | instskip(SKIP_1) | instid1(VALU_DEP_3)
	v_mul_lo_u32 v34, v31, s36
	v_cmp_gt_i32_e32 vcc_lo, s31, v20
	v_dual_add_nc_u32 v48, v30, v67 :: v_dual_cndmask_b32 v20, 0, v33, vcc_lo
	v_cmp_gt_i32_e32 vcc_lo, s31, v31
	s_delay_alu instid0(VALU_DEP_2) | instskip(NEXT) | instid1(VALU_DEP_1)
	v_dual_cndmask_b32 v31, 0, v34 :: v_dual_add_nc_u32 v50, v20, v67
	v_add_nc_u32_e32 v44, v31, v67
	s_clause 0x3
	flat_load_b64 v[34:35], v46, s[44:45] scale_offset
	flat_load_b64 v[32:33], v48, s[44:45] scale_offset
	;; [unrolled: 1-line block ×4, first 2 shown]
	s_wait_xcnt 0x0
	s_and_saveexec_b32 s43, s2
	s_cbranch_execz .LBB294_45
; %bb.40:                               ;   in Loop: Header=BB294_5 Depth=1
	v_dual_ashrrev_i32 v47, 31, v46 :: v_dual_ashrrev_i32 v49, 31, v48
	v_dual_ashrrev_i32 v51, 31, v50 :: v_dual_ashrrev_i32 v45, 31, v44
	s_delay_alu instid0(VALU_DEP_2) | instskip(NEXT) | instid1(VALU_DEP_3)
	v_lshl_add_u64 v[58:59], v[46:47], 3, v[18:19]
	v_lshl_add_u64 v[60:61], v[48:49], 3, v[18:19]
	s_delay_alu instid0(VALU_DEP_3) | instskip(NEXT) | instid1(VALU_DEP_4)
	v_lshl_add_u64 v[62:63], v[50:51], 3, v[18:19]
	v_lshl_add_u64 v[64:65], v[44:45], 3, v[18:19]
	s_clause 0x3
	flat_load_b64 v[48:49], v[58:59] offset:512
	flat_load_b64 v[46:47], v[60:61] offset:512
	;; [unrolled: 1-line block ×4, first 2 shown]
	s_wait_xcnt 0x0
	s_and_saveexec_b32 s44, s3
	s_cbranch_execz .LBB294_44
; %bb.41:                               ;   in Loop: Header=BB294_5 Depth=1
	s_clause 0x3
	flat_load_b64 v[56:57], v[58:59] offset:1024
	flat_load_b64 v[54:55], v[60:61] offset:1024
	;; [unrolled: 1-line block ×4, first 2 shown]
	s_wait_xcnt 0x0
	s_and_saveexec_b32 s45, s4
	s_cbranch_execz .LBB294_43
; %bb.42:                               ;   in Loop: Header=BB294_5 Depth=1
	s_clause 0x3
	flat_load_b64 v[78:79], v[58:59] offset:1536
	flat_load_b64 v[80:81], v[60:61] offset:1536
	flat_load_b64 v[82:83], v[62:63] offset:1536
	flat_load_b64 v[84:85], v[64:65] offset:1536
	s_wait_loadcnt_dscnt 0x303
	s_wait_xcnt 0x3
	v_pk_mul_f32 v[58:59], v[42:43], v[78:79] op_sel:[0,1]
	s_wait_loadcnt_dscnt 0x202
	s_wait_xcnt 0x2
	v_pk_mul_f32 v[60:61], v[40:41], v[80:81] op_sel:[0,1]
	;; [unrolled: 3-line block ×3, first 2 shown]
	v_pk_fma_f32 v[62:63], v[22:23], v[78:79], v[58:59] op_sel_hi:[1,0,1]
	v_pk_fma_f32 v[58:59], v[22:23], v[78:79], v[58:59] neg_lo:[0,0,1] neg_hi:[0,0,1]
	v_pk_fma_f32 v[78:79], v[24:25], v[80:81], v[60:61] op_sel_hi:[1,0,1]
	v_pk_fma_f32 v[60:61], v[24:25], v[80:81], v[60:61] neg_lo:[0,0,1] neg_hi:[0,0,1]
	s_delay_alu instid0(VALU_DEP_4) | instskip(SKIP_1) | instid1(VALU_DEP_4)
	v_mov_b32_e32 v59, v63
	v_pk_fma_f32 v[62:63], v[26:27], v[82:83], v[64:65] op_sel_hi:[1,0,1]
	v_mov_b32_e32 v61, v79
	v_pk_fma_f32 v[64:65], v[26:27], v[82:83], v[64:65] neg_lo:[0,0,1] neg_hi:[0,0,1]
	s_delay_alu instid0(VALU_DEP_4) | instskip(SKIP_2) | instid1(VALU_DEP_2)
	v_pk_add_f32 v[12:13], v[12:13], v[58:59]
	s_wait_loadcnt_dscnt 0x0
	v_pk_mul_f32 v[58:59], v[36:37], v[84:85] op_sel:[0,1]
	v_pk_add_f32 v[12:13], v[60:61], v[12:13]
	s_delay_alu instid0(VALU_DEP_2) | instskip(SKIP_2) | instid1(VALU_DEP_3)
	v_pk_fma_f32 v[60:61], v[28:29], v[84:85], v[58:59] op_sel_hi:[1,0,1]
	v_mov_b32_e32 v65, v63
	v_pk_fma_f32 v[58:59], v[28:29], v[84:85], v[58:59] neg_lo:[0,0,1] neg_hi:[0,0,1]
	v_mov_b32_e32 v59, v61
	s_delay_alu instid0(VALU_DEP_3) | instskip(NEXT) | instid1(VALU_DEP_1)
	v_pk_add_f32 v[12:13], v[64:65], v[12:13]
	v_pk_add_f32 v[12:13], v[58:59], v[12:13]
.LBB294_43:                             ;   in Loop: Header=BB294_5 Depth=1
	s_or_b32 exec_lo, exec_lo, s45
	s_wait_loadcnt_dscnt 0x303
	v_pk_mul_f32 v[58:59], v[42:43], v[56:57] op_sel:[0,1]
	s_wait_loadcnt_dscnt 0x202
	v_pk_mul_f32 v[60:61], v[40:41], v[54:55] op_sel:[0,1]
	;; [unrolled: 2-line block ×3, first 2 shown]
	v_pk_fma_f32 v[62:63], v[22:23], v[56:57], v[58:59] op_sel_hi:[1,0,1]
	v_pk_fma_f32 v[56:57], v[22:23], v[56:57], v[58:59] neg_lo:[0,0,1] neg_hi:[0,0,1]
	v_pk_fma_f32 v[58:59], v[24:25], v[54:55], v[60:61] op_sel_hi:[1,0,1]
	v_pk_fma_f32 v[54:55], v[24:25], v[54:55], v[60:61] neg_lo:[0,0,1] neg_hi:[0,0,1]
	v_pk_fma_f32 v[60:61], v[26:27], v[52:53], v[64:65] op_sel_hi:[1,0,1]
	v_mov_b32_e32 v57, v63
	v_pk_fma_f32 v[52:53], v[26:27], v[52:53], v[64:65] neg_lo:[0,0,1] neg_hi:[0,0,1]
	v_mov_b32_e32 v55, v59
	s_delay_alu instid0(VALU_DEP_3) | instskip(SKIP_2) | instid1(VALU_DEP_2)
	v_pk_add_f32 v[14:15], v[14:15], v[56:57]
	s_wait_loadcnt_dscnt 0x0
	v_pk_mul_f32 v[56:57], v[36:37], v[50:51] op_sel:[0,1]
	v_pk_add_f32 v[14:15], v[54:55], v[14:15]
	s_delay_alu instid0(VALU_DEP_2) | instskip(SKIP_2) | instid1(VALU_DEP_3)
	v_pk_fma_f32 v[54:55], v[28:29], v[50:51], v[56:57] op_sel_hi:[1,0,1]
	v_mov_b32_e32 v53, v61
	v_pk_fma_f32 v[50:51], v[28:29], v[50:51], v[56:57] neg_lo:[0,0,1] neg_hi:[0,0,1]
	v_mov_b32_e32 v51, v55
	s_delay_alu instid0(VALU_DEP_3) | instskip(NEXT) | instid1(VALU_DEP_1)
	v_pk_add_f32 v[14:15], v[52:53], v[14:15]
	v_pk_add_f32 v[14:15], v[50:51], v[14:15]
.LBB294_44:                             ;   in Loop: Header=BB294_5 Depth=1
	s_or_b32 exec_lo, exec_lo, s44
	s_wait_loadcnt_dscnt 0x303
	v_pk_mul_f32 v[50:51], v[42:43], v[48:49] op_sel:[0,1]
	s_wait_loadcnt_dscnt 0x202
	v_pk_mul_f32 v[52:53], v[40:41], v[46:47] op_sel:[0,1]
	s_wait_loadcnt_dscnt 0x101
	v_pk_mul_f32 v[56:57], v[38:39], v[44:45] op_sel:[0,1]
	v_pk_fma_f32 v[54:55], v[22:23], v[48:49], v[50:51] op_sel_hi:[1,0,1]
	v_pk_fma_f32 v[48:49], v[22:23], v[48:49], v[50:51] neg_lo:[0,0,1] neg_hi:[0,0,1]
	v_pk_fma_f32 v[50:51], v[24:25], v[46:47], v[52:53] op_sel_hi:[1,0,1]
	v_pk_fma_f32 v[46:47], v[24:25], v[46:47], v[52:53] neg_lo:[0,0,1] neg_hi:[0,0,1]
	v_pk_fma_f32 v[52:53], v[26:27], v[44:45], v[56:57] op_sel_hi:[1,0,1]
	v_mov_b32_e32 v49, v55
	v_pk_fma_f32 v[44:45], v[26:27], v[44:45], v[56:57] neg_lo:[0,0,1] neg_hi:[0,0,1]
	v_mov_b32_e32 v47, v51
	s_delay_alu instid0(VALU_DEP_3) | instskip(SKIP_2) | instid1(VALU_DEP_2)
	v_pk_add_f32 v[16:17], v[16:17], v[48:49]
	s_wait_loadcnt_dscnt 0x0
	v_pk_mul_f32 v[48:49], v[36:37], v[18:19] op_sel:[0,1]
	v_pk_add_f32 v[16:17], v[46:47], v[16:17]
	s_delay_alu instid0(VALU_DEP_2) | instskip(SKIP_2) | instid1(VALU_DEP_3)
	v_pk_fma_f32 v[46:47], v[28:29], v[18:19], v[48:49] op_sel_hi:[1,0,1]
	v_mov_b32_e32 v45, v53
	v_pk_fma_f32 v[18:19], v[28:29], v[18:19], v[48:49] neg_lo:[0,0,1] neg_hi:[0,0,1]
	v_mov_b32_e32 v19, v47
	s_delay_alu instid0(VALU_DEP_3) | instskip(NEXT) | instid1(VALU_DEP_1)
	v_pk_add_f32 v[16:17], v[44:45], v[16:17]
	v_pk_add_f32 v[16:17], v[18:19], v[16:17]
.LBB294_45:                             ;   in Loop: Header=BB294_5 Depth=1
	s_or_b32 exec_lo, exec_lo, s43
	s_wait_loadcnt_dscnt 0x303
	v_pk_mul_f32 v[18:19], v[42:43], v[34:35] op_sel:[0,1]
	s_wait_loadcnt_dscnt 0x202
	v_pk_mul_f32 v[40:41], v[40:41], v[32:33] op_sel:[0,1]
	;; [unrolled: 2-line block ×3, first 2 shown]
	v_pk_fma_f32 v[42:43], v[22:23], v[34:35], v[18:19] op_sel_hi:[1,0,1]
	v_pk_fma_f32 v[18:19], v[22:23], v[34:35], v[18:19] neg_lo:[0,0,1] neg_hi:[0,0,1]
	v_pk_fma_f32 v[22:23], v[24:25], v[32:33], v[40:41] op_sel_hi:[1,0,1]
	v_pk_fma_f32 v[24:25], v[24:25], v[32:33], v[40:41] neg_lo:[0,0,1] neg_hi:[0,0,1]
	v_pk_fma_f32 v[32:33], v[26:27], v[30:31], v[38:39] op_sel_hi:[1,0,1]
	s_delay_alu instid0(VALU_DEP_3) | instskip(SKIP_1) | instid1(VALU_DEP_2)
	v_dual_mov_b32 v19, v43 :: v_dual_mov_b32 v25, v23
	v_pk_fma_f32 v[22:23], v[26:27], v[30:31], v[38:39] neg_lo:[0,0,1] neg_hi:[0,0,1]
	v_pk_add_f32 v[10:11], v[10:11], v[18:19]
	s_wait_loadcnt_dscnt 0x0
	v_pk_mul_f32 v[18:19], v[36:37], v[20:21] op_sel:[0,1]
	s_delay_alu instid0(VALU_DEP_2) | instskip(NEXT) | instid1(VALU_DEP_2)
	v_pk_add_f32 v[10:11], v[24:25], v[10:11]
	v_pk_fma_f32 v[24:25], v[28:29], v[20:21], v[18:19] op_sel_hi:[1,0,1]
	v_mov_b32_e32 v23, v33
	v_pk_fma_f32 v[18:19], v[28:29], v[20:21], v[18:19] neg_lo:[0,0,1] neg_hi:[0,0,1]
	s_delay_alu instid0(VALU_DEP_3) | instskip(NEXT) | instid1(VALU_DEP_3)
	v_mov_b32_e32 v19, v25
	v_pk_add_f32 v[10:11], v[22:23], v[10:11]
	s_delay_alu instid0(VALU_DEP_1)
	v_pk_add_f32 v[10:11], v[18:19], v[10:11]
.LBB294_46:                             ;   in Loop: Header=BB294_5 Depth=1
	s_or_b32 exec_lo, exec_lo, s7
.LBB294_47:                             ;   in Loop: Header=BB294_5 Depth=1
	ds_store_2addr_stride64_b64 v0, v[10:11], v[16:17] offset1:1
	ds_store_2addr_stride64_b64 v0, v[14:15], v[12:13] offset0:2 offset1:3
	s_wait_storecnt 0x0
	s_wait_loadcnt_dscnt 0x0
	s_barrier_signal -1
	s_barrier_wait -1
	s_and_saveexec_b32 s43, s5
	s_cbranch_execz .LBB294_3
; %bb.48:                               ;   in Loop: Header=BB294_5 Depth=1
	ds_load_2addr_stride64_b64 v[10:13], v68 offset1:4
	ds_load_2addr_stride64_b64 v[14:17], v68 offset0:8 offset1:12
	s_wait_dscnt 0x1
	v_pk_add_f32 v[10:11], v[10:11], v[12:13]
	s_wait_dscnt 0x0
	s_delay_alu instid0(VALU_DEP_1) | instskip(NEXT) | instid1(VALU_DEP_1)
	v_pk_add_f32 v[10:11], v[10:11], v[14:15]
	v_pk_add_f32 v[12:13], v[10:11], v[16:17]
	ds_store_b64 v68, v[12:13]
	s_and_b32 exec_lo, exec_lo, s6
	s_cbranch_execz .LBB294_3
; %bb.49:                               ;   in Loop: Header=BB294_5 Depth=1
	v_mov_b64_e32 v[14:15], s[34:35]
	v_cmp_neq_f32_e32 vcc_lo, 0, v6
	v_cmp_neq_f32_e64 s7, 0, v7
	v_lshl_add_u64 v[8:9], v[4:5], 3, v[8:9]
	s_or_b32 s7, vcc_lo, s7
	v_pk_mul_f32 v[16:17], v[12:13], v[14:15] op_sel:[1,1] op_sel_hi:[1,0]
	s_and_not1_b32 vcc_lo, exec_lo, s7
	s_delay_alu instid0(VALU_DEP_1)
	v_pk_fma_f32 v[10:11], v[12:13], v[14:15], v[16:17] op_sel_hi:[0,1,1] neg_lo:[0,0,1] neg_hi:[0,0,1]
	v_pk_fma_f32 v[12:13], v[12:13], v[14:15], v[16:17] op_sel_hi:[0,1,1]
	s_cbranch_vccnz .LBB294_2
; %bb.50:                               ;   in Loop: Header=BB294_5 Depth=1
	flat_load_b64 v[14:15], v[8:9]
	s_wait_loadcnt_dscnt 0x0
	v_pk_mul_f32 v[16:17], v[6:7], v[14:15] op_sel:[1,1] op_sel_hi:[0,1]
	s_delay_alu instid0(VALU_DEP_1) | instskip(SKIP_1) | instid1(VALU_DEP_2)
	v_pk_fma_f32 v[18:19], v[6:7], v[14:15], v[16:17] op_sel_hi:[1,0,1]
	v_pk_fma_f32 v[6:7], v[6:7], v[14:15], v[16:17] neg_lo:[0,0,1] neg_hi:[0,0,1]
	v_dual_mov_b32 v11, v13 :: v_dual_mov_b32 v7, v19
	s_delay_alu instid0(VALU_DEP_1) | instskip(NEXT) | instid1(VALU_DEP_1)
	v_pk_add_f32 v[10:11], v[10:11], v[6:7]
	v_mov_b32_e32 v13, v11
	s_branch .LBB294_2
.LBB294_51:
	s_sendmsg sendmsg(MSG_DEALLOC_VGPRS)
	s_endpgm
	.section	.rodata,"a",@progbits
	.p2align	6, 0x0
	.amdhsa_kernel _ZL20rocblas_gemvn_kernelILi64ELi4EiPK19rocblas_complex_numIfES3_KPS1_EviiT3_lPKT2_lT1_lS9_lSA_lS6_lPT4_lSA_li
		.amdhsa_group_segment_fixed_size 8192
		.amdhsa_private_segment_fixed_size 0
		.amdhsa_kernarg_size 400
		.amdhsa_user_sgpr_count 2
		.amdhsa_user_sgpr_dispatch_ptr 0
		.amdhsa_user_sgpr_queue_ptr 0
		.amdhsa_user_sgpr_kernarg_segment_ptr 1
		.amdhsa_user_sgpr_dispatch_id 0
		.amdhsa_user_sgpr_kernarg_preload_length 0
		.amdhsa_user_sgpr_kernarg_preload_offset 0
		.amdhsa_user_sgpr_private_segment_size 0
		.amdhsa_wavefront_size32 1
		.amdhsa_uses_dynamic_stack 0
		.amdhsa_enable_private_segment 0
		.amdhsa_system_sgpr_workgroup_id_x 1
		.amdhsa_system_sgpr_workgroup_id_y 0
		.amdhsa_system_sgpr_workgroup_id_z 1
		.amdhsa_system_sgpr_workgroup_info 0
		.amdhsa_system_vgpr_workitem_id 1
		.amdhsa_next_free_vgpr 90
		.amdhsa_next_free_sgpr 50
		.amdhsa_named_barrier_count 0
		.amdhsa_reserve_vcc 1
		.amdhsa_float_round_mode_32 0
		.amdhsa_float_round_mode_16_64 0
		.amdhsa_float_denorm_mode_32 3
		.amdhsa_float_denorm_mode_16_64 3
		.amdhsa_fp16_overflow 0
		.amdhsa_memory_ordered 1
		.amdhsa_forward_progress 1
		.amdhsa_inst_pref_size 33
		.amdhsa_round_robin_scheduling 0
		.amdhsa_exception_fp_ieee_invalid_op 0
		.amdhsa_exception_fp_denorm_src 0
		.amdhsa_exception_fp_ieee_div_zero 0
		.amdhsa_exception_fp_ieee_overflow 0
		.amdhsa_exception_fp_ieee_underflow 0
		.amdhsa_exception_fp_ieee_inexact 0
		.amdhsa_exception_int_div_zero 0
	.end_amdhsa_kernel
	.section	.text._ZL20rocblas_gemvn_kernelILi64ELi4EiPK19rocblas_complex_numIfES3_KPS1_EviiT3_lPKT2_lT1_lS9_lSA_lS6_lPT4_lSA_li,"axG",@progbits,_ZL20rocblas_gemvn_kernelILi64ELi4EiPK19rocblas_complex_numIfES3_KPS1_EviiT3_lPKT2_lT1_lS9_lSA_lS6_lPT4_lSA_li,comdat
.Lfunc_end294:
	.size	_ZL20rocblas_gemvn_kernelILi64ELi4EiPK19rocblas_complex_numIfES3_KPS1_EviiT3_lPKT2_lT1_lS9_lSA_lS6_lPT4_lSA_li, .Lfunc_end294-_ZL20rocblas_gemvn_kernelILi64ELi4EiPK19rocblas_complex_numIfES3_KPS1_EviiT3_lPKT2_lT1_lS9_lSA_lS6_lPT4_lSA_li
                                        ; -- End function
	.set _ZL20rocblas_gemvn_kernelILi64ELi4EiPK19rocblas_complex_numIfES3_KPS1_EviiT3_lPKT2_lT1_lS9_lSA_lS6_lPT4_lSA_li.num_vgpr, 90
	.set _ZL20rocblas_gemvn_kernelILi64ELi4EiPK19rocblas_complex_numIfES3_KPS1_EviiT3_lPKT2_lT1_lS9_lSA_lS6_lPT4_lSA_li.num_agpr, 0
	.set _ZL20rocblas_gemvn_kernelILi64ELi4EiPK19rocblas_complex_numIfES3_KPS1_EviiT3_lPKT2_lT1_lS9_lSA_lS6_lPT4_lSA_li.numbered_sgpr, 50
	.set _ZL20rocblas_gemvn_kernelILi64ELi4EiPK19rocblas_complex_numIfES3_KPS1_EviiT3_lPKT2_lT1_lS9_lSA_lS6_lPT4_lSA_li.num_named_barrier, 0
	.set _ZL20rocblas_gemvn_kernelILi64ELi4EiPK19rocblas_complex_numIfES3_KPS1_EviiT3_lPKT2_lT1_lS9_lSA_lS6_lPT4_lSA_li.private_seg_size, 0
	.set _ZL20rocblas_gemvn_kernelILi64ELi4EiPK19rocblas_complex_numIfES3_KPS1_EviiT3_lPKT2_lT1_lS9_lSA_lS6_lPT4_lSA_li.uses_vcc, 1
	.set _ZL20rocblas_gemvn_kernelILi64ELi4EiPK19rocblas_complex_numIfES3_KPS1_EviiT3_lPKT2_lT1_lS9_lSA_lS6_lPT4_lSA_li.uses_flat_scratch, 1
	.set _ZL20rocblas_gemvn_kernelILi64ELi4EiPK19rocblas_complex_numIfES3_KPS1_EviiT3_lPKT2_lT1_lS9_lSA_lS6_lPT4_lSA_li.has_dyn_sized_stack, 0
	.set _ZL20rocblas_gemvn_kernelILi64ELi4EiPK19rocblas_complex_numIfES3_KPS1_EviiT3_lPKT2_lT1_lS9_lSA_lS6_lPT4_lSA_li.has_recursion, 0
	.set _ZL20rocblas_gemvn_kernelILi64ELi4EiPK19rocblas_complex_numIfES3_KPS1_EviiT3_lPKT2_lT1_lS9_lSA_lS6_lPT4_lSA_li.has_indirect_call, 0
	.section	.AMDGPU.csdata,"",@progbits
; Kernel info:
; codeLenInByte = 4104
; TotalNumSgprs: 52
; NumVgprs: 90
; ScratchSize: 0
; MemoryBound: 0
; FloatMode: 240
; IeeeMode: 1
; LDSByteSize: 8192 bytes/workgroup (compile time only)
; SGPRBlocks: 0
; VGPRBlocks: 5
; NumSGPRsForWavesPerEU: 52
; NumVGPRsForWavesPerEU: 90
; NamedBarCnt: 0
; Occupancy: 10
; WaveLimiterHint : 1
; COMPUTE_PGM_RSRC2:SCRATCH_EN: 0
; COMPUTE_PGM_RSRC2:USER_SGPR: 2
; COMPUTE_PGM_RSRC2:TRAP_HANDLER: 0
; COMPUTE_PGM_RSRC2:TGID_X_EN: 1
; COMPUTE_PGM_RSRC2:TGID_Y_EN: 0
; COMPUTE_PGM_RSRC2:TGID_Z_EN: 1
; COMPUTE_PGM_RSRC2:TIDIG_COMP_CNT: 1
	.section	.text._ZL20rocblas_gemvn_kernelILi64ELi4ElPK19rocblas_complex_numIfES3_KPS1_EviiT3_lPKT2_lT1_lS9_lSA_lS6_lPT4_lSA_li,"axG",@progbits,_ZL20rocblas_gemvn_kernelILi64ELi4ElPK19rocblas_complex_numIfES3_KPS1_EviiT3_lPKT2_lT1_lS9_lSA_lS6_lPT4_lSA_li,comdat
	.globl	_ZL20rocblas_gemvn_kernelILi64ELi4ElPK19rocblas_complex_numIfES3_KPS1_EviiT3_lPKT2_lT1_lS9_lSA_lS6_lPT4_lSA_li ; -- Begin function _ZL20rocblas_gemvn_kernelILi64ELi4ElPK19rocblas_complex_numIfES3_KPS1_EviiT3_lPKT2_lT1_lS9_lSA_lS6_lPT4_lSA_li
	.p2align	8
	.type	_ZL20rocblas_gemvn_kernelILi64ELi4ElPK19rocblas_complex_numIfES3_KPS1_EviiT3_lPKT2_lT1_lS9_lSA_lS6_lPT4_lSA_li,@function
_ZL20rocblas_gemvn_kernelILi64ELi4ElPK19rocblas_complex_numIfES3_KPS1_EviiT3_lPKT2_lT1_lS9_lSA_lS6_lPT4_lSA_li: ; @_ZL20rocblas_gemvn_kernelILi64ELi4ElPK19rocblas_complex_numIfES3_KPS1_EviiT3_lPKT2_lT1_lS9_lSA_lS6_lPT4_lSA_li
; %bb.0:
	s_clause 0x1
	s_load_b64 s[2:3], s[0:1], 0x9c
	s_load_b32 s33, s[0:1], 0x88
	s_bfe_u32 s4, ttmp6, 0x40014
	s_lshr_b32 s5, ttmp7, 16
	s_add_co_i32 s4, s4, 1
	s_bfe_u32 s6, ttmp6, 0x40008
	s_mul_i32 s7, s5, s4
	s_getreg_b32 s4, hwreg(HW_REG_IB_STS2, 6, 4)
	s_add_co_i32 s6, s6, s7
	s_mov_b32 s11, 0
	s_wait_kmcnt 0x0
	s_lshr_b32 s7, s2, 16
	s_and_b32 s2, s2, 0xffff
	s_and_b32 s3, s3, 0xffff
	s_mul_i32 s2, s7, s2
	s_cmp_eq_u32 s4, 0
	s_mul_i32 s2, s2, s3
	s_cselect_b32 s10, s5, s6
	s_cmp_lg_u32 s2, 0x100
	s_cselect_b32 s2, -1, 0
	s_cmp_ge_u32 s10, s33
	s_cselect_b32 s3, -1, 0
	s_delay_alu instid0(SALU_CYCLE_1) | instskip(NEXT) | instid1(SALU_CYCLE_1)
	s_or_b32 s2, s2, s3
	s_and_b32 vcc_lo, exec_lo, s2
	s_cbranch_vccnz .LBB295_51
; %bb.1:
	s_bfe_u32 s5, ttmp6, 0x4000c
	s_clause 0x3
	s_load_b64 s[34:35], s[0:1], 0x0
	s_load_b64 s[36:37], s[0:1], 0x28
	;; [unrolled: 1-line block ×4, first 2 shown]
	s_add_co_i32 s5, s5, 1
	s_and_b32 s6, ttmp6, 15
	s_mul_i32 s5, ttmp9, s5
	v_and_b32_e32 v28, 0x3ff, v0
	v_bfe_u32 v8, v0, 10, 10
	s_add_co_i32 s6, s6, s5
	s_cmp_eq_u32 s4, 0
	s_load_b256 s[12:19], s[0:1], 0x8
	s_cselect_b32 s4, ttmp9, s6
	v_lshl_add_u32 v29, v8, 6, v28
	s_lshl_b32 s6, s4, 8
	s_delay_alu instid0(SALU_CYCLE_1) | instskip(SKIP_1) | instid1(VALU_DEP_2)
	v_dual_mov_b32 v1, 0 :: v_dual_bitop2_b32 v10, s6, v28 bitop3:0x54
	s_load_b128 s[28:31], s[0:1], 0x38
	v_dual_add_nc_u32 v0, s6, v29 :: v_dual_lshlrev_b32 v94, 2, v8
	s_delay_alu instid0(VALU_DEP_2)
	v_mov_b32_e32 v9, v1
	s_wait_kmcnt 0x0
	s_ashr_i32 s5, s34, 31
	s_mov_b32 s4, s34
	v_mul_u64_e32 v[2:3], s[2:3], v[0:1]
	v_cmp_gt_i64_e32 vcc_lo, s[4:5], v[0:1]
	v_or_b32_e32 v16, s6, v29
	v_or_b32_e32 v0, 3, v94
	v_mul_u64_e32 v[6:7], s[38:39], v[8:9]
	v_mul_u64_e32 v[18:19], s[36:37], v[8:9]
	v_mad_nc_u64_u32 v[24:25], s38, v94, s[38:39]
	v_ashrrev_i32_e32 v17, 31, v16
	v_mul_u64_e32 v[12:13], s[36:37], v[0:1]
	v_mul_u64_e32 v[14:15], s[38:39], v[0:1]
	v_or_b32_e32 v0, 2, v94
	v_mad_nc_u64_u32 v[26:27], s36, v94, s[36:37]
	v_mul_u64_e32 v[4:5], s[2:3], v[16:17]
	s_load_b256 s[20:27], s[0:1], 0x58
	s_ashr_i32 s4, s35, 31
	v_mul_u64_e32 v[20:21], s[36:37], v[0:1]
	v_mul_u64_e32 v[22:23], s[38:39], v[0:1]
	v_mad_u32 v25, s39, v94, v25
	v_add_nc_u32_e32 v0, 64, v10
	s_lshr_b32 s4, s4, 28
	s_wait_xcnt 0x0
	s_add_co_i32 s0, s35, s4
	v_mad_u32 v27, s37, v94, v27
	v_cmp_gt_i32_e64 s2, s34, v0
	v_dual_lshlrev_b32 v0, 3, v28 :: v_dual_ashrrev_i32 v11, 31, v10
	v_add_nc_u32_e32 v9, 0x80, v10
	v_cmp_gt_i32_e64 s1, s34, v10
	v_add_nc_u32_e32 v30, 0xc0, v10
	s_delay_alu instid0(VALU_DEP_4)
	v_lshl_add_u32 v95, v8, 11, v0
	v_lshl_add_u32 v96, v8, 9, v0
	v_cmp_gt_i32_e64 s3, s34, v9
	v_lshlrev_b64_e32 v[8:9], 3, v[10:11]
	s_and_b32 s46, s0, -16
	v_cmp_gt_i32_e64 s6, s34, v16
	s_sub_co_i32 s5, s35, s46
	v_lshlrev_b64_e32 v[6:7], 5, v[6:7]
	s_cmp_gt_i32 s5, 0
	v_cmp_gt_u32_e64 s5, 0x100, v29
	v_lshlrev_b64_e32 v[16:17], 5, v[18:19]
	v_lshlrev_b64_e32 v[10:11], 3, v[12:13]
	;; [unrolled: 1-line block ×4, first 2 shown]
	v_cmp_gt_i32_e64 s0, s46, v94
	v_cmp_gt_i32_e64 s4, s34, v30
	v_or_b32_e32 v6, 4, v6
	s_cselect_b32 s47, -1, 0
	v_lshlrev_b64_e32 v[18:19], 3, v[20:21]
	v_lshlrev_b64_e32 v[20:21], 3, v[22:23]
	;; [unrolled: 1-line block ×3, first 2 shown]
	v_or_b32_e32 v12, 4, v12
	s_and_b32 s34, s5, vcc_lo
	s_lshl_b64 s[40:41], s[38:39], 7
	s_lshl_b64 s[42:43], s[36:37], 7
	;; [unrolled: 1-line block ×4, first 2 shown]
	s_wait_kmcnt 0x0
	s_lshl_b64 s[26:27], s[26:27], 3
	s_branch .LBB295_5
.LBB295_2:                              ;   in Loop: Header=BB295_5 Depth=1
	s_delay_alu instid0(VALU_DEP_1)
	v_mov_b32_e32 v29, v31
	flat_store_b64 v[26:27], v[28:29]
.LBB295_3:                              ;   in Loop: Header=BB295_5 Depth=1
	s_wait_xcnt 0x0
	s_or_b32 exec_lo, exec_lo, s8
.LBB295_4:                              ;   in Loop: Header=BB295_5 Depth=1
	s_add_co_i32 s10, s10, 0x10000
	s_delay_alu instid0(SALU_CYCLE_1)
	s_cmp_lt_u32 s10, s33
	s_cbranch_scc0 .LBB295_51
.LBB295_5:                              ; =>This Loop Header: Depth=1
                                        ;     Child Loop BB295_23 Depth 2
	s_wait_xcnt 0x0
	s_mul_u64 s[8:9], s[14:15], s[10:11]
	s_delay_alu instid0(SALU_CYCLE_1) | instskip(NEXT) | instid1(SALU_CYCLE_1)
	s_lshl_b64 s[8:9], s[8:9], 3
	s_add_nc_u64 s[8:9], s[12:13], s[8:9]
	global_load_b64 v[26:27], v1, s[8:9]
	s_wait_xcnt 0x0
	s_mul_u64 s[8:9], s[22:23], s[10:11]
	s_delay_alu instid0(SALU_CYCLE_1) | instskip(NEXT) | instid1(SALU_CYCLE_1)
	s_lshl_b64 s[8:9], s[8:9], 3
	s_add_nc_u64 s[8:9], s[20:21], s[8:9]
	global_load_b64 v[24:25], v1, s[8:9]
	s_wait_loadcnt 0x1
	v_readfirstlane_b32 s44, v26
	v_readfirstlane_b32 s45, v27
	s_cmp_eq_f32 s44, 0
	s_wait_loadcnt 0x0
	v_cmp_eq_f32_e32 vcc_lo, 1.0, v24
	v_cmp_eq_f32_e64 s7, 0, v25
	s_wait_xcnt 0x0
	s_cselect_b32 s8, -1, 0
	s_cmp_eq_f32 s45, 0
	s_cselect_b32 s9, -1, 0
	s_and_b32 s7, vcc_lo, s7
	s_and_b32 s8, s8, s9
	s_delay_alu instid0(SALU_CYCLE_1) | instskip(NEXT) | instid1(SALU_CYCLE_1)
	s_and_b32 s7, s8, s7
	s_and_b32 vcc_lo, exec_lo, s7
	s_cbranch_vccnz .LBB295_4
; %bb.6:                                ;   in Loop: Header=BB295_5 Depth=1
	s_or_b32 s7, s44, s45
	v_mov_b64_e32 v[38:39], 0
	s_bitset0_b32 s7, 31
	v_mov_b64_e32 v[36:37], 0
	s_cmp_lg_u32 s7, 0
	s_cselect_b32 s8, -1, 0
	s_cmp_eq_u32 s7, 0
	s_cselect_b32 s7, -1, 0
	s_delay_alu instid0(SALU_CYCLE_1)
	s_and_b32 vcc_lo, exec_lo, s7
	s_cbranch_vccnz .LBB295_8
; %bb.7:                                ;   in Loop: Header=BB295_5 Depth=1
	s_lshl_b64 s[48:49], s[10:11], 3
	s_delay_alu instid0(SALU_CYCLE_1)
	s_add_nc_u64 s[48:49], s[16:17], s[48:49]
	global_load_b64 v[26:27], v1, s[48:49]
	s_wait_loadcnt 0x0
	v_add_nc_u64_e32 v[36:37], s[18:19], v[26:27]
.LBB295_8:                              ;   in Loop: Header=BB295_5 Depth=1
	s_and_not1_b32 vcc_lo, exec_lo, s8
	s_cbranch_vccnz .LBB295_10
; %bb.9:                                ;   in Loop: Header=BB295_5 Depth=1
	s_lshl_b64 s[8:9], s[10:11], 3
	s_delay_alu instid0(SALU_CYCLE_1)
	s_add_nc_u64 s[8:9], s[28:29], s[8:9]
	global_load_b64 v[26:27], v1, s[8:9]
	s_wait_loadcnt 0x0
	v_add_nc_u64_e32 v[38:39], s[30:31], v[26:27]
.LBB295_10:                             ;   in Loop: Header=BB295_5 Depth=1
	s_wait_xcnt 0x0
	s_lshl_b64 s[8:9], s[10:11], 3
	s_and_not1_b32 vcc_lo, exec_lo, s7
	s_add_nc_u64 s[8:9], s[24:25], s[8:9]
	s_mov_b32 s7, -1
	global_load_b64 v[26:27], v1, s[8:9]
	s_wait_loadcnt 0x0
	v_add_nc_u64_e32 v[26:27], s[26:27], v[26:27]
	s_cbranch_vccnz .LBB295_16
; %bb.11:                               ;   in Loop: Header=BB295_5 Depth=1
	s_wait_xcnt 0x0
	s_and_saveexec_b32 s8, s34
	s_cbranch_execz .LBB295_15
; %bb.12:                               ;   in Loop: Header=BB295_5 Depth=1
	v_cmp_neq_f32_e32 vcc_lo, 0, v24
	v_cmp_neq_f32_e64 s7, 0, v25
	v_dual_mov_b32 v30, 0 :: v_dual_mov_b32 v31, 0
	v_lshl_add_u64 v[28:29], v[2:3], 3, v[26:27]
	s_or_b32 s7, vcc_lo, s7
	s_delay_alu instid0(SALU_CYCLE_1)
	s_and_not1_b32 vcc_lo, exec_lo, s7
	s_cbranch_vccnz .LBB295_14
; %bb.13:                               ;   in Loop: Header=BB295_5 Depth=1
	flat_load_b64 v[30:31], v[28:29]
	s_wait_loadcnt_dscnt 0x0
	v_pk_mul_f32 v[32:33], v[24:25], v[30:31] op_sel:[1,1] op_sel_hi:[0,1]
	s_delay_alu instid0(VALU_DEP_1) | instskip(SKIP_1) | instid1(VALU_DEP_2)
	v_pk_fma_f32 v[34:35], v[24:25], v[30:31], v[32:33] op_sel_hi:[1,0,1]
	v_pk_fma_f32 v[30:31], v[24:25], v[30:31], v[32:33] neg_lo:[0,0,1] neg_hi:[0,0,1]
	v_mov_b32_e32 v31, v35
.LBB295_14:                             ;   in Loop: Header=BB295_5 Depth=1
	flat_store_b64 v[28:29], v[30:31]
.LBB295_15:                             ;   in Loop: Header=BB295_5 Depth=1
	s_wait_xcnt 0x0
	s_or_b32 exec_lo, exec_lo, s8
	s_mov_b32 s7, 0
.LBB295_16:                             ;   in Loop: Header=BB295_5 Depth=1
	s_delay_alu instid0(SALU_CYCLE_1)
	s_and_not1_b32 vcc_lo, exec_lo, s7
	s_cbranch_vccnz .LBB295_4
; %bb.17:                               ;   in Loop: Header=BB295_5 Depth=1
	v_mov_b64_e32 v[30:31], 0
	v_mov_b64_e32 v[32:33], 0
	;; [unrolled: 1-line block ×4, first 2 shown]
	v_mov_b32_e32 v0, v94
	s_wait_xcnt 0x0
	s_and_saveexec_b32 s7, s0
	s_cbranch_execz .LBB295_29
; %bb.18:                               ;   in Loop: Header=BB295_5 Depth=1
	v_add_nc_u64_e32 v[40:41], v[36:37], v[10:11]
	v_add_nc_u64_e32 v[42:43], v[36:37], v[16:17]
	;; [unrolled: 1-line block ×4, first 2 shown]
	v_mov_b64_e32 v[28:29], 0
	v_mov_b64_e32 v[34:35], 0
	;; [unrolled: 1-line block ×5, first 2 shown]
	v_mov_b32_e32 v0, v94
	s_mov_b32 s8, 0
	s_branch .LBB295_23
.LBB295_19:                             ;   in Loop: Header=BB295_23 Depth=2
	s_or_b32 exec_lo, exec_lo, s50
	s_wait_loadcnt_dscnt 0x303
	v_dual_mul_f32 v86, v61, v85 :: v_dual_mul_f32 v87, v60, v85
	s_wait_loadcnt_dscnt 0x202
	v_dual_mul_f32 v90, v59, v83 :: v_dual_mul_f32 v85, v58, v83
	s_wait_loadcnt_dscnt 0x101
	v_pk_mul_f32 v[88:89], v[76:77], v[80:81] op_sel:[0,1]
	v_dual_fma_f32 v86, v60, v84, -v86 :: v_dual_fmac_f32 v87, v61, v84
	s_delay_alu instid0(VALU_DEP_3) | instskip(NEXT) | instid1(VALU_DEP_3)
	v_dual_fma_f32 v84, v58, v82, -v90 :: v_dual_fmac_f32 v85, v59, v82
	v_pk_fma_f32 v[82:83], v[52:53], v[80:81], v[88:89] op_sel_hi:[1,0,1]
	v_pk_fma_f32 v[80:81], v[52:53], v[80:81], v[88:89] neg_lo:[0,0,1] neg_hi:[0,0,1]
	s_delay_alu instid0(VALU_DEP_4) | instskip(SKIP_3) | instid1(VALU_DEP_3)
	v_pk_add_f32 v[32:33], v[32:33], v[86:87]
	s_wait_loadcnt_dscnt 0x0
	v_pk_mul_f32 v[86:87], v[70:71], v[78:79] op_sel:[0,1]
	v_mov_b32_e32 v81, v83
	v_pk_add_f32 v[32:33], v[84:85], v[32:33]
	s_delay_alu instid0(VALU_DEP_3) | instskip(SKIP_1) | instid1(VALU_DEP_2)
	v_pk_fma_f32 v[82:83], v[50:51], v[78:79], v[86:87] op_sel_hi:[1,0,1]
	v_pk_fma_f32 v[78:79], v[50:51], v[78:79], v[86:87] neg_lo:[0,0,1] neg_hi:[0,0,1]
	v_mov_b32_e32 v79, v83
	s_delay_alu instid0(VALU_DEP_4) | instskip(NEXT) | instid1(VALU_DEP_1)
	v_pk_add_f32 v[32:33], v[80:81], v[32:33]
	v_pk_add_f32 v[32:33], v[78:79], v[32:33]
.LBB295_20:                             ;   in Loop: Header=BB295_23 Depth=2
	s_or_b32 exec_lo, exec_lo, s49
	s_wait_loadcnt_dscnt 0x303
	v_dual_mul_f32 v78, v61, v75 :: v_dual_mul_f32 v79, v60, v75
	s_wait_loadcnt_dscnt 0x202
	v_dual_mul_f32 v80, v59, v73 :: v_dual_mul_f32 v75, v58, v73
	s_wait_loadcnt_dscnt 0x101
	v_pk_mul_f32 v[76:77], v[76:77], v[68:69] op_sel:[0,1]
	v_dual_fma_f32 v78, v60, v74, -v78 :: v_dual_fmac_f32 v79, v61, v74
	s_delay_alu instid0(VALU_DEP_3) | instskip(NEXT) | instid1(VALU_DEP_3)
	v_dual_fma_f32 v74, v58, v72, -v80 :: v_dual_fmac_f32 v75, v59, v72
	v_pk_fma_f32 v[72:73], v[52:53], v[68:69], v[76:77] op_sel_hi:[1,0,1]
	s_wait_loadcnt_dscnt 0x0
	v_pk_mul_f32 v[70:71], v[70:71], v[66:67] op_sel:[0,1]
	v_pk_add_f32 v[34:35], v[34:35], v[78:79]
	v_pk_fma_f32 v[68:69], v[52:53], v[68:69], v[76:77] neg_lo:[0,0,1] neg_hi:[0,0,1]
	v_mov_b32_e32 v69, v73
	s_delay_alu instid0(VALU_DEP_4) | instskip(NEXT) | instid1(VALU_DEP_4)
	v_pk_fma_f32 v[72:73], v[50:51], v[66:67], v[70:71] op_sel_hi:[1,0,1]
	v_pk_add_f32 v[34:35], v[74:75], v[34:35]
	v_pk_fma_f32 v[66:67], v[50:51], v[66:67], v[70:71] neg_lo:[0,0,1] neg_hi:[0,0,1]
	s_delay_alu instid0(VALU_DEP_3) | instskip(NEXT) | instid1(VALU_DEP_3)
	v_mov_b32_e32 v67, v73
	v_pk_add_f32 v[34:35], v[68:69], v[34:35]
	s_delay_alu instid0(VALU_DEP_1)
	v_pk_add_f32 v[34:35], v[66:67], v[34:35]
.LBB295_21:                             ;   in Loop: Header=BB295_23 Depth=2
	s_or_b32 exec_lo, exec_lo, s48
	s_wait_loadcnt_dscnt 0x303
	v_dual_mul_f32 v66, v61, v65 :: v_dual_mul_f32 v67, v60, v65
	s_wait_loadcnt_dscnt 0x202
	v_dual_mul_f32 v70, v59, v63 :: v_dual_mul_f32 v65, v58, v63
	s_wait_loadcnt_dscnt 0x101
	v_pk_mul_f32 v[68:69], v[52:53], v[56:57] op_sel:[1,1] op_sel_hi:[0,1]
	v_dual_fma_f32 v66, v60, v64, -v66 :: v_dual_fmac_f32 v67, v61, v64
	s_delay_alu instid0(VALU_DEP_3) | instskip(NEXT) | instid1(VALU_DEP_3)
	v_dual_fma_f32 v64, v58, v62, -v70 :: v_dual_fmac_f32 v65, v59, v62
	v_pk_fma_f32 v[58:59], v[52:53], v[56:57], v[68:69] op_sel_hi:[1,0,1]
	s_wait_loadcnt_dscnt 0x0
	v_pk_mul_f32 v[60:61], v[50:51], v[54:55] op_sel:[1,1] op_sel_hi:[0,1]
	v_pk_add_f32 v[28:29], v[28:29], v[66:67]
	v_pk_fma_f32 v[52:53], v[52:53], v[56:57], v[68:69] neg_lo:[0,0,1] neg_hi:[0,0,1]
	s_delay_alu instid0(VALU_DEP_3) | instskip(SKIP_1) | instid1(VALU_DEP_4)
	v_pk_fma_f32 v[56:57], v[50:51], v[54:55], v[60:61] op_sel_hi:[1,0,1]
	v_mov_b32_e32 v53, v59
	v_pk_add_f32 v[28:29], v[64:65], v[28:29]
	v_pk_fma_f32 v[50:51], v[50:51], v[54:55], v[60:61] neg_lo:[0,0,1] neg_hi:[0,0,1]
	s_delay_alu instid0(VALU_DEP_4) | instskip(NEXT) | instid1(VALU_DEP_3)
	v_mov_b32_e32 v51, v57
	v_pk_add_f32 v[28:29], v[52:53], v[28:29]
	s_delay_alu instid0(VALU_DEP_1)
	v_pk_add_f32 v[28:29], v[50:51], v[28:29]
.LBB295_22:                             ;   in Loop: Header=BB295_23 Depth=2
	s_or_b32 exec_lo, exec_lo, s9
	v_add_nc_u32_e32 v0, 16, v0
	v_add_nc_u64_e32 v[48:49], s[40:41], v[48:49]
	v_add_nc_u64_e32 v[40:41], s[42:43], v[40:41]
	;; [unrolled: 1-line block ×4, first 2 shown]
	v_cmp_le_i32_e32 vcc_lo, s46, v0
	v_add_nc_u64_e32 v[46:47], s[42:43], v[46:47]
	s_or_b32 s8, vcc_lo, s8
	s_delay_alu instid0(SALU_CYCLE_1)
	s_and_not1_b32 exec_lo, exec_lo, s8
	s_cbranch_execz .LBB295_28
.LBB295_23:                             ;   Parent Loop BB295_5 Depth=1
                                        ; =>  This Inner Loop Header: Depth=2
	s_and_saveexec_b32 s9, s1
	s_cbranch_execz .LBB295_22
; %bb.24:                               ;   in Loop: Header=BB295_23 Depth=2
	s_delay_alu instid0(VALU_DEP_2)
	v_add_nc_u64_e32 v[66:67], v[48:49], v[6:7]
	v_add_nc_u64_e32 v[68:69], v[48:49], v[12:13]
	;; [unrolled: 1-line block ×8, first 2 shown]
	s_clause 0x3
	flat_load_b64 v[60:61], v[66:67] offset:-4
	flat_load_b64 v[58:59], v[68:69] offset:-4
	flat_load_b64 v[52:53], v[70:71]
	flat_load_b64 v[50:51], v[72:73]
	;; [unrolled: 1-line block ×6, first 2 shown]
	s_wait_xcnt 0x0
	s_and_saveexec_b32 s48, s2
	s_cbranch_execz .LBB295_21
; %bb.25:                               ;   in Loop: Header=BB295_23 Depth=2
	flat_load_b64 v[74:75], v[86:87] offset:512
	flat_load_b64 v[72:73], v[88:89] offset:512
	;; [unrolled: 1-line block ×4, first 2 shown]
	s_wait_loadcnt_dscnt 0x909
	v_dual_mov_b32 v76, v53 :: v_dual_mov_b32 v77, v52
	s_wait_loadcnt_dscnt 0x808
	v_dual_mov_b32 v70, v51 :: v_dual_mov_b32 v71, v50
	s_wait_xcnt 0x0
	s_and_saveexec_b32 s49, s3
	s_cbranch_execz .LBB295_20
; %bb.26:                               ;   in Loop: Header=BB295_23 Depth=2
	flat_load_b64 v[84:85], v[86:87] offset:1024
	flat_load_b64 v[82:83], v[88:89] offset:1024
	;; [unrolled: 1-line block ×4, first 2 shown]
	s_wait_xcnt 0x0
	s_and_saveexec_b32 s50, s4
	s_cbranch_execz .LBB295_19
; %bb.27:                               ;   in Loop: Header=BB295_23 Depth=2
	flat_load_b64 v[98:99], v[86:87] offset:1536
	flat_load_b64 v[100:101], v[88:89] offset:1536
	;; [unrolled: 1-line block ×4, first 2 shown]
	s_wait_loadcnt_dscnt 0x303
	s_wait_xcnt 0x3
	v_dual_mul_f32 v86, v61, v99 :: v_dual_mul_f32 v87, v60, v99
	s_wait_loadcnt_dscnt 0x202
	s_wait_xcnt 0x2
	v_dual_mul_f32 v88, v59, v101 :: v_dual_mul_f32 v89, v58, v101
	s_wait_loadcnt_dscnt 0x101
	s_wait_xcnt 0x1
	v_pk_mul_f32 v[90:91], v[76:77], v[102:103] op_sel:[0,1]
	v_dual_fma_f32 v86, v60, v98, -v86 :: v_dual_fmac_f32 v87, v61, v98
	v_dual_fma_f32 v88, v58, v100, -v88 :: v_dual_fmac_f32 v89, v59, v100
	s_wait_xcnt 0x0
	s_delay_alu instid0(VALU_DEP_3) | instskip(SKIP_4) | instid1(VALU_DEP_2)
	v_pk_fma_f32 v[92:93], v[52:53], v[102:103], v[90:91] op_sel_hi:[1,0,1]
	v_pk_fma_f32 v[90:91], v[52:53], v[102:103], v[90:91] neg_lo:[0,0,1] neg_hi:[0,0,1]
	v_pk_add_f32 v[30:31], v[30:31], v[86:87]
	s_wait_loadcnt_dscnt 0x0
	v_pk_mul_f32 v[86:87], v[70:71], v[104:105] op_sel:[0,1]
	v_pk_add_f32 v[30:31], v[88:89], v[30:31]
	s_delay_alu instid0(VALU_DEP_2) | instskip(SKIP_2) | instid1(VALU_DEP_3)
	v_pk_fma_f32 v[88:89], v[50:51], v[104:105], v[86:87] op_sel_hi:[1,0,1]
	v_mov_b32_e32 v91, v93
	v_pk_fma_f32 v[86:87], v[50:51], v[104:105], v[86:87] neg_lo:[0,0,1] neg_hi:[0,0,1]
	v_mov_b32_e32 v87, v89
	s_delay_alu instid0(VALU_DEP_3) | instskip(NEXT) | instid1(VALU_DEP_1)
	v_pk_add_f32 v[30:31], v[90:91], v[30:31]
	v_pk_add_f32 v[30:31], v[86:87], v[30:31]
	s_branch .LBB295_19
.LBB295_28:                             ;   in Loop: Header=BB295_5 Depth=1
	s_or_b32 exec_lo, exec_lo, s8
.LBB295_29:                             ;   in Loop: Header=BB295_5 Depth=1
	s_delay_alu instid0(SALU_CYCLE_1) | instskip(NEXT) | instid1(SALU_CYCLE_1)
	s_or_b32 exec_lo, exec_lo, s7
	s_and_not1_b32 vcc_lo, exec_lo, s47
	s_cbranch_vccnz .LBB295_47
; %bb.30:                               ;   in Loop: Header=BB295_5 Depth=1
	v_dual_mov_b32 v46, 0 :: v_dual_bitop2_b32 v48, 1, v0 bitop3:0x54
	v_cmp_gt_i32_e32 vcc_lo, s35, v0
	s_delay_alu instid0(VALU_DEP_2)
	v_dual_mov_b32 v47, v46 :: v_dual_mov_b32 v44, v46
	v_dual_mov_b32 v45, v46 :: v_dual_mov_b32 v42, v46
	;; [unrolled: 1-line block ×3, first 2 shown]
	v_mov_b32_e32 v41, v46
	s_and_saveexec_b32 s8, vcc_lo
	s_cbranch_execz .LBB295_38
; %bb.31:                               ;   in Loop: Header=BB295_5 Depth=1
	v_mul_u64_e32 v[40:41], s[38:39], v[0:1]
	v_dual_mov_b32 v43, 0 :: v_dual_mov_b32 v42, 0
	v_dual_mov_b32 v45, 0 :: v_dual_mov_b32 v44, 0
	;; [unrolled: 1-line block ×3, first 2 shown]
	s_mov_b32 s9, exec_lo
	s_delay_alu instid0(VALU_DEP_4)
	v_lshl_add_u64 v[40:41], v[40:41], 3, v[38:39]
	flat_load_b64 v[40:41], v[40:41]
	s_wait_xcnt 0x0
	v_cmpx_gt_i32_e64 s35, v48
	s_cbranch_execz .LBB295_37
; %bb.32:                               ;   in Loop: Header=BB295_5 Depth=1
	v_dual_mov_b32 v49, v1 :: v_dual_bitop2_b32 v50, 2, v0 bitop3:0x54
	v_dual_mov_b32 v45, 0 :: v_dual_mov_b32 v44, 0
	v_dual_mov_b32 v47, 0 :: v_dual_mov_b32 v46, 0
	s_delay_alu instid0(VALU_DEP_3) | instskip(SKIP_1) | instid1(VALU_DEP_1)
	v_mul_u64_e32 v[42:43], s[38:39], v[48:49]
	s_mov_b32 s48, exec_lo
	v_lshl_add_u64 v[42:43], v[42:43], 3, v[38:39]
	flat_load_b64 v[42:43], v[42:43]
	s_wait_xcnt 0x0
	v_cmpx_gt_i32_e64 s35, v50
	s_cbranch_execz .LBB295_36
; %bb.33:                               ;   in Loop: Header=BB295_5 Depth=1
	v_dual_mov_b32 v51, v1 :: v_dual_mov_b32 v47, 0
	v_mov_b32_e32 v46, 0
	s_mov_b32 s49, exec_lo
	s_delay_alu instid0(VALU_DEP_2) | instskip(SKIP_1) | instid1(VALU_DEP_2)
	v_mul_u64_e32 v[44:45], s[38:39], v[50:51]
	v_or_b32_e32 v50, 3, v0
	v_lshl_add_u64 v[44:45], v[44:45], 3, v[38:39]
	flat_load_b64 v[44:45], v[44:45]
	s_wait_xcnt 0x0
	v_cmpx_gt_i32_e64 s35, v50
	s_cbranch_execz .LBB295_35
; %bb.34:                               ;   in Loop: Header=BB295_5 Depth=1
	v_mov_b32_e32 v51, v1
	s_delay_alu instid0(VALU_DEP_1) | instskip(NEXT) | instid1(VALU_DEP_1)
	v_mul_u64_e32 v[46:47], s[38:39], v[50:51]
	v_lshl_add_u64 v[38:39], v[46:47], 3, v[38:39]
	flat_load_b64 v[46:47], v[38:39]
.LBB295_35:                             ;   in Loop: Header=BB295_5 Depth=1
	s_wait_xcnt 0x0
	s_or_b32 exec_lo, exec_lo, s49
.LBB295_36:                             ;   in Loop: Header=BB295_5 Depth=1
	s_delay_alu instid0(SALU_CYCLE_1)
	s_or_b32 exec_lo, exec_lo, s48
.LBB295_37:                             ;   in Loop: Header=BB295_5 Depth=1
	s_delay_alu instid0(SALU_CYCLE_1)
	s_or_b32 exec_lo, exec_lo, s9
.LBB295_38:                             ;   in Loop: Header=BB295_5 Depth=1
	s_delay_alu instid0(SALU_CYCLE_1)
	s_or_b32 exec_lo, exec_lo, s8
	s_and_saveexec_b32 s48, s1
	s_cbranch_execz .LBB295_46
; %bb.39:                               ;   in Loop: Header=BB295_5 Depth=1
	v_dual_mov_b32 v49, v1 :: v_dual_bitop2_b32 v38, 2, v0 bitop3:0x54
	v_mov_b32_e32 v39, v1
	v_mul_u64_e32 v[50:51], s[36:37], v[0:1]
	v_or_b32_e32 v0, 3, v0
	s_delay_alu instid0(VALU_DEP_4)
	v_mul_u64_e32 v[52:53], s[36:37], v[48:49]
	v_cmp_gt_i32_e64 s7, s35, v48
	v_mul_u64_e32 v[54:55], s[36:37], v[38:39]
	v_cmp_gt_i32_e64 s8, s35, v38
	;; [unrolled: 2-line block ×3, first 2 shown]
	s_wait_loadcnt_dscnt 0x0
	v_dual_mov_b32 v58, v41 :: v_dual_mov_b32 v59, v40
	v_dual_cndmask_b32 v39, 0, v51 :: v_dual_cndmask_b32 v38, 0, v50
	v_dual_cndmask_b32 v49, 0, v53, s7 :: v_dual_cndmask_b32 v48, 0, v52, s7
	v_dual_cndmask_b32 v51, 0, v55, s8 :: v_dual_cndmask_b32 v50, 0, v54, s8
	;; [unrolled: 1-line block ×3, first 2 shown]
	s_delay_alu instid0(VALU_DEP_4) | instskip(NEXT) | instid1(VALU_DEP_4)
	v_lshl_add_u64 v[38:39], v[38:39], 3, v[36:37]
	v_lshl_add_u64 v[48:49], v[48:49], 3, v[36:37]
	s_delay_alu instid0(VALU_DEP_4)
	v_lshl_add_u64 v[50:51], v[50:51], 3, v[36:37]
	v_dual_mov_b32 v56, v43 :: v_dual_mov_b32 v57, v42
	v_lshl_add_u64 v[36:37], v[52:53], 3, v[36:37]
	v_add_nc_u64_e32 v[78:79], v[38:39], v[8:9]
	v_add_nc_u64_e32 v[76:77], v[48:49], v[8:9]
	;; [unrolled: 1-line block ×3, first 2 shown]
	v_dual_mov_b32 v54, v45 :: v_dual_mov_b32 v55, v44
	v_add_nc_u64_e32 v[80:81], v[36:37], v[8:9]
	s_clause 0x3
	flat_load_b64 v[52:53], v[78:79]
	flat_load_b64 v[48:49], v[76:77]
	;; [unrolled: 1-line block ×4, first 2 shown]
	v_dual_mov_b32 v50, v47 :: v_dual_mov_b32 v51, v46
	s_wait_xcnt 0x0
	s_and_saveexec_b32 s7, s2
	s_cbranch_execz .LBB295_45
; %bb.40:                               ;   in Loop: Header=BB295_5 Depth=1
	s_clause 0x3
	flat_load_b64 v[66:67], v[78:79] offset:512
	flat_load_b64 v[64:65], v[76:77] offset:512
	flat_load_b64 v[62:63], v[82:83] offset:512
	flat_load_b64 v[60:61], v[80:81] offset:512
	s_wait_xcnt 0x0
	s_and_saveexec_b32 s8, s3
	s_cbranch_execz .LBB295_44
; %bb.41:                               ;   in Loop: Header=BB295_5 Depth=1
	s_clause 0x3
	flat_load_b64 v[74:75], v[78:79] offset:1024
	flat_load_b64 v[72:73], v[76:77] offset:1024
	flat_load_b64 v[70:71], v[82:83] offset:1024
	flat_load_b64 v[68:69], v[80:81] offset:1024
	;; [unrolled: 9-line block ×3, first 2 shown]
	s_wait_loadcnt_dscnt 0x303
	s_wait_xcnt 0x2
	v_pk_mul_f32 v[76:77], v[58:59], v[84:85] op_sel:[0,1]
	s_wait_loadcnt_dscnt 0x202
	v_pk_mul_f32 v[78:79], v[56:57], v[86:87] op_sel:[0,1]
	s_wait_loadcnt_dscnt 0x101
	s_wait_xcnt 0x1
	v_pk_mul_f32 v[82:83], v[54:55], v[88:89] op_sel:[0,1]
	s_wait_xcnt 0x0
	v_pk_fma_f32 v[80:81], v[40:41], v[84:85], v[76:77] op_sel_hi:[1,0,1]
	v_pk_fma_f32 v[76:77], v[40:41], v[84:85], v[76:77] neg_lo:[0,0,1] neg_hi:[0,0,1]
	v_pk_fma_f32 v[84:85], v[42:43], v[86:87], v[78:79] op_sel_hi:[1,0,1]
	v_pk_fma_f32 v[78:79], v[42:43], v[86:87], v[78:79] neg_lo:[0,0,1] neg_hi:[0,0,1]
	s_delay_alu instid0(VALU_DEP_4) | instskip(SKIP_1) | instid1(VALU_DEP_4)
	v_mov_b32_e32 v77, v81
	v_pk_fma_f32 v[80:81], v[44:45], v[88:89], v[82:83] op_sel_hi:[1,0,1]
	v_mov_b32_e32 v79, v85
	v_pk_fma_f32 v[82:83], v[44:45], v[88:89], v[82:83] neg_lo:[0,0,1] neg_hi:[0,0,1]
	s_delay_alu instid0(VALU_DEP_4) | instskip(SKIP_2) | instid1(VALU_DEP_2)
	v_pk_add_f32 v[30:31], v[30:31], v[76:77]
	s_wait_loadcnt_dscnt 0x0
	v_pk_mul_f32 v[76:77], v[50:51], v[90:91] op_sel:[0,1]
	v_pk_add_f32 v[30:31], v[78:79], v[30:31]
	s_delay_alu instid0(VALU_DEP_2) | instskip(SKIP_2) | instid1(VALU_DEP_3)
	v_pk_fma_f32 v[78:79], v[46:47], v[90:91], v[76:77] op_sel_hi:[1,0,1]
	v_mov_b32_e32 v83, v81
	v_pk_fma_f32 v[76:77], v[46:47], v[90:91], v[76:77] neg_lo:[0,0,1] neg_hi:[0,0,1]
	v_mov_b32_e32 v77, v79
	s_delay_alu instid0(VALU_DEP_3) | instskip(NEXT) | instid1(VALU_DEP_1)
	v_pk_add_f32 v[30:31], v[82:83], v[30:31]
	v_pk_add_f32 v[30:31], v[76:77], v[30:31]
.LBB295_43:                             ;   in Loop: Header=BB295_5 Depth=1
	s_or_b32 exec_lo, exec_lo, s9
	s_wait_loadcnt_dscnt 0x303
	v_pk_mul_f32 v[76:77], v[58:59], v[74:75] op_sel:[0,1]
	s_wait_loadcnt_dscnt 0x202
	v_pk_mul_f32 v[78:79], v[56:57], v[72:73] op_sel:[0,1]
	;; [unrolled: 2-line block ×3, first 2 shown]
	v_pk_fma_f32 v[80:81], v[40:41], v[74:75], v[76:77] op_sel_hi:[1,0,1]
	v_pk_fma_f32 v[74:75], v[40:41], v[74:75], v[76:77] neg_lo:[0,0,1] neg_hi:[0,0,1]
	v_pk_fma_f32 v[76:77], v[42:43], v[72:73], v[78:79] op_sel_hi:[1,0,1]
	v_pk_fma_f32 v[72:73], v[42:43], v[72:73], v[78:79] neg_lo:[0,0,1] neg_hi:[0,0,1]
	v_pk_fma_f32 v[78:79], v[44:45], v[70:71], v[82:83] op_sel_hi:[1,0,1]
	v_mov_b32_e32 v75, v81
	v_pk_fma_f32 v[70:71], v[44:45], v[70:71], v[82:83] neg_lo:[0,0,1] neg_hi:[0,0,1]
	v_mov_b32_e32 v73, v77
	s_delay_alu instid0(VALU_DEP_3) | instskip(SKIP_2) | instid1(VALU_DEP_2)
	v_pk_add_f32 v[32:33], v[32:33], v[74:75]
	s_wait_loadcnt_dscnt 0x0
	v_pk_mul_f32 v[74:75], v[50:51], v[68:69] op_sel:[0,1]
	v_pk_add_f32 v[32:33], v[72:73], v[32:33]
	s_delay_alu instid0(VALU_DEP_2) | instskip(SKIP_2) | instid1(VALU_DEP_3)
	v_pk_fma_f32 v[72:73], v[46:47], v[68:69], v[74:75] op_sel_hi:[1,0,1]
	v_mov_b32_e32 v71, v79
	v_pk_fma_f32 v[68:69], v[46:47], v[68:69], v[74:75] neg_lo:[0,0,1] neg_hi:[0,0,1]
	v_mov_b32_e32 v69, v73
	s_delay_alu instid0(VALU_DEP_3) | instskip(NEXT) | instid1(VALU_DEP_1)
	v_pk_add_f32 v[32:33], v[70:71], v[32:33]
	v_pk_add_f32 v[32:33], v[68:69], v[32:33]
.LBB295_44:                             ;   in Loop: Header=BB295_5 Depth=1
	s_or_b32 exec_lo, exec_lo, s8
	s_wait_loadcnt_dscnt 0x303
	v_pk_mul_f32 v[68:69], v[58:59], v[66:67] op_sel:[0,1]
	s_wait_loadcnt_dscnt 0x202
	v_pk_mul_f32 v[70:71], v[56:57], v[64:65] op_sel:[0,1]
	;; [unrolled: 2-line block ×3, first 2 shown]
	v_pk_fma_f32 v[72:73], v[40:41], v[66:67], v[68:69] op_sel_hi:[1,0,1]
	v_pk_fma_f32 v[66:67], v[40:41], v[66:67], v[68:69] neg_lo:[0,0,1] neg_hi:[0,0,1]
	v_pk_fma_f32 v[68:69], v[42:43], v[64:65], v[70:71] op_sel_hi:[1,0,1]
	v_pk_fma_f32 v[64:65], v[42:43], v[64:65], v[70:71] neg_lo:[0,0,1] neg_hi:[0,0,1]
	v_pk_fma_f32 v[70:71], v[44:45], v[62:63], v[74:75] op_sel_hi:[1,0,1]
	v_mov_b32_e32 v67, v73
	v_pk_fma_f32 v[62:63], v[44:45], v[62:63], v[74:75] neg_lo:[0,0,1] neg_hi:[0,0,1]
	v_mov_b32_e32 v65, v69
	s_delay_alu instid0(VALU_DEP_3) | instskip(SKIP_2) | instid1(VALU_DEP_2)
	v_pk_add_f32 v[34:35], v[34:35], v[66:67]
	s_wait_loadcnt_dscnt 0x0
	v_pk_mul_f32 v[66:67], v[50:51], v[60:61] op_sel:[0,1]
	v_pk_add_f32 v[34:35], v[64:65], v[34:35]
	s_delay_alu instid0(VALU_DEP_2) | instskip(SKIP_2) | instid1(VALU_DEP_3)
	v_pk_fma_f32 v[64:65], v[46:47], v[60:61], v[66:67] op_sel_hi:[1,0,1]
	v_mov_b32_e32 v63, v71
	v_pk_fma_f32 v[60:61], v[46:47], v[60:61], v[66:67] neg_lo:[0,0,1] neg_hi:[0,0,1]
	v_mov_b32_e32 v61, v65
	s_delay_alu instid0(VALU_DEP_3) | instskip(NEXT) | instid1(VALU_DEP_1)
	v_pk_add_f32 v[34:35], v[62:63], v[34:35]
	v_pk_add_f32 v[34:35], v[60:61], v[34:35]
.LBB295_45:                             ;   in Loop: Header=BB295_5 Depth=1
	s_or_b32 exec_lo, exec_lo, s7
	s_wait_loadcnt_dscnt 0x303
	v_pk_mul_f32 v[58:59], v[58:59], v[52:53] op_sel:[0,1]
	s_wait_loadcnt_dscnt 0x202
	v_pk_mul_f32 v[56:57], v[56:57], v[48:49] op_sel:[0,1]
	;; [unrolled: 2-line block ×3, first 2 shown]
	v_pk_fma_f32 v[60:61], v[40:41], v[52:53], v[58:59] op_sel_hi:[1,0,1]
	v_pk_fma_f32 v[40:41], v[40:41], v[52:53], v[58:59] neg_lo:[0,0,1] neg_hi:[0,0,1]
	v_pk_fma_f32 v[52:53], v[42:43], v[48:49], v[56:57] op_sel_hi:[1,0,1]
	v_pk_fma_f32 v[42:43], v[42:43], v[48:49], v[56:57] neg_lo:[0,0,1] neg_hi:[0,0,1]
	v_pk_fma_f32 v[48:49], v[44:45], v[38:39], v[54:55] op_sel_hi:[1,0,1]
	v_mov_b32_e32 v41, v61
	v_pk_fma_f32 v[38:39], v[44:45], v[38:39], v[54:55] neg_lo:[0,0,1] neg_hi:[0,0,1]
	v_mov_b32_e32 v43, v53
	s_delay_alu instid0(VALU_DEP_3) | instskip(SKIP_2) | instid1(VALU_DEP_2)
	v_pk_add_f32 v[28:29], v[28:29], v[40:41]
	s_wait_loadcnt_dscnt 0x0
	v_pk_mul_f32 v[40:41], v[50:51], v[36:37] op_sel:[0,1]
	v_pk_add_f32 v[28:29], v[42:43], v[28:29]
	s_delay_alu instid0(VALU_DEP_2) | instskip(SKIP_2) | instid1(VALU_DEP_3)
	v_pk_fma_f32 v[42:43], v[46:47], v[36:37], v[40:41] op_sel_hi:[1,0,1]
	v_mov_b32_e32 v39, v49
	v_pk_fma_f32 v[36:37], v[46:47], v[36:37], v[40:41] neg_lo:[0,0,1] neg_hi:[0,0,1]
	v_mov_b32_e32 v37, v43
	s_delay_alu instid0(VALU_DEP_3) | instskip(NEXT) | instid1(VALU_DEP_1)
	v_pk_add_f32 v[28:29], v[38:39], v[28:29]
	v_pk_add_f32 v[28:29], v[36:37], v[28:29]
.LBB295_46:                             ;   in Loop: Header=BB295_5 Depth=1
	s_or_b32 exec_lo, exec_lo, s48
.LBB295_47:                             ;   in Loop: Header=BB295_5 Depth=1
	ds_store_2addr_stride64_b64 v95, v[28:29], v[34:35] offset1:1
	ds_store_2addr_stride64_b64 v95, v[32:33], v[30:31] offset0:2 offset1:3
	s_wait_storecnt 0x0
	s_wait_loadcnt_dscnt 0x0
	s_barrier_signal -1
	s_barrier_wait -1
	s_and_saveexec_b32 s8, s5
	s_cbranch_execz .LBB295_3
; %bb.48:                               ;   in Loop: Header=BB295_5 Depth=1
	ds_load_2addr_stride64_b64 v[28:31], v96 offset1:4
	ds_load_2addr_stride64_b64 v[32:35], v96 offset0:8 offset1:12
	s_wait_dscnt 0x1
	v_pk_add_f32 v[28:29], v[28:29], v[30:31]
	s_wait_dscnt 0x0
	s_delay_alu instid0(VALU_DEP_1) | instskip(NEXT) | instid1(VALU_DEP_1)
	v_pk_add_f32 v[28:29], v[28:29], v[32:33]
	v_pk_add_f32 v[30:31], v[28:29], v[34:35]
	ds_store_b64 v96, v[30:31]
	s_and_b32 exec_lo, exec_lo, s6
	s_cbranch_execz .LBB295_3
; %bb.49:                               ;   in Loop: Header=BB295_5 Depth=1
	v_mov_b64_e32 v[32:33], s[44:45]
	v_cmp_neq_f32_e32 vcc_lo, 0, v24
	v_cmp_neq_f32_e64 s7, 0, v25
	v_lshl_add_u64 v[26:27], v[4:5], 3, v[26:27]
	s_or_b32 s7, vcc_lo, s7
	v_pk_mul_f32 v[34:35], v[30:31], v[32:33] op_sel:[1,1] op_sel_hi:[1,0]
	s_and_not1_b32 vcc_lo, exec_lo, s7
	s_delay_alu instid0(VALU_DEP_1)
	v_pk_fma_f32 v[28:29], v[30:31], v[32:33], v[34:35] op_sel_hi:[0,1,1] neg_lo:[0,0,1] neg_hi:[0,0,1]
	v_pk_fma_f32 v[30:31], v[30:31], v[32:33], v[34:35] op_sel_hi:[0,1,1]
	s_cbranch_vccnz .LBB295_2
; %bb.50:                               ;   in Loop: Header=BB295_5 Depth=1
	flat_load_b64 v[32:33], v[26:27]
	s_wait_loadcnt_dscnt 0x0
	v_pk_mul_f32 v[34:35], v[24:25], v[32:33] op_sel:[1,1] op_sel_hi:[0,1]
	s_delay_alu instid0(VALU_DEP_1) | instskip(SKIP_1) | instid1(VALU_DEP_2)
	v_pk_fma_f32 v[36:37], v[24:25], v[32:33], v[34:35] op_sel_hi:[1,0,1]
	v_pk_fma_f32 v[24:25], v[24:25], v[32:33], v[34:35] neg_lo:[0,0,1] neg_hi:[0,0,1]
	v_dual_mov_b32 v29, v31 :: v_dual_mov_b32 v25, v37
	s_delay_alu instid0(VALU_DEP_1) | instskip(NEXT) | instid1(VALU_DEP_1)
	v_pk_add_f32 v[28:29], v[28:29], v[24:25]
	v_mov_b32_e32 v31, v29
	s_branch .LBB295_2
.LBB295_51:
	s_sendmsg sendmsg(MSG_DEALLOC_VGPRS)
	s_endpgm
	.section	.rodata,"a",@progbits
	.p2align	6, 0x0
	.amdhsa_kernel _ZL20rocblas_gemvn_kernelILi64ELi4ElPK19rocblas_complex_numIfES3_KPS1_EviiT3_lPKT2_lT1_lS9_lSA_lS6_lPT4_lSA_li
		.amdhsa_group_segment_fixed_size 8192
		.amdhsa_private_segment_fixed_size 0
		.amdhsa_kernarg_size 400
		.amdhsa_user_sgpr_count 2
		.amdhsa_user_sgpr_dispatch_ptr 0
		.amdhsa_user_sgpr_queue_ptr 0
		.amdhsa_user_sgpr_kernarg_segment_ptr 1
		.amdhsa_user_sgpr_dispatch_id 0
		.amdhsa_user_sgpr_kernarg_preload_length 0
		.amdhsa_user_sgpr_kernarg_preload_offset 0
		.amdhsa_user_sgpr_private_segment_size 0
		.amdhsa_wavefront_size32 1
		.amdhsa_uses_dynamic_stack 0
		.amdhsa_enable_private_segment 0
		.amdhsa_system_sgpr_workgroup_id_x 1
		.amdhsa_system_sgpr_workgroup_id_y 0
		.amdhsa_system_sgpr_workgroup_id_z 1
		.amdhsa_system_sgpr_workgroup_info 0
		.amdhsa_system_vgpr_workitem_id 1
		.amdhsa_next_free_vgpr 106
		.amdhsa_next_free_sgpr 51
		.amdhsa_named_barrier_count 0
		.amdhsa_reserve_vcc 1
		.amdhsa_float_round_mode_32 0
		.amdhsa_float_round_mode_16_64 0
		.amdhsa_float_denorm_mode_32 3
		.amdhsa_float_denorm_mode_16_64 3
		.amdhsa_fp16_overflow 0
		.amdhsa_memory_ordered 1
		.amdhsa_forward_progress 1
		.amdhsa_inst_pref_size 32
		.amdhsa_round_robin_scheduling 0
		.amdhsa_exception_fp_ieee_invalid_op 0
		.amdhsa_exception_fp_denorm_src 0
		.amdhsa_exception_fp_ieee_div_zero 0
		.amdhsa_exception_fp_ieee_overflow 0
		.amdhsa_exception_fp_ieee_underflow 0
		.amdhsa_exception_fp_ieee_inexact 0
		.amdhsa_exception_int_div_zero 0
	.end_amdhsa_kernel
	.section	.text._ZL20rocblas_gemvn_kernelILi64ELi4ElPK19rocblas_complex_numIfES3_KPS1_EviiT3_lPKT2_lT1_lS9_lSA_lS6_lPT4_lSA_li,"axG",@progbits,_ZL20rocblas_gemvn_kernelILi64ELi4ElPK19rocblas_complex_numIfES3_KPS1_EviiT3_lPKT2_lT1_lS9_lSA_lS6_lPT4_lSA_li,comdat
.Lfunc_end295:
	.size	_ZL20rocblas_gemvn_kernelILi64ELi4ElPK19rocblas_complex_numIfES3_KPS1_EviiT3_lPKT2_lT1_lS9_lSA_lS6_lPT4_lSA_li, .Lfunc_end295-_ZL20rocblas_gemvn_kernelILi64ELi4ElPK19rocblas_complex_numIfES3_KPS1_EviiT3_lPKT2_lT1_lS9_lSA_lS6_lPT4_lSA_li
                                        ; -- End function
	.set _ZL20rocblas_gemvn_kernelILi64ELi4ElPK19rocblas_complex_numIfES3_KPS1_EviiT3_lPKT2_lT1_lS9_lSA_lS6_lPT4_lSA_li.num_vgpr, 106
	.set _ZL20rocblas_gemvn_kernelILi64ELi4ElPK19rocblas_complex_numIfES3_KPS1_EviiT3_lPKT2_lT1_lS9_lSA_lS6_lPT4_lSA_li.num_agpr, 0
	.set _ZL20rocblas_gemvn_kernelILi64ELi4ElPK19rocblas_complex_numIfES3_KPS1_EviiT3_lPKT2_lT1_lS9_lSA_lS6_lPT4_lSA_li.numbered_sgpr, 51
	.set _ZL20rocblas_gemvn_kernelILi64ELi4ElPK19rocblas_complex_numIfES3_KPS1_EviiT3_lPKT2_lT1_lS9_lSA_lS6_lPT4_lSA_li.num_named_barrier, 0
	.set _ZL20rocblas_gemvn_kernelILi64ELi4ElPK19rocblas_complex_numIfES3_KPS1_EviiT3_lPKT2_lT1_lS9_lSA_lS6_lPT4_lSA_li.private_seg_size, 0
	.set _ZL20rocblas_gemvn_kernelILi64ELi4ElPK19rocblas_complex_numIfES3_KPS1_EviiT3_lPKT2_lT1_lS9_lSA_lS6_lPT4_lSA_li.uses_vcc, 1
	.set _ZL20rocblas_gemvn_kernelILi64ELi4ElPK19rocblas_complex_numIfES3_KPS1_EviiT3_lPKT2_lT1_lS9_lSA_lS6_lPT4_lSA_li.uses_flat_scratch, 1
	.set _ZL20rocblas_gemvn_kernelILi64ELi4ElPK19rocblas_complex_numIfES3_KPS1_EviiT3_lPKT2_lT1_lS9_lSA_lS6_lPT4_lSA_li.has_dyn_sized_stack, 0
	.set _ZL20rocblas_gemvn_kernelILi64ELi4ElPK19rocblas_complex_numIfES3_KPS1_EviiT3_lPKT2_lT1_lS9_lSA_lS6_lPT4_lSA_li.has_recursion, 0
	.set _ZL20rocblas_gemvn_kernelILi64ELi4ElPK19rocblas_complex_numIfES3_KPS1_EviiT3_lPKT2_lT1_lS9_lSA_lS6_lPT4_lSA_li.has_indirect_call, 0
	.section	.AMDGPU.csdata,"",@progbits
; Kernel info:
; codeLenInByte = 4020
; TotalNumSgprs: 53
; NumVgprs: 106
; ScratchSize: 0
; MemoryBound: 0
; FloatMode: 240
; IeeeMode: 1
; LDSByteSize: 8192 bytes/workgroup (compile time only)
; SGPRBlocks: 0
; VGPRBlocks: 6
; NumSGPRsForWavesPerEU: 53
; NumVGPRsForWavesPerEU: 106
; NamedBarCnt: 0
; Occupancy: 9
; WaveLimiterHint : 1
; COMPUTE_PGM_RSRC2:SCRATCH_EN: 0
; COMPUTE_PGM_RSRC2:USER_SGPR: 2
; COMPUTE_PGM_RSRC2:TRAP_HANDLER: 0
; COMPUTE_PGM_RSRC2:TGID_X_EN: 1
; COMPUTE_PGM_RSRC2:TGID_Y_EN: 0
; COMPUTE_PGM_RSRC2:TGID_Z_EN: 1
; COMPUTE_PGM_RSRC2:TIDIG_COMP_CNT: 1
	.section	.text._ZL20rocblas_gemvn_kernelILi64ELi4EiPK19rocblas_complex_numIfES1_KPS1_EviiT3_lPKT2_lT1_lS9_lSA_lS6_lPT4_lSA_li,"axG",@progbits,_ZL20rocblas_gemvn_kernelILi64ELi4EiPK19rocblas_complex_numIfES1_KPS1_EviiT3_lPKT2_lT1_lS9_lSA_lS6_lPT4_lSA_li,comdat
	.globl	_ZL20rocblas_gemvn_kernelILi64ELi4EiPK19rocblas_complex_numIfES1_KPS1_EviiT3_lPKT2_lT1_lS9_lSA_lS6_lPT4_lSA_li ; -- Begin function _ZL20rocblas_gemvn_kernelILi64ELi4EiPK19rocblas_complex_numIfES1_KPS1_EviiT3_lPKT2_lT1_lS9_lSA_lS6_lPT4_lSA_li
	.p2align	8
	.type	_ZL20rocblas_gemvn_kernelILi64ELi4EiPK19rocblas_complex_numIfES1_KPS1_EviiT3_lPKT2_lT1_lS9_lSA_lS6_lPT4_lSA_li,@function
_ZL20rocblas_gemvn_kernelILi64ELi4EiPK19rocblas_complex_numIfES1_KPS1_EviiT3_lPKT2_lT1_lS9_lSA_lS6_lPT4_lSA_li: ; @_ZL20rocblas_gemvn_kernelILi64ELi4EiPK19rocblas_complex_numIfES1_KPS1_EviiT3_lPKT2_lT1_lS9_lSA_lS6_lPT4_lSA_li
; %bb.0:
	s_clause 0x1
	s_load_b64 s[4:5], s[0:1], 0x9c
	s_load_b32 s33, s[0:1], 0x88
	s_bfe_u32 s2, ttmp6, 0x40014
	s_lshr_b32 s3, ttmp7, 16
	s_add_co_i32 s2, s2, 1
	s_bfe_u32 s6, ttmp6, 0x40008
	s_mul_i32 s7, s3, s2
	s_getreg_b32 s2, hwreg(HW_REG_IB_STS2, 6, 4)
	s_add_co_i32 s6, s6, s7
	s_mov_b32 s25, 0
	s_wait_kmcnt 0x0
	s_lshr_b32 s7, s4, 16
	s_and_b32 s4, s4, 0xffff
	s_and_b32 s5, s5, 0xffff
	s_mul_i32 s4, s7, s4
	s_cmp_eq_u32 s2, 0
	s_mul_i32 s4, s4, s5
	s_cselect_b32 s24, s3, s6
	s_cmp_lg_u32 s4, 0x100
	s_cselect_b32 s3, -1, 0
	s_cmp_ge_u32 s24, s33
	s_cselect_b32 s4, -1, 0
	s_delay_alu instid0(SALU_CYCLE_1) | instskip(NEXT) | instid1(SALU_CYCLE_1)
	s_or_b32 s3, s3, s4
	s_and_b32 vcc_lo, exec_lo, s3
	s_cbranch_vccnz .LBB296_53
; %bb.1:
	s_clause 0x7
	s_load_b32 s4, s[0:1], 0x78
	s_load_b128 s[8:11], s[0:1], 0x0
	s_load_b64 s[26:27], s[0:1], 0x58
	s_load_b128 s[12:15], s[0:1], 0x18
	s_load_b128 s[16:19], s[0:1], 0x68
	s_load_b32 s34, s[0:1], 0x28
	s_load_b128 s[20:23], s[0:1], 0x38
	s_load_b32 s35, s[0:1], 0x48
	v_and_b32_e32 v6, 0x3ff, v0
	v_bfe_u32 v7, v0, 10, 10
	s_delay_alu instid0(VALU_DEP_2) | instskip(NEXT) | instid1(VALU_DEP_2)
	v_dual_mov_b32 v1, 0 :: v_dual_lshlrev_b32 v0, 3, v6
	v_lshl_add_u32 v2, v7, 6, v6
	s_delay_alu instid0(VALU_DEP_2)
	v_lshl_add_u32 v65, v7, 11, v0
	v_lshl_add_u32 v66, v7, 9, v0
	s_wait_kmcnt 0x0
	s_ashr_i32 s5, s4, 31
	s_cmp_neq_f32 s10, 0
	s_mov_b32 s6, s8
	v_mul_lo_u32 v11, v7, s34
	s_mov_b32 s28, s27
	s_cselect_b32 s3, -1, 0
	s_cmp_neq_f32 s11, 0
	s_mov_b32 s29, s26
	s_mov_b32 s30, s11
	s_cselect_b32 s0, -1, 0
	s_delay_alu instid0(SALU_CYCLE_1) | instskip(SKIP_2) | instid1(VALU_DEP_2)
	s_or_b32 s31, s3, s0
	s_cmp_neq_f32 s26, 1.0
	v_cmp_gt_u32_e64 s0, 0x100, v2
	v_lshl_add_u32 v70, v11, 2, v6
	s_cselect_b32 s41, -1, 0
	s_cmp_neq_f32 s27, 0
	s_cselect_b32 s44, -1, 0
	s_or_b32 s1, s10, s11
	s_delay_alu instid0(SALU_CYCLE_1) | instskip(NEXT) | instid1(SALU_CYCLE_1)
	s_bitset0_b32 s1, 31
	s_cmp_lg_u32 s1, 0
	s_cselect_b32 s36, -1, 0
	s_cmp_eq_u32 s1, 0
	s_cselect_b32 s37, -1, 0
	s_bfe_u32 s1, ttmp6, 0x4000c
	s_and_b32 s3, ttmp6, 15
	s_add_co_i32 s1, s1, 1
	s_delay_alu instid0(SALU_CYCLE_1) | instskip(NEXT) | instid1(SALU_CYCLE_1)
	s_mul_i32 s1, ttmp9, s1
	s_add_co_i32 s3, s3, s1
	s_cmp_eq_u32 s2, 0
	s_cselect_b32 s1, ttmp9, s3
	s_ashr_i32 s7, s8, 31
	s_lshl_b32 s38, s1, 8
	s_delay_alu instid0(SALU_CYCLE_1) | instskip(SKIP_3) | instid1(VALU_DEP_3)
	v_dual_lshlrev_b32 v64, 2, v7 :: v_dual_add_nc_u32 v0, s38, v2
	s_cmp_neq_f32 s26, 0
	v_or_b32_e32 v4, s38, v2
	v_mul_lo_u32 v7, v7, s35
	v_or_b32_e32 v9, 3, v64
	v_mul_u64_e32 v[2:3], s[4:5], v[0:1]
	s_cselect_b32 s1, -1, 0
	s_ashr_i32 s2, s9, 31
	v_mul_lo_u32 v10, s34, v64
	s_lshr_b32 s3, s2, 28
	v_cmp_gt_i32_e64 s2, s8, v4
	v_mul_lo_u32 v4, s4, v4
	v_or_b32_e32 v67, s38, v6
	s_add_co_i32 s3, s9, s3
	v_cmp_gt_i64_e32 vcc_lo, s[6:7], v[0:1]
	v_mad_u32 v71, s35, v64, s35
	v_lshlrev_b32_e32 v74, 2, v7
	v_add_nc_u32_e32 v5, 0x80, v67
	v_mad_u32 v69, s34, v9, v6
	v_mul_lo_u32 v73, s35, v9
	s_and_b32 s40, s3, -16
	s_or_b32 s39, s1, s44
	v_cmp_gt_i32_e64 s4, s8, v5
	v_ashrrev_i32_e32 v5, 31, v4
	v_dual_add_nc_u32 v0, 64, v67 :: v_dual_bitop2_b32 v8, 2, v64 bitop3:0x54
	v_add_nc_u32_e32 v12, 0xc0, v67
	s_sub_co_i32 s6, s9, s40
	v_cmp_gt_i32_e64 s1, s8, v67
	s_delay_alu instid0(VALU_DEP_3)
	v_mad_u32 v68, s34, v8, v6
	v_mul_lo_u32 v72, s35, v8
	s_cmp_gt_i32 s6, 0
	v_cmp_gt_i32_e64 s3, s8, v0
	v_cmp_gt_i32_e64 s5, s8, v12
	;; [unrolled: 1-line block ×3, first 2 shown]
	v_add3_u32 v0, v10, s34, v6
	s_cselect_b32 s8, -1, 0
	s_or_b32 s7, s31, s41
	s_and_b32 s41, s0, vcc_lo
	s_mov_b32 s31, s10
	s_lshl_b32 s42, s34, 4
	s_lshl_b32 s43, s35, 4
	s_or_b32 s44, s7, s44
	s_lshl_b64 s[14:15], s[14:15], 3
	s_lshl_b64 s[22:23], s[22:23], 3
	;; [unrolled: 1-line block ×3, first 2 shown]
	s_branch .LBB296_5
.LBB296_2:                              ;   in Loop: Header=BB296_5 Depth=1
	s_delay_alu instid0(VALU_DEP_1)
	v_mov_b32_e32 v9, v11
	flat_store_b64 v[6:7], v[8:9]
.LBB296_3:                              ;   in Loop: Header=BB296_5 Depth=1
	s_wait_xcnt 0x0
	s_or_b32 exec_lo, exec_lo, s7
.LBB296_4:                              ;   in Loop: Header=BB296_5 Depth=1
	s_add_co_i32 s24, s24, 0x10000
	s_delay_alu instid0(SALU_CYCLE_1)
	s_cmp_lt_u32 s24, s33
	s_cbranch_scc0 .LBB296_53
.LBB296_5:                              ; =>This Loop Header: Depth=1
                                        ;     Child Loop BB296_25 Depth 2
	s_and_not1_b32 vcc_lo, exec_lo, s44
	s_cbranch_vccnz .LBB296_4
; %bb.6:                                ;   in Loop: Header=BB296_5 Depth=1
	s_and_not1_b32 vcc_lo, exec_lo, s37
	s_cbranch_vccnz .LBB296_8
; %bb.7:                                ;   in Loop: Header=BB296_5 Depth=1
	v_mov_b64_e32 v[18:19], 0
	v_mov_b64_e32 v[16:17], 0
	s_cbranch_execz .LBB296_9
	s_branch .LBB296_10
.LBB296_8:                              ;   in Loop: Header=BB296_5 Depth=1
	v_mov_b64_e32 v[18:19], 0
	v_mov_b64_e32 v[16:17], 0
.LBB296_9:                              ;   in Loop: Header=BB296_5 Depth=1
	s_wait_xcnt 0x0
	s_lshl_b64 s[46:47], s[24:25], 3
	s_delay_alu instid0(SALU_CYCLE_1)
	s_add_nc_u64 s[46:47], s[12:13], s[46:47]
	global_load_b64 v[6:7], v1, s[46:47]
	s_wait_loadcnt 0x0
	v_add_nc_u64_e32 v[16:17], s[14:15], v[6:7]
.LBB296_10:                             ;   in Loop: Header=BB296_5 Depth=1
	s_and_not1_b32 vcc_lo, exec_lo, s36
	s_cbranch_vccnz .LBB296_12
; %bb.11:                               ;   in Loop: Header=BB296_5 Depth=1
	s_wait_xcnt 0x0
	s_lshl_b64 s[46:47], s[24:25], 3
	s_delay_alu instid0(SALU_CYCLE_1)
	s_add_nc_u64 s[46:47], s[20:21], s[46:47]
	global_load_b64 v[6:7], v1, s[46:47]
	s_wait_loadcnt 0x0
	v_add_nc_u64_e32 v[18:19], s[22:23], v[6:7]
.LBB296_12:                             ;   in Loop: Header=BB296_5 Depth=1
	s_wait_xcnt 0x0
	s_lshl_b64 s[46:47], s[24:25], 3
	s_and_not1_b32 vcc_lo, exec_lo, s37
	s_add_nc_u64 s[46:47], s[16:17], s[46:47]
	s_mov_b32 s7, -1
	global_load_b64 v[6:7], v1, s[46:47]
	s_wait_loadcnt 0x0
	v_add_nc_u64_e32 v[6:7], s[18:19], v[6:7]
	s_cbranch_vccnz .LBB296_18
; %bb.13:                               ;   in Loop: Header=BB296_5 Depth=1
	s_wait_xcnt 0x0
	s_and_saveexec_b32 s7, s41
	s_cbranch_execz .LBB296_17
; %bb.14:                               ;   in Loop: Header=BB296_5 Depth=1
	v_dual_mov_b32 v10, 0 :: v_dual_mov_b32 v11, 0
	s_delay_alu instid0(VALU_DEP_2)
	v_lshl_add_u64 v[8:9], v[2:3], 3, v[6:7]
	s_and_not1_b32 vcc_lo, exec_lo, s39
	s_cbranch_vccnz .LBB296_16
; %bb.15:                               ;   in Loop: Header=BB296_5 Depth=1
	flat_load_b64 v[10:11], v[8:9]
	v_mov_b64_e32 v[12:13], s[28:29]
	v_mov_b64_e32 v[14:15], s[26:27]
	s_wait_loadcnt_dscnt 0x0
	s_delay_alu instid0(VALU_DEP_2) | instskip(NEXT) | instid1(VALU_DEP_1)
	v_pk_mul_f32 v[12:13], v[12:13], v[10:11] op_sel:[0,1]
	v_pk_fma_f32 v[20:21], v[14:15], v[10:11], v[12:13] op_sel_hi:[1,0,1]
	v_pk_fma_f32 v[10:11], v[14:15], v[10:11], v[12:13] neg_lo:[0,0,1] neg_hi:[0,0,1]
	s_delay_alu instid0(VALU_DEP_2)
	v_mov_b32_e32 v11, v21
.LBB296_16:                             ;   in Loop: Header=BB296_5 Depth=1
	flat_store_b64 v[8:9], v[10:11]
.LBB296_17:                             ;   in Loop: Header=BB296_5 Depth=1
	s_wait_xcnt 0x0
	s_or_b32 exec_lo, exec_lo, s7
	s_mov_b32 s7, 0
.LBB296_18:                             ;   in Loop: Header=BB296_5 Depth=1
	s_delay_alu instid0(SALU_CYCLE_1)
	s_and_not1_b32 vcc_lo, exec_lo, s7
	s_cbranch_vccnz .LBB296_4
; %bb.19:                               ;   in Loop: Header=BB296_5 Depth=1
	v_mov_b64_e32 v[10:11], 0
	v_mov_b64_e32 v[12:13], 0
	;; [unrolled: 1-line block ×4, first 2 shown]
	v_mov_b32_e32 v75, v64
	s_wait_xcnt 0x0
	s_and_saveexec_b32 s7, s6
	s_cbranch_execz .LBB296_31
; %bb.20:                               ;   in Loop: Header=BB296_5 Depth=1
	v_mov_b64_e32 v[8:9], 0
	v_mov_b64_e32 v[14:15], 0
	;; [unrolled: 1-line block ×4, first 2 shown]
	v_dual_mov_b32 v76, v70 :: v_dual_mov_b32 v77, v69
	v_dual_mov_b32 v78, v68 :: v_dual_mov_b32 v79, v0
	v_mov_b32_e32 v75, v64
	s_mov_b32 s45, 0
	s_mov_b32 s46, 0
	s_branch .LBB296_25
.LBB296_21:                             ;   in Loop: Header=BB296_25 Depth=2
	s_or_b32 exec_lo, exec_lo, s50
	s_wait_loadcnt_dscnt 0x303
	v_dual_mul_f32 v56, v31, v55 :: v_dual_mul_f32 v57, v30, v55
	s_wait_loadcnt_dscnt 0x202
	v_dual_mul_f32 v60, v29, v53 :: v_dual_mul_f32 v55, v28, v53
	s_wait_loadcnt_dscnt 0x101
	v_pk_mul_f32 v[58:59], v[46:47], v[50:51] op_sel:[0,1]
	v_dual_fma_f32 v56, v30, v54, -v56 :: v_dual_fmac_f32 v57, v31, v54
	s_delay_alu instid0(VALU_DEP_3) | instskip(NEXT) | instid1(VALU_DEP_3)
	v_dual_fma_f32 v54, v28, v52, -v60 :: v_dual_fmac_f32 v55, v29, v52
	v_pk_fma_f32 v[52:53], v[22:23], v[50:51], v[58:59] op_sel_hi:[1,0,1]
	v_pk_fma_f32 v[50:51], v[22:23], v[50:51], v[58:59] neg_lo:[0,0,1] neg_hi:[0,0,1]
	s_delay_alu instid0(VALU_DEP_4) | instskip(SKIP_3) | instid1(VALU_DEP_3)
	v_pk_add_f32 v[12:13], v[12:13], v[56:57]
	s_wait_loadcnt_dscnt 0x0
	v_pk_mul_f32 v[56:57], v[40:41], v[48:49] op_sel:[0,1]
	v_mov_b32_e32 v51, v53
	v_pk_add_f32 v[12:13], v[54:55], v[12:13]
	s_delay_alu instid0(VALU_DEP_3) | instskip(SKIP_1) | instid1(VALU_DEP_2)
	v_pk_fma_f32 v[52:53], v[20:21], v[48:49], v[56:57] op_sel_hi:[1,0,1]
	v_pk_fma_f32 v[48:49], v[20:21], v[48:49], v[56:57] neg_lo:[0,0,1] neg_hi:[0,0,1]
	v_mov_b32_e32 v49, v53
	s_delay_alu instid0(VALU_DEP_4) | instskip(NEXT) | instid1(VALU_DEP_1)
	v_pk_add_f32 v[12:13], v[50:51], v[12:13]
	v_pk_add_f32 v[12:13], v[48:49], v[12:13]
.LBB296_22:                             ;   in Loop: Header=BB296_25 Depth=2
	s_or_b32 exec_lo, exec_lo, s49
	s_wait_loadcnt_dscnt 0x303
	v_dual_mul_f32 v48, v31, v45 :: v_dual_mul_f32 v49, v30, v45
	s_wait_loadcnt_dscnt 0x202
	v_dual_mul_f32 v50, v29, v43 :: v_dual_mul_f32 v45, v28, v43
	s_wait_loadcnt_dscnt 0x101
	v_pk_mul_f32 v[46:47], v[46:47], v[38:39] op_sel:[0,1]
	v_dual_fma_f32 v48, v30, v44, -v48 :: v_dual_fmac_f32 v49, v31, v44
	s_delay_alu instid0(VALU_DEP_3) | instskip(NEXT) | instid1(VALU_DEP_3)
	v_dual_fma_f32 v44, v28, v42, -v50 :: v_dual_fmac_f32 v45, v29, v42
	v_pk_fma_f32 v[42:43], v[22:23], v[38:39], v[46:47] op_sel_hi:[1,0,1]
	s_wait_loadcnt_dscnt 0x0
	v_pk_mul_f32 v[40:41], v[40:41], v[36:37] op_sel:[0,1]
	v_pk_add_f32 v[14:15], v[14:15], v[48:49]
	v_pk_fma_f32 v[38:39], v[22:23], v[38:39], v[46:47] neg_lo:[0,0,1] neg_hi:[0,0,1]
	v_mov_b32_e32 v39, v43
	s_delay_alu instid0(VALU_DEP_4) | instskip(NEXT) | instid1(VALU_DEP_4)
	v_pk_fma_f32 v[42:43], v[20:21], v[36:37], v[40:41] op_sel_hi:[1,0,1]
	v_pk_add_f32 v[14:15], v[44:45], v[14:15]
	v_pk_fma_f32 v[36:37], v[20:21], v[36:37], v[40:41] neg_lo:[0,0,1] neg_hi:[0,0,1]
	s_delay_alu instid0(VALU_DEP_3) | instskip(NEXT) | instid1(VALU_DEP_3)
	v_mov_b32_e32 v37, v43
	v_pk_add_f32 v[14:15], v[38:39], v[14:15]
	s_delay_alu instid0(VALU_DEP_1)
	v_pk_add_f32 v[14:15], v[36:37], v[14:15]
.LBB296_23:                             ;   in Loop: Header=BB296_25 Depth=2
	s_or_b32 exec_lo, exec_lo, s48
	s_wait_loadcnt_dscnt 0x303
	v_dual_mul_f32 v36, v31, v35 :: v_dual_mul_f32 v37, v30, v35
	s_wait_loadcnt_dscnt 0x202
	v_dual_mul_f32 v40, v29, v33 :: v_dual_mul_f32 v35, v28, v33
	s_wait_loadcnt_dscnt 0x101
	v_pk_mul_f32 v[38:39], v[22:23], v[26:27] op_sel:[1,1] op_sel_hi:[0,1]
	v_dual_fma_f32 v36, v30, v34, -v36 :: v_dual_fmac_f32 v37, v31, v34
	s_delay_alu instid0(VALU_DEP_3) | instskip(NEXT) | instid1(VALU_DEP_3)
	v_dual_fma_f32 v34, v28, v32, -v40 :: v_dual_fmac_f32 v35, v29, v32
	v_pk_fma_f32 v[28:29], v[22:23], v[26:27], v[38:39] op_sel_hi:[1,0,1]
	s_wait_loadcnt_dscnt 0x0
	v_pk_mul_f32 v[30:31], v[20:21], v[24:25] op_sel:[1,1] op_sel_hi:[0,1]
	v_pk_add_f32 v[8:9], v[8:9], v[36:37]
	v_pk_fma_f32 v[22:23], v[22:23], v[26:27], v[38:39] neg_lo:[0,0,1] neg_hi:[0,0,1]
	s_delay_alu instid0(VALU_DEP_3) | instskip(SKIP_1) | instid1(VALU_DEP_4)
	v_pk_fma_f32 v[26:27], v[20:21], v[24:25], v[30:31] op_sel_hi:[1,0,1]
	v_mov_b32_e32 v23, v29
	v_pk_add_f32 v[8:9], v[34:35], v[8:9]
	v_pk_fma_f32 v[20:21], v[20:21], v[24:25], v[30:31] neg_lo:[0,0,1] neg_hi:[0,0,1]
	s_delay_alu instid0(VALU_DEP_4) | instskip(NEXT) | instid1(VALU_DEP_3)
	v_mov_b32_e32 v21, v27
	v_pk_add_f32 v[8:9], v[22:23], v[8:9]
	s_delay_alu instid0(VALU_DEP_1)
	v_pk_add_f32 v[8:9], v[20:21], v[8:9]
.LBB296_24:                             ;   in Loop: Header=BB296_25 Depth=2
	s_or_b32 exec_lo, exec_lo, s47
	v_dual_add_nc_u32 v75, 16, v75 :: v_dual_add_nc_u32 v78, s42, v78
	v_dual_add_nc_u32 v79, s42, v79 :: v_dual_add_nc_u32 v77, s42, v77
	v_add_nc_u32_e32 v76, s42, v76
	s_delay_alu instid0(VALU_DEP_3) | instskip(SKIP_2) | instid1(SALU_CYCLE_1)
	v_cmp_le_i32_e32 vcc_lo, s40, v75
	s_add_co_i32 s46, s46, s43
	s_or_b32 s45, vcc_lo, s45
	s_and_not1_b32 exec_lo, exec_lo, s45
	s_cbranch_execz .LBB296_30
.LBB296_25:                             ;   Parent Loop BB296_5 Depth=1
                                        ; =>  This Inner Loop Header: Depth=2
	s_and_saveexec_b32 s47, s1
	s_cbranch_execz .LBB296_24
; %bb.26:                               ;   in Loop: Header=BB296_25 Depth=2
	v_dual_add_nc_u32 v37, s46, v74 :: v_dual_add_nc_u32 v39, s46, v71
	v_readfirstlane_b32 s48, v18
	v_readfirstlane_b32 s49, v19
	v_dual_add_nc_u32 v41, s46, v72 :: v_dual_add_nc_u32 v43, s46, v73
	v_dual_add_nc_u32 v36, s38, v76 :: v_dual_add_nc_u32 v38, s38, v79
	v_readfirstlane_b32 s50, v16
	v_readfirstlane_b32 s51, v17
	v_dual_add_nc_u32 v42, s38, v78 :: v_dual_add_nc_u32 v40, s38, v77
	s_clause 0x3
	flat_load_b64 v[30:31], v37, s[48:49] scale_offset
	flat_load_b64 v[28:29], v39, s[48:49] scale_offset
	;; [unrolled: 1-line block ×4, first 2 shown]
	s_clause 0x3
	flat_load_b64 v[34:35], v36, s[50:51] scale_offset
	flat_load_b64 v[32:33], v38, s[50:51] scale_offset
	;; [unrolled: 1-line block ×4, first 2 shown]
	s_wait_xcnt 0x0
	s_and_saveexec_b32 s48, s3
	s_cbranch_execz .LBB296_23
; %bb.27:                               ;   in Loop: Header=BB296_25 Depth=2
	v_dual_ashrrev_i32 v37, 31, v36 :: v_dual_ashrrev_i32 v39, 31, v38
	v_dual_ashrrev_i32 v43, 31, v42 :: v_dual_ashrrev_i32 v41, 31, v40
	s_wait_loadcnt_dscnt 0x505
	v_dual_mov_b32 v46, v23 :: v_dual_mov_b32 v47, v22
	s_delay_alu instid0(VALU_DEP_3)
	v_lshl_add_u64 v[56:57], v[36:37], 3, v[16:17]
	v_lshl_add_u64 v[58:59], v[38:39], 3, v[16:17]
	;; [unrolled: 1-line block ×4, first 2 shown]
	s_clause 0x3
	flat_load_b64 v[44:45], v[56:57] offset:512
	flat_load_b64 v[42:43], v[58:59] offset:512
	flat_load_b64 v[38:39], v[60:61] offset:512
	flat_load_b64 v[36:37], v[62:63] offset:512
	s_wait_loadcnt_dscnt 0x808
	v_dual_mov_b32 v40, v21 :: v_dual_mov_b32 v41, v20
	s_wait_xcnt 0x0
	s_and_saveexec_b32 s49, s4
	s_cbranch_execz .LBB296_22
; %bb.28:                               ;   in Loop: Header=BB296_25 Depth=2
	s_clause 0x3
	flat_load_b64 v[54:55], v[56:57] offset:1024
	flat_load_b64 v[52:53], v[58:59] offset:1024
	;; [unrolled: 1-line block ×4, first 2 shown]
	s_wait_xcnt 0x0
	s_and_saveexec_b32 s50, s5
	s_cbranch_execz .LBB296_21
; %bb.29:                               ;   in Loop: Header=BB296_25 Depth=2
	s_clause 0x3
	flat_load_b64 v[80:81], v[56:57] offset:1536
	flat_load_b64 v[82:83], v[58:59] offset:1536
	;; [unrolled: 1-line block ×4, first 2 shown]
	s_wait_loadcnt_dscnt 0x303
	s_wait_xcnt 0x3
	v_dual_mul_f32 v56, v31, v81 :: v_dual_mul_f32 v57, v30, v81
	s_wait_loadcnt_dscnt 0x202
	s_wait_xcnt 0x2
	v_dual_mul_f32 v58, v29, v83 :: v_dual_mul_f32 v59, v28, v83
	s_wait_loadcnt_dscnt 0x101
	s_wait_xcnt 0x1
	v_pk_mul_f32 v[60:61], v[46:47], v[84:85] op_sel:[0,1]
	v_dual_fma_f32 v56, v30, v80, -v56 :: v_dual_fmac_f32 v57, v31, v80
	v_dual_fma_f32 v58, v28, v82, -v58 :: v_dual_fmac_f32 v59, v29, v82
	s_wait_xcnt 0x0
	s_delay_alu instid0(VALU_DEP_3) | instskip(SKIP_4) | instid1(VALU_DEP_2)
	v_pk_fma_f32 v[62:63], v[22:23], v[84:85], v[60:61] op_sel_hi:[1,0,1]
	v_pk_fma_f32 v[60:61], v[22:23], v[84:85], v[60:61] neg_lo:[0,0,1] neg_hi:[0,0,1]
	v_pk_add_f32 v[10:11], v[10:11], v[56:57]
	s_wait_loadcnt_dscnt 0x0
	v_pk_mul_f32 v[56:57], v[40:41], v[86:87] op_sel:[0,1]
	v_pk_add_f32 v[10:11], v[58:59], v[10:11]
	s_delay_alu instid0(VALU_DEP_2) | instskip(SKIP_2) | instid1(VALU_DEP_3)
	v_pk_fma_f32 v[58:59], v[20:21], v[86:87], v[56:57] op_sel_hi:[1,0,1]
	v_mov_b32_e32 v61, v63
	v_pk_fma_f32 v[56:57], v[20:21], v[86:87], v[56:57] neg_lo:[0,0,1] neg_hi:[0,0,1]
	v_mov_b32_e32 v57, v59
	s_delay_alu instid0(VALU_DEP_3) | instskip(NEXT) | instid1(VALU_DEP_1)
	v_pk_add_f32 v[10:11], v[60:61], v[10:11]
	v_pk_add_f32 v[10:11], v[56:57], v[10:11]
	s_branch .LBB296_21
.LBB296_30:                             ;   in Loop: Header=BB296_5 Depth=1
	s_or_b32 exec_lo, exec_lo, s45
.LBB296_31:                             ;   in Loop: Header=BB296_5 Depth=1
	s_delay_alu instid0(SALU_CYCLE_1) | instskip(NEXT) | instid1(SALU_CYCLE_1)
	s_or_b32 exec_lo, exec_lo, s7
	s_and_not1_b32 vcc_lo, exec_lo, s8
	s_cbranch_vccnz .LBB296_49
; %bb.32:                               ;   in Loop: Header=BB296_5 Depth=1
	v_dual_mov_b32 v26, 0 :: v_dual_bitop2_b32 v28, 1, v75 bitop3:0x54
	v_cmp_gt_i32_e32 vcc_lo, s9, v75
	s_delay_alu instid0(VALU_DEP_2)
	v_dual_mov_b32 v27, v26 :: v_dual_mov_b32 v24, v26
	v_dual_mov_b32 v25, v26 :: v_dual_mov_b32 v22, v26
	;; [unrolled: 1-line block ×3, first 2 shown]
	v_mov_b32_e32 v21, v26
	s_and_saveexec_b32 s45, vcc_lo
	s_cbranch_execz .LBB296_40
; %bb.33:                               ;   in Loop: Header=BB296_5 Depth=1
	v_mul_lo_u32 v20, v75, s35
	v_readfirstlane_b32 s46, v18
	v_readfirstlane_b32 s47, v19
	v_dual_mov_b32 v23, 0 :: v_dual_mov_b32 v22, 0
	v_dual_mov_b32 v25, 0 :: v_dual_mov_b32 v24, 0
	;; [unrolled: 1-line block ×3, first 2 shown]
	flat_load_b64 v[20:21], v20, s[46:47] scale_offset
	s_wait_xcnt 0x0
	s_mov_b32 s46, exec_lo
	v_cmpx_gt_i32_e64 s9, v28
	s_cbranch_execz .LBB296_39
; %bb.34:                               ;   in Loop: Header=BB296_5 Depth=1
	v_mul_lo_u32 v22, v28, s35
	v_readfirstlane_b32 s48, v18
	v_readfirstlane_b32 s49, v19
	v_dual_mov_b32 v25, 0 :: v_dual_bitop2_b32 v29, 2, v75 bitop3:0x54
	v_dual_mov_b32 v24, 0 :: v_dual_mov_b32 v27, 0
	v_mov_b32_e32 v26, 0
	s_mov_b32 s47, exec_lo
	flat_load_b64 v[22:23], v22, s[48:49] scale_offset
	s_wait_xcnt 0x0
	v_cmpx_gt_i32_e64 s9, v29
	s_cbranch_execz .LBB296_38
; %bb.35:                               ;   in Loop: Header=BB296_5 Depth=1
	v_mul_lo_u32 v24, v29, s35
	v_readfirstlane_b32 s48, v18
	v_readfirstlane_b32 s49, v19
	v_dual_mov_b32 v27, 0 :: v_dual_bitop2_b32 v29, 3, v75 bitop3:0x54
	v_mov_b32_e32 v26, 0
	flat_load_b64 v[24:25], v24, s[48:49] scale_offset
	s_wait_xcnt 0x0
	s_mov_b32 s48, exec_lo
	v_cmpx_gt_i32_e64 s9, v29
	s_cbranch_execz .LBB296_37
; %bb.36:                               ;   in Loop: Header=BB296_5 Depth=1
	v_mul_lo_u32 v26, v29, s35
	v_readfirstlane_b32 s50, v18
	v_readfirstlane_b32 s51, v19
	flat_load_b64 v[26:27], v26, s[50:51] scale_offset
.LBB296_37:                             ;   in Loop: Header=BB296_5 Depth=1
	s_wait_xcnt 0x0
	s_or_b32 exec_lo, exec_lo, s48
.LBB296_38:                             ;   in Loop: Header=BB296_5 Depth=1
	s_delay_alu instid0(SALU_CYCLE_1)
	s_or_b32 exec_lo, exec_lo, s47
.LBB296_39:                             ;   in Loop: Header=BB296_5 Depth=1
	s_delay_alu instid0(SALU_CYCLE_1)
	s_or_b32 exec_lo, exec_lo, s46
.LBB296_40:                             ;   in Loop: Header=BB296_5 Depth=1
	s_delay_alu instid0(SALU_CYCLE_1)
	s_or_b32 exec_lo, exec_lo, s45
	s_and_saveexec_b32 s7, s1
	s_cbranch_execz .LBB296_48
; %bb.41:                               ;   in Loop: Header=BB296_5 Depth=1
	v_mul_lo_u32 v19, v75, s34
	v_mul_lo_u32 v30, v28, s34
	s_wait_loadcnt_dscnt 0x0
	v_dual_mov_b32 v40, v21 :: v_dual_bitop2_b32 v29, 3, v75 bitop3:0x54
	v_readfirstlane_b32 s46, v16
	v_readfirstlane_b32 s47, v17
	v_dual_mov_b32 v38, v23 :: v_dual_mov_b32 v39, v22
	s_delay_alu instid0(VALU_DEP_4)
	v_mul_lo_u32 v32, v29, s34
	v_dual_mov_b32 v36, v25 :: v_dual_mov_b32 v37, v24
	v_cndmask_b32_e32 v19, 0, v19, vcc_lo
	v_cmp_gt_i32_e32 vcc_lo, s9, v28
	v_dual_mov_b32 v34, v27 :: v_dual_bitop2_b32 v18, 2, v75 bitop3:0x54
	v_dual_mov_b32 v35, v26 :: v_dual_mov_b32 v41, v20
	v_cndmask_b32_e32 v28, 0, v30, vcc_lo
	s_delay_alu instid0(VALU_DEP_3) | instskip(SKIP_1) | instid1(VALU_DEP_3)
	v_mul_lo_u32 v31, v18, s34
	v_cmp_gt_i32_e32 vcc_lo, s9, v18
	v_add_nc_u32_e32 v46, v28, v67
	s_delay_alu instid0(VALU_DEP_3) | instskip(SKIP_2) | instid1(VALU_DEP_1)
	v_cndmask_b32_e32 v18, 0, v31, vcc_lo
	v_cmp_gt_i32_e32 vcc_lo, s9, v29
	v_dual_cndmask_b32 v29, 0, v32 :: v_dual_add_nc_u32 v44, v19, v67
	v_dual_add_nc_u32 v48, v18, v67 :: v_dual_add_nc_u32 v42, v29, v67
	s_clause 0x3
	flat_load_b64 v[32:33], v44, s[46:47] scale_offset
	flat_load_b64 v[30:31], v46, s[46:47] scale_offset
	;; [unrolled: 1-line block ×4, first 2 shown]
	s_wait_xcnt 0x0
	s_and_saveexec_b32 s45, s3
	s_cbranch_execz .LBB296_47
; %bb.42:                               ;   in Loop: Header=BB296_5 Depth=1
	v_dual_ashrrev_i32 v45, 31, v44 :: v_dual_ashrrev_i32 v47, 31, v46
	v_dual_ashrrev_i32 v49, 31, v48 :: v_dual_ashrrev_i32 v43, 31, v42
	s_delay_alu instid0(VALU_DEP_2) | instskip(NEXT) | instid1(VALU_DEP_3)
	v_lshl_add_u64 v[56:57], v[44:45], 3, v[16:17]
	v_lshl_add_u64 v[58:59], v[46:47], 3, v[16:17]
	s_delay_alu instid0(VALU_DEP_3) | instskip(NEXT) | instid1(VALU_DEP_4)
	v_lshl_add_u64 v[60:61], v[48:49], 3, v[16:17]
	v_lshl_add_u64 v[62:63], v[42:43], 3, v[16:17]
	s_clause 0x3
	flat_load_b64 v[46:47], v[56:57] offset:512
	flat_load_b64 v[44:45], v[58:59] offset:512
	;; [unrolled: 1-line block ×4, first 2 shown]
	s_wait_xcnt 0x0
	s_and_saveexec_b32 s46, s4
	s_cbranch_execz .LBB296_46
; %bb.43:                               ;   in Loop: Header=BB296_5 Depth=1
	s_clause 0x3
	flat_load_b64 v[54:55], v[56:57] offset:1024
	flat_load_b64 v[52:53], v[58:59] offset:1024
	;; [unrolled: 1-line block ×4, first 2 shown]
	s_wait_xcnt 0x0
	s_and_saveexec_b32 s47, s5
	s_cbranch_execz .LBB296_45
; %bb.44:                               ;   in Loop: Header=BB296_5 Depth=1
	s_clause 0x3
	flat_load_b64 v[76:77], v[56:57] offset:1536
	flat_load_b64 v[78:79], v[58:59] offset:1536
	;; [unrolled: 1-line block ×4, first 2 shown]
	s_wait_loadcnt_dscnt 0x303
	s_wait_xcnt 0x3
	v_pk_mul_f32 v[56:57], v[40:41], v[76:77] op_sel:[0,1]
	s_wait_loadcnt_dscnt 0x202
	s_wait_xcnt 0x2
	v_pk_mul_f32 v[58:59], v[38:39], v[78:79] op_sel:[0,1]
	;; [unrolled: 3-line block ×3, first 2 shown]
	v_pk_fma_f32 v[60:61], v[20:21], v[76:77], v[56:57] op_sel_hi:[1,0,1]
	v_pk_fma_f32 v[56:57], v[20:21], v[76:77], v[56:57] neg_lo:[0,0,1] neg_hi:[0,0,1]
	v_pk_fma_f32 v[76:77], v[22:23], v[78:79], v[58:59] op_sel_hi:[1,0,1]
	v_pk_fma_f32 v[58:59], v[22:23], v[78:79], v[58:59] neg_lo:[0,0,1] neg_hi:[0,0,1]
	s_delay_alu instid0(VALU_DEP_4) | instskip(SKIP_1) | instid1(VALU_DEP_4)
	v_mov_b32_e32 v57, v61
	v_pk_fma_f32 v[60:61], v[24:25], v[80:81], v[62:63] op_sel_hi:[1,0,1]
	v_mov_b32_e32 v59, v77
	v_pk_fma_f32 v[62:63], v[24:25], v[80:81], v[62:63] neg_lo:[0,0,1] neg_hi:[0,0,1]
	s_delay_alu instid0(VALU_DEP_4) | instskip(SKIP_2) | instid1(VALU_DEP_2)
	v_pk_add_f32 v[10:11], v[10:11], v[56:57]
	s_wait_loadcnt_dscnt 0x0
	v_pk_mul_f32 v[56:57], v[34:35], v[82:83] op_sel:[0,1]
	v_pk_add_f32 v[10:11], v[58:59], v[10:11]
	s_delay_alu instid0(VALU_DEP_2) | instskip(SKIP_2) | instid1(VALU_DEP_3)
	v_pk_fma_f32 v[58:59], v[26:27], v[82:83], v[56:57] op_sel_hi:[1,0,1]
	v_mov_b32_e32 v63, v61
	v_pk_fma_f32 v[56:57], v[26:27], v[82:83], v[56:57] neg_lo:[0,0,1] neg_hi:[0,0,1]
	v_mov_b32_e32 v57, v59
	s_delay_alu instid0(VALU_DEP_3) | instskip(NEXT) | instid1(VALU_DEP_1)
	v_pk_add_f32 v[10:11], v[62:63], v[10:11]
	v_pk_add_f32 v[10:11], v[56:57], v[10:11]
.LBB296_45:                             ;   in Loop: Header=BB296_5 Depth=1
	s_or_b32 exec_lo, exec_lo, s47
	s_wait_loadcnt_dscnt 0x303
	v_pk_mul_f32 v[56:57], v[40:41], v[54:55] op_sel:[0,1]
	s_wait_loadcnt_dscnt 0x202
	v_pk_mul_f32 v[58:59], v[38:39], v[52:53] op_sel:[0,1]
	;; [unrolled: 2-line block ×3, first 2 shown]
	v_pk_fma_f32 v[60:61], v[20:21], v[54:55], v[56:57] op_sel_hi:[1,0,1]
	v_pk_fma_f32 v[54:55], v[20:21], v[54:55], v[56:57] neg_lo:[0,0,1] neg_hi:[0,0,1]
	v_pk_fma_f32 v[56:57], v[22:23], v[52:53], v[58:59] op_sel_hi:[1,0,1]
	v_pk_fma_f32 v[52:53], v[22:23], v[52:53], v[58:59] neg_lo:[0,0,1] neg_hi:[0,0,1]
	v_pk_fma_f32 v[58:59], v[24:25], v[50:51], v[62:63] op_sel_hi:[1,0,1]
	v_mov_b32_e32 v55, v61
	v_pk_fma_f32 v[50:51], v[24:25], v[50:51], v[62:63] neg_lo:[0,0,1] neg_hi:[0,0,1]
	v_mov_b32_e32 v53, v57
	s_delay_alu instid0(VALU_DEP_3) | instskip(SKIP_2) | instid1(VALU_DEP_2)
	v_pk_add_f32 v[12:13], v[12:13], v[54:55]
	s_wait_loadcnt_dscnt 0x0
	v_pk_mul_f32 v[54:55], v[34:35], v[48:49] op_sel:[0,1]
	v_pk_add_f32 v[12:13], v[52:53], v[12:13]
	s_delay_alu instid0(VALU_DEP_2) | instskip(SKIP_2) | instid1(VALU_DEP_3)
	v_pk_fma_f32 v[52:53], v[26:27], v[48:49], v[54:55] op_sel_hi:[1,0,1]
	v_mov_b32_e32 v51, v59
	v_pk_fma_f32 v[48:49], v[26:27], v[48:49], v[54:55] neg_lo:[0,0,1] neg_hi:[0,0,1]
	v_mov_b32_e32 v49, v53
	s_delay_alu instid0(VALU_DEP_3) | instskip(NEXT) | instid1(VALU_DEP_1)
	v_pk_add_f32 v[12:13], v[50:51], v[12:13]
	v_pk_add_f32 v[12:13], v[48:49], v[12:13]
.LBB296_46:                             ;   in Loop: Header=BB296_5 Depth=1
	s_or_b32 exec_lo, exec_lo, s46
	s_wait_loadcnt_dscnt 0x303
	v_pk_mul_f32 v[48:49], v[40:41], v[46:47] op_sel:[0,1]
	s_wait_loadcnt_dscnt 0x202
	v_pk_mul_f32 v[50:51], v[38:39], v[44:45] op_sel:[0,1]
	s_wait_loadcnt_dscnt 0x101
	v_pk_mul_f32 v[54:55], v[36:37], v[42:43] op_sel:[0,1]
	v_pk_fma_f32 v[52:53], v[20:21], v[46:47], v[48:49] op_sel_hi:[1,0,1]
	v_pk_fma_f32 v[46:47], v[20:21], v[46:47], v[48:49] neg_lo:[0,0,1] neg_hi:[0,0,1]
	v_pk_fma_f32 v[48:49], v[22:23], v[44:45], v[50:51] op_sel_hi:[1,0,1]
	v_pk_fma_f32 v[44:45], v[22:23], v[44:45], v[50:51] neg_lo:[0,0,1] neg_hi:[0,0,1]
	v_pk_fma_f32 v[50:51], v[24:25], v[42:43], v[54:55] op_sel_hi:[1,0,1]
	v_mov_b32_e32 v47, v53
	v_pk_fma_f32 v[42:43], v[24:25], v[42:43], v[54:55] neg_lo:[0,0,1] neg_hi:[0,0,1]
	v_mov_b32_e32 v45, v49
	s_delay_alu instid0(VALU_DEP_3) | instskip(SKIP_2) | instid1(VALU_DEP_2)
	v_pk_add_f32 v[14:15], v[14:15], v[46:47]
	s_wait_loadcnt_dscnt 0x0
	v_pk_mul_f32 v[46:47], v[34:35], v[16:17] op_sel:[0,1]
	v_pk_add_f32 v[14:15], v[44:45], v[14:15]
	s_delay_alu instid0(VALU_DEP_2) | instskip(SKIP_2) | instid1(VALU_DEP_3)
	v_pk_fma_f32 v[44:45], v[26:27], v[16:17], v[46:47] op_sel_hi:[1,0,1]
	v_mov_b32_e32 v43, v51
	v_pk_fma_f32 v[16:17], v[26:27], v[16:17], v[46:47] neg_lo:[0,0,1] neg_hi:[0,0,1]
	v_mov_b32_e32 v17, v45
	s_delay_alu instid0(VALU_DEP_3) | instskip(NEXT) | instid1(VALU_DEP_1)
	v_pk_add_f32 v[14:15], v[42:43], v[14:15]
	v_pk_add_f32 v[14:15], v[16:17], v[14:15]
.LBB296_47:                             ;   in Loop: Header=BB296_5 Depth=1
	s_or_b32 exec_lo, exec_lo, s45
	s_wait_loadcnt_dscnt 0x303
	v_pk_mul_f32 v[16:17], v[40:41], v[32:33] op_sel:[0,1]
	s_wait_loadcnt_dscnt 0x202
	v_pk_mul_f32 v[38:39], v[38:39], v[30:31] op_sel:[0,1]
	;; [unrolled: 2-line block ×3, first 2 shown]
	v_pk_fma_f32 v[40:41], v[20:21], v[32:33], v[16:17] op_sel_hi:[1,0,1]
	v_pk_fma_f32 v[16:17], v[20:21], v[32:33], v[16:17] neg_lo:[0,0,1] neg_hi:[0,0,1]
	v_pk_fma_f32 v[20:21], v[22:23], v[30:31], v[38:39] op_sel_hi:[1,0,1]
	v_pk_fma_f32 v[22:23], v[22:23], v[30:31], v[38:39] neg_lo:[0,0,1] neg_hi:[0,0,1]
	v_pk_fma_f32 v[30:31], v[24:25], v[28:29], v[36:37] op_sel_hi:[1,0,1]
	s_delay_alu instid0(VALU_DEP_3) | instskip(SKIP_1) | instid1(VALU_DEP_2)
	v_dual_mov_b32 v17, v41 :: v_dual_mov_b32 v23, v21
	v_pk_fma_f32 v[20:21], v[24:25], v[28:29], v[36:37] neg_lo:[0,0,1] neg_hi:[0,0,1]
	v_pk_add_f32 v[8:9], v[8:9], v[16:17]
	s_wait_loadcnt_dscnt 0x0
	v_pk_mul_f32 v[16:17], v[34:35], v[18:19] op_sel:[0,1]
	s_delay_alu instid0(VALU_DEP_2) | instskip(NEXT) | instid1(VALU_DEP_2)
	v_pk_add_f32 v[8:9], v[22:23], v[8:9]
	v_pk_fma_f32 v[22:23], v[26:27], v[18:19], v[16:17] op_sel_hi:[1,0,1]
	v_mov_b32_e32 v21, v31
	v_pk_fma_f32 v[16:17], v[26:27], v[18:19], v[16:17] neg_lo:[0,0,1] neg_hi:[0,0,1]
	s_delay_alu instid0(VALU_DEP_3) | instskip(NEXT) | instid1(VALU_DEP_3)
	v_mov_b32_e32 v17, v23
	v_pk_add_f32 v[8:9], v[20:21], v[8:9]
	s_delay_alu instid0(VALU_DEP_1)
	v_pk_add_f32 v[8:9], v[16:17], v[8:9]
.LBB296_48:                             ;   in Loop: Header=BB296_5 Depth=1
	s_or_b32 exec_lo, exec_lo, s7
.LBB296_49:                             ;   in Loop: Header=BB296_5 Depth=1
	ds_store_2addr_stride64_b64 v65, v[8:9], v[14:15] offset1:1
	ds_store_2addr_stride64_b64 v65, v[12:13], v[10:11] offset0:2 offset1:3
	s_wait_storecnt 0x0
	s_wait_loadcnt_dscnt 0x0
	s_barrier_signal -1
	s_barrier_wait -1
	s_and_saveexec_b32 s7, s0
	s_cbranch_execz .LBB296_3
; %bb.50:                               ;   in Loop: Header=BB296_5 Depth=1
	ds_load_2addr_stride64_b64 v[8:11], v66 offset1:4
	ds_load_2addr_stride64_b64 v[12:15], v66 offset0:8 offset1:12
	s_wait_dscnt 0x1
	v_pk_add_f32 v[8:9], v[8:9], v[10:11]
	s_wait_dscnt 0x0
	s_delay_alu instid0(VALU_DEP_1) | instskip(NEXT) | instid1(VALU_DEP_1)
	v_pk_add_f32 v[8:9], v[8:9], v[12:13]
	v_pk_add_f32 v[10:11], v[8:9], v[14:15]
	ds_store_b64 v66, v[10:11]
	s_and_b32 exec_lo, exec_lo, s2
	s_cbranch_execz .LBB296_3
; %bb.51:                               ;   in Loop: Header=BB296_5 Depth=1
	v_mov_b64_e32 v[8:9], s[30:31]
	v_mov_b64_e32 v[12:13], s[10:11]
	v_lshl_add_u64 v[6:7], v[4:5], 3, v[6:7]
	s_and_not1_b32 vcc_lo, exec_lo, s39
	s_delay_alu instid0(VALU_DEP_3) | instskip(NEXT) | instid1(VALU_DEP_1)
	v_pk_mul_f32 v[14:15], v[10:11], v[8:9] op_sel:[1,0]
	v_pk_fma_f32 v[8:9], v[10:11], v[12:13], v[14:15] op_sel_hi:[0,1,1] neg_lo:[0,0,1] neg_hi:[0,0,1]
	v_pk_fma_f32 v[10:11], v[10:11], v[12:13], v[14:15] op_sel_hi:[0,1,1]
	s_cbranch_vccnz .LBB296_2
; %bb.52:                               ;   in Loop: Header=BB296_5 Depth=1
	flat_load_b64 v[12:13], v[6:7]
	v_mov_b64_e32 v[14:15], s[28:29]
	v_mov_b64_e32 v[16:17], s[26:27]
	s_wait_loadcnt_dscnt 0x0
	s_delay_alu instid0(VALU_DEP_2) | instskip(NEXT) | instid1(VALU_DEP_1)
	v_pk_mul_f32 v[14:15], v[14:15], v[12:13] op_sel:[0,1]
	v_pk_fma_f32 v[18:19], v[16:17], v[12:13], v[14:15] op_sel_hi:[1,0,1]
	v_mov_b32_e32 v9, v11
	v_pk_fma_f32 v[10:11], v[16:17], v[12:13], v[14:15] neg_lo:[0,0,1] neg_hi:[0,0,1]
	s_delay_alu instid0(VALU_DEP_3) | instskip(NEXT) | instid1(VALU_DEP_1)
	v_mov_b32_e32 v11, v19
	v_pk_add_f32 v[8:9], v[8:9], v[10:11]
	s_delay_alu instid0(VALU_DEP_1)
	v_mov_b32_e32 v11, v9
	s_branch .LBB296_2
.LBB296_53:
	s_sendmsg sendmsg(MSG_DEALLOC_VGPRS)
	s_endpgm
	.section	.rodata,"a",@progbits
	.p2align	6, 0x0
	.amdhsa_kernel _ZL20rocblas_gemvn_kernelILi64ELi4EiPK19rocblas_complex_numIfES1_KPS1_EviiT3_lPKT2_lT1_lS9_lSA_lS6_lPT4_lSA_li
		.amdhsa_group_segment_fixed_size 8192
		.amdhsa_private_segment_fixed_size 0
		.amdhsa_kernarg_size 400
		.amdhsa_user_sgpr_count 2
		.amdhsa_user_sgpr_dispatch_ptr 0
		.amdhsa_user_sgpr_queue_ptr 0
		.amdhsa_user_sgpr_kernarg_segment_ptr 1
		.amdhsa_user_sgpr_dispatch_id 0
		.amdhsa_user_sgpr_kernarg_preload_length 0
		.amdhsa_user_sgpr_kernarg_preload_offset 0
		.amdhsa_user_sgpr_private_segment_size 0
		.amdhsa_wavefront_size32 1
		.amdhsa_uses_dynamic_stack 0
		.amdhsa_enable_private_segment 0
		.amdhsa_system_sgpr_workgroup_id_x 1
		.amdhsa_system_sgpr_workgroup_id_y 0
		.amdhsa_system_sgpr_workgroup_id_z 1
		.amdhsa_system_sgpr_workgroup_info 0
		.amdhsa_system_vgpr_workitem_id 1
		.amdhsa_next_free_vgpr 88
		.amdhsa_next_free_sgpr 52
		.amdhsa_named_barrier_count 0
		.amdhsa_reserve_vcc 1
		.amdhsa_float_round_mode_32 0
		.amdhsa_float_round_mode_16_64 0
		.amdhsa_float_denorm_mode_32 3
		.amdhsa_float_denorm_mode_16_64 3
		.amdhsa_fp16_overflow 0
		.amdhsa_memory_ordered 1
		.amdhsa_forward_progress 1
		.amdhsa_inst_pref_size 33
		.amdhsa_round_robin_scheduling 0
		.amdhsa_exception_fp_ieee_invalid_op 0
		.amdhsa_exception_fp_denorm_src 0
		.amdhsa_exception_fp_ieee_div_zero 0
		.amdhsa_exception_fp_ieee_overflow 0
		.amdhsa_exception_fp_ieee_underflow 0
		.amdhsa_exception_fp_ieee_inexact 0
		.amdhsa_exception_int_div_zero 0
	.end_amdhsa_kernel
	.section	.text._ZL20rocblas_gemvn_kernelILi64ELi4EiPK19rocblas_complex_numIfES1_KPS1_EviiT3_lPKT2_lT1_lS9_lSA_lS6_lPT4_lSA_li,"axG",@progbits,_ZL20rocblas_gemvn_kernelILi64ELi4EiPK19rocblas_complex_numIfES1_KPS1_EviiT3_lPKT2_lT1_lS9_lSA_lS6_lPT4_lSA_li,comdat
.Lfunc_end296:
	.size	_ZL20rocblas_gemvn_kernelILi64ELi4EiPK19rocblas_complex_numIfES1_KPS1_EviiT3_lPKT2_lT1_lS9_lSA_lS6_lPT4_lSA_li, .Lfunc_end296-_ZL20rocblas_gemvn_kernelILi64ELi4EiPK19rocblas_complex_numIfES1_KPS1_EviiT3_lPKT2_lT1_lS9_lSA_lS6_lPT4_lSA_li
                                        ; -- End function
	.set _ZL20rocblas_gemvn_kernelILi64ELi4EiPK19rocblas_complex_numIfES1_KPS1_EviiT3_lPKT2_lT1_lS9_lSA_lS6_lPT4_lSA_li.num_vgpr, 88
	.set _ZL20rocblas_gemvn_kernelILi64ELi4EiPK19rocblas_complex_numIfES1_KPS1_EviiT3_lPKT2_lT1_lS9_lSA_lS6_lPT4_lSA_li.num_agpr, 0
	.set _ZL20rocblas_gemvn_kernelILi64ELi4EiPK19rocblas_complex_numIfES1_KPS1_EviiT3_lPKT2_lT1_lS9_lSA_lS6_lPT4_lSA_li.numbered_sgpr, 52
	.set _ZL20rocblas_gemvn_kernelILi64ELi4EiPK19rocblas_complex_numIfES1_KPS1_EviiT3_lPKT2_lT1_lS9_lSA_lS6_lPT4_lSA_li.num_named_barrier, 0
	.set _ZL20rocblas_gemvn_kernelILi64ELi4EiPK19rocblas_complex_numIfES1_KPS1_EviiT3_lPKT2_lT1_lS9_lSA_lS6_lPT4_lSA_li.private_seg_size, 0
	.set _ZL20rocblas_gemvn_kernelILi64ELi4EiPK19rocblas_complex_numIfES1_KPS1_EviiT3_lPKT2_lT1_lS9_lSA_lS6_lPT4_lSA_li.uses_vcc, 1
	.set _ZL20rocblas_gemvn_kernelILi64ELi4EiPK19rocblas_complex_numIfES1_KPS1_EviiT3_lPKT2_lT1_lS9_lSA_lS6_lPT4_lSA_li.uses_flat_scratch, 1
	.set _ZL20rocblas_gemvn_kernelILi64ELi4EiPK19rocblas_complex_numIfES1_KPS1_EviiT3_lPKT2_lT1_lS9_lSA_lS6_lPT4_lSA_li.has_dyn_sized_stack, 0
	.set _ZL20rocblas_gemvn_kernelILi64ELi4EiPK19rocblas_complex_numIfES1_KPS1_EviiT3_lPKT2_lT1_lS9_lSA_lS6_lPT4_lSA_li.has_recursion, 0
	.set _ZL20rocblas_gemvn_kernelILi64ELi4EiPK19rocblas_complex_numIfES1_KPS1_EviiT3_lPKT2_lT1_lS9_lSA_lS6_lPT4_lSA_li.has_indirect_call, 0
	.section	.AMDGPU.csdata,"",@progbits
; Kernel info:
; codeLenInByte = 4100
; TotalNumSgprs: 54
; NumVgprs: 88
; ScratchSize: 0
; MemoryBound: 0
; FloatMode: 240
; IeeeMode: 1
; LDSByteSize: 8192 bytes/workgroup (compile time only)
; SGPRBlocks: 0
; VGPRBlocks: 5
; NumSGPRsForWavesPerEU: 54
; NumVGPRsForWavesPerEU: 88
; NamedBarCnt: 0
; Occupancy: 10
; WaveLimiterHint : 1
; COMPUTE_PGM_RSRC2:SCRATCH_EN: 0
; COMPUTE_PGM_RSRC2:USER_SGPR: 2
; COMPUTE_PGM_RSRC2:TRAP_HANDLER: 0
; COMPUTE_PGM_RSRC2:TGID_X_EN: 1
; COMPUTE_PGM_RSRC2:TGID_Y_EN: 0
; COMPUTE_PGM_RSRC2:TGID_Z_EN: 1
; COMPUTE_PGM_RSRC2:TIDIG_COMP_CNT: 1
	.section	.text._ZL20rocblas_gemvn_kernelILi64ELi4ElPK19rocblas_complex_numIfES1_KPS1_EviiT3_lPKT2_lT1_lS9_lSA_lS6_lPT4_lSA_li,"axG",@progbits,_ZL20rocblas_gemvn_kernelILi64ELi4ElPK19rocblas_complex_numIfES1_KPS1_EviiT3_lPKT2_lT1_lS9_lSA_lS6_lPT4_lSA_li,comdat
	.globl	_ZL20rocblas_gemvn_kernelILi64ELi4ElPK19rocblas_complex_numIfES1_KPS1_EviiT3_lPKT2_lT1_lS9_lSA_lS6_lPT4_lSA_li ; -- Begin function _ZL20rocblas_gemvn_kernelILi64ELi4ElPK19rocblas_complex_numIfES1_KPS1_EviiT3_lPKT2_lT1_lS9_lSA_lS6_lPT4_lSA_li
	.p2align	8
	.type	_ZL20rocblas_gemvn_kernelILi64ELi4ElPK19rocblas_complex_numIfES1_KPS1_EviiT3_lPKT2_lT1_lS9_lSA_lS6_lPT4_lSA_li,@function
_ZL20rocblas_gemvn_kernelILi64ELi4ElPK19rocblas_complex_numIfES1_KPS1_EviiT3_lPKT2_lT1_lS9_lSA_lS6_lPT4_lSA_li: ; @_ZL20rocblas_gemvn_kernelILi64ELi4ElPK19rocblas_complex_numIfES1_KPS1_EviiT3_lPKT2_lT1_lS9_lSA_lS6_lPT4_lSA_li
; %bb.0:
	s_clause 0x1
	s_load_b64 s[2:3], s[0:1], 0x9c
	s_load_b32 s33, s[0:1], 0x88
	s_bfe_u32 s4, ttmp6, 0x40014
	s_lshr_b32 s5, ttmp7, 16
	s_add_co_i32 s4, s4, 1
	s_bfe_u32 s6, ttmp6, 0x40008
	s_mul_i32 s7, s5, s4
	s_getreg_b32 s4, hwreg(HW_REG_IB_STS2, 6, 4)
	s_add_co_i32 s6, s6, s7
	s_mov_b32 s11, 0
	s_wait_kmcnt 0x0
	s_lshr_b32 s7, s2, 16
	s_and_b32 s2, s2, 0xffff
	s_and_b32 s3, s3, 0xffff
	s_mul_i32 s2, s7, s2
	s_cmp_eq_u32 s4, 0
	s_mul_i32 s2, s2, s3
	s_cselect_b32 s10, s5, s6
	s_cmp_lg_u32 s2, 0x100
	s_cselect_b32 s2, -1, 0
	s_cmp_ge_u32 s10, s33
	s_cselect_b32 s3, -1, 0
	s_delay_alu instid0(SALU_CYCLE_1) | instskip(NEXT) | instid1(SALU_CYCLE_1)
	s_or_b32 s2, s2, s3
	s_and_b32 vcc_lo, exec_lo, s2
	s_cbranch_vccnz .LBB297_53
; %bb.1:
	s_clause 0x3
	s_load_b128 s[12:15], s[0:1], 0x0
	s_load_b64 s[28:29], s[0:1], 0x58
	s_load_b64 s[30:31], s[0:1], 0x48
	s_load_b128 s[16:19], s[0:1], 0x18
	v_and_b32_e32 v12, 0x3ff, v0
	v_bfe_u32 v2, v0, 10, 10
	v_mov_b32_e32 v1, 0
	s_clause 0x3
	s_load_b64 s[34:35], s[0:1], 0x28
	s_load_b128 s[20:23], s[0:1], 0x38
	s_load_b64 s[2:3], s[0:1], 0x78
	s_load_b128 s[24:27], s[0:1], 0x68
	v_dual_lshlrev_b32 v0, 3, v12 :: v_dual_lshlrev_b32 v92, 2, v2
	v_mov_b32_e32 v3, v1
	v_lshl_add_u32 v13, v2, 6, v12
	s_delay_alu instid0(VALU_DEP_3)
	v_lshl_add_u32 v93, v2, 11, v0
	v_lshl_add_u32 v94, v2, 9, v0
	s_wait_kmcnt 0x0
	s_cmp_neq_f32 s14, 0
	s_mov_b32 s6, s12
	v_mad_nc_u64_u32 v[4:5], s30, v92, s[30:31]
	v_mul_u64_e32 v[8:9], s[30:31], v[2:3]
	s_cselect_b32 s5, -1, 0
	s_cmp_neq_f32 s15, 0
	v_mul_u64_e32 v[10:11], s[34:35], v[2:3]
	v_mad_nc_u64_u32 v[6:7], s34, v92, s[34:35]
	s_mov_b32 s36, s29
	s_cselect_b32 s0, -1, 0
	s_mov_b32 s37, s28
	s_or_b32 s8, s5, s0
	s_cmp_neq_f32 s28, 1.0
	v_mad_u32 v5, s31, v92, v5
	s_mov_b32 s38, s15
	s_mov_b32 s39, s14
	s_cselect_b32 s9, -1, 0
	s_cmp_neq_f32 s29, 0
	v_mad_u32 v7, s35, v92, v7
	s_cselect_b32 s49, -1, 0
	s_or_b32 s0, s14, s15
	s_delay_alu instid0(SALU_CYCLE_1) | instskip(NEXT) | instid1(VALU_DEP_2)
	s_and_b32 s1, s0, 0x7fffffff
	v_lshlrev_b64_e32 v[2:3], 3, v[4:5]
	s_cmp_lg_u32 s1, 0
	v_cmp_gt_u32_e64 s0, 0x100, v13
	s_cselect_b32 s44, -1, 0
	s_cmp_eq_u32 s1, 0
	v_lshlrev_b64_e32 v[6:7], 3, v[6:7]
	s_cselect_b32 s45, -1, 0
	s_bfe_u32 s1, ttmp6, 0x4000c
	s_and_b32 s5, ttmp6, 15
	s_add_co_i32 s1, s1, 1
	v_lshlrev_b64_e32 v[8:9], 5, v[8:9]
	s_mul_i32 s1, ttmp9, s1
	v_or_b32_e32 v2, 4, v2
	s_add_co_i32 s5, s5, s1
	s_cmp_eq_u32 s4, 0
	v_lshlrev_b64_e32 v[10:11], 5, v[10:11]
	s_cselect_b32 s1, ttmp9, s5
	s_ashr_i32 s7, s12, 31
	s_lshl_b32 s1, s1, 8
	s_cmp_neq_f32 s28, 0
	v_dual_add_nc_u32 v0, s1, v13 :: v_dual_bitop2_b32 v14, s1, v12 bitop3:0x54
	v_or_b32_e32 v20, s1, v13
	s_cselect_b32 s1, -1, 0
	s_ashr_i32 s4, s13, 31
	s_delay_alu instid0(VALU_DEP_2)
	v_cmp_gt_i64_e32 vcc_lo, s[6:7], v[0:1]
	v_mul_u64_e32 v[4:5], s[2:3], v[0:1]
	v_dual_ashrrev_i32 v15, 31, v14 :: v_dual_bitop2_b32 v0, 3, v92 bitop3:0x54
	v_ashrrev_i32_e32 v21, 31, v20
	s_lshr_b32 s4, s4, 28
	v_or_b32_e32 v8, 4, v8
	s_delay_alu instid0(VALU_DEP_3)
	v_mul_u64_e32 v[16:17], s[34:35], v[0:1]
	v_mul_u64_e32 v[18:19], s[30:31], v[0:1]
	v_or_b32_e32 v0, 2, v92
	v_mul_u64_e32 v[12:13], s[2:3], v[20:21]
	v_add_nc_u32_e32 v21, 0x80, v14
	s_add_co_i32 s3, s13, s4
	v_add_nc_u32_e32 v26, 0xc0, v14
	v_mul_u64_e32 v[22:23], s[34:35], v[0:1]
	v_mul_u64_e32 v[24:25], s[30:31], v[0:1]
	v_add_nc_u32_e32 v0, 64, v14
	s_and_b32 s47, s3, -16
	s_or_b32 s46, s1, s49
	s_sub_co_i32 s6, s13, s47
	v_cmp_gt_i32_e64 s1, s12, v14
	v_cmp_gt_i32_e64 s2, s12, v20
	;; [unrolled: 1-line block ×3, first 2 shown]
	v_lshlrev_b64_e32 v[14:15], 3, v[14:15]
	s_cmp_gt_i32 s6, 0
	v_cmp_gt_i32_e64 s3, s12, v0
	v_cmp_gt_i32_e64 s5, s12, v26
	;; [unrolled: 1-line block ×3, first 2 shown]
	s_cselect_b32 s12, -1, 0
	s_or_b32 s7, s8, s9
	s_and_b32 s48, s0, vcc_lo
	s_lshl_b64 s[40:41], s[30:31], 7
	s_lshl_b64 s[42:43], s[34:35], 7
	s_or_b32 s49, s7, s49
	s_lshl_b64 s[18:19], s[18:19], 3
	s_lshl_b64 s[22:23], s[22:23], 3
	;; [unrolled: 1-line block ×3, first 2 shown]
	v_lshlrev_b64_e32 v[16:17], 3, v[16:17]
	v_lshlrev_b64_e32 v[18:19], 3, v[18:19]
	v_lshlrev_b64_e32 v[20:21], 3, v[22:23]
	v_lshlrev_b64_e32 v[22:23], 3, v[24:25]
	s_branch .LBB297_5
.LBB297_2:                              ;   in Loop: Header=BB297_5 Depth=1
	s_delay_alu instid0(VALU_DEP_1)
	v_mov_b32_e32 v27, v29
	flat_store_b64 v[24:25], v[26:27]
.LBB297_3:                              ;   in Loop: Header=BB297_5 Depth=1
	s_wait_xcnt 0x0
	s_or_b32 exec_lo, exec_lo, s7
.LBB297_4:                              ;   in Loop: Header=BB297_5 Depth=1
	s_add_co_i32 s10, s10, 0x10000
	s_delay_alu instid0(SALU_CYCLE_1)
	s_cmp_lt_u32 s10, s33
	s_cbranch_scc0 .LBB297_53
.LBB297_5:                              ; =>This Loop Header: Depth=1
                                        ;     Child Loop BB297_25 Depth 2
	s_and_not1_b32 vcc_lo, exec_lo, s49
	s_cbranch_vccnz .LBB297_4
; %bb.6:                                ;   in Loop: Header=BB297_5 Depth=1
	s_and_not1_b32 vcc_lo, exec_lo, s45
	s_cbranch_vccnz .LBB297_8
; %bb.7:                                ;   in Loop: Header=BB297_5 Depth=1
	v_mov_b64_e32 v[36:37], 0
	v_mov_b64_e32 v[34:35], 0
	s_cbranch_execz .LBB297_9
	s_branch .LBB297_10
.LBB297_8:                              ;   in Loop: Header=BB297_5 Depth=1
	v_mov_b64_e32 v[36:37], 0
	v_mov_b64_e32 v[34:35], 0
.LBB297_9:                              ;   in Loop: Header=BB297_5 Depth=1
	s_wait_xcnt 0x0
	s_lshl_b64 s[8:9], s[10:11], 3
	s_delay_alu instid0(SALU_CYCLE_1)
	s_add_nc_u64 s[8:9], s[16:17], s[8:9]
	global_load_b64 v[24:25], v1, s[8:9]
	s_wait_loadcnt 0x0
	v_add_nc_u64_e32 v[34:35], s[18:19], v[24:25]
.LBB297_10:                             ;   in Loop: Header=BB297_5 Depth=1
	s_and_not1_b32 vcc_lo, exec_lo, s44
	s_cbranch_vccnz .LBB297_12
; %bb.11:                               ;   in Loop: Header=BB297_5 Depth=1
	s_wait_xcnt 0x0
	s_lshl_b64 s[8:9], s[10:11], 3
	s_delay_alu instid0(SALU_CYCLE_1)
	s_add_nc_u64 s[8:9], s[20:21], s[8:9]
	global_load_b64 v[24:25], v1, s[8:9]
	s_wait_loadcnt 0x0
	v_add_nc_u64_e32 v[36:37], s[22:23], v[24:25]
.LBB297_12:                             ;   in Loop: Header=BB297_5 Depth=1
	s_wait_xcnt 0x0
	s_lshl_b64 s[8:9], s[10:11], 3
	s_and_not1_b32 vcc_lo, exec_lo, s45
	s_add_nc_u64 s[8:9], s[24:25], s[8:9]
	s_mov_b32 s7, -1
	global_load_b64 v[24:25], v1, s[8:9]
	s_wait_loadcnt 0x0
	v_add_nc_u64_e32 v[24:25], s[26:27], v[24:25]
	s_cbranch_vccnz .LBB297_18
; %bb.13:                               ;   in Loop: Header=BB297_5 Depth=1
	s_wait_xcnt 0x0
	s_and_saveexec_b32 s7, s48
	s_cbranch_execz .LBB297_17
; %bb.14:                               ;   in Loop: Header=BB297_5 Depth=1
	v_dual_mov_b32 v28, 0 :: v_dual_mov_b32 v29, 0
	s_delay_alu instid0(VALU_DEP_2)
	v_lshl_add_u64 v[26:27], v[4:5], 3, v[24:25]
	s_and_not1_b32 vcc_lo, exec_lo, s46
	s_cbranch_vccnz .LBB297_16
; %bb.15:                               ;   in Loop: Header=BB297_5 Depth=1
	flat_load_b64 v[28:29], v[26:27]
	v_mov_b64_e32 v[30:31], s[36:37]
	v_mov_b64_e32 v[32:33], s[28:29]
	s_wait_loadcnt_dscnt 0x0
	s_delay_alu instid0(VALU_DEP_2) | instskip(NEXT) | instid1(VALU_DEP_1)
	v_pk_mul_f32 v[30:31], v[30:31], v[28:29] op_sel:[0,1]
	v_pk_fma_f32 v[38:39], v[32:33], v[28:29], v[30:31] op_sel_hi:[1,0,1]
	v_pk_fma_f32 v[28:29], v[32:33], v[28:29], v[30:31] neg_lo:[0,0,1] neg_hi:[0,0,1]
	s_delay_alu instid0(VALU_DEP_2)
	v_mov_b32_e32 v29, v39
.LBB297_16:                             ;   in Loop: Header=BB297_5 Depth=1
	flat_store_b64 v[26:27], v[28:29]
.LBB297_17:                             ;   in Loop: Header=BB297_5 Depth=1
	s_wait_xcnt 0x0
	s_or_b32 exec_lo, exec_lo, s7
	s_mov_b32 s7, 0
.LBB297_18:                             ;   in Loop: Header=BB297_5 Depth=1
	s_delay_alu instid0(SALU_CYCLE_1)
	s_and_not1_b32 vcc_lo, exec_lo, s7
	s_cbranch_vccnz .LBB297_4
; %bb.19:                               ;   in Loop: Header=BB297_5 Depth=1
	v_mov_b64_e32 v[28:29], 0
	v_mov_b64_e32 v[30:31], 0
	;; [unrolled: 1-line block ×4, first 2 shown]
	v_mov_b32_e32 v0, v92
	s_wait_xcnt 0x0
	s_and_saveexec_b32 s7, s6
	s_cbranch_execz .LBB297_31
; %bb.20:                               ;   in Loop: Header=BB297_5 Depth=1
	v_add_nc_u64_e32 v[38:39], v[34:35], v[16:17]
	v_add_nc_u64_e32 v[40:41], v[34:35], v[10:11]
	;; [unrolled: 1-line block ×4, first 2 shown]
	v_mov_b64_e32 v[26:27], 0
	v_mov_b64_e32 v[32:33], 0
	;; [unrolled: 1-line block ×5, first 2 shown]
	v_mov_b32_e32 v0, v92
	s_mov_b32 s8, 0
	s_branch .LBB297_25
.LBB297_21:                             ;   in Loop: Header=BB297_25 Depth=2
	s_or_b32 exec_lo, exec_lo, s52
	s_wait_loadcnt_dscnt 0x303
	v_dual_mul_f32 v84, v59, v83 :: v_dual_mul_f32 v85, v58, v83
	s_wait_loadcnt_dscnt 0x202
	v_dual_mul_f32 v88, v57, v81 :: v_dual_mul_f32 v83, v56, v81
	s_wait_loadcnt_dscnt 0x101
	v_pk_mul_f32 v[86:87], v[74:75], v[78:79] op_sel:[0,1]
	v_dual_fma_f32 v84, v58, v82, -v84 :: v_dual_fmac_f32 v85, v59, v82
	s_delay_alu instid0(VALU_DEP_3) | instskip(NEXT) | instid1(VALU_DEP_3)
	v_dual_fma_f32 v82, v56, v80, -v88 :: v_dual_fmac_f32 v83, v57, v80
	v_pk_fma_f32 v[80:81], v[50:51], v[78:79], v[86:87] op_sel_hi:[1,0,1]
	v_pk_fma_f32 v[78:79], v[50:51], v[78:79], v[86:87] neg_lo:[0,0,1] neg_hi:[0,0,1]
	s_delay_alu instid0(VALU_DEP_4) | instskip(SKIP_3) | instid1(VALU_DEP_3)
	v_pk_add_f32 v[30:31], v[30:31], v[84:85]
	s_wait_loadcnt_dscnt 0x0
	v_pk_mul_f32 v[84:85], v[68:69], v[76:77] op_sel:[0,1]
	v_mov_b32_e32 v79, v81
	v_pk_add_f32 v[30:31], v[82:83], v[30:31]
	s_delay_alu instid0(VALU_DEP_3) | instskip(SKIP_1) | instid1(VALU_DEP_2)
	v_pk_fma_f32 v[80:81], v[48:49], v[76:77], v[84:85] op_sel_hi:[1,0,1]
	v_pk_fma_f32 v[76:77], v[48:49], v[76:77], v[84:85] neg_lo:[0,0,1] neg_hi:[0,0,1]
	v_mov_b32_e32 v77, v81
	s_delay_alu instid0(VALU_DEP_4) | instskip(NEXT) | instid1(VALU_DEP_1)
	v_pk_add_f32 v[30:31], v[78:79], v[30:31]
	v_pk_add_f32 v[30:31], v[76:77], v[30:31]
.LBB297_22:                             ;   in Loop: Header=BB297_25 Depth=2
	s_or_b32 exec_lo, exec_lo, s51
	s_wait_loadcnt_dscnt 0x303
	v_dual_mul_f32 v76, v59, v73 :: v_dual_mul_f32 v77, v58, v73
	s_wait_loadcnt_dscnt 0x202
	v_dual_mul_f32 v78, v57, v71 :: v_dual_mul_f32 v73, v56, v71
	s_wait_loadcnt_dscnt 0x101
	v_pk_mul_f32 v[74:75], v[74:75], v[66:67] op_sel:[0,1]
	v_dual_fma_f32 v76, v58, v72, -v76 :: v_dual_fmac_f32 v77, v59, v72
	s_delay_alu instid0(VALU_DEP_3) | instskip(NEXT) | instid1(VALU_DEP_3)
	v_dual_fma_f32 v72, v56, v70, -v78 :: v_dual_fmac_f32 v73, v57, v70
	v_pk_fma_f32 v[70:71], v[50:51], v[66:67], v[74:75] op_sel_hi:[1,0,1]
	s_wait_loadcnt_dscnt 0x0
	v_pk_mul_f32 v[68:69], v[68:69], v[64:65] op_sel:[0,1]
	v_pk_add_f32 v[32:33], v[32:33], v[76:77]
	v_pk_fma_f32 v[66:67], v[50:51], v[66:67], v[74:75] neg_lo:[0,0,1] neg_hi:[0,0,1]
	v_mov_b32_e32 v67, v71
	s_delay_alu instid0(VALU_DEP_4) | instskip(NEXT) | instid1(VALU_DEP_4)
	v_pk_fma_f32 v[70:71], v[48:49], v[64:65], v[68:69] op_sel_hi:[1,0,1]
	v_pk_add_f32 v[32:33], v[72:73], v[32:33]
	v_pk_fma_f32 v[64:65], v[48:49], v[64:65], v[68:69] neg_lo:[0,0,1] neg_hi:[0,0,1]
	s_delay_alu instid0(VALU_DEP_3) | instskip(NEXT) | instid1(VALU_DEP_3)
	v_mov_b32_e32 v65, v71
	v_pk_add_f32 v[32:33], v[66:67], v[32:33]
	s_delay_alu instid0(VALU_DEP_1)
	v_pk_add_f32 v[32:33], v[64:65], v[32:33]
.LBB297_23:                             ;   in Loop: Header=BB297_25 Depth=2
	s_or_b32 exec_lo, exec_lo, s50
	s_wait_loadcnt_dscnt 0x303
	v_dual_mul_f32 v64, v59, v63 :: v_dual_mul_f32 v65, v58, v63
	s_wait_loadcnt_dscnt 0x202
	v_dual_mul_f32 v68, v57, v61 :: v_dual_mul_f32 v63, v56, v61
	s_wait_loadcnt_dscnt 0x101
	v_pk_mul_f32 v[66:67], v[50:51], v[54:55] op_sel:[1,1] op_sel_hi:[0,1]
	v_dual_fma_f32 v64, v58, v62, -v64 :: v_dual_fmac_f32 v65, v59, v62
	s_delay_alu instid0(VALU_DEP_3) | instskip(NEXT) | instid1(VALU_DEP_3)
	v_dual_fma_f32 v62, v56, v60, -v68 :: v_dual_fmac_f32 v63, v57, v60
	v_pk_fma_f32 v[56:57], v[50:51], v[54:55], v[66:67] op_sel_hi:[1,0,1]
	s_wait_loadcnt_dscnt 0x0
	v_pk_mul_f32 v[58:59], v[48:49], v[52:53] op_sel:[1,1] op_sel_hi:[0,1]
	v_pk_add_f32 v[26:27], v[26:27], v[64:65]
	v_pk_fma_f32 v[50:51], v[50:51], v[54:55], v[66:67] neg_lo:[0,0,1] neg_hi:[0,0,1]
	s_delay_alu instid0(VALU_DEP_3) | instskip(SKIP_1) | instid1(VALU_DEP_4)
	v_pk_fma_f32 v[54:55], v[48:49], v[52:53], v[58:59] op_sel_hi:[1,0,1]
	v_mov_b32_e32 v51, v57
	v_pk_add_f32 v[26:27], v[62:63], v[26:27]
	v_pk_fma_f32 v[48:49], v[48:49], v[52:53], v[58:59] neg_lo:[0,0,1] neg_hi:[0,0,1]
	s_delay_alu instid0(VALU_DEP_4) | instskip(NEXT) | instid1(VALU_DEP_3)
	v_mov_b32_e32 v49, v55
	v_pk_add_f32 v[26:27], v[50:51], v[26:27]
	s_delay_alu instid0(VALU_DEP_1)
	v_pk_add_f32 v[26:27], v[48:49], v[26:27]
.LBB297_24:                             ;   in Loop: Header=BB297_25 Depth=2
	s_or_b32 exec_lo, exec_lo, s9
	v_add_nc_u32_e32 v0, 16, v0
	v_add_nc_u64_e32 v[46:47], s[40:41], v[46:47]
	v_add_nc_u64_e32 v[38:39], s[42:43], v[38:39]
	;; [unrolled: 1-line block ×4, first 2 shown]
	v_cmp_le_i32_e32 vcc_lo, s47, v0
	v_add_nc_u64_e32 v[44:45], s[42:43], v[44:45]
	s_or_b32 s8, vcc_lo, s8
	s_delay_alu instid0(SALU_CYCLE_1)
	s_and_not1_b32 exec_lo, exec_lo, s8
	s_cbranch_execz .LBB297_30
.LBB297_25:                             ;   Parent Loop BB297_5 Depth=1
                                        ; =>  This Inner Loop Header: Depth=2
	s_and_saveexec_b32 s9, s1
	s_cbranch_execz .LBB297_24
; %bb.26:                               ;   in Loop: Header=BB297_25 Depth=2
	s_delay_alu instid0(VALU_DEP_2)
	v_add_nc_u64_e32 v[64:65], v[46:47], v[8:9]
	v_add_nc_u64_e32 v[66:67], v[46:47], v[2:3]
	;; [unrolled: 1-line block ×8, first 2 shown]
	s_clause 0x3
	flat_load_b64 v[58:59], v[64:65] offset:-4
	flat_load_b64 v[56:57], v[66:67] offset:-4
	flat_load_b64 v[50:51], v[68:69]
	flat_load_b64 v[48:49], v[70:71]
	;; [unrolled: 1-line block ×6, first 2 shown]
	s_wait_xcnt 0x0
	s_and_saveexec_b32 s50, s3
	s_cbranch_execz .LBB297_23
; %bb.27:                               ;   in Loop: Header=BB297_25 Depth=2
	flat_load_b64 v[72:73], v[84:85] offset:512
	flat_load_b64 v[70:71], v[86:87] offset:512
	;; [unrolled: 1-line block ×4, first 2 shown]
	s_wait_loadcnt_dscnt 0x909
	v_dual_mov_b32 v74, v51 :: v_dual_mov_b32 v75, v50
	s_wait_loadcnt_dscnt 0x808
	v_dual_mov_b32 v68, v49 :: v_dual_mov_b32 v69, v48
	s_wait_xcnt 0x0
	s_and_saveexec_b32 s51, s4
	s_cbranch_execz .LBB297_22
; %bb.28:                               ;   in Loop: Header=BB297_25 Depth=2
	flat_load_b64 v[82:83], v[84:85] offset:1024
	flat_load_b64 v[80:81], v[86:87] offset:1024
	;; [unrolled: 1-line block ×4, first 2 shown]
	s_wait_xcnt 0x0
	s_and_saveexec_b32 s52, s5
	s_cbranch_execz .LBB297_21
; %bb.29:                               ;   in Loop: Header=BB297_25 Depth=2
	flat_load_b64 v[96:97], v[84:85] offset:1536
	flat_load_b64 v[98:99], v[86:87] offset:1536
	;; [unrolled: 1-line block ×4, first 2 shown]
	s_wait_loadcnt_dscnt 0x303
	s_wait_xcnt 0x3
	v_dual_mul_f32 v84, v59, v97 :: v_dual_mul_f32 v85, v58, v97
	s_wait_loadcnt_dscnt 0x202
	s_wait_xcnt 0x2
	v_dual_mul_f32 v86, v57, v99 :: v_dual_mul_f32 v87, v56, v99
	s_wait_loadcnt_dscnt 0x101
	s_wait_xcnt 0x1
	v_pk_mul_f32 v[88:89], v[74:75], v[100:101] op_sel:[0,1]
	v_dual_fma_f32 v84, v58, v96, -v84 :: v_dual_fmac_f32 v85, v59, v96
	v_dual_fma_f32 v86, v56, v98, -v86 :: v_dual_fmac_f32 v87, v57, v98
	s_wait_xcnt 0x0
	s_delay_alu instid0(VALU_DEP_3) | instskip(SKIP_4) | instid1(VALU_DEP_2)
	v_pk_fma_f32 v[90:91], v[50:51], v[100:101], v[88:89] op_sel_hi:[1,0,1]
	v_pk_fma_f32 v[88:89], v[50:51], v[100:101], v[88:89] neg_lo:[0,0,1] neg_hi:[0,0,1]
	v_pk_add_f32 v[28:29], v[28:29], v[84:85]
	s_wait_loadcnt_dscnt 0x0
	v_pk_mul_f32 v[84:85], v[68:69], v[102:103] op_sel:[0,1]
	v_pk_add_f32 v[28:29], v[86:87], v[28:29]
	s_delay_alu instid0(VALU_DEP_2) | instskip(SKIP_2) | instid1(VALU_DEP_3)
	v_pk_fma_f32 v[86:87], v[48:49], v[102:103], v[84:85] op_sel_hi:[1,0,1]
	v_mov_b32_e32 v89, v91
	v_pk_fma_f32 v[84:85], v[48:49], v[102:103], v[84:85] neg_lo:[0,0,1] neg_hi:[0,0,1]
	v_mov_b32_e32 v85, v87
	s_delay_alu instid0(VALU_DEP_3) | instskip(NEXT) | instid1(VALU_DEP_1)
	v_pk_add_f32 v[28:29], v[88:89], v[28:29]
	v_pk_add_f32 v[28:29], v[84:85], v[28:29]
	s_branch .LBB297_21
.LBB297_30:                             ;   in Loop: Header=BB297_5 Depth=1
	s_or_b32 exec_lo, exec_lo, s8
.LBB297_31:                             ;   in Loop: Header=BB297_5 Depth=1
	s_delay_alu instid0(SALU_CYCLE_1) | instskip(NEXT) | instid1(SALU_CYCLE_1)
	s_or_b32 exec_lo, exec_lo, s7
	s_and_not1_b32 vcc_lo, exec_lo, s12
	s_cbranch_vccnz .LBB297_49
; %bb.32:                               ;   in Loop: Header=BB297_5 Depth=1
	v_dual_mov_b32 v44, 0 :: v_dual_bitop2_b32 v46, 1, v0 bitop3:0x54
	v_cmp_gt_i32_e32 vcc_lo, s13, v0
	s_delay_alu instid0(VALU_DEP_2)
	v_dual_mov_b32 v45, v44 :: v_dual_mov_b32 v42, v44
	v_dual_mov_b32 v43, v44 :: v_dual_mov_b32 v40, v44
	;; [unrolled: 1-line block ×3, first 2 shown]
	v_mov_b32_e32 v39, v44
	s_and_saveexec_b32 s8, vcc_lo
	s_cbranch_execz .LBB297_40
; %bb.33:                               ;   in Loop: Header=BB297_5 Depth=1
	v_mul_u64_e32 v[38:39], s[30:31], v[0:1]
	v_dual_mov_b32 v41, 0 :: v_dual_mov_b32 v40, 0
	v_dual_mov_b32 v43, 0 :: v_dual_mov_b32 v42, 0
	;; [unrolled: 1-line block ×3, first 2 shown]
	s_mov_b32 s9, exec_lo
	s_delay_alu instid0(VALU_DEP_4)
	v_lshl_add_u64 v[38:39], v[38:39], 3, v[36:37]
	flat_load_b64 v[38:39], v[38:39]
	s_wait_xcnt 0x0
	v_cmpx_gt_i32_e64 s13, v46
	s_cbranch_execz .LBB297_39
; %bb.34:                               ;   in Loop: Header=BB297_5 Depth=1
	v_dual_mov_b32 v47, v1 :: v_dual_bitop2_b32 v48, 2, v0 bitop3:0x54
	v_dual_mov_b32 v43, 0 :: v_dual_mov_b32 v42, 0
	v_dual_mov_b32 v45, 0 :: v_dual_mov_b32 v44, 0
	s_delay_alu instid0(VALU_DEP_3) | instskip(SKIP_1) | instid1(VALU_DEP_1)
	v_mul_u64_e32 v[40:41], s[30:31], v[46:47]
	s_mov_b32 s50, exec_lo
	v_lshl_add_u64 v[40:41], v[40:41], 3, v[36:37]
	flat_load_b64 v[40:41], v[40:41]
	s_wait_xcnt 0x0
	v_cmpx_gt_i32_e64 s13, v48
	s_cbranch_execz .LBB297_38
; %bb.35:                               ;   in Loop: Header=BB297_5 Depth=1
	v_dual_mov_b32 v49, v1 :: v_dual_mov_b32 v45, 0
	v_mov_b32_e32 v44, 0
	s_mov_b32 s51, exec_lo
	s_delay_alu instid0(VALU_DEP_2) | instskip(SKIP_1) | instid1(VALU_DEP_2)
	v_mul_u64_e32 v[42:43], s[30:31], v[48:49]
	v_or_b32_e32 v48, 3, v0
	v_lshl_add_u64 v[42:43], v[42:43], 3, v[36:37]
	flat_load_b64 v[42:43], v[42:43]
	s_wait_xcnt 0x0
	v_cmpx_gt_i32_e64 s13, v48
	s_cbranch_execz .LBB297_37
; %bb.36:                               ;   in Loop: Header=BB297_5 Depth=1
	v_mov_b32_e32 v49, v1
	s_delay_alu instid0(VALU_DEP_1) | instskip(NEXT) | instid1(VALU_DEP_1)
	v_mul_u64_e32 v[44:45], s[30:31], v[48:49]
	v_lshl_add_u64 v[36:37], v[44:45], 3, v[36:37]
	flat_load_b64 v[44:45], v[36:37]
.LBB297_37:                             ;   in Loop: Header=BB297_5 Depth=1
	s_wait_xcnt 0x0
	s_or_b32 exec_lo, exec_lo, s51
.LBB297_38:                             ;   in Loop: Header=BB297_5 Depth=1
	s_delay_alu instid0(SALU_CYCLE_1)
	s_or_b32 exec_lo, exec_lo, s50
.LBB297_39:                             ;   in Loop: Header=BB297_5 Depth=1
	s_delay_alu instid0(SALU_CYCLE_1)
	s_or_b32 exec_lo, exec_lo, s9
.LBB297_40:                             ;   in Loop: Header=BB297_5 Depth=1
	s_delay_alu instid0(SALU_CYCLE_1)
	s_or_b32 exec_lo, exec_lo, s8
	s_and_saveexec_b32 s50, s1
	s_cbranch_execz .LBB297_48
; %bb.41:                               ;   in Loop: Header=BB297_5 Depth=1
	v_dual_mov_b32 v47, v1 :: v_dual_bitop2_b32 v36, 2, v0 bitop3:0x54
	v_mov_b32_e32 v37, v1
	v_mul_u64_e32 v[48:49], s[34:35], v[0:1]
	v_or_b32_e32 v0, 3, v0
	s_delay_alu instid0(VALU_DEP_4)
	v_mul_u64_e32 v[50:51], s[34:35], v[46:47]
	v_cmp_gt_i32_e64 s7, s13, v46
	v_mul_u64_e32 v[52:53], s[34:35], v[36:37]
	v_cmp_gt_i32_e64 s8, s13, v36
	;; [unrolled: 2-line block ×3, first 2 shown]
	s_wait_loadcnt_dscnt 0x0
	v_dual_mov_b32 v56, v39 :: v_dual_mov_b32 v57, v38
	v_dual_cndmask_b32 v37, 0, v49 :: v_dual_cndmask_b32 v36, 0, v48
	v_dual_cndmask_b32 v47, 0, v51, s7 :: v_dual_cndmask_b32 v46, 0, v50, s7
	v_dual_cndmask_b32 v49, 0, v53, s8 :: v_dual_cndmask_b32 v48, 0, v52, s8
	v_dual_cndmask_b32 v51, 0, v55, s9 :: v_dual_cndmask_b32 v50, 0, v54, s9
	s_delay_alu instid0(VALU_DEP_4) | instskip(NEXT) | instid1(VALU_DEP_4)
	v_lshl_add_u64 v[36:37], v[36:37], 3, v[34:35]
	v_lshl_add_u64 v[46:47], v[46:47], 3, v[34:35]
	s_delay_alu instid0(VALU_DEP_4)
	v_lshl_add_u64 v[48:49], v[48:49], 3, v[34:35]
	v_dual_mov_b32 v54, v41 :: v_dual_mov_b32 v55, v40
	v_lshl_add_u64 v[34:35], v[50:51], 3, v[34:35]
	v_add_nc_u64_e32 v[76:77], v[36:37], v[14:15]
	v_add_nc_u64_e32 v[74:75], v[46:47], v[14:15]
	v_add_nc_u64_e32 v[80:81], v[48:49], v[14:15]
	v_dual_mov_b32 v52, v43 :: v_dual_mov_b32 v53, v42
	v_add_nc_u64_e32 v[78:79], v[34:35], v[14:15]
	s_clause 0x3
	flat_load_b64 v[50:51], v[76:77]
	flat_load_b64 v[46:47], v[74:75]
	;; [unrolled: 1-line block ×4, first 2 shown]
	v_dual_mov_b32 v48, v45 :: v_dual_mov_b32 v49, v44
	s_wait_xcnt 0x0
	s_and_saveexec_b32 s7, s3
	s_cbranch_execz .LBB297_47
; %bb.42:                               ;   in Loop: Header=BB297_5 Depth=1
	s_clause 0x3
	flat_load_b64 v[64:65], v[76:77] offset:512
	flat_load_b64 v[62:63], v[74:75] offset:512
	flat_load_b64 v[60:61], v[80:81] offset:512
	flat_load_b64 v[58:59], v[78:79] offset:512
	s_wait_xcnt 0x0
	s_and_saveexec_b32 s8, s4
	s_cbranch_execz .LBB297_46
; %bb.43:                               ;   in Loop: Header=BB297_5 Depth=1
	s_clause 0x3
	flat_load_b64 v[72:73], v[76:77] offset:1024
	flat_load_b64 v[70:71], v[74:75] offset:1024
	flat_load_b64 v[68:69], v[80:81] offset:1024
	flat_load_b64 v[66:67], v[78:79] offset:1024
	;; [unrolled: 9-line block ×3, first 2 shown]
	s_wait_loadcnt_dscnt 0x303
	s_wait_xcnt 0x2
	v_pk_mul_f32 v[74:75], v[56:57], v[82:83] op_sel:[0,1]
	s_wait_loadcnt_dscnt 0x202
	v_pk_mul_f32 v[76:77], v[54:55], v[84:85] op_sel:[0,1]
	s_wait_loadcnt_dscnt 0x101
	s_wait_xcnt 0x1
	v_pk_mul_f32 v[80:81], v[52:53], v[86:87] op_sel:[0,1]
	s_wait_xcnt 0x0
	v_pk_fma_f32 v[78:79], v[38:39], v[82:83], v[74:75] op_sel_hi:[1,0,1]
	v_pk_fma_f32 v[74:75], v[38:39], v[82:83], v[74:75] neg_lo:[0,0,1] neg_hi:[0,0,1]
	v_pk_fma_f32 v[82:83], v[40:41], v[84:85], v[76:77] op_sel_hi:[1,0,1]
	v_pk_fma_f32 v[76:77], v[40:41], v[84:85], v[76:77] neg_lo:[0,0,1] neg_hi:[0,0,1]
	s_delay_alu instid0(VALU_DEP_4) | instskip(SKIP_1) | instid1(VALU_DEP_4)
	v_mov_b32_e32 v75, v79
	v_pk_fma_f32 v[78:79], v[42:43], v[86:87], v[80:81] op_sel_hi:[1,0,1]
	v_mov_b32_e32 v77, v83
	v_pk_fma_f32 v[80:81], v[42:43], v[86:87], v[80:81] neg_lo:[0,0,1] neg_hi:[0,0,1]
	s_delay_alu instid0(VALU_DEP_4) | instskip(SKIP_2) | instid1(VALU_DEP_2)
	v_pk_add_f32 v[28:29], v[28:29], v[74:75]
	s_wait_loadcnt_dscnt 0x0
	v_pk_mul_f32 v[74:75], v[48:49], v[88:89] op_sel:[0,1]
	v_pk_add_f32 v[28:29], v[76:77], v[28:29]
	s_delay_alu instid0(VALU_DEP_2) | instskip(SKIP_2) | instid1(VALU_DEP_3)
	v_pk_fma_f32 v[76:77], v[44:45], v[88:89], v[74:75] op_sel_hi:[1,0,1]
	v_mov_b32_e32 v81, v79
	v_pk_fma_f32 v[74:75], v[44:45], v[88:89], v[74:75] neg_lo:[0,0,1] neg_hi:[0,0,1]
	v_mov_b32_e32 v75, v77
	s_delay_alu instid0(VALU_DEP_3) | instskip(NEXT) | instid1(VALU_DEP_1)
	v_pk_add_f32 v[28:29], v[80:81], v[28:29]
	v_pk_add_f32 v[28:29], v[74:75], v[28:29]
.LBB297_45:                             ;   in Loop: Header=BB297_5 Depth=1
	s_or_b32 exec_lo, exec_lo, s9
	s_wait_loadcnt_dscnt 0x303
	v_pk_mul_f32 v[74:75], v[56:57], v[72:73] op_sel:[0,1]
	s_wait_loadcnt_dscnt 0x202
	v_pk_mul_f32 v[76:77], v[54:55], v[70:71] op_sel:[0,1]
	;; [unrolled: 2-line block ×3, first 2 shown]
	v_pk_fma_f32 v[78:79], v[38:39], v[72:73], v[74:75] op_sel_hi:[1,0,1]
	v_pk_fma_f32 v[72:73], v[38:39], v[72:73], v[74:75] neg_lo:[0,0,1] neg_hi:[0,0,1]
	v_pk_fma_f32 v[74:75], v[40:41], v[70:71], v[76:77] op_sel_hi:[1,0,1]
	v_pk_fma_f32 v[70:71], v[40:41], v[70:71], v[76:77] neg_lo:[0,0,1] neg_hi:[0,0,1]
	v_pk_fma_f32 v[76:77], v[42:43], v[68:69], v[80:81] op_sel_hi:[1,0,1]
	v_mov_b32_e32 v73, v79
	v_pk_fma_f32 v[68:69], v[42:43], v[68:69], v[80:81] neg_lo:[0,0,1] neg_hi:[0,0,1]
	v_mov_b32_e32 v71, v75
	s_delay_alu instid0(VALU_DEP_3) | instskip(SKIP_2) | instid1(VALU_DEP_2)
	v_pk_add_f32 v[30:31], v[30:31], v[72:73]
	s_wait_loadcnt_dscnt 0x0
	v_pk_mul_f32 v[72:73], v[48:49], v[66:67] op_sel:[0,1]
	v_pk_add_f32 v[30:31], v[70:71], v[30:31]
	s_delay_alu instid0(VALU_DEP_2) | instskip(SKIP_2) | instid1(VALU_DEP_3)
	v_pk_fma_f32 v[70:71], v[44:45], v[66:67], v[72:73] op_sel_hi:[1,0,1]
	v_mov_b32_e32 v69, v77
	v_pk_fma_f32 v[66:67], v[44:45], v[66:67], v[72:73] neg_lo:[0,0,1] neg_hi:[0,0,1]
	v_mov_b32_e32 v67, v71
	s_delay_alu instid0(VALU_DEP_3) | instskip(NEXT) | instid1(VALU_DEP_1)
	v_pk_add_f32 v[30:31], v[68:69], v[30:31]
	v_pk_add_f32 v[30:31], v[66:67], v[30:31]
.LBB297_46:                             ;   in Loop: Header=BB297_5 Depth=1
	s_or_b32 exec_lo, exec_lo, s8
	s_wait_loadcnt_dscnt 0x303
	v_pk_mul_f32 v[66:67], v[56:57], v[64:65] op_sel:[0,1]
	s_wait_loadcnt_dscnt 0x202
	v_pk_mul_f32 v[68:69], v[54:55], v[62:63] op_sel:[0,1]
	;; [unrolled: 2-line block ×3, first 2 shown]
	v_pk_fma_f32 v[70:71], v[38:39], v[64:65], v[66:67] op_sel_hi:[1,0,1]
	v_pk_fma_f32 v[64:65], v[38:39], v[64:65], v[66:67] neg_lo:[0,0,1] neg_hi:[0,0,1]
	v_pk_fma_f32 v[66:67], v[40:41], v[62:63], v[68:69] op_sel_hi:[1,0,1]
	v_pk_fma_f32 v[62:63], v[40:41], v[62:63], v[68:69] neg_lo:[0,0,1] neg_hi:[0,0,1]
	v_pk_fma_f32 v[68:69], v[42:43], v[60:61], v[72:73] op_sel_hi:[1,0,1]
	v_mov_b32_e32 v65, v71
	v_pk_fma_f32 v[60:61], v[42:43], v[60:61], v[72:73] neg_lo:[0,0,1] neg_hi:[0,0,1]
	v_mov_b32_e32 v63, v67
	s_delay_alu instid0(VALU_DEP_3) | instskip(SKIP_2) | instid1(VALU_DEP_2)
	v_pk_add_f32 v[32:33], v[32:33], v[64:65]
	s_wait_loadcnt_dscnt 0x0
	v_pk_mul_f32 v[64:65], v[48:49], v[58:59] op_sel:[0,1]
	v_pk_add_f32 v[32:33], v[62:63], v[32:33]
	s_delay_alu instid0(VALU_DEP_2) | instskip(SKIP_2) | instid1(VALU_DEP_3)
	v_pk_fma_f32 v[62:63], v[44:45], v[58:59], v[64:65] op_sel_hi:[1,0,1]
	v_mov_b32_e32 v61, v69
	v_pk_fma_f32 v[58:59], v[44:45], v[58:59], v[64:65] neg_lo:[0,0,1] neg_hi:[0,0,1]
	v_mov_b32_e32 v59, v63
	s_delay_alu instid0(VALU_DEP_3) | instskip(NEXT) | instid1(VALU_DEP_1)
	v_pk_add_f32 v[32:33], v[60:61], v[32:33]
	v_pk_add_f32 v[32:33], v[58:59], v[32:33]
.LBB297_47:                             ;   in Loop: Header=BB297_5 Depth=1
	s_or_b32 exec_lo, exec_lo, s7
	s_wait_loadcnt_dscnt 0x303
	v_pk_mul_f32 v[56:57], v[56:57], v[50:51] op_sel:[0,1]
	s_wait_loadcnt_dscnt 0x202
	v_pk_mul_f32 v[54:55], v[54:55], v[46:47] op_sel:[0,1]
	;; [unrolled: 2-line block ×3, first 2 shown]
	v_pk_fma_f32 v[58:59], v[38:39], v[50:51], v[56:57] op_sel_hi:[1,0,1]
	v_pk_fma_f32 v[38:39], v[38:39], v[50:51], v[56:57] neg_lo:[0,0,1] neg_hi:[0,0,1]
	v_pk_fma_f32 v[50:51], v[40:41], v[46:47], v[54:55] op_sel_hi:[1,0,1]
	v_pk_fma_f32 v[40:41], v[40:41], v[46:47], v[54:55] neg_lo:[0,0,1] neg_hi:[0,0,1]
	v_pk_fma_f32 v[46:47], v[42:43], v[36:37], v[52:53] op_sel_hi:[1,0,1]
	v_mov_b32_e32 v39, v59
	v_pk_fma_f32 v[36:37], v[42:43], v[36:37], v[52:53] neg_lo:[0,0,1] neg_hi:[0,0,1]
	v_mov_b32_e32 v41, v51
	s_delay_alu instid0(VALU_DEP_3) | instskip(SKIP_2) | instid1(VALU_DEP_2)
	v_pk_add_f32 v[26:27], v[26:27], v[38:39]
	s_wait_loadcnt_dscnt 0x0
	v_pk_mul_f32 v[38:39], v[48:49], v[34:35] op_sel:[0,1]
	v_pk_add_f32 v[26:27], v[40:41], v[26:27]
	s_delay_alu instid0(VALU_DEP_2) | instskip(SKIP_2) | instid1(VALU_DEP_3)
	v_pk_fma_f32 v[40:41], v[44:45], v[34:35], v[38:39] op_sel_hi:[1,0,1]
	v_mov_b32_e32 v37, v47
	v_pk_fma_f32 v[34:35], v[44:45], v[34:35], v[38:39] neg_lo:[0,0,1] neg_hi:[0,0,1]
	v_mov_b32_e32 v35, v41
	s_delay_alu instid0(VALU_DEP_3) | instskip(NEXT) | instid1(VALU_DEP_1)
	v_pk_add_f32 v[26:27], v[36:37], v[26:27]
	v_pk_add_f32 v[26:27], v[34:35], v[26:27]
.LBB297_48:                             ;   in Loop: Header=BB297_5 Depth=1
	s_or_b32 exec_lo, exec_lo, s50
.LBB297_49:                             ;   in Loop: Header=BB297_5 Depth=1
	ds_store_2addr_stride64_b64 v93, v[26:27], v[32:33] offset1:1
	ds_store_2addr_stride64_b64 v93, v[30:31], v[28:29] offset0:2 offset1:3
	s_wait_storecnt 0x0
	s_wait_loadcnt_dscnt 0x0
	s_barrier_signal -1
	s_barrier_wait -1
	s_and_saveexec_b32 s7, s0
	s_cbranch_execz .LBB297_3
; %bb.50:                               ;   in Loop: Header=BB297_5 Depth=1
	ds_load_2addr_stride64_b64 v[26:29], v94 offset1:4
	ds_load_2addr_stride64_b64 v[30:33], v94 offset0:8 offset1:12
	s_wait_dscnt 0x1
	v_pk_add_f32 v[26:27], v[26:27], v[28:29]
	s_wait_dscnt 0x0
	s_delay_alu instid0(VALU_DEP_1) | instskip(NEXT) | instid1(VALU_DEP_1)
	v_pk_add_f32 v[26:27], v[26:27], v[30:31]
	v_pk_add_f32 v[28:29], v[26:27], v[32:33]
	ds_store_b64 v94, v[28:29]
	s_and_b32 exec_lo, exec_lo, s2
	s_cbranch_execz .LBB297_3
; %bb.51:                               ;   in Loop: Header=BB297_5 Depth=1
	v_mov_b64_e32 v[26:27], s[38:39]
	v_mov_b64_e32 v[30:31], s[14:15]
	v_lshl_add_u64 v[24:25], v[12:13], 3, v[24:25]
	s_and_not1_b32 vcc_lo, exec_lo, s46
	s_delay_alu instid0(VALU_DEP_3) | instskip(NEXT) | instid1(VALU_DEP_1)
	v_pk_mul_f32 v[32:33], v[28:29], v[26:27] op_sel:[1,0]
	v_pk_fma_f32 v[26:27], v[28:29], v[30:31], v[32:33] op_sel_hi:[0,1,1] neg_lo:[0,0,1] neg_hi:[0,0,1]
	v_pk_fma_f32 v[28:29], v[28:29], v[30:31], v[32:33] op_sel_hi:[0,1,1]
	s_cbranch_vccnz .LBB297_2
; %bb.52:                               ;   in Loop: Header=BB297_5 Depth=1
	flat_load_b64 v[30:31], v[24:25]
	v_mov_b64_e32 v[32:33], s[36:37]
	v_mov_b64_e32 v[34:35], s[28:29]
	s_wait_loadcnt_dscnt 0x0
	s_delay_alu instid0(VALU_DEP_2) | instskip(NEXT) | instid1(VALU_DEP_1)
	v_pk_mul_f32 v[32:33], v[32:33], v[30:31] op_sel:[0,1]
	v_pk_fma_f32 v[36:37], v[34:35], v[30:31], v[32:33] op_sel_hi:[1,0,1]
	v_mov_b32_e32 v27, v29
	v_pk_fma_f32 v[28:29], v[34:35], v[30:31], v[32:33] neg_lo:[0,0,1] neg_hi:[0,0,1]
	s_delay_alu instid0(VALU_DEP_3) | instskip(NEXT) | instid1(VALU_DEP_1)
	v_mov_b32_e32 v29, v37
	v_pk_add_f32 v[26:27], v[26:27], v[28:29]
	s_delay_alu instid0(VALU_DEP_1)
	v_mov_b32_e32 v29, v27
	s_branch .LBB297_2
.LBB297_53:
	s_sendmsg sendmsg(MSG_DEALLOC_VGPRS)
	s_endpgm
	.section	.rodata,"a",@progbits
	.p2align	6, 0x0
	.amdhsa_kernel _ZL20rocblas_gemvn_kernelILi64ELi4ElPK19rocblas_complex_numIfES1_KPS1_EviiT3_lPKT2_lT1_lS9_lSA_lS6_lPT4_lSA_li
		.amdhsa_group_segment_fixed_size 8192
		.amdhsa_private_segment_fixed_size 0
		.amdhsa_kernarg_size 400
		.amdhsa_user_sgpr_count 2
		.amdhsa_user_sgpr_dispatch_ptr 0
		.amdhsa_user_sgpr_queue_ptr 0
		.amdhsa_user_sgpr_kernarg_segment_ptr 1
		.amdhsa_user_sgpr_dispatch_id 0
		.amdhsa_user_sgpr_kernarg_preload_length 0
		.amdhsa_user_sgpr_kernarg_preload_offset 0
		.amdhsa_user_sgpr_private_segment_size 0
		.amdhsa_wavefront_size32 1
		.amdhsa_uses_dynamic_stack 0
		.amdhsa_enable_private_segment 0
		.amdhsa_system_sgpr_workgroup_id_x 1
		.amdhsa_system_sgpr_workgroup_id_y 0
		.amdhsa_system_sgpr_workgroup_id_z 1
		.amdhsa_system_sgpr_workgroup_info 0
		.amdhsa_system_vgpr_workitem_id 1
		.amdhsa_next_free_vgpr 104
		.amdhsa_next_free_sgpr 53
		.amdhsa_named_barrier_count 0
		.amdhsa_reserve_vcc 1
		.amdhsa_float_round_mode_32 0
		.amdhsa_float_round_mode_16_64 0
		.amdhsa_float_denorm_mode_32 3
		.amdhsa_float_denorm_mode_16_64 3
		.amdhsa_fp16_overflow 0
		.amdhsa_memory_ordered 1
		.amdhsa_forward_progress 1
		.amdhsa_inst_pref_size 32
		.amdhsa_round_robin_scheduling 0
		.amdhsa_exception_fp_ieee_invalid_op 0
		.amdhsa_exception_fp_denorm_src 0
		.amdhsa_exception_fp_ieee_div_zero 0
		.amdhsa_exception_fp_ieee_overflow 0
		.amdhsa_exception_fp_ieee_underflow 0
		.amdhsa_exception_fp_ieee_inexact 0
		.amdhsa_exception_int_div_zero 0
	.end_amdhsa_kernel
	.section	.text._ZL20rocblas_gemvn_kernelILi64ELi4ElPK19rocblas_complex_numIfES1_KPS1_EviiT3_lPKT2_lT1_lS9_lSA_lS6_lPT4_lSA_li,"axG",@progbits,_ZL20rocblas_gemvn_kernelILi64ELi4ElPK19rocblas_complex_numIfES1_KPS1_EviiT3_lPKT2_lT1_lS9_lSA_lS6_lPT4_lSA_li,comdat
.Lfunc_end297:
	.size	_ZL20rocblas_gemvn_kernelILi64ELi4ElPK19rocblas_complex_numIfES1_KPS1_EviiT3_lPKT2_lT1_lS9_lSA_lS6_lPT4_lSA_li, .Lfunc_end297-_ZL20rocblas_gemvn_kernelILi64ELi4ElPK19rocblas_complex_numIfES1_KPS1_EviiT3_lPKT2_lT1_lS9_lSA_lS6_lPT4_lSA_li
                                        ; -- End function
	.set _ZL20rocblas_gemvn_kernelILi64ELi4ElPK19rocblas_complex_numIfES1_KPS1_EviiT3_lPKT2_lT1_lS9_lSA_lS6_lPT4_lSA_li.num_vgpr, 104
	.set _ZL20rocblas_gemvn_kernelILi64ELi4ElPK19rocblas_complex_numIfES1_KPS1_EviiT3_lPKT2_lT1_lS9_lSA_lS6_lPT4_lSA_li.num_agpr, 0
	.set _ZL20rocblas_gemvn_kernelILi64ELi4ElPK19rocblas_complex_numIfES1_KPS1_EviiT3_lPKT2_lT1_lS9_lSA_lS6_lPT4_lSA_li.numbered_sgpr, 53
	.set _ZL20rocblas_gemvn_kernelILi64ELi4ElPK19rocblas_complex_numIfES1_KPS1_EviiT3_lPKT2_lT1_lS9_lSA_lS6_lPT4_lSA_li.num_named_barrier, 0
	.set _ZL20rocblas_gemvn_kernelILi64ELi4ElPK19rocblas_complex_numIfES1_KPS1_EviiT3_lPKT2_lT1_lS9_lSA_lS6_lPT4_lSA_li.private_seg_size, 0
	.set _ZL20rocblas_gemvn_kernelILi64ELi4ElPK19rocblas_complex_numIfES1_KPS1_EviiT3_lPKT2_lT1_lS9_lSA_lS6_lPT4_lSA_li.uses_vcc, 1
	.set _ZL20rocblas_gemvn_kernelILi64ELi4ElPK19rocblas_complex_numIfES1_KPS1_EviiT3_lPKT2_lT1_lS9_lSA_lS6_lPT4_lSA_li.uses_flat_scratch, 1
	.set _ZL20rocblas_gemvn_kernelILi64ELi4ElPK19rocblas_complex_numIfES1_KPS1_EviiT3_lPKT2_lT1_lS9_lSA_lS6_lPT4_lSA_li.has_dyn_sized_stack, 0
	.set _ZL20rocblas_gemvn_kernelILi64ELi4ElPK19rocblas_complex_numIfES1_KPS1_EviiT3_lPKT2_lT1_lS9_lSA_lS6_lPT4_lSA_li.has_recursion, 0
	.set _ZL20rocblas_gemvn_kernelILi64ELi4ElPK19rocblas_complex_numIfES1_KPS1_EviiT3_lPKT2_lT1_lS9_lSA_lS6_lPT4_lSA_li.has_indirect_call, 0
	.section	.AMDGPU.csdata,"",@progbits
; Kernel info:
; codeLenInByte = 3988
; TotalNumSgprs: 55
; NumVgprs: 104
; ScratchSize: 0
; MemoryBound: 0
; FloatMode: 240
; IeeeMode: 1
; LDSByteSize: 8192 bytes/workgroup (compile time only)
; SGPRBlocks: 0
; VGPRBlocks: 6
; NumSGPRsForWavesPerEU: 55
; NumVGPRsForWavesPerEU: 104
; NamedBarCnt: 0
; Occupancy: 9
; WaveLimiterHint : 1
; COMPUTE_PGM_RSRC2:SCRATCH_EN: 0
; COMPUTE_PGM_RSRC2:USER_SGPR: 2
; COMPUTE_PGM_RSRC2:TRAP_HANDLER: 0
; COMPUTE_PGM_RSRC2:TGID_X_EN: 1
; COMPUTE_PGM_RSRC2:TGID_Y_EN: 0
; COMPUTE_PGM_RSRC2:TGID_Z_EN: 1
; COMPUTE_PGM_RSRC2:TIDIG_COMP_CNT: 1
	.section	.text._ZL20rocblas_gemvn_kernelILi32ELi16EiPK19rocblas_complex_numIfES3_KPS1_EviiT3_lPKT2_lT1_lS9_lSA_lS6_lPT4_lSA_li,"axG",@progbits,_ZL20rocblas_gemvn_kernelILi32ELi16EiPK19rocblas_complex_numIfES3_KPS1_EviiT3_lPKT2_lT1_lS9_lSA_lS6_lPT4_lSA_li,comdat
	.globl	_ZL20rocblas_gemvn_kernelILi32ELi16EiPK19rocblas_complex_numIfES3_KPS1_EviiT3_lPKT2_lT1_lS9_lSA_lS6_lPT4_lSA_li ; -- Begin function _ZL20rocblas_gemvn_kernelILi32ELi16EiPK19rocblas_complex_numIfES3_KPS1_EviiT3_lPKT2_lT1_lS9_lSA_lS6_lPT4_lSA_li
	.p2align	8
	.type	_ZL20rocblas_gemvn_kernelILi32ELi16EiPK19rocblas_complex_numIfES3_KPS1_EviiT3_lPKT2_lT1_lS9_lSA_lS6_lPT4_lSA_li,@function
_ZL20rocblas_gemvn_kernelILi32ELi16EiPK19rocblas_complex_numIfES3_KPS1_EviiT3_lPKT2_lT1_lS9_lSA_lS6_lPT4_lSA_li: ; @_ZL20rocblas_gemvn_kernelILi32ELi16EiPK19rocblas_complex_numIfES3_KPS1_EviiT3_lPKT2_lT1_lS9_lSA_lS6_lPT4_lSA_li
; %bb.0:
	s_clause 0x1
	s_load_b64 s[4:5], s[0:1], 0x9c
	s_load_b32 s33, s[0:1], 0x88
	s_bfe_u32 s2, ttmp6, 0x40014
	s_lshr_b32 s3, ttmp7, 16
	s_add_co_i32 s2, s2, 1
	s_bfe_u32 s6, ttmp6, 0x40008
	s_mul_i32 s7, s3, s2
	s_getreg_b32 s2, hwreg(HW_REG_IB_STS2, 6, 4)
	s_add_co_i32 s6, s6, s7
	s_mov_b32 s29, 0
	s_wait_kmcnt 0x0
	s_lshr_b32 s7, s4, 16
	s_and_b32 s4, s4, 0xffff
	s_and_b32 s5, s5, 0xffff
	s_mul_i32 s4, s7, s4
	s_cmp_eq_u32 s2, 0
	s_mul_i32 s4, s4, s5
	s_cselect_b32 s28, s3, s6
	s_cmp_lg_u32 s4, 0x200
	s_cselect_b32 s3, -1, 0
	s_cmp_ge_u32 s28, s33
	s_cselect_b32 s4, -1, 0
	s_delay_alu instid0(SALU_CYCLE_1) | instskip(NEXT) | instid1(SALU_CYCLE_1)
	s_or_b32 s3, s3, s4
	s_and_b32 vcc_lo, exec_lo, s3
	s_cbranch_vccnz .LBB298_51
; %bb.1:
	s_clause 0x6
	s_load_b32 s4, s[0:1], 0x78
	s_load_b64 s[30:31], s[0:1], 0x0
	s_load_b256 s[8:15], s[0:1], 0x8
	s_load_b32 s36, s[0:1], 0x28
	s_load_b128 s[24:27], s[0:1], 0x38
	s_load_b32 s37, s[0:1], 0x48
	s_load_b256 s[16:23], s[0:1], 0x58
	s_wait_xcnt 0x0
	s_bfe_u32 s0, ttmp6, 0x4000c
	v_and_b32_e32 v6, 0x3ff, v0
	s_add_co_i32 s0, s0, 1
	v_bfe_u32 v7, v0, 10, 10
	s_and_b32 s1, ttmp6, 15
	s_mul_i32 s0, ttmp9, s0
	v_mov_b32_e32 v1, 0
	s_add_co_i32 s1, s1, s0
	v_lshl_add_u32 v5, v7, 5, v6
	v_lshlrev_b32_e32 v66, 2, v7
	s_wait_kmcnt 0x0
	s_ashr_i32 s5, s4, 31
	s_cmp_eq_u32 s2, 0
	s_mov_b32 s2, s30
	s_cselect_b32 s0, ttmp9, s1
	s_ashr_i32 s3, s30, 31
	s_lshl_b32 s38, s0, 7
	s_ashr_i32 s1, s31, 31
	v_dual_add_nc_u32 v0, s38, v5 :: v_dual_add_nc_u32 v67, s38, v6
	v_or_b32_e32 v8, s38, v5
	s_lshr_b32 s0, s1, 26
	v_mul_lo_u32 v11, v7, s36
	s_delay_alu instid0(VALU_DEP_3) | instskip(SKIP_4) | instid1(VALU_DEP_4)
	v_cmp_gt_i64_e32 vcc_lo, s[2:3], v[0:1]
	v_dual_add_nc_u32 v4, 32, v67 :: v_dual_add_nc_u32 v9, 64, v67
	v_or_b32_e32 v10, 3, v66
	v_mul_u64_e32 v[2:3], s[4:5], v[0:1]
	v_add_nc_u32_e32 v0, 0x60, v67
	v_cmp_gt_i32_e64 s2, s30, v4
	v_mul_lo_u32 v4, s4, v8
	v_cmp_gt_i32_e64 s3, s30, v9
	v_lshlrev_b32_e32 v9, 3, v6
	s_add_co_i32 s39, s31, s0
	v_cmp_gt_i32_e64 s4, s30, v0
	v_cmp_gt_u32_e64 s5, 0x80, v5
	s_and_not1_b32 s39, s39, 63
	v_mad_u32 v70, s36, v10, v6
	s_sub_co_i32 s6, s31, s39
	v_mad_u32 v71, s37, v66, s37
	s_cmp_gt_i32 s6, 0
	v_ashrrev_i32_e32 v5, 31, v4
	v_lshl_add_u32 v0, v7, 10, v9
	v_lshl_add_u32 v68, v7, 8, v9
	v_mul_lo_u32 v7, v7, s37
	v_cmp_gt_i32_e64 s6, s30, v8
	v_mul_lo_u32 v8, s36, v66
	v_or_b32_e32 v9, 2, v66
	v_mul_lo_u32 v73, s37, v10
	v_cmp_gt_i32_e64 s0, s39, v66
	v_cmp_gt_i32_e64 s1, s30, v67
	v_lshl_add_u32 v75, v11, 2, v6
	s_cselect_b32 s40, -1, 0
	s_and_b32 s30, s5, vcc_lo
	s_lshl_b32 s41, s36, 6
	v_lshlrev_b32_e32 v76, 2, v7
	v_mad_u32 v69, s36, v9, v6
	v_mul_lo_u32 v72, s37, v9
	v_add3_u32 v74, v8, s36, v6
	s_lshl_b32 s42, s37, 6
	s_lshl_b64 s[14:15], s[14:15], 3
	s_lshl_b64 s[26:27], s[26:27], 3
	;; [unrolled: 1-line block ×3, first 2 shown]
	s_branch .LBB298_5
.LBB298_2:                              ;   in Loop: Header=BB298_5 Depth=1
	s_delay_alu instid0(VALU_DEP_1)
	v_mov_b32_e32 v11, v13
	flat_store_b64 v[8:9], v[10:11]
.LBB298_3:                              ;   in Loop: Header=BB298_5 Depth=1
	s_wait_xcnt 0x0
	s_or_b32 exec_lo, exec_lo, s43
.LBB298_4:                              ;   in Loop: Header=BB298_5 Depth=1
	s_add_co_i32 s28, s28, 0x10000
	s_delay_alu instid0(SALU_CYCLE_1)
	s_cmp_lt_u32 s28, s33
	s_cbranch_scc0 .LBB298_51
.LBB298_5:                              ; =>This Loop Header: Depth=1
                                        ;     Child Loop BB298_23 Depth 2
	s_mul_u64 s[34:35], s[10:11], s[28:29]
	s_delay_alu instid0(SALU_CYCLE_1) | instskip(NEXT) | instid1(SALU_CYCLE_1)
	s_lshl_b64 s[34:35], s[34:35], 3
	s_add_nc_u64 s[34:35], s[8:9], s[34:35]
	global_load_b64 v[8:9], v1, s[34:35]
	s_wait_xcnt 0x0
	s_mul_u64 s[34:35], s[18:19], s[28:29]
	s_delay_alu instid0(SALU_CYCLE_1) | instskip(NEXT) | instid1(SALU_CYCLE_1)
	s_lshl_b64 s[34:35], s[34:35], 3
	s_add_nc_u64 s[34:35], s[16:17], s[34:35]
	global_load_b64 v[6:7], v1, s[34:35]
	s_wait_loadcnt 0x1
	s_wait_xcnt 0x0
	v_readfirstlane_b32 s34, v8
	v_readfirstlane_b32 s35, v9
	s_cmp_eq_f32 s34, 0
	s_wait_loadcnt 0x0
	v_cmp_eq_f32_e32 vcc_lo, 1.0, v6
	v_cmp_eq_f32_e64 s7, 0, v7
	s_cselect_b32 s43, -1, 0
	s_cmp_eq_f32 s35, 0
	s_cselect_b32 s44, -1, 0
	s_and_b32 s7, vcc_lo, s7
	s_and_b32 s43, s43, s44
	s_delay_alu instid0(SALU_CYCLE_1) | instskip(NEXT) | instid1(SALU_CYCLE_1)
	s_and_b32 s7, s43, s7
	s_and_b32 vcc_lo, exec_lo, s7
	s_cbranch_vccnz .LBB298_4
; %bb.6:                                ;   in Loop: Header=BB298_5 Depth=1
	s_or_b32 s7, s34, s35
	v_mov_b64_e32 v[20:21], 0
	s_bitset0_b32 s7, 31
	v_mov_b64_e32 v[18:19], 0
	s_cmp_lg_u32 s7, 0
	s_cselect_b32 s43, -1, 0
	s_cmp_eq_u32 s7, 0
	s_cselect_b32 s7, -1, 0
	s_delay_alu instid0(SALU_CYCLE_1)
	s_and_b32 vcc_lo, exec_lo, s7
	s_cbranch_vccnz .LBB298_8
; %bb.7:                                ;   in Loop: Header=BB298_5 Depth=1
	s_lshl_b64 s[44:45], s[28:29], 3
	s_delay_alu instid0(SALU_CYCLE_1)
	s_add_nc_u64 s[44:45], s[12:13], s[44:45]
	global_load_b64 v[8:9], v1, s[44:45]
	s_wait_loadcnt 0x0
	v_add_nc_u64_e32 v[18:19], s[14:15], v[8:9]
.LBB298_8:                              ;   in Loop: Header=BB298_5 Depth=1
	s_and_not1_b32 vcc_lo, exec_lo, s43
	s_cbranch_vccnz .LBB298_10
; %bb.9:                                ;   in Loop: Header=BB298_5 Depth=1
	s_wait_xcnt 0x0
	s_lshl_b64 s[44:45], s[28:29], 3
	s_delay_alu instid0(SALU_CYCLE_1)
	s_add_nc_u64 s[44:45], s[24:25], s[44:45]
	global_load_b64 v[8:9], v1, s[44:45]
	s_wait_loadcnt 0x0
	v_add_nc_u64_e32 v[20:21], s[26:27], v[8:9]
.LBB298_10:                             ;   in Loop: Header=BB298_5 Depth=1
	s_wait_xcnt 0x0
	s_lshl_b64 s[44:45], s[28:29], 3
	s_and_not1_b32 vcc_lo, exec_lo, s7
	s_add_nc_u64 s[44:45], s[20:21], s[44:45]
	s_mov_b32 s7, -1
	global_load_b64 v[8:9], v1, s[44:45]
	s_wait_loadcnt 0x0
	v_add_nc_u64_e32 v[8:9], s[22:23], v[8:9]
	s_cbranch_vccnz .LBB298_16
; %bb.11:                               ;   in Loop: Header=BB298_5 Depth=1
	s_wait_xcnt 0x0
	s_and_saveexec_b32 s43, s30
	s_cbranch_execz .LBB298_15
; %bb.12:                               ;   in Loop: Header=BB298_5 Depth=1
	v_cmp_neq_f32_e32 vcc_lo, 0, v6
	v_cmp_neq_f32_e64 s7, 0, v7
	v_dual_mov_b32 v12, 0 :: v_dual_mov_b32 v13, 0
	v_lshl_add_u64 v[10:11], v[2:3], 3, v[8:9]
	s_or_b32 s7, vcc_lo, s7
	s_delay_alu instid0(SALU_CYCLE_1)
	s_and_not1_b32 vcc_lo, exec_lo, s7
	s_cbranch_vccnz .LBB298_14
; %bb.13:                               ;   in Loop: Header=BB298_5 Depth=1
	flat_load_b64 v[12:13], v[10:11]
	s_wait_loadcnt_dscnt 0x0
	v_pk_mul_f32 v[14:15], v[6:7], v[12:13] op_sel:[1,1] op_sel_hi:[0,1]
	s_delay_alu instid0(VALU_DEP_1) | instskip(SKIP_1) | instid1(VALU_DEP_2)
	v_pk_fma_f32 v[16:17], v[6:7], v[12:13], v[14:15] op_sel_hi:[1,0,1]
	v_pk_fma_f32 v[12:13], v[6:7], v[12:13], v[14:15] neg_lo:[0,0,1] neg_hi:[0,0,1]
	v_mov_b32_e32 v13, v17
.LBB298_14:                             ;   in Loop: Header=BB298_5 Depth=1
	flat_store_b64 v[10:11], v[12:13]
.LBB298_15:                             ;   in Loop: Header=BB298_5 Depth=1
	s_wait_xcnt 0x0
	s_or_b32 exec_lo, exec_lo, s43
	s_mov_b32 s7, 0
.LBB298_16:                             ;   in Loop: Header=BB298_5 Depth=1
	s_delay_alu instid0(SALU_CYCLE_1)
	s_and_not1_b32 vcc_lo, exec_lo, s7
	s_cbranch_vccnz .LBB298_4
; %bb.17:                               ;   in Loop: Header=BB298_5 Depth=1
	v_mov_b64_e32 v[12:13], 0
	v_mov_b64_e32 v[14:15], 0
	;; [unrolled: 1-line block ×4, first 2 shown]
	v_mov_b32_e32 v77, v66
	s_wait_xcnt 0x0
	s_and_saveexec_b32 s7, s0
	s_cbranch_execz .LBB298_29
; %bb.18:                               ;   in Loop: Header=BB298_5 Depth=1
	v_mov_b64_e32 v[10:11], 0
	v_mov_b64_e32 v[16:17], 0
	;; [unrolled: 1-line block ×4, first 2 shown]
	v_dual_mov_b32 v78, v75 :: v_dual_mov_b32 v79, v70
	v_dual_mov_b32 v80, v69 :: v_dual_mov_b32 v81, v74
	v_mov_b32_e32 v77, v66
	s_mov_b32 s43, 0
	s_mov_b32 s44, 0
	s_branch .LBB298_23
.LBB298_19:                             ;   in Loop: Header=BB298_23 Depth=2
	s_or_b32 exec_lo, exec_lo, s48
	s_wait_loadcnt_dscnt 0x303
	v_dual_mul_f32 v58, v33, v57 :: v_dual_mul_f32 v59, v32, v57
	s_wait_loadcnt_dscnt 0x202
	v_dual_mul_f32 v62, v31, v55 :: v_dual_mul_f32 v57, v30, v55
	s_wait_loadcnt_dscnt 0x101
	v_pk_mul_f32 v[60:61], v[48:49], v[52:53] op_sel:[0,1]
	v_dual_fma_f32 v58, v32, v56, -v58 :: v_dual_fmac_f32 v59, v33, v56
	s_delay_alu instid0(VALU_DEP_3) | instskip(NEXT) | instid1(VALU_DEP_3)
	v_dual_fma_f32 v56, v30, v54, -v62 :: v_dual_fmac_f32 v57, v31, v54
	v_pk_fma_f32 v[54:55], v[24:25], v[52:53], v[60:61] op_sel_hi:[1,0,1]
	v_pk_fma_f32 v[52:53], v[24:25], v[52:53], v[60:61] neg_lo:[0,0,1] neg_hi:[0,0,1]
	s_delay_alu instid0(VALU_DEP_4) | instskip(SKIP_3) | instid1(VALU_DEP_3)
	v_pk_add_f32 v[14:15], v[14:15], v[58:59]
	s_wait_loadcnt_dscnt 0x0
	v_pk_mul_f32 v[58:59], v[42:43], v[50:51] op_sel:[0,1]
	v_mov_b32_e32 v53, v55
	v_pk_add_f32 v[14:15], v[56:57], v[14:15]
	s_delay_alu instid0(VALU_DEP_3) | instskip(SKIP_1) | instid1(VALU_DEP_2)
	v_pk_fma_f32 v[54:55], v[22:23], v[50:51], v[58:59] op_sel_hi:[1,0,1]
	v_pk_fma_f32 v[50:51], v[22:23], v[50:51], v[58:59] neg_lo:[0,0,1] neg_hi:[0,0,1]
	v_mov_b32_e32 v51, v55
	s_delay_alu instid0(VALU_DEP_4) | instskip(NEXT) | instid1(VALU_DEP_1)
	v_pk_add_f32 v[14:15], v[52:53], v[14:15]
	v_pk_add_f32 v[14:15], v[50:51], v[14:15]
.LBB298_20:                             ;   in Loop: Header=BB298_23 Depth=2
	s_or_b32 exec_lo, exec_lo, s47
	s_wait_loadcnt_dscnt 0x303
	v_dual_mul_f32 v50, v33, v47 :: v_dual_mul_f32 v51, v32, v47
	s_wait_loadcnt_dscnt 0x202
	v_dual_mul_f32 v52, v31, v45 :: v_dual_mul_f32 v47, v30, v45
	s_wait_loadcnt_dscnt 0x101
	v_pk_mul_f32 v[48:49], v[48:49], v[40:41] op_sel:[0,1]
	v_dual_fma_f32 v50, v32, v46, -v50 :: v_dual_fmac_f32 v51, v33, v46
	s_delay_alu instid0(VALU_DEP_3) | instskip(NEXT) | instid1(VALU_DEP_3)
	v_dual_fma_f32 v46, v30, v44, -v52 :: v_dual_fmac_f32 v47, v31, v44
	v_pk_fma_f32 v[44:45], v[24:25], v[40:41], v[48:49] op_sel_hi:[1,0,1]
	s_wait_loadcnt_dscnt 0x0
	v_pk_mul_f32 v[42:43], v[42:43], v[38:39] op_sel:[0,1]
	v_pk_add_f32 v[16:17], v[16:17], v[50:51]
	v_pk_fma_f32 v[40:41], v[24:25], v[40:41], v[48:49] neg_lo:[0,0,1] neg_hi:[0,0,1]
	v_mov_b32_e32 v41, v45
	s_delay_alu instid0(VALU_DEP_4) | instskip(NEXT) | instid1(VALU_DEP_4)
	v_pk_fma_f32 v[44:45], v[22:23], v[38:39], v[42:43] op_sel_hi:[1,0,1]
	v_pk_add_f32 v[16:17], v[46:47], v[16:17]
	v_pk_fma_f32 v[38:39], v[22:23], v[38:39], v[42:43] neg_lo:[0,0,1] neg_hi:[0,0,1]
	s_delay_alu instid0(VALU_DEP_3) | instskip(NEXT) | instid1(VALU_DEP_3)
	v_mov_b32_e32 v39, v45
	v_pk_add_f32 v[16:17], v[40:41], v[16:17]
	s_delay_alu instid0(VALU_DEP_1)
	v_pk_add_f32 v[16:17], v[38:39], v[16:17]
.LBB298_21:                             ;   in Loop: Header=BB298_23 Depth=2
	s_or_b32 exec_lo, exec_lo, s46
	s_wait_loadcnt_dscnt 0x303
	v_dual_mul_f32 v38, v33, v37 :: v_dual_mul_f32 v39, v32, v37
	s_wait_loadcnt_dscnt 0x202
	v_dual_mul_f32 v42, v31, v35 :: v_dual_mul_f32 v37, v30, v35
	s_wait_loadcnt_dscnt 0x101
	v_pk_mul_f32 v[40:41], v[24:25], v[28:29] op_sel:[1,1] op_sel_hi:[0,1]
	v_dual_fma_f32 v38, v32, v36, -v38 :: v_dual_fmac_f32 v39, v33, v36
	s_delay_alu instid0(VALU_DEP_3) | instskip(NEXT) | instid1(VALU_DEP_3)
	v_dual_fma_f32 v36, v30, v34, -v42 :: v_dual_fmac_f32 v37, v31, v34
	v_pk_fma_f32 v[30:31], v[24:25], v[28:29], v[40:41] op_sel_hi:[1,0,1]
	s_wait_loadcnt_dscnt 0x0
	v_pk_mul_f32 v[32:33], v[22:23], v[26:27] op_sel:[1,1] op_sel_hi:[0,1]
	v_pk_add_f32 v[10:11], v[10:11], v[38:39]
	v_pk_fma_f32 v[24:25], v[24:25], v[28:29], v[40:41] neg_lo:[0,0,1] neg_hi:[0,0,1]
	s_delay_alu instid0(VALU_DEP_3) | instskip(SKIP_1) | instid1(VALU_DEP_4)
	v_pk_fma_f32 v[28:29], v[22:23], v[26:27], v[32:33] op_sel_hi:[1,0,1]
	v_mov_b32_e32 v25, v31
	v_pk_add_f32 v[10:11], v[36:37], v[10:11]
	v_pk_fma_f32 v[22:23], v[22:23], v[26:27], v[32:33] neg_lo:[0,0,1] neg_hi:[0,0,1]
	s_delay_alu instid0(VALU_DEP_4) | instskip(NEXT) | instid1(VALU_DEP_3)
	v_mov_b32_e32 v23, v29
	v_pk_add_f32 v[10:11], v[24:25], v[10:11]
	s_delay_alu instid0(VALU_DEP_1)
	v_pk_add_f32 v[10:11], v[22:23], v[10:11]
.LBB298_22:                             ;   in Loop: Header=BB298_23 Depth=2
	s_or_b32 exec_lo, exec_lo, s45
	v_dual_add_nc_u32 v77, 64, v77 :: v_dual_add_nc_u32 v80, s41, v80
	v_dual_add_nc_u32 v81, s41, v81 :: v_dual_add_nc_u32 v79, s41, v79
	v_add_nc_u32_e32 v78, s41, v78
	s_delay_alu instid0(VALU_DEP_3) | instskip(SKIP_2) | instid1(SALU_CYCLE_1)
	v_cmp_le_i32_e32 vcc_lo, s39, v77
	s_add_co_i32 s44, s44, s42
	s_or_b32 s43, vcc_lo, s43
	s_and_not1_b32 exec_lo, exec_lo, s43
	s_cbranch_execz .LBB298_28
.LBB298_23:                             ;   Parent Loop BB298_5 Depth=1
                                        ; =>  This Inner Loop Header: Depth=2
	s_and_saveexec_b32 s45, s1
	s_cbranch_execz .LBB298_22
; %bb.24:                               ;   in Loop: Header=BB298_23 Depth=2
	v_dual_add_nc_u32 v39, s44, v76 :: v_dual_add_nc_u32 v41, s44, v71
	v_readfirstlane_b32 s46, v20
	v_readfirstlane_b32 s47, v21
	v_dual_add_nc_u32 v43, s44, v72 :: v_dual_add_nc_u32 v45, s44, v73
	v_dual_add_nc_u32 v38, s38, v78 :: v_dual_add_nc_u32 v40, s38, v81
	v_readfirstlane_b32 s48, v18
	v_readfirstlane_b32 s49, v19
	v_dual_add_nc_u32 v44, s38, v80 :: v_dual_add_nc_u32 v42, s38, v79
	s_clause 0x3
	flat_load_b64 v[32:33], v39, s[46:47] scale_offset
	flat_load_b64 v[30:31], v41, s[46:47] scale_offset
	;; [unrolled: 1-line block ×4, first 2 shown]
	s_clause 0x3
	flat_load_b64 v[36:37], v38, s[48:49] scale_offset
	flat_load_b64 v[34:35], v40, s[48:49] scale_offset
	;; [unrolled: 1-line block ×4, first 2 shown]
	s_wait_xcnt 0x0
	s_and_saveexec_b32 s46, s2
	s_cbranch_execz .LBB298_21
; %bb.25:                               ;   in Loop: Header=BB298_23 Depth=2
	v_dual_ashrrev_i32 v39, 31, v38 :: v_dual_ashrrev_i32 v41, 31, v40
	v_dual_ashrrev_i32 v45, 31, v44 :: v_dual_ashrrev_i32 v43, 31, v42
	s_wait_loadcnt_dscnt 0x505
	v_dual_mov_b32 v48, v25 :: v_dual_mov_b32 v49, v24
	s_delay_alu instid0(VALU_DEP_3)
	v_lshl_add_u64 v[58:59], v[38:39], 3, v[18:19]
	v_lshl_add_u64 v[60:61], v[40:41], 3, v[18:19]
	;; [unrolled: 1-line block ×4, first 2 shown]
	s_clause 0x3
	flat_load_b64 v[46:47], v[58:59] offset:256
	flat_load_b64 v[44:45], v[60:61] offset:256
	flat_load_b64 v[40:41], v[62:63] offset:256
	flat_load_b64 v[38:39], v[64:65] offset:256
	s_wait_loadcnt_dscnt 0x808
	v_dual_mov_b32 v42, v23 :: v_dual_mov_b32 v43, v22
	s_wait_xcnt 0x0
	s_and_saveexec_b32 s47, s3
	s_cbranch_execz .LBB298_20
; %bb.26:                               ;   in Loop: Header=BB298_23 Depth=2
	s_clause 0x3
	flat_load_b64 v[56:57], v[58:59] offset:512
	flat_load_b64 v[54:55], v[60:61] offset:512
	;; [unrolled: 1-line block ×4, first 2 shown]
	s_wait_xcnt 0x0
	s_and_saveexec_b32 s48, s4
	s_cbranch_execz .LBB298_19
; %bb.27:                               ;   in Loop: Header=BB298_23 Depth=2
	s_clause 0x3
	flat_load_b64 v[82:83], v[58:59] offset:768
	flat_load_b64 v[84:85], v[60:61] offset:768
	;; [unrolled: 1-line block ×4, first 2 shown]
	s_wait_loadcnt_dscnt 0x303
	s_wait_xcnt 0x3
	v_dual_mul_f32 v58, v33, v83 :: v_dual_mul_f32 v59, v32, v83
	s_wait_loadcnt_dscnt 0x202
	s_wait_xcnt 0x2
	v_dual_mul_f32 v60, v31, v85 :: v_dual_mul_f32 v61, v30, v85
	s_wait_loadcnt_dscnt 0x101
	s_wait_xcnt 0x1
	v_pk_mul_f32 v[62:63], v[48:49], v[86:87] op_sel:[0,1]
	v_dual_fma_f32 v58, v32, v82, -v58 :: v_dual_fmac_f32 v59, v33, v82
	v_dual_fma_f32 v60, v30, v84, -v60 :: v_dual_fmac_f32 v61, v31, v84
	s_wait_xcnt 0x0
	s_delay_alu instid0(VALU_DEP_3) | instskip(SKIP_4) | instid1(VALU_DEP_2)
	v_pk_fma_f32 v[64:65], v[24:25], v[86:87], v[62:63] op_sel_hi:[1,0,1]
	v_pk_fma_f32 v[62:63], v[24:25], v[86:87], v[62:63] neg_lo:[0,0,1] neg_hi:[0,0,1]
	v_pk_add_f32 v[12:13], v[12:13], v[58:59]
	s_wait_loadcnt_dscnt 0x0
	v_pk_mul_f32 v[58:59], v[42:43], v[88:89] op_sel:[0,1]
	v_pk_add_f32 v[12:13], v[60:61], v[12:13]
	s_delay_alu instid0(VALU_DEP_2) | instskip(SKIP_2) | instid1(VALU_DEP_3)
	v_pk_fma_f32 v[60:61], v[22:23], v[88:89], v[58:59] op_sel_hi:[1,0,1]
	v_mov_b32_e32 v63, v65
	v_pk_fma_f32 v[58:59], v[22:23], v[88:89], v[58:59] neg_lo:[0,0,1] neg_hi:[0,0,1]
	v_mov_b32_e32 v59, v61
	s_delay_alu instid0(VALU_DEP_3) | instskip(NEXT) | instid1(VALU_DEP_1)
	v_pk_add_f32 v[12:13], v[62:63], v[12:13]
	v_pk_add_f32 v[12:13], v[58:59], v[12:13]
	s_branch .LBB298_19
.LBB298_28:                             ;   in Loop: Header=BB298_5 Depth=1
	s_or_b32 exec_lo, exec_lo, s43
.LBB298_29:                             ;   in Loop: Header=BB298_5 Depth=1
	s_delay_alu instid0(SALU_CYCLE_1) | instskip(NEXT) | instid1(SALU_CYCLE_1)
	s_or_b32 exec_lo, exec_lo, s7
	s_and_not1_b32 vcc_lo, exec_lo, s40
	s_cbranch_vccnz .LBB298_47
; %bb.30:                               ;   in Loop: Header=BB298_5 Depth=1
	v_dual_mov_b32 v28, 0 :: v_dual_bitop2_b32 v30, 1, v77 bitop3:0x54
	v_cmp_gt_i32_e32 vcc_lo, s31, v77
	s_delay_alu instid0(VALU_DEP_2)
	v_dual_mov_b32 v29, v28 :: v_dual_mov_b32 v26, v28
	v_dual_mov_b32 v27, v28 :: v_dual_mov_b32 v24, v28
	;; [unrolled: 1-line block ×3, first 2 shown]
	v_mov_b32_e32 v23, v28
	s_and_saveexec_b32 s43, vcc_lo
	s_cbranch_execz .LBB298_38
; %bb.31:                               ;   in Loop: Header=BB298_5 Depth=1
	v_mul_lo_u32 v22, v77, s37
	v_readfirstlane_b32 s44, v20
	v_readfirstlane_b32 s45, v21
	v_dual_mov_b32 v25, 0 :: v_dual_mov_b32 v24, 0
	v_dual_mov_b32 v27, 0 :: v_dual_mov_b32 v26, 0
	;; [unrolled: 1-line block ×3, first 2 shown]
	flat_load_b64 v[22:23], v22, s[44:45] scale_offset
	s_wait_xcnt 0x0
	s_mov_b32 s44, exec_lo
	v_cmpx_gt_i32_e64 s31, v30
	s_cbranch_execz .LBB298_37
; %bb.32:                               ;   in Loop: Header=BB298_5 Depth=1
	v_mul_lo_u32 v24, v30, s37
	v_readfirstlane_b32 s46, v20
	v_readfirstlane_b32 s47, v21
	v_dual_mov_b32 v27, 0 :: v_dual_bitop2_b32 v31, 2, v77 bitop3:0x54
	v_dual_mov_b32 v26, 0 :: v_dual_mov_b32 v29, 0
	v_mov_b32_e32 v28, 0
	s_mov_b32 s45, exec_lo
	flat_load_b64 v[24:25], v24, s[46:47] scale_offset
	s_wait_xcnt 0x0
	v_cmpx_gt_i32_e64 s31, v31
	s_cbranch_execz .LBB298_36
; %bb.33:                               ;   in Loop: Header=BB298_5 Depth=1
	v_mul_lo_u32 v26, v31, s37
	v_readfirstlane_b32 s46, v20
	v_readfirstlane_b32 s47, v21
	v_dual_mov_b32 v29, 0 :: v_dual_bitop2_b32 v31, 3, v77 bitop3:0x54
	v_mov_b32_e32 v28, 0
	flat_load_b64 v[26:27], v26, s[46:47] scale_offset
	s_wait_xcnt 0x0
	s_mov_b32 s46, exec_lo
	v_cmpx_gt_i32_e64 s31, v31
	s_cbranch_execz .LBB298_35
; %bb.34:                               ;   in Loop: Header=BB298_5 Depth=1
	v_mul_lo_u32 v28, v31, s37
	v_readfirstlane_b32 s48, v20
	v_readfirstlane_b32 s49, v21
	flat_load_b64 v[28:29], v28, s[48:49] scale_offset
.LBB298_35:                             ;   in Loop: Header=BB298_5 Depth=1
	s_wait_xcnt 0x0
	s_or_b32 exec_lo, exec_lo, s46
.LBB298_36:                             ;   in Loop: Header=BB298_5 Depth=1
	s_delay_alu instid0(SALU_CYCLE_1)
	s_or_b32 exec_lo, exec_lo, s45
.LBB298_37:                             ;   in Loop: Header=BB298_5 Depth=1
	s_delay_alu instid0(SALU_CYCLE_1)
	s_or_b32 exec_lo, exec_lo, s44
.LBB298_38:                             ;   in Loop: Header=BB298_5 Depth=1
	s_delay_alu instid0(SALU_CYCLE_1)
	s_or_b32 exec_lo, exec_lo, s43
	s_and_saveexec_b32 s7, s1
	s_cbranch_execz .LBB298_46
; %bb.39:                               ;   in Loop: Header=BB298_5 Depth=1
	v_mul_lo_u32 v21, v77, s36
	v_mul_lo_u32 v32, v30, s36
	v_readfirstlane_b32 s44, v18
	v_readfirstlane_b32 s45, v19
	s_wait_loadcnt_dscnt 0x0
	v_dual_mov_b32 v42, v23 :: v_dual_mov_b32 v43, v22
	v_dual_mov_b32 v40, v25 :: v_dual_mov_b32 v41, v24
	;; [unrolled: 1-line block ×4, first 2 shown]
	v_cndmask_b32_e32 v21, 0, v21, vcc_lo
	v_cmp_gt_i32_e32 vcc_lo, s31, v30
	v_or_b32_e32 v20, 2, v77
	s_delay_alu instid0(VALU_DEP_3) | instskip(SKIP_1) | instid1(VALU_DEP_3)
	v_dual_add_nc_u32 v46, v21, v67 :: v_dual_bitop2_b32 v31, 3, v77 bitop3:0x54
	v_cndmask_b32_e32 v30, 0, v32, vcc_lo
	v_mul_lo_u32 v33, v20, s36
	s_delay_alu instid0(VALU_DEP_3) | instskip(SKIP_1) | instid1(VALU_DEP_3)
	v_mul_lo_u32 v34, v31, s36
	v_cmp_gt_i32_e32 vcc_lo, s31, v20
	v_dual_add_nc_u32 v48, v30, v67 :: v_dual_cndmask_b32 v20, 0, v33, vcc_lo
	v_cmp_gt_i32_e32 vcc_lo, s31, v31
	s_delay_alu instid0(VALU_DEP_2) | instskip(NEXT) | instid1(VALU_DEP_1)
	v_dual_cndmask_b32 v31, 0, v34 :: v_dual_add_nc_u32 v50, v20, v67
	v_add_nc_u32_e32 v44, v31, v67
	s_clause 0x3
	flat_load_b64 v[34:35], v46, s[44:45] scale_offset
	flat_load_b64 v[32:33], v48, s[44:45] scale_offset
	;; [unrolled: 1-line block ×4, first 2 shown]
	s_wait_xcnt 0x0
	s_and_saveexec_b32 s43, s2
	s_cbranch_execz .LBB298_45
; %bb.40:                               ;   in Loop: Header=BB298_5 Depth=1
	v_dual_ashrrev_i32 v47, 31, v46 :: v_dual_ashrrev_i32 v49, 31, v48
	v_dual_ashrrev_i32 v51, 31, v50 :: v_dual_ashrrev_i32 v45, 31, v44
	s_delay_alu instid0(VALU_DEP_2) | instskip(NEXT) | instid1(VALU_DEP_3)
	v_lshl_add_u64 v[58:59], v[46:47], 3, v[18:19]
	v_lshl_add_u64 v[60:61], v[48:49], 3, v[18:19]
	s_delay_alu instid0(VALU_DEP_3) | instskip(NEXT) | instid1(VALU_DEP_4)
	v_lshl_add_u64 v[62:63], v[50:51], 3, v[18:19]
	v_lshl_add_u64 v[64:65], v[44:45], 3, v[18:19]
	s_clause 0x3
	flat_load_b64 v[48:49], v[58:59] offset:256
	flat_load_b64 v[46:47], v[60:61] offset:256
	;; [unrolled: 1-line block ×4, first 2 shown]
	s_wait_xcnt 0x0
	s_and_saveexec_b32 s44, s3
	s_cbranch_execz .LBB298_44
; %bb.41:                               ;   in Loop: Header=BB298_5 Depth=1
	s_clause 0x3
	flat_load_b64 v[56:57], v[58:59] offset:512
	flat_load_b64 v[54:55], v[60:61] offset:512
	;; [unrolled: 1-line block ×4, first 2 shown]
	s_wait_xcnt 0x0
	s_and_saveexec_b32 s45, s4
	s_cbranch_execz .LBB298_43
; %bb.42:                               ;   in Loop: Header=BB298_5 Depth=1
	s_clause 0x3
	flat_load_b64 v[78:79], v[58:59] offset:768
	flat_load_b64 v[80:81], v[60:61] offset:768
	;; [unrolled: 1-line block ×4, first 2 shown]
	s_wait_loadcnt_dscnt 0x303
	s_wait_xcnt 0x3
	v_pk_mul_f32 v[58:59], v[42:43], v[78:79] op_sel:[0,1]
	s_wait_loadcnt_dscnt 0x202
	s_wait_xcnt 0x2
	v_pk_mul_f32 v[60:61], v[40:41], v[80:81] op_sel:[0,1]
	;; [unrolled: 3-line block ×3, first 2 shown]
	v_pk_fma_f32 v[62:63], v[22:23], v[78:79], v[58:59] op_sel_hi:[1,0,1]
	v_pk_fma_f32 v[58:59], v[22:23], v[78:79], v[58:59] neg_lo:[0,0,1] neg_hi:[0,0,1]
	v_pk_fma_f32 v[78:79], v[24:25], v[80:81], v[60:61] op_sel_hi:[1,0,1]
	v_pk_fma_f32 v[60:61], v[24:25], v[80:81], v[60:61] neg_lo:[0,0,1] neg_hi:[0,0,1]
	s_delay_alu instid0(VALU_DEP_4) | instskip(SKIP_1) | instid1(VALU_DEP_4)
	v_mov_b32_e32 v59, v63
	v_pk_fma_f32 v[62:63], v[26:27], v[82:83], v[64:65] op_sel_hi:[1,0,1]
	v_mov_b32_e32 v61, v79
	v_pk_fma_f32 v[64:65], v[26:27], v[82:83], v[64:65] neg_lo:[0,0,1] neg_hi:[0,0,1]
	s_delay_alu instid0(VALU_DEP_4) | instskip(SKIP_2) | instid1(VALU_DEP_2)
	v_pk_add_f32 v[12:13], v[12:13], v[58:59]
	s_wait_loadcnt_dscnt 0x0
	v_pk_mul_f32 v[58:59], v[36:37], v[84:85] op_sel:[0,1]
	v_pk_add_f32 v[12:13], v[60:61], v[12:13]
	s_delay_alu instid0(VALU_DEP_2) | instskip(SKIP_2) | instid1(VALU_DEP_3)
	v_pk_fma_f32 v[60:61], v[28:29], v[84:85], v[58:59] op_sel_hi:[1,0,1]
	v_mov_b32_e32 v65, v63
	v_pk_fma_f32 v[58:59], v[28:29], v[84:85], v[58:59] neg_lo:[0,0,1] neg_hi:[0,0,1]
	v_mov_b32_e32 v59, v61
	s_delay_alu instid0(VALU_DEP_3) | instskip(NEXT) | instid1(VALU_DEP_1)
	v_pk_add_f32 v[12:13], v[64:65], v[12:13]
	v_pk_add_f32 v[12:13], v[58:59], v[12:13]
.LBB298_43:                             ;   in Loop: Header=BB298_5 Depth=1
	s_or_b32 exec_lo, exec_lo, s45
	s_wait_loadcnt_dscnt 0x303
	v_pk_mul_f32 v[58:59], v[42:43], v[56:57] op_sel:[0,1]
	s_wait_loadcnt_dscnt 0x202
	v_pk_mul_f32 v[60:61], v[40:41], v[54:55] op_sel:[0,1]
	;; [unrolled: 2-line block ×3, first 2 shown]
	v_pk_fma_f32 v[62:63], v[22:23], v[56:57], v[58:59] op_sel_hi:[1,0,1]
	v_pk_fma_f32 v[56:57], v[22:23], v[56:57], v[58:59] neg_lo:[0,0,1] neg_hi:[0,0,1]
	v_pk_fma_f32 v[58:59], v[24:25], v[54:55], v[60:61] op_sel_hi:[1,0,1]
	v_pk_fma_f32 v[54:55], v[24:25], v[54:55], v[60:61] neg_lo:[0,0,1] neg_hi:[0,0,1]
	v_pk_fma_f32 v[60:61], v[26:27], v[52:53], v[64:65] op_sel_hi:[1,0,1]
	v_mov_b32_e32 v57, v63
	v_pk_fma_f32 v[52:53], v[26:27], v[52:53], v[64:65] neg_lo:[0,0,1] neg_hi:[0,0,1]
	v_mov_b32_e32 v55, v59
	s_delay_alu instid0(VALU_DEP_3) | instskip(SKIP_2) | instid1(VALU_DEP_2)
	v_pk_add_f32 v[14:15], v[14:15], v[56:57]
	s_wait_loadcnt_dscnt 0x0
	v_pk_mul_f32 v[56:57], v[36:37], v[50:51] op_sel:[0,1]
	v_pk_add_f32 v[14:15], v[54:55], v[14:15]
	s_delay_alu instid0(VALU_DEP_2) | instskip(SKIP_2) | instid1(VALU_DEP_3)
	v_pk_fma_f32 v[54:55], v[28:29], v[50:51], v[56:57] op_sel_hi:[1,0,1]
	v_mov_b32_e32 v53, v61
	v_pk_fma_f32 v[50:51], v[28:29], v[50:51], v[56:57] neg_lo:[0,0,1] neg_hi:[0,0,1]
	v_mov_b32_e32 v51, v55
	s_delay_alu instid0(VALU_DEP_3) | instskip(NEXT) | instid1(VALU_DEP_1)
	v_pk_add_f32 v[14:15], v[52:53], v[14:15]
	v_pk_add_f32 v[14:15], v[50:51], v[14:15]
.LBB298_44:                             ;   in Loop: Header=BB298_5 Depth=1
	s_or_b32 exec_lo, exec_lo, s44
	s_wait_loadcnt_dscnt 0x303
	v_pk_mul_f32 v[50:51], v[42:43], v[48:49] op_sel:[0,1]
	s_wait_loadcnt_dscnt 0x202
	v_pk_mul_f32 v[52:53], v[40:41], v[46:47] op_sel:[0,1]
	s_wait_loadcnt_dscnt 0x101
	v_pk_mul_f32 v[56:57], v[38:39], v[44:45] op_sel:[0,1]
	v_pk_fma_f32 v[54:55], v[22:23], v[48:49], v[50:51] op_sel_hi:[1,0,1]
	v_pk_fma_f32 v[48:49], v[22:23], v[48:49], v[50:51] neg_lo:[0,0,1] neg_hi:[0,0,1]
	v_pk_fma_f32 v[50:51], v[24:25], v[46:47], v[52:53] op_sel_hi:[1,0,1]
	v_pk_fma_f32 v[46:47], v[24:25], v[46:47], v[52:53] neg_lo:[0,0,1] neg_hi:[0,0,1]
	v_pk_fma_f32 v[52:53], v[26:27], v[44:45], v[56:57] op_sel_hi:[1,0,1]
	v_mov_b32_e32 v49, v55
	v_pk_fma_f32 v[44:45], v[26:27], v[44:45], v[56:57] neg_lo:[0,0,1] neg_hi:[0,0,1]
	v_mov_b32_e32 v47, v51
	s_delay_alu instid0(VALU_DEP_3) | instskip(SKIP_2) | instid1(VALU_DEP_2)
	v_pk_add_f32 v[16:17], v[16:17], v[48:49]
	s_wait_loadcnt_dscnt 0x0
	v_pk_mul_f32 v[48:49], v[36:37], v[18:19] op_sel:[0,1]
	v_pk_add_f32 v[16:17], v[46:47], v[16:17]
	s_delay_alu instid0(VALU_DEP_2) | instskip(SKIP_2) | instid1(VALU_DEP_3)
	v_pk_fma_f32 v[46:47], v[28:29], v[18:19], v[48:49] op_sel_hi:[1,0,1]
	v_mov_b32_e32 v45, v53
	v_pk_fma_f32 v[18:19], v[28:29], v[18:19], v[48:49] neg_lo:[0,0,1] neg_hi:[0,0,1]
	v_mov_b32_e32 v19, v47
	s_delay_alu instid0(VALU_DEP_3) | instskip(NEXT) | instid1(VALU_DEP_1)
	v_pk_add_f32 v[16:17], v[44:45], v[16:17]
	v_pk_add_f32 v[16:17], v[18:19], v[16:17]
.LBB298_45:                             ;   in Loop: Header=BB298_5 Depth=1
	s_or_b32 exec_lo, exec_lo, s43
	s_wait_loadcnt_dscnt 0x303
	v_pk_mul_f32 v[18:19], v[42:43], v[34:35] op_sel:[0,1]
	s_wait_loadcnt_dscnt 0x202
	v_pk_mul_f32 v[40:41], v[40:41], v[32:33] op_sel:[0,1]
	;; [unrolled: 2-line block ×3, first 2 shown]
	v_pk_fma_f32 v[42:43], v[22:23], v[34:35], v[18:19] op_sel_hi:[1,0,1]
	v_pk_fma_f32 v[18:19], v[22:23], v[34:35], v[18:19] neg_lo:[0,0,1] neg_hi:[0,0,1]
	v_pk_fma_f32 v[22:23], v[24:25], v[32:33], v[40:41] op_sel_hi:[1,0,1]
	v_pk_fma_f32 v[24:25], v[24:25], v[32:33], v[40:41] neg_lo:[0,0,1] neg_hi:[0,0,1]
	v_pk_fma_f32 v[32:33], v[26:27], v[30:31], v[38:39] op_sel_hi:[1,0,1]
	s_delay_alu instid0(VALU_DEP_3) | instskip(SKIP_1) | instid1(VALU_DEP_2)
	v_dual_mov_b32 v19, v43 :: v_dual_mov_b32 v25, v23
	v_pk_fma_f32 v[22:23], v[26:27], v[30:31], v[38:39] neg_lo:[0,0,1] neg_hi:[0,0,1]
	v_pk_add_f32 v[10:11], v[10:11], v[18:19]
	s_wait_loadcnt_dscnt 0x0
	v_pk_mul_f32 v[18:19], v[36:37], v[20:21] op_sel:[0,1]
	s_delay_alu instid0(VALU_DEP_2) | instskip(NEXT) | instid1(VALU_DEP_2)
	v_pk_add_f32 v[10:11], v[24:25], v[10:11]
	v_pk_fma_f32 v[24:25], v[28:29], v[20:21], v[18:19] op_sel_hi:[1,0,1]
	v_mov_b32_e32 v23, v33
	v_pk_fma_f32 v[18:19], v[28:29], v[20:21], v[18:19] neg_lo:[0,0,1] neg_hi:[0,0,1]
	s_delay_alu instid0(VALU_DEP_3) | instskip(NEXT) | instid1(VALU_DEP_3)
	v_mov_b32_e32 v19, v25
	v_pk_add_f32 v[10:11], v[22:23], v[10:11]
	s_delay_alu instid0(VALU_DEP_1)
	v_pk_add_f32 v[10:11], v[18:19], v[10:11]
.LBB298_46:                             ;   in Loop: Header=BB298_5 Depth=1
	s_or_b32 exec_lo, exec_lo, s7
.LBB298_47:                             ;   in Loop: Header=BB298_5 Depth=1
	ds_store_2addr_b64 v0, v[10:11], v[16:17] offset1:32
	ds_store_2addr_b64 v0, v[14:15], v[12:13] offset0:64 offset1:96
	s_wait_storecnt 0x0
	s_wait_loadcnt_dscnt 0x0
	s_barrier_signal -1
	s_barrier_wait -1
	s_and_saveexec_b32 s43, s5
	s_cbranch_execz .LBB298_3
; %bb.48:                               ;   in Loop: Header=BB298_5 Depth=1
	ds_load_2addr_stride64_b64 v[10:13], v68 offset1:2
	ds_load_2addr_stride64_b64 v[14:17], v68 offset0:4 offset1:6
	ds_load_2addr_stride64_b64 v[18:21], v68 offset0:8 offset1:10
	s_wait_dscnt 0x2
	v_pk_add_f32 v[22:23], v[10:11], v[12:13]
	ds_load_2addr_stride64_b64 v[10:13], v68 offset0:12 offset1:14
	s_wait_dscnt 0x2
	v_pk_add_f32 v[14:15], v[22:23], v[14:15]
	s_delay_alu instid0(VALU_DEP_1) | instskip(SKIP_3) | instid1(VALU_DEP_1)
	v_pk_add_f32 v[22:23], v[14:15], v[16:17]
	ds_load_2addr_stride64_b64 v[14:17], v68 offset0:16 offset1:18
	s_wait_dscnt 0x2
	v_pk_add_f32 v[18:19], v[22:23], v[18:19]
	v_pk_add_f32 v[22:23], v[18:19], v[20:21]
	ds_load_2addr_stride64_b64 v[18:21], v68 offset0:20 offset1:22
	s_wait_dscnt 0x2
	v_pk_add_f32 v[10:11], v[22:23], v[10:11]
	s_delay_alu instid0(VALU_DEP_1) | instskip(SKIP_1) | instid1(VALU_DEP_1)
	v_pk_add_f32 v[10:11], v[10:11], v[12:13]
	s_wait_dscnt 0x1
	v_pk_add_f32 v[14:15], v[10:11], v[14:15]
	ds_load_2addr_stride64_b64 v[10:13], v68 offset0:24 offset1:26
	v_pk_add_f32 v[14:15], v[14:15], v[16:17]
	s_wait_dscnt 0x1
	s_delay_alu instid0(VALU_DEP_1) | instskip(SKIP_3) | instid1(VALU_DEP_1)
	v_pk_add_f32 v[18:19], v[14:15], v[18:19]
	ds_load_2addr_stride64_b64 v[14:17], v68 offset0:28 offset1:30
	v_pk_add_f32 v[18:19], v[18:19], v[20:21]
	s_wait_dscnt 0x1
	v_pk_add_f32 v[10:11], v[18:19], v[10:11]
	s_delay_alu instid0(VALU_DEP_1) | instskip(SKIP_1) | instid1(VALU_DEP_1)
	v_pk_add_f32 v[10:11], v[10:11], v[12:13]
	s_wait_dscnt 0x0
	v_pk_add_f32 v[10:11], v[10:11], v[14:15]
	s_delay_alu instid0(VALU_DEP_1)
	v_pk_add_f32 v[12:13], v[10:11], v[16:17]
	ds_store_b64 v68, v[12:13]
	s_and_b32 exec_lo, exec_lo, s6
	s_cbranch_execz .LBB298_3
; %bb.49:                               ;   in Loop: Header=BB298_5 Depth=1
	v_mov_b64_e32 v[14:15], s[34:35]
	v_cmp_neq_f32_e32 vcc_lo, 0, v6
	v_cmp_neq_f32_e64 s7, 0, v7
	v_lshl_add_u64 v[8:9], v[4:5], 3, v[8:9]
	s_or_b32 s7, vcc_lo, s7
	v_pk_mul_f32 v[16:17], v[12:13], v[14:15] op_sel:[1,1] op_sel_hi:[1,0]
	s_and_not1_b32 vcc_lo, exec_lo, s7
	s_delay_alu instid0(VALU_DEP_1)
	v_pk_fma_f32 v[10:11], v[12:13], v[14:15], v[16:17] op_sel_hi:[0,1,1] neg_lo:[0,0,1] neg_hi:[0,0,1]
	v_pk_fma_f32 v[12:13], v[12:13], v[14:15], v[16:17] op_sel_hi:[0,1,1]
	s_cbranch_vccnz .LBB298_2
; %bb.50:                               ;   in Loop: Header=BB298_5 Depth=1
	flat_load_b64 v[14:15], v[8:9]
	s_wait_loadcnt_dscnt 0x0
	v_pk_mul_f32 v[16:17], v[6:7], v[14:15] op_sel:[1,1] op_sel_hi:[0,1]
	s_delay_alu instid0(VALU_DEP_1) | instskip(SKIP_1) | instid1(VALU_DEP_2)
	v_pk_fma_f32 v[18:19], v[6:7], v[14:15], v[16:17] op_sel_hi:[1,0,1]
	v_pk_fma_f32 v[6:7], v[6:7], v[14:15], v[16:17] neg_lo:[0,0,1] neg_hi:[0,0,1]
	v_dual_mov_b32 v11, v13 :: v_dual_mov_b32 v7, v19
	s_delay_alu instid0(VALU_DEP_1) | instskip(NEXT) | instid1(VALU_DEP_1)
	v_pk_add_f32 v[10:11], v[10:11], v[6:7]
	v_mov_b32_e32 v13, v11
	s_branch .LBB298_2
.LBB298_51:
	s_sendmsg sendmsg(MSG_DEALLOC_VGPRS)
	s_endpgm
	.section	.rodata,"a",@progbits
	.p2align	6, 0x0
	.amdhsa_kernel _ZL20rocblas_gemvn_kernelILi32ELi16EiPK19rocblas_complex_numIfES3_KPS1_EviiT3_lPKT2_lT1_lS9_lSA_lS6_lPT4_lSA_li
		.amdhsa_group_segment_fixed_size 16384
		.amdhsa_private_segment_fixed_size 0
		.amdhsa_kernarg_size 400
		.amdhsa_user_sgpr_count 2
		.amdhsa_user_sgpr_dispatch_ptr 0
		.amdhsa_user_sgpr_queue_ptr 0
		.amdhsa_user_sgpr_kernarg_segment_ptr 1
		.amdhsa_user_sgpr_dispatch_id 0
		.amdhsa_user_sgpr_kernarg_preload_length 0
		.amdhsa_user_sgpr_kernarg_preload_offset 0
		.amdhsa_user_sgpr_private_segment_size 0
		.amdhsa_wavefront_size32 1
		.amdhsa_uses_dynamic_stack 0
		.amdhsa_enable_private_segment 0
		.amdhsa_system_sgpr_workgroup_id_x 1
		.amdhsa_system_sgpr_workgroup_id_y 0
		.amdhsa_system_sgpr_workgroup_id_z 1
		.amdhsa_system_sgpr_workgroup_info 0
		.amdhsa_system_vgpr_workitem_id 1
		.amdhsa_next_free_vgpr 90
		.amdhsa_next_free_sgpr 50
		.amdhsa_named_barrier_count 0
		.amdhsa_reserve_vcc 1
		.amdhsa_float_round_mode_32 0
		.amdhsa_float_round_mode_16_64 0
		.amdhsa_float_denorm_mode_32 3
		.amdhsa_float_denorm_mode_16_64 3
		.amdhsa_fp16_overflow 0
		.amdhsa_memory_ordered 1
		.amdhsa_forward_progress 1
		.amdhsa_inst_pref_size 34
		.amdhsa_round_robin_scheduling 0
		.amdhsa_exception_fp_ieee_invalid_op 0
		.amdhsa_exception_fp_denorm_src 0
		.amdhsa_exception_fp_ieee_div_zero 0
		.amdhsa_exception_fp_ieee_overflow 0
		.amdhsa_exception_fp_ieee_underflow 0
		.amdhsa_exception_fp_ieee_inexact 0
		.amdhsa_exception_int_div_zero 0
	.end_amdhsa_kernel
	.section	.text._ZL20rocblas_gemvn_kernelILi32ELi16EiPK19rocblas_complex_numIfES3_KPS1_EviiT3_lPKT2_lT1_lS9_lSA_lS6_lPT4_lSA_li,"axG",@progbits,_ZL20rocblas_gemvn_kernelILi32ELi16EiPK19rocblas_complex_numIfES3_KPS1_EviiT3_lPKT2_lT1_lS9_lSA_lS6_lPT4_lSA_li,comdat
.Lfunc_end298:
	.size	_ZL20rocblas_gemvn_kernelILi32ELi16EiPK19rocblas_complex_numIfES3_KPS1_EviiT3_lPKT2_lT1_lS9_lSA_lS6_lPT4_lSA_li, .Lfunc_end298-_ZL20rocblas_gemvn_kernelILi32ELi16EiPK19rocblas_complex_numIfES3_KPS1_EviiT3_lPKT2_lT1_lS9_lSA_lS6_lPT4_lSA_li
                                        ; -- End function
	.set _ZL20rocblas_gemvn_kernelILi32ELi16EiPK19rocblas_complex_numIfES3_KPS1_EviiT3_lPKT2_lT1_lS9_lSA_lS6_lPT4_lSA_li.num_vgpr, 90
	.set _ZL20rocblas_gemvn_kernelILi32ELi16EiPK19rocblas_complex_numIfES3_KPS1_EviiT3_lPKT2_lT1_lS9_lSA_lS6_lPT4_lSA_li.num_agpr, 0
	.set _ZL20rocblas_gemvn_kernelILi32ELi16EiPK19rocblas_complex_numIfES3_KPS1_EviiT3_lPKT2_lT1_lS9_lSA_lS6_lPT4_lSA_li.numbered_sgpr, 50
	.set _ZL20rocblas_gemvn_kernelILi32ELi16EiPK19rocblas_complex_numIfES3_KPS1_EviiT3_lPKT2_lT1_lS9_lSA_lS6_lPT4_lSA_li.num_named_barrier, 0
	.set _ZL20rocblas_gemvn_kernelILi32ELi16EiPK19rocblas_complex_numIfES3_KPS1_EviiT3_lPKT2_lT1_lS9_lSA_lS6_lPT4_lSA_li.private_seg_size, 0
	.set _ZL20rocblas_gemvn_kernelILi32ELi16EiPK19rocblas_complex_numIfES3_KPS1_EviiT3_lPKT2_lT1_lS9_lSA_lS6_lPT4_lSA_li.uses_vcc, 1
	.set _ZL20rocblas_gemvn_kernelILi32ELi16EiPK19rocblas_complex_numIfES3_KPS1_EviiT3_lPKT2_lT1_lS9_lSA_lS6_lPT4_lSA_li.uses_flat_scratch, 1
	.set _ZL20rocblas_gemvn_kernelILi32ELi16EiPK19rocblas_complex_numIfES3_KPS1_EviiT3_lPKT2_lT1_lS9_lSA_lS6_lPT4_lSA_li.has_dyn_sized_stack, 0
	.set _ZL20rocblas_gemvn_kernelILi32ELi16EiPK19rocblas_complex_numIfES3_KPS1_EviiT3_lPKT2_lT1_lS9_lSA_lS6_lPT4_lSA_li.has_recursion, 0
	.set _ZL20rocblas_gemvn_kernelILi32ELi16EiPK19rocblas_complex_numIfES3_KPS1_EviiT3_lPKT2_lT1_lS9_lSA_lS6_lPT4_lSA_li.has_indirect_call, 0
	.section	.AMDGPU.csdata,"",@progbits
; Kernel info:
; codeLenInByte = 4288
; TotalNumSgprs: 52
; NumVgprs: 90
; ScratchSize: 0
; MemoryBound: 0
; FloatMode: 240
; IeeeMode: 1
; LDSByteSize: 16384 bytes/workgroup (compile time only)
; SGPRBlocks: 0
; VGPRBlocks: 5
; NumSGPRsForWavesPerEU: 52
; NumVGPRsForWavesPerEU: 90
; NamedBarCnt: 0
; Occupancy: 10
; WaveLimiterHint : 1
; COMPUTE_PGM_RSRC2:SCRATCH_EN: 0
; COMPUTE_PGM_RSRC2:USER_SGPR: 2
; COMPUTE_PGM_RSRC2:TRAP_HANDLER: 0
; COMPUTE_PGM_RSRC2:TGID_X_EN: 1
; COMPUTE_PGM_RSRC2:TGID_Y_EN: 0
; COMPUTE_PGM_RSRC2:TGID_Z_EN: 1
; COMPUTE_PGM_RSRC2:TIDIG_COMP_CNT: 1
	.section	.text._ZL20rocblas_gemvn_kernelILi32ELi16ElPK19rocblas_complex_numIfES3_KPS1_EviiT3_lPKT2_lT1_lS9_lSA_lS6_lPT4_lSA_li,"axG",@progbits,_ZL20rocblas_gemvn_kernelILi32ELi16ElPK19rocblas_complex_numIfES3_KPS1_EviiT3_lPKT2_lT1_lS9_lSA_lS6_lPT4_lSA_li,comdat
	.globl	_ZL20rocblas_gemvn_kernelILi32ELi16ElPK19rocblas_complex_numIfES3_KPS1_EviiT3_lPKT2_lT1_lS9_lSA_lS6_lPT4_lSA_li ; -- Begin function _ZL20rocblas_gemvn_kernelILi32ELi16ElPK19rocblas_complex_numIfES3_KPS1_EviiT3_lPKT2_lT1_lS9_lSA_lS6_lPT4_lSA_li
	.p2align	8
	.type	_ZL20rocblas_gemvn_kernelILi32ELi16ElPK19rocblas_complex_numIfES3_KPS1_EviiT3_lPKT2_lT1_lS9_lSA_lS6_lPT4_lSA_li,@function
_ZL20rocblas_gemvn_kernelILi32ELi16ElPK19rocblas_complex_numIfES3_KPS1_EviiT3_lPKT2_lT1_lS9_lSA_lS6_lPT4_lSA_li: ; @_ZL20rocblas_gemvn_kernelILi32ELi16ElPK19rocblas_complex_numIfES3_KPS1_EviiT3_lPKT2_lT1_lS9_lSA_lS6_lPT4_lSA_li
; %bb.0:
	s_clause 0x1
	s_load_b64 s[2:3], s[0:1], 0x9c
	s_load_b32 s33, s[0:1], 0x88
	s_bfe_u32 s4, ttmp6, 0x40014
	s_lshr_b32 s5, ttmp7, 16
	s_add_co_i32 s4, s4, 1
	s_bfe_u32 s6, ttmp6, 0x40008
	s_mul_i32 s7, s5, s4
	s_getreg_b32 s4, hwreg(HW_REG_IB_STS2, 6, 4)
	s_add_co_i32 s6, s6, s7
	s_mov_b32 s11, 0
	s_wait_kmcnt 0x0
	s_lshr_b32 s7, s2, 16
	s_and_b32 s2, s2, 0xffff
	s_and_b32 s3, s3, 0xffff
	s_mul_i32 s2, s7, s2
	s_cmp_eq_u32 s4, 0
	s_mul_i32 s2, s2, s3
	s_cselect_b32 s10, s5, s6
	s_cmp_lg_u32 s2, 0x200
	s_cselect_b32 s2, -1, 0
	s_cmp_ge_u32 s10, s33
	s_cselect_b32 s3, -1, 0
	s_delay_alu instid0(SALU_CYCLE_1) | instskip(NEXT) | instid1(SALU_CYCLE_1)
	s_or_b32 s2, s2, s3
	s_and_b32 vcc_lo, exec_lo, s2
	s_cbranch_vccnz .LBB299_51
; %bb.1:
	s_bfe_u32 s5, ttmp6, 0x4000c
	s_clause 0x3
	s_load_b64 s[34:35], s[0:1], 0x0
	s_load_b64 s[36:37], s[0:1], 0x28
	;; [unrolled: 1-line block ×4, first 2 shown]
	s_add_co_i32 s5, s5, 1
	s_and_b32 s6, ttmp6, 15
	s_mul_i32 s5, ttmp9, s5
	v_and_b32_e32 v28, 0x3ff, v0
	v_bfe_u32 v8, v0, 10, 10
	s_add_co_i32 s6, s6, s5
	s_cmp_eq_u32 s4, 0
	s_load_b256 s[12:19], s[0:1], 0x8
	s_cselect_b32 s4, ttmp9, s6
	v_lshl_add_u32 v29, v8, 5, v28
	s_lshl_b32 s6, s4, 7
	v_mov_b32_e32 v1, 0
	s_clause 0x1
	s_load_b128 s[28:31], s[0:1], 0x38
	s_load_b256 s[20:27], s[0:1], 0x58
	v_dual_add_nc_u32 v0, s6, v29 :: v_dual_lshlrev_b32 v94, 2, v8
	v_mov_b32_e32 v9, v1
	s_wait_kmcnt 0x0
	s_ashr_i32 s5, s34, 31
	s_mov_b32 s4, s34
	v_mul_u64_e32 v[2:3], s[2:3], v[0:1]
	v_cmp_gt_i64_e32 vcc_lo, s[4:5], v[0:1]
	v_mul_u64_e32 v[6:7], s[38:39], v[8:9]
	v_dual_add_nc_u32 v10, s6, v28 :: v_dual_bitop2_b32 v0, 3, v94 bitop3:0x54
	v_or_b32_e32 v16, s6, v29
	v_mul_u64_e32 v[18:19], s[36:37], v[8:9]
	v_mad_nc_u64_u32 v[24:25], s38, v94, s[38:39]
	s_delay_alu instid0(VALU_DEP_4)
	v_mul_u64_e32 v[12:13], s[36:37], v[0:1]
	v_mul_u64_e32 v[14:15], s[38:39], v[0:1]
	v_ashrrev_i32_e32 v11, 31, v10
	v_dual_ashrrev_i32 v17, 31, v16 :: v_dual_bitop2_b32 v0, 2, v94 bitop3:0x54
	v_mad_nc_u64_u32 v[26:27], s36, v94, s[36:37]
	s_ashr_i32 s4, s35, 31
	v_add_nc_u32_e32 v9, 64, v10
	s_delay_alu instid0(VALU_DEP_3)
	v_mul_u64_e32 v[20:21], s[36:37], v[0:1]
	v_mul_u64_e32 v[22:23], s[38:39], v[0:1]
	;; [unrolled: 1-line block ×3, first 2 shown]
	v_mad_u32 v25, s39, v94, v25
	v_add_nc_u32_e32 v0, 32, v10
	s_lshr_b32 s4, s4, 26
	v_cmp_gt_i32_e64 s1, s34, v10
	s_add_co_i32 s46, s35, s4
	v_mad_u32 v27, s37, v94, v27
	v_cmp_gt_i32_e64 s2, s34, v0
	v_add_nc_u32_e32 v30, 0x60, v10
	v_cmp_gt_i32_e64 s3, s34, v9
	s_and_not1_b32 s46, s46, 63
	v_cmp_gt_i32_e64 s6, s34, v16
	s_sub_co_i32 s5, s35, s46
	v_cmp_gt_i32_e64 s0, s46, v94
	s_cmp_gt_i32 s5, 0
	v_cmp_gt_u32_e64 s5, 0x80, v29
	v_lshlrev_b64_e32 v[6:7], 5, v[6:7]
	v_lshlrev_b32_e32 v0, 3, v28
	v_cmp_gt_i32_e64 s4, s34, v30
	s_cselect_b32 s47, -1, 0
	v_lshlrev_b64_e32 v[16:17], 5, v[18:19]
	s_and_b32 s34, s5, vcc_lo
	s_lshl_b64 s[40:41], s[38:39], 9
	v_or_b32_e32 v6, 4, v6
	v_lshl_add_u32 v95, v8, 10, v0
	v_lshl_add_u32 v96, v8, 8, v0
	v_lshlrev_b64_e32 v[8:9], 3, v[10:11]
	v_lshlrev_b64_e32 v[10:11], 3, v[12:13]
	;; [unrolled: 1-line block ×7, first 2 shown]
	s_lshl_b64 s[42:43], s[36:37], 9
	s_lshl_b64 s[18:19], s[18:19], 3
	v_or_b32_e32 v12, 4, v12
	s_lshl_b64 s[30:31], s[30:31], 3
	s_lshl_b64 s[26:27], s[26:27], 3
	s_branch .LBB299_5
.LBB299_2:                              ;   in Loop: Header=BB299_5 Depth=1
	s_delay_alu instid0(VALU_DEP_1)
	v_mov_b32_e32 v29, v31
	flat_store_b64 v[26:27], v[28:29]
.LBB299_3:                              ;   in Loop: Header=BB299_5 Depth=1
	s_wait_xcnt 0x0
	s_or_b32 exec_lo, exec_lo, s8
.LBB299_4:                              ;   in Loop: Header=BB299_5 Depth=1
	s_add_co_i32 s10, s10, 0x10000
	s_delay_alu instid0(SALU_CYCLE_1)
	s_cmp_lt_u32 s10, s33
	s_cbranch_scc0 .LBB299_51
.LBB299_5:                              ; =>This Loop Header: Depth=1
                                        ;     Child Loop BB299_23 Depth 2
	s_wait_xcnt 0x0
	s_mul_u64 s[8:9], s[14:15], s[10:11]
	s_delay_alu instid0(SALU_CYCLE_1) | instskip(NEXT) | instid1(SALU_CYCLE_1)
	s_lshl_b64 s[8:9], s[8:9], 3
	s_add_nc_u64 s[8:9], s[12:13], s[8:9]
	global_load_b64 v[26:27], v1, s[8:9]
	s_wait_xcnt 0x0
	s_mul_u64 s[8:9], s[22:23], s[10:11]
	s_delay_alu instid0(SALU_CYCLE_1) | instskip(NEXT) | instid1(SALU_CYCLE_1)
	s_lshl_b64 s[8:9], s[8:9], 3
	s_add_nc_u64 s[8:9], s[20:21], s[8:9]
	global_load_b64 v[24:25], v1, s[8:9]
	s_wait_loadcnt 0x1
	v_readfirstlane_b32 s44, v26
	v_readfirstlane_b32 s45, v27
	s_cmp_eq_f32 s44, 0
	s_wait_loadcnt 0x0
	v_cmp_eq_f32_e32 vcc_lo, 1.0, v24
	v_cmp_eq_f32_e64 s7, 0, v25
	s_wait_xcnt 0x0
	s_cselect_b32 s8, -1, 0
	s_cmp_eq_f32 s45, 0
	s_cselect_b32 s9, -1, 0
	s_and_b32 s7, vcc_lo, s7
	s_and_b32 s8, s8, s9
	s_delay_alu instid0(SALU_CYCLE_1) | instskip(NEXT) | instid1(SALU_CYCLE_1)
	s_and_b32 s7, s8, s7
	s_and_b32 vcc_lo, exec_lo, s7
	s_cbranch_vccnz .LBB299_4
; %bb.6:                                ;   in Loop: Header=BB299_5 Depth=1
	s_or_b32 s7, s44, s45
	v_mov_b64_e32 v[38:39], 0
	s_bitset0_b32 s7, 31
	v_mov_b64_e32 v[36:37], 0
	s_cmp_lg_u32 s7, 0
	s_cselect_b32 s8, -1, 0
	s_cmp_eq_u32 s7, 0
	s_cselect_b32 s7, -1, 0
	s_delay_alu instid0(SALU_CYCLE_1)
	s_and_b32 vcc_lo, exec_lo, s7
	s_cbranch_vccnz .LBB299_8
; %bb.7:                                ;   in Loop: Header=BB299_5 Depth=1
	s_lshl_b64 s[48:49], s[10:11], 3
	s_delay_alu instid0(SALU_CYCLE_1)
	s_add_nc_u64 s[48:49], s[16:17], s[48:49]
	global_load_b64 v[26:27], v1, s[48:49]
	s_wait_loadcnt 0x0
	v_add_nc_u64_e32 v[36:37], s[18:19], v[26:27]
.LBB299_8:                              ;   in Loop: Header=BB299_5 Depth=1
	s_and_not1_b32 vcc_lo, exec_lo, s8
	s_cbranch_vccnz .LBB299_10
; %bb.9:                                ;   in Loop: Header=BB299_5 Depth=1
	s_lshl_b64 s[8:9], s[10:11], 3
	s_delay_alu instid0(SALU_CYCLE_1)
	s_add_nc_u64 s[8:9], s[28:29], s[8:9]
	global_load_b64 v[26:27], v1, s[8:9]
	s_wait_loadcnt 0x0
	v_add_nc_u64_e32 v[38:39], s[30:31], v[26:27]
.LBB299_10:                             ;   in Loop: Header=BB299_5 Depth=1
	s_wait_xcnt 0x0
	s_lshl_b64 s[8:9], s[10:11], 3
	s_and_not1_b32 vcc_lo, exec_lo, s7
	s_add_nc_u64 s[8:9], s[24:25], s[8:9]
	s_mov_b32 s7, -1
	global_load_b64 v[26:27], v1, s[8:9]
	s_wait_loadcnt 0x0
	v_add_nc_u64_e32 v[26:27], s[26:27], v[26:27]
	s_cbranch_vccnz .LBB299_16
; %bb.11:                               ;   in Loop: Header=BB299_5 Depth=1
	s_wait_xcnt 0x0
	s_and_saveexec_b32 s8, s34
	s_cbranch_execz .LBB299_15
; %bb.12:                               ;   in Loop: Header=BB299_5 Depth=1
	v_cmp_neq_f32_e32 vcc_lo, 0, v24
	v_cmp_neq_f32_e64 s7, 0, v25
	v_dual_mov_b32 v30, 0 :: v_dual_mov_b32 v31, 0
	v_lshl_add_u64 v[28:29], v[2:3], 3, v[26:27]
	s_or_b32 s7, vcc_lo, s7
	s_delay_alu instid0(SALU_CYCLE_1)
	s_and_not1_b32 vcc_lo, exec_lo, s7
	s_cbranch_vccnz .LBB299_14
; %bb.13:                               ;   in Loop: Header=BB299_5 Depth=1
	flat_load_b64 v[30:31], v[28:29]
	s_wait_loadcnt_dscnt 0x0
	v_pk_mul_f32 v[32:33], v[24:25], v[30:31] op_sel:[1,1] op_sel_hi:[0,1]
	s_delay_alu instid0(VALU_DEP_1) | instskip(SKIP_1) | instid1(VALU_DEP_2)
	v_pk_fma_f32 v[34:35], v[24:25], v[30:31], v[32:33] op_sel_hi:[1,0,1]
	v_pk_fma_f32 v[30:31], v[24:25], v[30:31], v[32:33] neg_lo:[0,0,1] neg_hi:[0,0,1]
	v_mov_b32_e32 v31, v35
.LBB299_14:                             ;   in Loop: Header=BB299_5 Depth=1
	flat_store_b64 v[28:29], v[30:31]
.LBB299_15:                             ;   in Loop: Header=BB299_5 Depth=1
	s_wait_xcnt 0x0
	s_or_b32 exec_lo, exec_lo, s8
	s_mov_b32 s7, 0
.LBB299_16:                             ;   in Loop: Header=BB299_5 Depth=1
	s_delay_alu instid0(SALU_CYCLE_1)
	s_and_not1_b32 vcc_lo, exec_lo, s7
	s_cbranch_vccnz .LBB299_4
; %bb.17:                               ;   in Loop: Header=BB299_5 Depth=1
	v_mov_b64_e32 v[30:31], 0
	v_mov_b64_e32 v[32:33], 0
	;; [unrolled: 1-line block ×4, first 2 shown]
	v_mov_b32_e32 v0, v94
	s_wait_xcnt 0x0
	s_and_saveexec_b32 s7, s0
	s_cbranch_execz .LBB299_29
; %bb.18:                               ;   in Loop: Header=BB299_5 Depth=1
	v_add_nc_u64_e32 v[40:41], v[36:37], v[10:11]
	v_add_nc_u64_e32 v[42:43], v[36:37], v[16:17]
	;; [unrolled: 1-line block ×4, first 2 shown]
	v_mov_b64_e32 v[28:29], 0
	v_mov_b64_e32 v[34:35], 0
	v_mov_b64_e32 v[32:33], 0
	v_mov_b64_e32 v[30:31], 0
	v_mov_b64_e32 v[48:49], v[38:39]
	v_mov_b32_e32 v0, v94
	s_mov_b32 s8, 0
	s_branch .LBB299_23
.LBB299_19:                             ;   in Loop: Header=BB299_23 Depth=2
	s_or_b32 exec_lo, exec_lo, s50
	s_wait_loadcnt_dscnt 0x303
	v_dual_mul_f32 v86, v61, v85 :: v_dual_mul_f32 v87, v60, v85
	s_wait_loadcnt_dscnt 0x202
	v_dual_mul_f32 v90, v59, v83 :: v_dual_mul_f32 v85, v58, v83
	s_wait_loadcnt_dscnt 0x101
	v_pk_mul_f32 v[88:89], v[76:77], v[80:81] op_sel:[0,1]
	v_dual_fma_f32 v86, v60, v84, -v86 :: v_dual_fmac_f32 v87, v61, v84
	s_delay_alu instid0(VALU_DEP_3) | instskip(NEXT) | instid1(VALU_DEP_3)
	v_dual_fma_f32 v84, v58, v82, -v90 :: v_dual_fmac_f32 v85, v59, v82
	v_pk_fma_f32 v[82:83], v[52:53], v[80:81], v[88:89] op_sel_hi:[1,0,1]
	v_pk_fma_f32 v[80:81], v[52:53], v[80:81], v[88:89] neg_lo:[0,0,1] neg_hi:[0,0,1]
	s_delay_alu instid0(VALU_DEP_4) | instskip(SKIP_3) | instid1(VALU_DEP_3)
	v_pk_add_f32 v[32:33], v[32:33], v[86:87]
	s_wait_loadcnt_dscnt 0x0
	v_pk_mul_f32 v[86:87], v[70:71], v[78:79] op_sel:[0,1]
	v_mov_b32_e32 v81, v83
	v_pk_add_f32 v[32:33], v[84:85], v[32:33]
	s_delay_alu instid0(VALU_DEP_3) | instskip(SKIP_1) | instid1(VALU_DEP_2)
	v_pk_fma_f32 v[82:83], v[50:51], v[78:79], v[86:87] op_sel_hi:[1,0,1]
	v_pk_fma_f32 v[78:79], v[50:51], v[78:79], v[86:87] neg_lo:[0,0,1] neg_hi:[0,0,1]
	v_mov_b32_e32 v79, v83
	s_delay_alu instid0(VALU_DEP_4) | instskip(NEXT) | instid1(VALU_DEP_1)
	v_pk_add_f32 v[32:33], v[80:81], v[32:33]
	v_pk_add_f32 v[32:33], v[78:79], v[32:33]
.LBB299_20:                             ;   in Loop: Header=BB299_23 Depth=2
	s_or_b32 exec_lo, exec_lo, s49
	s_wait_loadcnt_dscnt 0x303
	v_dual_mul_f32 v78, v61, v75 :: v_dual_mul_f32 v79, v60, v75
	s_wait_loadcnt_dscnt 0x202
	v_dual_mul_f32 v80, v59, v73 :: v_dual_mul_f32 v75, v58, v73
	s_wait_loadcnt_dscnt 0x101
	v_pk_mul_f32 v[76:77], v[76:77], v[68:69] op_sel:[0,1]
	v_dual_fma_f32 v78, v60, v74, -v78 :: v_dual_fmac_f32 v79, v61, v74
	s_delay_alu instid0(VALU_DEP_3) | instskip(NEXT) | instid1(VALU_DEP_3)
	v_dual_fma_f32 v74, v58, v72, -v80 :: v_dual_fmac_f32 v75, v59, v72
	v_pk_fma_f32 v[72:73], v[52:53], v[68:69], v[76:77] op_sel_hi:[1,0,1]
	s_wait_loadcnt_dscnt 0x0
	v_pk_mul_f32 v[70:71], v[70:71], v[66:67] op_sel:[0,1]
	v_pk_add_f32 v[34:35], v[34:35], v[78:79]
	v_pk_fma_f32 v[68:69], v[52:53], v[68:69], v[76:77] neg_lo:[0,0,1] neg_hi:[0,0,1]
	v_mov_b32_e32 v69, v73
	s_delay_alu instid0(VALU_DEP_4) | instskip(NEXT) | instid1(VALU_DEP_4)
	v_pk_fma_f32 v[72:73], v[50:51], v[66:67], v[70:71] op_sel_hi:[1,0,1]
	v_pk_add_f32 v[34:35], v[74:75], v[34:35]
	v_pk_fma_f32 v[66:67], v[50:51], v[66:67], v[70:71] neg_lo:[0,0,1] neg_hi:[0,0,1]
	s_delay_alu instid0(VALU_DEP_3) | instskip(NEXT) | instid1(VALU_DEP_3)
	v_mov_b32_e32 v67, v73
	v_pk_add_f32 v[34:35], v[68:69], v[34:35]
	s_delay_alu instid0(VALU_DEP_1)
	v_pk_add_f32 v[34:35], v[66:67], v[34:35]
.LBB299_21:                             ;   in Loop: Header=BB299_23 Depth=2
	s_or_b32 exec_lo, exec_lo, s48
	s_wait_loadcnt_dscnt 0x303
	v_dual_mul_f32 v66, v61, v65 :: v_dual_mul_f32 v67, v60, v65
	s_wait_loadcnt_dscnt 0x202
	v_dual_mul_f32 v70, v59, v63 :: v_dual_mul_f32 v65, v58, v63
	s_wait_loadcnt_dscnt 0x101
	v_pk_mul_f32 v[68:69], v[52:53], v[56:57] op_sel:[1,1] op_sel_hi:[0,1]
	v_dual_fma_f32 v66, v60, v64, -v66 :: v_dual_fmac_f32 v67, v61, v64
	s_delay_alu instid0(VALU_DEP_3) | instskip(NEXT) | instid1(VALU_DEP_3)
	v_dual_fma_f32 v64, v58, v62, -v70 :: v_dual_fmac_f32 v65, v59, v62
	v_pk_fma_f32 v[58:59], v[52:53], v[56:57], v[68:69] op_sel_hi:[1,0,1]
	s_wait_loadcnt_dscnt 0x0
	v_pk_mul_f32 v[60:61], v[50:51], v[54:55] op_sel:[1,1] op_sel_hi:[0,1]
	v_pk_add_f32 v[28:29], v[28:29], v[66:67]
	v_pk_fma_f32 v[52:53], v[52:53], v[56:57], v[68:69] neg_lo:[0,0,1] neg_hi:[0,0,1]
	s_delay_alu instid0(VALU_DEP_3) | instskip(SKIP_1) | instid1(VALU_DEP_4)
	v_pk_fma_f32 v[56:57], v[50:51], v[54:55], v[60:61] op_sel_hi:[1,0,1]
	v_mov_b32_e32 v53, v59
	v_pk_add_f32 v[28:29], v[64:65], v[28:29]
	v_pk_fma_f32 v[50:51], v[50:51], v[54:55], v[60:61] neg_lo:[0,0,1] neg_hi:[0,0,1]
	s_delay_alu instid0(VALU_DEP_4) | instskip(NEXT) | instid1(VALU_DEP_3)
	v_mov_b32_e32 v51, v57
	v_pk_add_f32 v[28:29], v[52:53], v[28:29]
	s_delay_alu instid0(VALU_DEP_1)
	v_pk_add_f32 v[28:29], v[50:51], v[28:29]
.LBB299_22:                             ;   in Loop: Header=BB299_23 Depth=2
	s_or_b32 exec_lo, exec_lo, s9
	v_add_nc_u32_e32 v0, 64, v0
	v_add_nc_u64_e32 v[48:49], s[40:41], v[48:49]
	v_add_nc_u64_e32 v[40:41], s[42:43], v[40:41]
	;; [unrolled: 1-line block ×4, first 2 shown]
	v_cmp_le_i32_e32 vcc_lo, s46, v0
	v_add_nc_u64_e32 v[46:47], s[42:43], v[46:47]
	s_or_b32 s8, vcc_lo, s8
	s_delay_alu instid0(SALU_CYCLE_1)
	s_and_not1_b32 exec_lo, exec_lo, s8
	s_cbranch_execz .LBB299_28
.LBB299_23:                             ;   Parent Loop BB299_5 Depth=1
                                        ; =>  This Inner Loop Header: Depth=2
	s_and_saveexec_b32 s9, s1
	s_cbranch_execz .LBB299_22
; %bb.24:                               ;   in Loop: Header=BB299_23 Depth=2
	s_delay_alu instid0(VALU_DEP_2)
	v_add_nc_u64_e32 v[66:67], v[48:49], v[6:7]
	v_add_nc_u64_e32 v[68:69], v[48:49], v[12:13]
	;; [unrolled: 1-line block ×8, first 2 shown]
	s_clause 0x3
	flat_load_b64 v[60:61], v[66:67] offset:-4
	flat_load_b64 v[58:59], v[68:69] offset:-4
	flat_load_b64 v[52:53], v[70:71]
	flat_load_b64 v[50:51], v[72:73]
	;; [unrolled: 1-line block ×6, first 2 shown]
	s_wait_xcnt 0x0
	s_and_saveexec_b32 s48, s2
	s_cbranch_execz .LBB299_21
; %bb.25:                               ;   in Loop: Header=BB299_23 Depth=2
	flat_load_b64 v[74:75], v[86:87] offset:256
	flat_load_b64 v[72:73], v[88:89] offset:256
	;; [unrolled: 1-line block ×4, first 2 shown]
	s_wait_loadcnt_dscnt 0x909
	v_dual_mov_b32 v76, v53 :: v_dual_mov_b32 v77, v52
	s_wait_loadcnt_dscnt 0x808
	v_dual_mov_b32 v70, v51 :: v_dual_mov_b32 v71, v50
	s_wait_xcnt 0x0
	s_and_saveexec_b32 s49, s3
	s_cbranch_execz .LBB299_20
; %bb.26:                               ;   in Loop: Header=BB299_23 Depth=2
	flat_load_b64 v[84:85], v[86:87] offset:512
	flat_load_b64 v[82:83], v[88:89] offset:512
	;; [unrolled: 1-line block ×4, first 2 shown]
	s_wait_xcnt 0x0
	s_and_saveexec_b32 s50, s4
	s_cbranch_execz .LBB299_19
; %bb.27:                               ;   in Loop: Header=BB299_23 Depth=2
	flat_load_b64 v[98:99], v[86:87] offset:768
	flat_load_b64 v[100:101], v[88:89] offset:768
	;; [unrolled: 1-line block ×4, first 2 shown]
	s_wait_loadcnt_dscnt 0x303
	s_wait_xcnt 0x3
	v_dual_mul_f32 v86, v61, v99 :: v_dual_mul_f32 v87, v60, v99
	s_wait_loadcnt_dscnt 0x202
	s_wait_xcnt 0x2
	v_dual_mul_f32 v88, v59, v101 :: v_dual_mul_f32 v89, v58, v101
	s_wait_loadcnt_dscnt 0x101
	s_wait_xcnt 0x1
	v_pk_mul_f32 v[90:91], v[76:77], v[102:103] op_sel:[0,1]
	v_dual_fma_f32 v86, v60, v98, -v86 :: v_dual_fmac_f32 v87, v61, v98
	v_dual_fma_f32 v88, v58, v100, -v88 :: v_dual_fmac_f32 v89, v59, v100
	s_wait_xcnt 0x0
	s_delay_alu instid0(VALU_DEP_3) | instskip(SKIP_4) | instid1(VALU_DEP_2)
	v_pk_fma_f32 v[92:93], v[52:53], v[102:103], v[90:91] op_sel_hi:[1,0,1]
	v_pk_fma_f32 v[90:91], v[52:53], v[102:103], v[90:91] neg_lo:[0,0,1] neg_hi:[0,0,1]
	v_pk_add_f32 v[30:31], v[30:31], v[86:87]
	s_wait_loadcnt_dscnt 0x0
	v_pk_mul_f32 v[86:87], v[70:71], v[104:105] op_sel:[0,1]
	v_pk_add_f32 v[30:31], v[88:89], v[30:31]
	s_delay_alu instid0(VALU_DEP_2) | instskip(SKIP_2) | instid1(VALU_DEP_3)
	v_pk_fma_f32 v[88:89], v[50:51], v[104:105], v[86:87] op_sel_hi:[1,0,1]
	v_mov_b32_e32 v91, v93
	v_pk_fma_f32 v[86:87], v[50:51], v[104:105], v[86:87] neg_lo:[0,0,1] neg_hi:[0,0,1]
	v_mov_b32_e32 v87, v89
	s_delay_alu instid0(VALU_DEP_3) | instskip(NEXT) | instid1(VALU_DEP_1)
	v_pk_add_f32 v[30:31], v[90:91], v[30:31]
	v_pk_add_f32 v[30:31], v[86:87], v[30:31]
	s_branch .LBB299_19
.LBB299_28:                             ;   in Loop: Header=BB299_5 Depth=1
	s_or_b32 exec_lo, exec_lo, s8
.LBB299_29:                             ;   in Loop: Header=BB299_5 Depth=1
	s_delay_alu instid0(SALU_CYCLE_1) | instskip(NEXT) | instid1(SALU_CYCLE_1)
	s_or_b32 exec_lo, exec_lo, s7
	s_and_not1_b32 vcc_lo, exec_lo, s47
	s_cbranch_vccnz .LBB299_47
; %bb.30:                               ;   in Loop: Header=BB299_5 Depth=1
	v_dual_mov_b32 v46, 0 :: v_dual_bitop2_b32 v48, 1, v0 bitop3:0x54
	v_cmp_gt_i32_e32 vcc_lo, s35, v0
	s_delay_alu instid0(VALU_DEP_2)
	v_dual_mov_b32 v47, v46 :: v_dual_mov_b32 v44, v46
	v_dual_mov_b32 v45, v46 :: v_dual_mov_b32 v42, v46
	v_dual_mov_b32 v43, v46 :: v_dual_mov_b32 v40, v46
	v_mov_b32_e32 v41, v46
	s_and_saveexec_b32 s8, vcc_lo
	s_cbranch_execz .LBB299_38
; %bb.31:                               ;   in Loop: Header=BB299_5 Depth=1
	v_mul_u64_e32 v[40:41], s[38:39], v[0:1]
	v_dual_mov_b32 v43, 0 :: v_dual_mov_b32 v42, 0
	v_dual_mov_b32 v45, 0 :: v_dual_mov_b32 v44, 0
	;; [unrolled: 1-line block ×3, first 2 shown]
	s_mov_b32 s9, exec_lo
	s_delay_alu instid0(VALU_DEP_4)
	v_lshl_add_u64 v[40:41], v[40:41], 3, v[38:39]
	flat_load_b64 v[40:41], v[40:41]
	s_wait_xcnt 0x0
	v_cmpx_gt_i32_e64 s35, v48
	s_cbranch_execz .LBB299_37
; %bb.32:                               ;   in Loop: Header=BB299_5 Depth=1
	v_dual_mov_b32 v49, v1 :: v_dual_bitop2_b32 v50, 2, v0 bitop3:0x54
	v_dual_mov_b32 v45, 0 :: v_dual_mov_b32 v44, 0
	v_dual_mov_b32 v47, 0 :: v_dual_mov_b32 v46, 0
	s_delay_alu instid0(VALU_DEP_3) | instskip(SKIP_1) | instid1(VALU_DEP_1)
	v_mul_u64_e32 v[42:43], s[38:39], v[48:49]
	s_mov_b32 s48, exec_lo
	v_lshl_add_u64 v[42:43], v[42:43], 3, v[38:39]
	flat_load_b64 v[42:43], v[42:43]
	s_wait_xcnt 0x0
	v_cmpx_gt_i32_e64 s35, v50
	s_cbranch_execz .LBB299_36
; %bb.33:                               ;   in Loop: Header=BB299_5 Depth=1
	v_dual_mov_b32 v51, v1 :: v_dual_mov_b32 v47, 0
	v_mov_b32_e32 v46, 0
	s_mov_b32 s49, exec_lo
	s_delay_alu instid0(VALU_DEP_2) | instskip(SKIP_1) | instid1(VALU_DEP_2)
	v_mul_u64_e32 v[44:45], s[38:39], v[50:51]
	v_or_b32_e32 v50, 3, v0
	v_lshl_add_u64 v[44:45], v[44:45], 3, v[38:39]
	flat_load_b64 v[44:45], v[44:45]
	s_wait_xcnt 0x0
	v_cmpx_gt_i32_e64 s35, v50
	s_cbranch_execz .LBB299_35
; %bb.34:                               ;   in Loop: Header=BB299_5 Depth=1
	v_mov_b32_e32 v51, v1
	s_delay_alu instid0(VALU_DEP_1) | instskip(NEXT) | instid1(VALU_DEP_1)
	v_mul_u64_e32 v[46:47], s[38:39], v[50:51]
	v_lshl_add_u64 v[38:39], v[46:47], 3, v[38:39]
	flat_load_b64 v[46:47], v[38:39]
.LBB299_35:                             ;   in Loop: Header=BB299_5 Depth=1
	s_wait_xcnt 0x0
	s_or_b32 exec_lo, exec_lo, s49
.LBB299_36:                             ;   in Loop: Header=BB299_5 Depth=1
	s_delay_alu instid0(SALU_CYCLE_1)
	s_or_b32 exec_lo, exec_lo, s48
.LBB299_37:                             ;   in Loop: Header=BB299_5 Depth=1
	s_delay_alu instid0(SALU_CYCLE_1)
	s_or_b32 exec_lo, exec_lo, s9
.LBB299_38:                             ;   in Loop: Header=BB299_5 Depth=1
	s_delay_alu instid0(SALU_CYCLE_1)
	s_or_b32 exec_lo, exec_lo, s8
	s_and_saveexec_b32 s48, s1
	s_cbranch_execz .LBB299_46
; %bb.39:                               ;   in Loop: Header=BB299_5 Depth=1
	v_dual_mov_b32 v49, v1 :: v_dual_bitop2_b32 v38, 2, v0 bitop3:0x54
	v_mov_b32_e32 v39, v1
	v_mul_u64_e32 v[50:51], s[36:37], v[0:1]
	v_or_b32_e32 v0, 3, v0
	s_delay_alu instid0(VALU_DEP_4)
	v_mul_u64_e32 v[52:53], s[36:37], v[48:49]
	v_cmp_gt_i32_e64 s7, s35, v48
	v_mul_u64_e32 v[54:55], s[36:37], v[38:39]
	v_cmp_gt_i32_e64 s8, s35, v38
	;; [unrolled: 2-line block ×3, first 2 shown]
	s_wait_loadcnt_dscnt 0x0
	v_dual_mov_b32 v58, v41 :: v_dual_mov_b32 v59, v40
	v_dual_cndmask_b32 v39, 0, v51 :: v_dual_cndmask_b32 v38, 0, v50
	v_dual_cndmask_b32 v49, 0, v53, s7 :: v_dual_cndmask_b32 v48, 0, v52, s7
	v_dual_cndmask_b32 v51, 0, v55, s8 :: v_dual_cndmask_b32 v50, 0, v54, s8
	;; [unrolled: 1-line block ×3, first 2 shown]
	s_delay_alu instid0(VALU_DEP_4) | instskip(NEXT) | instid1(VALU_DEP_4)
	v_lshl_add_u64 v[38:39], v[38:39], 3, v[36:37]
	v_lshl_add_u64 v[48:49], v[48:49], 3, v[36:37]
	s_delay_alu instid0(VALU_DEP_4)
	v_lshl_add_u64 v[50:51], v[50:51], 3, v[36:37]
	v_dual_mov_b32 v56, v43 :: v_dual_mov_b32 v57, v42
	v_lshl_add_u64 v[36:37], v[52:53], 3, v[36:37]
	v_add_nc_u64_e32 v[78:79], v[38:39], v[8:9]
	v_add_nc_u64_e32 v[76:77], v[48:49], v[8:9]
	;; [unrolled: 1-line block ×3, first 2 shown]
	v_dual_mov_b32 v54, v45 :: v_dual_mov_b32 v55, v44
	v_add_nc_u64_e32 v[80:81], v[36:37], v[8:9]
	s_clause 0x3
	flat_load_b64 v[52:53], v[78:79]
	flat_load_b64 v[48:49], v[76:77]
	;; [unrolled: 1-line block ×4, first 2 shown]
	v_dual_mov_b32 v50, v47 :: v_dual_mov_b32 v51, v46
	s_wait_xcnt 0x0
	s_and_saveexec_b32 s7, s2
	s_cbranch_execz .LBB299_45
; %bb.40:                               ;   in Loop: Header=BB299_5 Depth=1
	s_clause 0x3
	flat_load_b64 v[66:67], v[78:79] offset:256
	flat_load_b64 v[64:65], v[76:77] offset:256
	flat_load_b64 v[62:63], v[82:83] offset:256
	flat_load_b64 v[60:61], v[80:81] offset:256
	s_wait_xcnt 0x0
	s_and_saveexec_b32 s8, s3
	s_cbranch_execz .LBB299_44
; %bb.41:                               ;   in Loop: Header=BB299_5 Depth=1
	s_clause 0x3
	flat_load_b64 v[74:75], v[78:79] offset:512
	flat_load_b64 v[72:73], v[76:77] offset:512
	flat_load_b64 v[70:71], v[82:83] offset:512
	flat_load_b64 v[68:69], v[80:81] offset:512
	;; [unrolled: 9-line block ×3, first 2 shown]
	s_wait_loadcnt_dscnt 0x303
	s_wait_xcnt 0x2
	v_pk_mul_f32 v[76:77], v[58:59], v[84:85] op_sel:[0,1]
	s_wait_loadcnt_dscnt 0x202
	v_pk_mul_f32 v[78:79], v[56:57], v[86:87] op_sel:[0,1]
	s_wait_loadcnt_dscnt 0x101
	s_wait_xcnt 0x1
	v_pk_mul_f32 v[82:83], v[54:55], v[88:89] op_sel:[0,1]
	s_wait_xcnt 0x0
	v_pk_fma_f32 v[80:81], v[40:41], v[84:85], v[76:77] op_sel_hi:[1,0,1]
	v_pk_fma_f32 v[76:77], v[40:41], v[84:85], v[76:77] neg_lo:[0,0,1] neg_hi:[0,0,1]
	v_pk_fma_f32 v[84:85], v[42:43], v[86:87], v[78:79] op_sel_hi:[1,0,1]
	v_pk_fma_f32 v[78:79], v[42:43], v[86:87], v[78:79] neg_lo:[0,0,1] neg_hi:[0,0,1]
	s_delay_alu instid0(VALU_DEP_4) | instskip(SKIP_1) | instid1(VALU_DEP_4)
	v_mov_b32_e32 v77, v81
	v_pk_fma_f32 v[80:81], v[44:45], v[88:89], v[82:83] op_sel_hi:[1,0,1]
	v_mov_b32_e32 v79, v85
	v_pk_fma_f32 v[82:83], v[44:45], v[88:89], v[82:83] neg_lo:[0,0,1] neg_hi:[0,0,1]
	s_delay_alu instid0(VALU_DEP_4) | instskip(SKIP_2) | instid1(VALU_DEP_2)
	v_pk_add_f32 v[30:31], v[30:31], v[76:77]
	s_wait_loadcnt_dscnt 0x0
	v_pk_mul_f32 v[76:77], v[50:51], v[90:91] op_sel:[0,1]
	v_pk_add_f32 v[30:31], v[78:79], v[30:31]
	s_delay_alu instid0(VALU_DEP_2) | instskip(SKIP_2) | instid1(VALU_DEP_3)
	v_pk_fma_f32 v[78:79], v[46:47], v[90:91], v[76:77] op_sel_hi:[1,0,1]
	v_mov_b32_e32 v83, v81
	v_pk_fma_f32 v[76:77], v[46:47], v[90:91], v[76:77] neg_lo:[0,0,1] neg_hi:[0,0,1]
	v_mov_b32_e32 v77, v79
	s_delay_alu instid0(VALU_DEP_3) | instskip(NEXT) | instid1(VALU_DEP_1)
	v_pk_add_f32 v[30:31], v[82:83], v[30:31]
	v_pk_add_f32 v[30:31], v[76:77], v[30:31]
.LBB299_43:                             ;   in Loop: Header=BB299_5 Depth=1
	s_or_b32 exec_lo, exec_lo, s9
	s_wait_loadcnt_dscnt 0x303
	v_pk_mul_f32 v[76:77], v[58:59], v[74:75] op_sel:[0,1]
	s_wait_loadcnt_dscnt 0x202
	v_pk_mul_f32 v[78:79], v[56:57], v[72:73] op_sel:[0,1]
	;; [unrolled: 2-line block ×3, first 2 shown]
	v_pk_fma_f32 v[80:81], v[40:41], v[74:75], v[76:77] op_sel_hi:[1,0,1]
	v_pk_fma_f32 v[74:75], v[40:41], v[74:75], v[76:77] neg_lo:[0,0,1] neg_hi:[0,0,1]
	v_pk_fma_f32 v[76:77], v[42:43], v[72:73], v[78:79] op_sel_hi:[1,0,1]
	v_pk_fma_f32 v[72:73], v[42:43], v[72:73], v[78:79] neg_lo:[0,0,1] neg_hi:[0,0,1]
	v_pk_fma_f32 v[78:79], v[44:45], v[70:71], v[82:83] op_sel_hi:[1,0,1]
	v_mov_b32_e32 v75, v81
	v_pk_fma_f32 v[70:71], v[44:45], v[70:71], v[82:83] neg_lo:[0,0,1] neg_hi:[0,0,1]
	v_mov_b32_e32 v73, v77
	s_delay_alu instid0(VALU_DEP_3) | instskip(SKIP_2) | instid1(VALU_DEP_2)
	v_pk_add_f32 v[32:33], v[32:33], v[74:75]
	s_wait_loadcnt_dscnt 0x0
	v_pk_mul_f32 v[74:75], v[50:51], v[68:69] op_sel:[0,1]
	v_pk_add_f32 v[32:33], v[72:73], v[32:33]
	s_delay_alu instid0(VALU_DEP_2) | instskip(SKIP_2) | instid1(VALU_DEP_3)
	v_pk_fma_f32 v[72:73], v[46:47], v[68:69], v[74:75] op_sel_hi:[1,0,1]
	v_mov_b32_e32 v71, v79
	v_pk_fma_f32 v[68:69], v[46:47], v[68:69], v[74:75] neg_lo:[0,0,1] neg_hi:[0,0,1]
	v_mov_b32_e32 v69, v73
	s_delay_alu instid0(VALU_DEP_3) | instskip(NEXT) | instid1(VALU_DEP_1)
	v_pk_add_f32 v[32:33], v[70:71], v[32:33]
	v_pk_add_f32 v[32:33], v[68:69], v[32:33]
.LBB299_44:                             ;   in Loop: Header=BB299_5 Depth=1
	s_or_b32 exec_lo, exec_lo, s8
	s_wait_loadcnt_dscnt 0x303
	v_pk_mul_f32 v[68:69], v[58:59], v[66:67] op_sel:[0,1]
	s_wait_loadcnt_dscnt 0x202
	v_pk_mul_f32 v[70:71], v[56:57], v[64:65] op_sel:[0,1]
	;; [unrolled: 2-line block ×3, first 2 shown]
	v_pk_fma_f32 v[72:73], v[40:41], v[66:67], v[68:69] op_sel_hi:[1,0,1]
	v_pk_fma_f32 v[66:67], v[40:41], v[66:67], v[68:69] neg_lo:[0,0,1] neg_hi:[0,0,1]
	v_pk_fma_f32 v[68:69], v[42:43], v[64:65], v[70:71] op_sel_hi:[1,0,1]
	v_pk_fma_f32 v[64:65], v[42:43], v[64:65], v[70:71] neg_lo:[0,0,1] neg_hi:[0,0,1]
	v_pk_fma_f32 v[70:71], v[44:45], v[62:63], v[74:75] op_sel_hi:[1,0,1]
	v_mov_b32_e32 v67, v73
	v_pk_fma_f32 v[62:63], v[44:45], v[62:63], v[74:75] neg_lo:[0,0,1] neg_hi:[0,0,1]
	v_mov_b32_e32 v65, v69
	s_delay_alu instid0(VALU_DEP_3) | instskip(SKIP_2) | instid1(VALU_DEP_2)
	v_pk_add_f32 v[34:35], v[34:35], v[66:67]
	s_wait_loadcnt_dscnt 0x0
	v_pk_mul_f32 v[66:67], v[50:51], v[60:61] op_sel:[0,1]
	v_pk_add_f32 v[34:35], v[64:65], v[34:35]
	s_delay_alu instid0(VALU_DEP_2) | instskip(SKIP_2) | instid1(VALU_DEP_3)
	v_pk_fma_f32 v[64:65], v[46:47], v[60:61], v[66:67] op_sel_hi:[1,0,1]
	v_mov_b32_e32 v63, v71
	v_pk_fma_f32 v[60:61], v[46:47], v[60:61], v[66:67] neg_lo:[0,0,1] neg_hi:[0,0,1]
	v_mov_b32_e32 v61, v65
	s_delay_alu instid0(VALU_DEP_3) | instskip(NEXT) | instid1(VALU_DEP_1)
	v_pk_add_f32 v[34:35], v[62:63], v[34:35]
	v_pk_add_f32 v[34:35], v[60:61], v[34:35]
.LBB299_45:                             ;   in Loop: Header=BB299_5 Depth=1
	s_or_b32 exec_lo, exec_lo, s7
	s_wait_loadcnt_dscnt 0x303
	v_pk_mul_f32 v[58:59], v[58:59], v[52:53] op_sel:[0,1]
	s_wait_loadcnt_dscnt 0x202
	v_pk_mul_f32 v[56:57], v[56:57], v[48:49] op_sel:[0,1]
	;; [unrolled: 2-line block ×3, first 2 shown]
	v_pk_fma_f32 v[60:61], v[40:41], v[52:53], v[58:59] op_sel_hi:[1,0,1]
	v_pk_fma_f32 v[40:41], v[40:41], v[52:53], v[58:59] neg_lo:[0,0,1] neg_hi:[0,0,1]
	v_pk_fma_f32 v[52:53], v[42:43], v[48:49], v[56:57] op_sel_hi:[1,0,1]
	v_pk_fma_f32 v[42:43], v[42:43], v[48:49], v[56:57] neg_lo:[0,0,1] neg_hi:[0,0,1]
	v_pk_fma_f32 v[48:49], v[44:45], v[38:39], v[54:55] op_sel_hi:[1,0,1]
	v_mov_b32_e32 v41, v61
	v_pk_fma_f32 v[38:39], v[44:45], v[38:39], v[54:55] neg_lo:[0,0,1] neg_hi:[0,0,1]
	v_mov_b32_e32 v43, v53
	s_delay_alu instid0(VALU_DEP_3) | instskip(SKIP_2) | instid1(VALU_DEP_2)
	v_pk_add_f32 v[28:29], v[28:29], v[40:41]
	s_wait_loadcnt_dscnt 0x0
	v_pk_mul_f32 v[40:41], v[50:51], v[36:37] op_sel:[0,1]
	v_pk_add_f32 v[28:29], v[42:43], v[28:29]
	s_delay_alu instid0(VALU_DEP_2) | instskip(SKIP_2) | instid1(VALU_DEP_3)
	v_pk_fma_f32 v[42:43], v[46:47], v[36:37], v[40:41] op_sel_hi:[1,0,1]
	v_mov_b32_e32 v39, v49
	v_pk_fma_f32 v[36:37], v[46:47], v[36:37], v[40:41] neg_lo:[0,0,1] neg_hi:[0,0,1]
	v_mov_b32_e32 v37, v43
	s_delay_alu instid0(VALU_DEP_3) | instskip(NEXT) | instid1(VALU_DEP_1)
	v_pk_add_f32 v[28:29], v[38:39], v[28:29]
	v_pk_add_f32 v[28:29], v[36:37], v[28:29]
.LBB299_46:                             ;   in Loop: Header=BB299_5 Depth=1
	s_or_b32 exec_lo, exec_lo, s48
.LBB299_47:                             ;   in Loop: Header=BB299_5 Depth=1
	ds_store_2addr_b64 v95, v[28:29], v[34:35] offset1:32
	ds_store_2addr_b64 v95, v[32:33], v[30:31] offset0:64 offset1:96
	s_wait_storecnt 0x0
	s_wait_loadcnt_dscnt 0x0
	s_barrier_signal -1
	s_barrier_wait -1
	s_and_saveexec_b32 s8, s5
	s_cbranch_execz .LBB299_3
; %bb.48:                               ;   in Loop: Header=BB299_5 Depth=1
	ds_load_2addr_stride64_b64 v[28:31], v96 offset1:2
	ds_load_2addr_stride64_b64 v[32:35], v96 offset0:4 offset1:6
	ds_load_2addr_stride64_b64 v[36:39], v96 offset0:8 offset1:10
	s_wait_dscnt 0x2
	v_pk_add_f32 v[40:41], v[28:29], v[30:31]
	ds_load_2addr_stride64_b64 v[28:31], v96 offset0:12 offset1:14
	s_wait_dscnt 0x2
	v_pk_add_f32 v[32:33], v[40:41], v[32:33]
	s_delay_alu instid0(VALU_DEP_1) | instskip(SKIP_3) | instid1(VALU_DEP_1)
	v_pk_add_f32 v[40:41], v[32:33], v[34:35]
	ds_load_2addr_stride64_b64 v[32:35], v96 offset0:16 offset1:18
	s_wait_dscnt 0x2
	v_pk_add_f32 v[36:37], v[40:41], v[36:37]
	v_pk_add_f32 v[40:41], v[36:37], v[38:39]
	ds_load_2addr_stride64_b64 v[36:39], v96 offset0:20 offset1:22
	s_wait_dscnt 0x2
	v_pk_add_f32 v[28:29], v[40:41], v[28:29]
	s_delay_alu instid0(VALU_DEP_1) | instskip(SKIP_1) | instid1(VALU_DEP_1)
	v_pk_add_f32 v[28:29], v[28:29], v[30:31]
	s_wait_dscnt 0x1
	v_pk_add_f32 v[32:33], v[28:29], v[32:33]
	ds_load_2addr_stride64_b64 v[28:31], v96 offset0:24 offset1:26
	v_pk_add_f32 v[32:33], v[32:33], v[34:35]
	s_wait_dscnt 0x1
	s_delay_alu instid0(VALU_DEP_1) | instskip(SKIP_3) | instid1(VALU_DEP_1)
	v_pk_add_f32 v[36:37], v[32:33], v[36:37]
	ds_load_2addr_stride64_b64 v[32:35], v96 offset0:28 offset1:30
	v_pk_add_f32 v[36:37], v[36:37], v[38:39]
	s_wait_dscnt 0x1
	v_pk_add_f32 v[28:29], v[36:37], v[28:29]
	s_delay_alu instid0(VALU_DEP_1) | instskip(SKIP_1) | instid1(VALU_DEP_1)
	v_pk_add_f32 v[28:29], v[28:29], v[30:31]
	s_wait_dscnt 0x0
	v_pk_add_f32 v[28:29], v[28:29], v[32:33]
	s_delay_alu instid0(VALU_DEP_1)
	v_pk_add_f32 v[30:31], v[28:29], v[34:35]
	ds_store_b64 v96, v[30:31]
	s_and_b32 exec_lo, exec_lo, s6
	s_cbranch_execz .LBB299_3
; %bb.49:                               ;   in Loop: Header=BB299_5 Depth=1
	v_mov_b64_e32 v[32:33], s[44:45]
	v_cmp_neq_f32_e32 vcc_lo, 0, v24
	v_cmp_neq_f32_e64 s7, 0, v25
	v_lshl_add_u64 v[26:27], v[4:5], 3, v[26:27]
	s_or_b32 s7, vcc_lo, s7
	v_pk_mul_f32 v[34:35], v[30:31], v[32:33] op_sel:[1,1] op_sel_hi:[1,0]
	s_and_not1_b32 vcc_lo, exec_lo, s7
	s_delay_alu instid0(VALU_DEP_1)
	v_pk_fma_f32 v[28:29], v[30:31], v[32:33], v[34:35] op_sel_hi:[0,1,1] neg_lo:[0,0,1] neg_hi:[0,0,1]
	v_pk_fma_f32 v[30:31], v[30:31], v[32:33], v[34:35] op_sel_hi:[0,1,1]
	s_cbranch_vccnz .LBB299_2
; %bb.50:                               ;   in Loop: Header=BB299_5 Depth=1
	flat_load_b64 v[32:33], v[26:27]
	s_wait_loadcnt_dscnt 0x0
	v_pk_mul_f32 v[34:35], v[24:25], v[32:33] op_sel:[1,1] op_sel_hi:[0,1]
	s_delay_alu instid0(VALU_DEP_1) | instskip(SKIP_1) | instid1(VALU_DEP_2)
	v_pk_fma_f32 v[36:37], v[24:25], v[32:33], v[34:35] op_sel_hi:[1,0,1]
	v_pk_fma_f32 v[24:25], v[24:25], v[32:33], v[34:35] neg_lo:[0,0,1] neg_hi:[0,0,1]
	v_dual_mov_b32 v29, v31 :: v_dual_mov_b32 v25, v37
	s_delay_alu instid0(VALU_DEP_1) | instskip(NEXT) | instid1(VALU_DEP_1)
	v_pk_add_f32 v[28:29], v[28:29], v[24:25]
	v_mov_b32_e32 v31, v29
	s_branch .LBB299_2
.LBB299_51:
	s_sendmsg sendmsg(MSG_DEALLOC_VGPRS)
	s_endpgm
	.section	.rodata,"a",@progbits
	.p2align	6, 0x0
	.amdhsa_kernel _ZL20rocblas_gemvn_kernelILi32ELi16ElPK19rocblas_complex_numIfES3_KPS1_EviiT3_lPKT2_lT1_lS9_lSA_lS6_lPT4_lSA_li
		.amdhsa_group_segment_fixed_size 16384
		.amdhsa_private_segment_fixed_size 0
		.amdhsa_kernarg_size 400
		.amdhsa_user_sgpr_count 2
		.amdhsa_user_sgpr_dispatch_ptr 0
		.amdhsa_user_sgpr_queue_ptr 0
		.amdhsa_user_sgpr_kernarg_segment_ptr 1
		.amdhsa_user_sgpr_dispatch_id 0
		.amdhsa_user_sgpr_kernarg_preload_length 0
		.amdhsa_user_sgpr_kernarg_preload_offset 0
		.amdhsa_user_sgpr_private_segment_size 0
		.amdhsa_wavefront_size32 1
		.amdhsa_uses_dynamic_stack 0
		.amdhsa_enable_private_segment 0
		.amdhsa_system_sgpr_workgroup_id_x 1
		.amdhsa_system_sgpr_workgroup_id_y 0
		.amdhsa_system_sgpr_workgroup_id_z 1
		.amdhsa_system_sgpr_workgroup_info 0
		.amdhsa_system_vgpr_workitem_id 1
		.amdhsa_next_free_vgpr 106
		.amdhsa_next_free_sgpr 51
		.amdhsa_named_barrier_count 0
		.amdhsa_reserve_vcc 1
		.amdhsa_float_round_mode_32 0
		.amdhsa_float_round_mode_16_64 0
		.amdhsa_float_denorm_mode_32 3
		.amdhsa_float_denorm_mode_16_64 3
		.amdhsa_fp16_overflow 0
		.amdhsa_memory_ordered 1
		.amdhsa_forward_progress 1
		.amdhsa_inst_pref_size 33
		.amdhsa_round_robin_scheduling 0
		.amdhsa_exception_fp_ieee_invalid_op 0
		.amdhsa_exception_fp_denorm_src 0
		.amdhsa_exception_fp_ieee_div_zero 0
		.amdhsa_exception_fp_ieee_overflow 0
		.amdhsa_exception_fp_ieee_underflow 0
		.amdhsa_exception_fp_ieee_inexact 0
		.amdhsa_exception_int_div_zero 0
	.end_amdhsa_kernel
	.section	.text._ZL20rocblas_gemvn_kernelILi32ELi16ElPK19rocblas_complex_numIfES3_KPS1_EviiT3_lPKT2_lT1_lS9_lSA_lS6_lPT4_lSA_li,"axG",@progbits,_ZL20rocblas_gemvn_kernelILi32ELi16ElPK19rocblas_complex_numIfES3_KPS1_EviiT3_lPKT2_lT1_lS9_lSA_lS6_lPT4_lSA_li,comdat
.Lfunc_end299:
	.size	_ZL20rocblas_gemvn_kernelILi32ELi16ElPK19rocblas_complex_numIfES3_KPS1_EviiT3_lPKT2_lT1_lS9_lSA_lS6_lPT4_lSA_li, .Lfunc_end299-_ZL20rocblas_gemvn_kernelILi32ELi16ElPK19rocblas_complex_numIfES3_KPS1_EviiT3_lPKT2_lT1_lS9_lSA_lS6_lPT4_lSA_li
                                        ; -- End function
	.set _ZL20rocblas_gemvn_kernelILi32ELi16ElPK19rocblas_complex_numIfES3_KPS1_EviiT3_lPKT2_lT1_lS9_lSA_lS6_lPT4_lSA_li.num_vgpr, 106
	.set _ZL20rocblas_gemvn_kernelILi32ELi16ElPK19rocblas_complex_numIfES3_KPS1_EviiT3_lPKT2_lT1_lS9_lSA_lS6_lPT4_lSA_li.num_agpr, 0
	.set _ZL20rocblas_gemvn_kernelILi32ELi16ElPK19rocblas_complex_numIfES3_KPS1_EviiT3_lPKT2_lT1_lS9_lSA_lS6_lPT4_lSA_li.numbered_sgpr, 51
	.set _ZL20rocblas_gemvn_kernelILi32ELi16ElPK19rocblas_complex_numIfES3_KPS1_EviiT3_lPKT2_lT1_lS9_lSA_lS6_lPT4_lSA_li.num_named_barrier, 0
	.set _ZL20rocblas_gemvn_kernelILi32ELi16ElPK19rocblas_complex_numIfES3_KPS1_EviiT3_lPKT2_lT1_lS9_lSA_lS6_lPT4_lSA_li.private_seg_size, 0
	.set _ZL20rocblas_gemvn_kernelILi32ELi16ElPK19rocblas_complex_numIfES3_KPS1_EviiT3_lPKT2_lT1_lS9_lSA_lS6_lPT4_lSA_li.uses_vcc, 1
	.set _ZL20rocblas_gemvn_kernelILi32ELi16ElPK19rocblas_complex_numIfES3_KPS1_EviiT3_lPKT2_lT1_lS9_lSA_lS6_lPT4_lSA_li.uses_flat_scratch, 1
	.set _ZL20rocblas_gemvn_kernelILi32ELi16ElPK19rocblas_complex_numIfES3_KPS1_EviiT3_lPKT2_lT1_lS9_lSA_lS6_lPT4_lSA_li.has_dyn_sized_stack, 0
	.set _ZL20rocblas_gemvn_kernelILi32ELi16ElPK19rocblas_complex_numIfES3_KPS1_EviiT3_lPKT2_lT1_lS9_lSA_lS6_lPT4_lSA_li.has_recursion, 0
	.set _ZL20rocblas_gemvn_kernelILi32ELi16ElPK19rocblas_complex_numIfES3_KPS1_EviiT3_lPKT2_lT1_lS9_lSA_lS6_lPT4_lSA_li.has_indirect_call, 0
	.section	.AMDGPU.csdata,"",@progbits
; Kernel info:
; codeLenInByte = 4192
; TotalNumSgprs: 53
; NumVgprs: 106
; ScratchSize: 0
; MemoryBound: 0
; FloatMode: 240
; IeeeMode: 1
; LDSByteSize: 16384 bytes/workgroup (compile time only)
; SGPRBlocks: 0
; VGPRBlocks: 6
; NumSGPRsForWavesPerEU: 53
; NumVGPRsForWavesPerEU: 106
; NamedBarCnt: 0
; Occupancy: 9
; WaveLimiterHint : 1
; COMPUTE_PGM_RSRC2:SCRATCH_EN: 0
; COMPUTE_PGM_RSRC2:USER_SGPR: 2
; COMPUTE_PGM_RSRC2:TRAP_HANDLER: 0
; COMPUTE_PGM_RSRC2:TGID_X_EN: 1
; COMPUTE_PGM_RSRC2:TGID_Y_EN: 0
; COMPUTE_PGM_RSRC2:TGID_Z_EN: 1
; COMPUTE_PGM_RSRC2:TIDIG_COMP_CNT: 1
	.section	.text._ZL20rocblas_gemvn_kernelILi32ELi16EiPK19rocblas_complex_numIfES1_KPS1_EviiT3_lPKT2_lT1_lS9_lSA_lS6_lPT4_lSA_li,"axG",@progbits,_ZL20rocblas_gemvn_kernelILi32ELi16EiPK19rocblas_complex_numIfES1_KPS1_EviiT3_lPKT2_lT1_lS9_lSA_lS6_lPT4_lSA_li,comdat
	.globl	_ZL20rocblas_gemvn_kernelILi32ELi16EiPK19rocblas_complex_numIfES1_KPS1_EviiT3_lPKT2_lT1_lS9_lSA_lS6_lPT4_lSA_li ; -- Begin function _ZL20rocblas_gemvn_kernelILi32ELi16EiPK19rocblas_complex_numIfES1_KPS1_EviiT3_lPKT2_lT1_lS9_lSA_lS6_lPT4_lSA_li
	.p2align	8
	.type	_ZL20rocblas_gemvn_kernelILi32ELi16EiPK19rocblas_complex_numIfES1_KPS1_EviiT3_lPKT2_lT1_lS9_lSA_lS6_lPT4_lSA_li,@function
_ZL20rocblas_gemvn_kernelILi32ELi16EiPK19rocblas_complex_numIfES1_KPS1_EviiT3_lPKT2_lT1_lS9_lSA_lS6_lPT4_lSA_li: ; @_ZL20rocblas_gemvn_kernelILi32ELi16EiPK19rocblas_complex_numIfES1_KPS1_EviiT3_lPKT2_lT1_lS9_lSA_lS6_lPT4_lSA_li
; %bb.0:
	s_clause 0x1
	s_load_b64 s[4:5], s[0:1], 0x9c
	s_load_b32 s33, s[0:1], 0x88
	s_bfe_u32 s2, ttmp6, 0x40014
	s_lshr_b32 s3, ttmp7, 16
	s_add_co_i32 s2, s2, 1
	s_bfe_u32 s6, ttmp6, 0x40008
	s_mul_i32 s7, s3, s2
	s_getreg_b32 s2, hwreg(HW_REG_IB_STS2, 6, 4)
	s_add_co_i32 s6, s6, s7
	s_mov_b32 s25, 0
	s_wait_kmcnt 0x0
	s_lshr_b32 s7, s4, 16
	s_and_b32 s4, s4, 0xffff
	s_and_b32 s5, s5, 0xffff
	s_mul_i32 s4, s7, s4
	s_cmp_eq_u32 s2, 0
	s_mul_i32 s4, s4, s5
	s_cselect_b32 s24, s3, s6
	s_cmp_lg_u32 s4, 0x200
	s_cselect_b32 s3, -1, 0
	s_cmp_ge_u32 s24, s33
	s_cselect_b32 s4, -1, 0
	s_delay_alu instid0(SALU_CYCLE_1) | instskip(NEXT) | instid1(SALU_CYCLE_1)
	s_or_b32 s3, s3, s4
	s_and_b32 vcc_lo, exec_lo, s3
	s_cbranch_vccnz .LBB300_53
; %bb.1:
	s_clause 0x7
	s_load_b32 s4, s[0:1], 0x78
	s_load_b128 s[8:11], s[0:1], 0x0
	s_load_b64 s[26:27], s[0:1], 0x58
	s_load_b128 s[12:15], s[0:1], 0x18
	s_load_b128 s[16:19], s[0:1], 0x68
	s_load_b32 s34, s[0:1], 0x28
	s_load_b128 s[20:23], s[0:1], 0x38
	s_load_b32 s35, s[0:1], 0x48
	v_and_b32_e32 v6, 0x3ff, v0
	v_bfe_u32 v7, v0, 10, 10
	s_delay_alu instid0(VALU_DEP_2) | instskip(NEXT) | instid1(VALU_DEP_2)
	v_dual_mov_b32 v1, 0 :: v_dual_lshlrev_b32 v0, 3, v6
	v_lshl_add_u32 v2, v7, 5, v6
	s_delay_alu instid0(VALU_DEP_2)
	v_lshl_add_u32 v65, v7, 10, v0
	v_lshl_add_u32 v66, v7, 8, v0
	s_wait_kmcnt 0x0
	s_ashr_i32 s5, s4, 31
	s_cmp_neq_f32 s10, 0
	s_mov_b32 s6, s8
	v_mul_lo_u32 v11, v7, s34
	s_mov_b32 s28, s27
	s_cselect_b32 s3, -1, 0
	s_cmp_neq_f32 s11, 0
	s_mov_b32 s29, s26
	s_mov_b32 s30, s11
	s_cselect_b32 s0, -1, 0
	s_delay_alu instid0(SALU_CYCLE_1) | instskip(SKIP_2) | instid1(VALU_DEP_2)
	s_or_b32 s31, s3, s0
	s_cmp_neq_f32 s26, 1.0
	v_cmp_gt_u32_e64 s0, 0x80, v2
	v_lshl_add_u32 v70, v11, 2, v6
	s_cselect_b32 s41, -1, 0
	s_cmp_neq_f32 s27, 0
	s_cselect_b32 s44, -1, 0
	s_or_b32 s1, s10, s11
	s_delay_alu instid0(SALU_CYCLE_1) | instskip(NEXT) | instid1(SALU_CYCLE_1)
	s_bitset0_b32 s1, 31
	s_cmp_lg_u32 s1, 0
	s_cselect_b32 s36, -1, 0
	s_cmp_eq_u32 s1, 0
	s_cselect_b32 s37, -1, 0
	s_bfe_u32 s1, ttmp6, 0x4000c
	s_and_b32 s3, ttmp6, 15
	s_add_co_i32 s1, s1, 1
	s_delay_alu instid0(SALU_CYCLE_1) | instskip(NEXT) | instid1(SALU_CYCLE_1)
	s_mul_i32 s1, ttmp9, s1
	s_add_co_i32 s3, s3, s1
	s_cmp_eq_u32 s2, 0
	s_cselect_b32 s1, ttmp9, s3
	s_ashr_i32 s7, s8, 31
	s_lshl_b32 s38, s1, 7
	s_delay_alu instid0(SALU_CYCLE_1) | instskip(SKIP_3) | instid1(VALU_DEP_3)
	v_dual_lshlrev_b32 v64, 2, v7 :: v_dual_add_nc_u32 v0, s38, v2
	v_add_nc_u32_e32 v67, s38, v6
	v_or_b32_e32 v4, s38, v2
	s_cmp_neq_f32 s26, 0
	v_or_b32_e32 v8, 2, v64
	v_mul_u64_e32 v[2:3], s[4:5], v[0:1]
	v_or_b32_e32 v9, 3, v64
	s_cselect_b32 s1, -1, 0
	s_ashr_i32 s2, s9, 31
	v_mul_lo_u32 v10, s34, v64
	s_lshr_b32 s3, s2, 26
	v_add_nc_u32_e32 v5, 64, v67
	v_cmp_gt_i32_e64 s2, s8, v4
	v_mul_lo_u32 v4, s4, v4
	v_mul_lo_u32 v7, v7, s35
	s_add_co_i32 s40, s9, s3
	v_cmp_gt_i64_e32 vcc_lo, s[6:7], v[0:1]
	v_add_nc_u32_e32 v0, 32, v67
	v_mad_u32 v68, s34, v8, v6
	v_mad_u32 v69, s34, v9, v6
	;; [unrolled: 1-line block ×3, first 2 shown]
	v_mul_lo_u32 v72, s35, v8
	v_mul_lo_u32 v73, s35, v9
	v_add_nc_u32_e32 v12, 0x60, v67
	s_and_not1_b32 s40, s40, 63
	s_or_b32 s39, s1, s44
	s_sub_co_i32 s6, s9, s40
	v_cmp_gt_i32_e64 s1, s8, v67
	s_cmp_gt_i32 s6, 0
	v_cmp_gt_i32_e64 s3, s8, v0
	v_cmp_gt_i32_e64 s4, s8, v5
	;; [unrolled: 1-line block ×4, first 2 shown]
	v_dual_ashrrev_i32 v5, 31, v4 :: v_dual_lshlrev_b32 v74, 2, v7
	v_add3_u32 v0, v10, s34, v6
	s_cselect_b32 s8, -1, 0
	s_or_b32 s7, s31, s41
	s_and_b32 s41, s0, vcc_lo
	s_mov_b32 s31, s10
	s_lshl_b32 s42, s34, 6
	s_lshl_b32 s43, s35, 6
	s_or_b32 s44, s7, s44
	s_lshl_b64 s[14:15], s[14:15], 3
	s_lshl_b64 s[22:23], s[22:23], 3
	;; [unrolled: 1-line block ×3, first 2 shown]
	s_branch .LBB300_5
.LBB300_2:                              ;   in Loop: Header=BB300_5 Depth=1
	s_delay_alu instid0(VALU_DEP_1)
	v_mov_b32_e32 v9, v11
	flat_store_b64 v[6:7], v[8:9]
.LBB300_3:                              ;   in Loop: Header=BB300_5 Depth=1
	s_wait_xcnt 0x0
	s_or_b32 exec_lo, exec_lo, s7
.LBB300_4:                              ;   in Loop: Header=BB300_5 Depth=1
	s_add_co_i32 s24, s24, 0x10000
	s_delay_alu instid0(SALU_CYCLE_1)
	s_cmp_lt_u32 s24, s33
	s_cbranch_scc0 .LBB300_53
.LBB300_5:                              ; =>This Loop Header: Depth=1
                                        ;     Child Loop BB300_25 Depth 2
	s_and_not1_b32 vcc_lo, exec_lo, s44
	s_cbranch_vccnz .LBB300_4
; %bb.6:                                ;   in Loop: Header=BB300_5 Depth=1
	s_and_not1_b32 vcc_lo, exec_lo, s37
	s_cbranch_vccnz .LBB300_8
; %bb.7:                                ;   in Loop: Header=BB300_5 Depth=1
	v_mov_b64_e32 v[18:19], 0
	v_mov_b64_e32 v[16:17], 0
	s_cbranch_execz .LBB300_9
	s_branch .LBB300_10
.LBB300_8:                              ;   in Loop: Header=BB300_5 Depth=1
	v_mov_b64_e32 v[18:19], 0
	v_mov_b64_e32 v[16:17], 0
.LBB300_9:                              ;   in Loop: Header=BB300_5 Depth=1
	s_wait_xcnt 0x0
	s_lshl_b64 s[46:47], s[24:25], 3
	s_delay_alu instid0(SALU_CYCLE_1)
	s_add_nc_u64 s[46:47], s[12:13], s[46:47]
	global_load_b64 v[6:7], v1, s[46:47]
	s_wait_loadcnt 0x0
	v_add_nc_u64_e32 v[16:17], s[14:15], v[6:7]
.LBB300_10:                             ;   in Loop: Header=BB300_5 Depth=1
	s_and_not1_b32 vcc_lo, exec_lo, s36
	s_cbranch_vccnz .LBB300_12
; %bb.11:                               ;   in Loop: Header=BB300_5 Depth=1
	s_wait_xcnt 0x0
	s_lshl_b64 s[46:47], s[24:25], 3
	s_delay_alu instid0(SALU_CYCLE_1)
	s_add_nc_u64 s[46:47], s[20:21], s[46:47]
	global_load_b64 v[6:7], v1, s[46:47]
	s_wait_loadcnt 0x0
	v_add_nc_u64_e32 v[18:19], s[22:23], v[6:7]
.LBB300_12:                             ;   in Loop: Header=BB300_5 Depth=1
	s_wait_xcnt 0x0
	s_lshl_b64 s[46:47], s[24:25], 3
	s_and_not1_b32 vcc_lo, exec_lo, s37
	s_add_nc_u64 s[46:47], s[16:17], s[46:47]
	s_mov_b32 s7, -1
	global_load_b64 v[6:7], v1, s[46:47]
	s_wait_loadcnt 0x0
	v_add_nc_u64_e32 v[6:7], s[18:19], v[6:7]
	s_cbranch_vccnz .LBB300_18
; %bb.13:                               ;   in Loop: Header=BB300_5 Depth=1
	s_wait_xcnt 0x0
	s_and_saveexec_b32 s7, s41
	s_cbranch_execz .LBB300_17
; %bb.14:                               ;   in Loop: Header=BB300_5 Depth=1
	v_dual_mov_b32 v10, 0 :: v_dual_mov_b32 v11, 0
	s_delay_alu instid0(VALU_DEP_2)
	v_lshl_add_u64 v[8:9], v[2:3], 3, v[6:7]
	s_and_not1_b32 vcc_lo, exec_lo, s39
	s_cbranch_vccnz .LBB300_16
; %bb.15:                               ;   in Loop: Header=BB300_5 Depth=1
	flat_load_b64 v[10:11], v[8:9]
	v_mov_b64_e32 v[12:13], s[28:29]
	v_mov_b64_e32 v[14:15], s[26:27]
	s_wait_loadcnt_dscnt 0x0
	s_delay_alu instid0(VALU_DEP_2) | instskip(NEXT) | instid1(VALU_DEP_1)
	v_pk_mul_f32 v[12:13], v[12:13], v[10:11] op_sel:[0,1]
	v_pk_fma_f32 v[20:21], v[14:15], v[10:11], v[12:13] op_sel_hi:[1,0,1]
	v_pk_fma_f32 v[10:11], v[14:15], v[10:11], v[12:13] neg_lo:[0,0,1] neg_hi:[0,0,1]
	s_delay_alu instid0(VALU_DEP_2)
	v_mov_b32_e32 v11, v21
.LBB300_16:                             ;   in Loop: Header=BB300_5 Depth=1
	flat_store_b64 v[8:9], v[10:11]
.LBB300_17:                             ;   in Loop: Header=BB300_5 Depth=1
	s_wait_xcnt 0x0
	s_or_b32 exec_lo, exec_lo, s7
	s_mov_b32 s7, 0
.LBB300_18:                             ;   in Loop: Header=BB300_5 Depth=1
	s_delay_alu instid0(SALU_CYCLE_1)
	s_and_not1_b32 vcc_lo, exec_lo, s7
	s_cbranch_vccnz .LBB300_4
; %bb.19:                               ;   in Loop: Header=BB300_5 Depth=1
	v_mov_b64_e32 v[10:11], 0
	v_mov_b64_e32 v[12:13], 0
	;; [unrolled: 1-line block ×4, first 2 shown]
	v_mov_b32_e32 v75, v64
	s_wait_xcnt 0x0
	s_and_saveexec_b32 s7, s6
	s_cbranch_execz .LBB300_31
; %bb.20:                               ;   in Loop: Header=BB300_5 Depth=1
	v_mov_b64_e32 v[8:9], 0
	v_mov_b64_e32 v[14:15], 0
	;; [unrolled: 1-line block ×4, first 2 shown]
	v_dual_mov_b32 v76, v70 :: v_dual_mov_b32 v77, v69
	v_dual_mov_b32 v78, v68 :: v_dual_mov_b32 v79, v0
	v_mov_b32_e32 v75, v64
	s_mov_b32 s45, 0
	s_mov_b32 s46, 0
	s_branch .LBB300_25
.LBB300_21:                             ;   in Loop: Header=BB300_25 Depth=2
	s_or_b32 exec_lo, exec_lo, s50
	s_wait_loadcnt_dscnt 0x303
	v_dual_mul_f32 v56, v31, v55 :: v_dual_mul_f32 v57, v30, v55
	s_wait_loadcnt_dscnt 0x202
	v_dual_mul_f32 v60, v29, v53 :: v_dual_mul_f32 v55, v28, v53
	s_wait_loadcnt_dscnt 0x101
	v_pk_mul_f32 v[58:59], v[46:47], v[50:51] op_sel:[0,1]
	v_dual_fma_f32 v56, v30, v54, -v56 :: v_dual_fmac_f32 v57, v31, v54
	s_delay_alu instid0(VALU_DEP_3) | instskip(NEXT) | instid1(VALU_DEP_3)
	v_dual_fma_f32 v54, v28, v52, -v60 :: v_dual_fmac_f32 v55, v29, v52
	v_pk_fma_f32 v[52:53], v[22:23], v[50:51], v[58:59] op_sel_hi:[1,0,1]
	v_pk_fma_f32 v[50:51], v[22:23], v[50:51], v[58:59] neg_lo:[0,0,1] neg_hi:[0,0,1]
	s_delay_alu instid0(VALU_DEP_4) | instskip(SKIP_3) | instid1(VALU_DEP_3)
	v_pk_add_f32 v[12:13], v[12:13], v[56:57]
	s_wait_loadcnt_dscnt 0x0
	v_pk_mul_f32 v[56:57], v[40:41], v[48:49] op_sel:[0,1]
	v_mov_b32_e32 v51, v53
	v_pk_add_f32 v[12:13], v[54:55], v[12:13]
	s_delay_alu instid0(VALU_DEP_3) | instskip(SKIP_1) | instid1(VALU_DEP_2)
	v_pk_fma_f32 v[52:53], v[20:21], v[48:49], v[56:57] op_sel_hi:[1,0,1]
	v_pk_fma_f32 v[48:49], v[20:21], v[48:49], v[56:57] neg_lo:[0,0,1] neg_hi:[0,0,1]
	v_mov_b32_e32 v49, v53
	s_delay_alu instid0(VALU_DEP_4) | instskip(NEXT) | instid1(VALU_DEP_1)
	v_pk_add_f32 v[12:13], v[50:51], v[12:13]
	v_pk_add_f32 v[12:13], v[48:49], v[12:13]
.LBB300_22:                             ;   in Loop: Header=BB300_25 Depth=2
	s_or_b32 exec_lo, exec_lo, s49
	s_wait_loadcnt_dscnt 0x303
	v_dual_mul_f32 v48, v31, v45 :: v_dual_mul_f32 v49, v30, v45
	s_wait_loadcnt_dscnt 0x202
	v_dual_mul_f32 v50, v29, v43 :: v_dual_mul_f32 v45, v28, v43
	s_wait_loadcnt_dscnt 0x101
	v_pk_mul_f32 v[46:47], v[46:47], v[38:39] op_sel:[0,1]
	v_dual_fma_f32 v48, v30, v44, -v48 :: v_dual_fmac_f32 v49, v31, v44
	s_delay_alu instid0(VALU_DEP_3) | instskip(NEXT) | instid1(VALU_DEP_3)
	v_dual_fma_f32 v44, v28, v42, -v50 :: v_dual_fmac_f32 v45, v29, v42
	v_pk_fma_f32 v[42:43], v[22:23], v[38:39], v[46:47] op_sel_hi:[1,0,1]
	s_wait_loadcnt_dscnt 0x0
	v_pk_mul_f32 v[40:41], v[40:41], v[36:37] op_sel:[0,1]
	v_pk_add_f32 v[14:15], v[14:15], v[48:49]
	v_pk_fma_f32 v[38:39], v[22:23], v[38:39], v[46:47] neg_lo:[0,0,1] neg_hi:[0,0,1]
	v_mov_b32_e32 v39, v43
	s_delay_alu instid0(VALU_DEP_4) | instskip(NEXT) | instid1(VALU_DEP_4)
	v_pk_fma_f32 v[42:43], v[20:21], v[36:37], v[40:41] op_sel_hi:[1,0,1]
	v_pk_add_f32 v[14:15], v[44:45], v[14:15]
	v_pk_fma_f32 v[36:37], v[20:21], v[36:37], v[40:41] neg_lo:[0,0,1] neg_hi:[0,0,1]
	s_delay_alu instid0(VALU_DEP_3) | instskip(NEXT) | instid1(VALU_DEP_3)
	v_mov_b32_e32 v37, v43
	v_pk_add_f32 v[14:15], v[38:39], v[14:15]
	s_delay_alu instid0(VALU_DEP_1)
	v_pk_add_f32 v[14:15], v[36:37], v[14:15]
.LBB300_23:                             ;   in Loop: Header=BB300_25 Depth=2
	s_or_b32 exec_lo, exec_lo, s48
	s_wait_loadcnt_dscnt 0x303
	v_dual_mul_f32 v36, v31, v35 :: v_dual_mul_f32 v37, v30, v35
	s_wait_loadcnt_dscnt 0x202
	v_dual_mul_f32 v40, v29, v33 :: v_dual_mul_f32 v35, v28, v33
	s_wait_loadcnt_dscnt 0x101
	v_pk_mul_f32 v[38:39], v[22:23], v[26:27] op_sel:[1,1] op_sel_hi:[0,1]
	v_dual_fma_f32 v36, v30, v34, -v36 :: v_dual_fmac_f32 v37, v31, v34
	s_delay_alu instid0(VALU_DEP_3) | instskip(NEXT) | instid1(VALU_DEP_3)
	v_dual_fma_f32 v34, v28, v32, -v40 :: v_dual_fmac_f32 v35, v29, v32
	v_pk_fma_f32 v[28:29], v[22:23], v[26:27], v[38:39] op_sel_hi:[1,0,1]
	s_wait_loadcnt_dscnt 0x0
	v_pk_mul_f32 v[30:31], v[20:21], v[24:25] op_sel:[1,1] op_sel_hi:[0,1]
	v_pk_add_f32 v[8:9], v[8:9], v[36:37]
	v_pk_fma_f32 v[22:23], v[22:23], v[26:27], v[38:39] neg_lo:[0,0,1] neg_hi:[0,0,1]
	s_delay_alu instid0(VALU_DEP_3) | instskip(SKIP_1) | instid1(VALU_DEP_4)
	v_pk_fma_f32 v[26:27], v[20:21], v[24:25], v[30:31] op_sel_hi:[1,0,1]
	v_mov_b32_e32 v23, v29
	v_pk_add_f32 v[8:9], v[34:35], v[8:9]
	v_pk_fma_f32 v[20:21], v[20:21], v[24:25], v[30:31] neg_lo:[0,0,1] neg_hi:[0,0,1]
	s_delay_alu instid0(VALU_DEP_4) | instskip(NEXT) | instid1(VALU_DEP_3)
	v_mov_b32_e32 v21, v27
	v_pk_add_f32 v[8:9], v[22:23], v[8:9]
	s_delay_alu instid0(VALU_DEP_1)
	v_pk_add_f32 v[8:9], v[20:21], v[8:9]
.LBB300_24:                             ;   in Loop: Header=BB300_25 Depth=2
	s_or_b32 exec_lo, exec_lo, s47
	v_dual_add_nc_u32 v75, 64, v75 :: v_dual_add_nc_u32 v78, s42, v78
	v_dual_add_nc_u32 v79, s42, v79 :: v_dual_add_nc_u32 v77, s42, v77
	v_add_nc_u32_e32 v76, s42, v76
	s_delay_alu instid0(VALU_DEP_3) | instskip(SKIP_2) | instid1(SALU_CYCLE_1)
	v_cmp_le_i32_e32 vcc_lo, s40, v75
	s_add_co_i32 s46, s46, s43
	s_or_b32 s45, vcc_lo, s45
	s_and_not1_b32 exec_lo, exec_lo, s45
	s_cbranch_execz .LBB300_30
.LBB300_25:                             ;   Parent Loop BB300_5 Depth=1
                                        ; =>  This Inner Loop Header: Depth=2
	s_and_saveexec_b32 s47, s1
	s_cbranch_execz .LBB300_24
; %bb.26:                               ;   in Loop: Header=BB300_25 Depth=2
	v_dual_add_nc_u32 v37, s46, v74 :: v_dual_add_nc_u32 v39, s46, v71
	v_readfirstlane_b32 s48, v18
	v_readfirstlane_b32 s49, v19
	v_dual_add_nc_u32 v41, s46, v72 :: v_dual_add_nc_u32 v43, s46, v73
	v_dual_add_nc_u32 v36, s38, v76 :: v_dual_add_nc_u32 v38, s38, v79
	v_readfirstlane_b32 s50, v16
	v_readfirstlane_b32 s51, v17
	v_dual_add_nc_u32 v42, s38, v78 :: v_dual_add_nc_u32 v40, s38, v77
	s_clause 0x3
	flat_load_b64 v[30:31], v37, s[48:49] scale_offset
	flat_load_b64 v[28:29], v39, s[48:49] scale_offset
	;; [unrolled: 1-line block ×4, first 2 shown]
	s_clause 0x3
	flat_load_b64 v[34:35], v36, s[50:51] scale_offset
	flat_load_b64 v[32:33], v38, s[50:51] scale_offset
	;; [unrolled: 1-line block ×4, first 2 shown]
	s_wait_xcnt 0x0
	s_and_saveexec_b32 s48, s3
	s_cbranch_execz .LBB300_23
; %bb.27:                               ;   in Loop: Header=BB300_25 Depth=2
	v_dual_ashrrev_i32 v37, 31, v36 :: v_dual_ashrrev_i32 v39, 31, v38
	v_dual_ashrrev_i32 v43, 31, v42 :: v_dual_ashrrev_i32 v41, 31, v40
	s_wait_loadcnt_dscnt 0x505
	v_dual_mov_b32 v46, v23 :: v_dual_mov_b32 v47, v22
	s_delay_alu instid0(VALU_DEP_3)
	v_lshl_add_u64 v[56:57], v[36:37], 3, v[16:17]
	v_lshl_add_u64 v[58:59], v[38:39], 3, v[16:17]
	v_lshl_add_u64 v[60:61], v[42:43], 3, v[16:17]
	v_lshl_add_u64 v[62:63], v[40:41], 3, v[16:17]
	s_clause 0x3
	flat_load_b64 v[44:45], v[56:57] offset:256
	flat_load_b64 v[42:43], v[58:59] offset:256
	;; [unrolled: 1-line block ×4, first 2 shown]
	s_wait_loadcnt_dscnt 0x808
	v_dual_mov_b32 v40, v21 :: v_dual_mov_b32 v41, v20
	s_wait_xcnt 0x0
	s_and_saveexec_b32 s49, s4
	s_cbranch_execz .LBB300_22
; %bb.28:                               ;   in Loop: Header=BB300_25 Depth=2
	s_clause 0x3
	flat_load_b64 v[54:55], v[56:57] offset:512
	flat_load_b64 v[52:53], v[58:59] offset:512
	;; [unrolled: 1-line block ×4, first 2 shown]
	s_wait_xcnt 0x0
	s_and_saveexec_b32 s50, s5
	s_cbranch_execz .LBB300_21
; %bb.29:                               ;   in Loop: Header=BB300_25 Depth=2
	s_clause 0x3
	flat_load_b64 v[80:81], v[56:57] offset:768
	flat_load_b64 v[82:83], v[58:59] offset:768
	;; [unrolled: 1-line block ×4, first 2 shown]
	s_wait_loadcnt_dscnt 0x303
	s_wait_xcnt 0x3
	v_dual_mul_f32 v56, v31, v81 :: v_dual_mul_f32 v57, v30, v81
	s_wait_loadcnt_dscnt 0x202
	s_wait_xcnt 0x2
	v_dual_mul_f32 v58, v29, v83 :: v_dual_mul_f32 v59, v28, v83
	s_wait_loadcnt_dscnt 0x101
	s_wait_xcnt 0x1
	v_pk_mul_f32 v[60:61], v[46:47], v[84:85] op_sel:[0,1]
	v_dual_fma_f32 v56, v30, v80, -v56 :: v_dual_fmac_f32 v57, v31, v80
	v_dual_fma_f32 v58, v28, v82, -v58 :: v_dual_fmac_f32 v59, v29, v82
	s_wait_xcnt 0x0
	s_delay_alu instid0(VALU_DEP_3) | instskip(SKIP_4) | instid1(VALU_DEP_2)
	v_pk_fma_f32 v[62:63], v[22:23], v[84:85], v[60:61] op_sel_hi:[1,0,1]
	v_pk_fma_f32 v[60:61], v[22:23], v[84:85], v[60:61] neg_lo:[0,0,1] neg_hi:[0,0,1]
	v_pk_add_f32 v[10:11], v[10:11], v[56:57]
	s_wait_loadcnt_dscnt 0x0
	v_pk_mul_f32 v[56:57], v[40:41], v[86:87] op_sel:[0,1]
	v_pk_add_f32 v[10:11], v[58:59], v[10:11]
	s_delay_alu instid0(VALU_DEP_2) | instskip(SKIP_2) | instid1(VALU_DEP_3)
	v_pk_fma_f32 v[58:59], v[20:21], v[86:87], v[56:57] op_sel_hi:[1,0,1]
	v_mov_b32_e32 v61, v63
	v_pk_fma_f32 v[56:57], v[20:21], v[86:87], v[56:57] neg_lo:[0,0,1] neg_hi:[0,0,1]
	v_mov_b32_e32 v57, v59
	s_delay_alu instid0(VALU_DEP_3) | instskip(NEXT) | instid1(VALU_DEP_1)
	v_pk_add_f32 v[10:11], v[60:61], v[10:11]
	v_pk_add_f32 v[10:11], v[56:57], v[10:11]
	s_branch .LBB300_21
.LBB300_30:                             ;   in Loop: Header=BB300_5 Depth=1
	s_or_b32 exec_lo, exec_lo, s45
.LBB300_31:                             ;   in Loop: Header=BB300_5 Depth=1
	s_delay_alu instid0(SALU_CYCLE_1) | instskip(NEXT) | instid1(SALU_CYCLE_1)
	s_or_b32 exec_lo, exec_lo, s7
	s_and_not1_b32 vcc_lo, exec_lo, s8
	s_cbranch_vccnz .LBB300_49
; %bb.32:                               ;   in Loop: Header=BB300_5 Depth=1
	v_dual_mov_b32 v26, 0 :: v_dual_bitop2_b32 v28, 1, v75 bitop3:0x54
	v_cmp_gt_i32_e32 vcc_lo, s9, v75
	s_delay_alu instid0(VALU_DEP_2)
	v_dual_mov_b32 v27, v26 :: v_dual_mov_b32 v24, v26
	v_dual_mov_b32 v25, v26 :: v_dual_mov_b32 v22, v26
	;; [unrolled: 1-line block ×3, first 2 shown]
	v_mov_b32_e32 v21, v26
	s_and_saveexec_b32 s45, vcc_lo
	s_cbranch_execz .LBB300_40
; %bb.33:                               ;   in Loop: Header=BB300_5 Depth=1
	v_mul_lo_u32 v20, v75, s35
	v_readfirstlane_b32 s46, v18
	v_readfirstlane_b32 s47, v19
	v_dual_mov_b32 v23, 0 :: v_dual_mov_b32 v22, 0
	v_dual_mov_b32 v25, 0 :: v_dual_mov_b32 v24, 0
	;; [unrolled: 1-line block ×3, first 2 shown]
	flat_load_b64 v[20:21], v20, s[46:47] scale_offset
	s_wait_xcnt 0x0
	s_mov_b32 s46, exec_lo
	v_cmpx_gt_i32_e64 s9, v28
	s_cbranch_execz .LBB300_39
; %bb.34:                               ;   in Loop: Header=BB300_5 Depth=1
	v_mul_lo_u32 v22, v28, s35
	v_readfirstlane_b32 s48, v18
	v_readfirstlane_b32 s49, v19
	v_dual_mov_b32 v25, 0 :: v_dual_bitop2_b32 v29, 2, v75 bitop3:0x54
	v_dual_mov_b32 v24, 0 :: v_dual_mov_b32 v27, 0
	v_mov_b32_e32 v26, 0
	s_mov_b32 s47, exec_lo
	flat_load_b64 v[22:23], v22, s[48:49] scale_offset
	s_wait_xcnt 0x0
	v_cmpx_gt_i32_e64 s9, v29
	s_cbranch_execz .LBB300_38
; %bb.35:                               ;   in Loop: Header=BB300_5 Depth=1
	v_mul_lo_u32 v24, v29, s35
	v_readfirstlane_b32 s48, v18
	v_readfirstlane_b32 s49, v19
	v_dual_mov_b32 v27, 0 :: v_dual_bitop2_b32 v29, 3, v75 bitop3:0x54
	v_mov_b32_e32 v26, 0
	flat_load_b64 v[24:25], v24, s[48:49] scale_offset
	s_wait_xcnt 0x0
	s_mov_b32 s48, exec_lo
	v_cmpx_gt_i32_e64 s9, v29
	s_cbranch_execz .LBB300_37
; %bb.36:                               ;   in Loop: Header=BB300_5 Depth=1
	v_mul_lo_u32 v26, v29, s35
	v_readfirstlane_b32 s50, v18
	v_readfirstlane_b32 s51, v19
	flat_load_b64 v[26:27], v26, s[50:51] scale_offset
.LBB300_37:                             ;   in Loop: Header=BB300_5 Depth=1
	s_wait_xcnt 0x0
	s_or_b32 exec_lo, exec_lo, s48
.LBB300_38:                             ;   in Loop: Header=BB300_5 Depth=1
	s_delay_alu instid0(SALU_CYCLE_1)
	s_or_b32 exec_lo, exec_lo, s47
.LBB300_39:                             ;   in Loop: Header=BB300_5 Depth=1
	s_delay_alu instid0(SALU_CYCLE_1)
	s_or_b32 exec_lo, exec_lo, s46
.LBB300_40:                             ;   in Loop: Header=BB300_5 Depth=1
	s_delay_alu instid0(SALU_CYCLE_1)
	s_or_b32 exec_lo, exec_lo, s45
	s_and_saveexec_b32 s7, s1
	s_cbranch_execz .LBB300_48
; %bb.41:                               ;   in Loop: Header=BB300_5 Depth=1
	v_mul_lo_u32 v19, v75, s34
	v_mul_lo_u32 v30, v28, s34
	s_wait_loadcnt_dscnt 0x0
	v_dual_mov_b32 v40, v21 :: v_dual_bitop2_b32 v29, 3, v75 bitop3:0x54
	v_readfirstlane_b32 s46, v16
	v_readfirstlane_b32 s47, v17
	v_dual_mov_b32 v38, v23 :: v_dual_mov_b32 v39, v22
	s_delay_alu instid0(VALU_DEP_4)
	v_mul_lo_u32 v32, v29, s34
	v_dual_mov_b32 v36, v25 :: v_dual_mov_b32 v37, v24
	v_cndmask_b32_e32 v19, 0, v19, vcc_lo
	v_cmp_gt_i32_e32 vcc_lo, s9, v28
	v_dual_mov_b32 v34, v27 :: v_dual_bitop2_b32 v18, 2, v75 bitop3:0x54
	v_dual_mov_b32 v35, v26 :: v_dual_mov_b32 v41, v20
	v_cndmask_b32_e32 v28, 0, v30, vcc_lo
	s_delay_alu instid0(VALU_DEP_3) | instskip(SKIP_1) | instid1(VALU_DEP_3)
	v_mul_lo_u32 v31, v18, s34
	v_cmp_gt_i32_e32 vcc_lo, s9, v18
	v_add_nc_u32_e32 v46, v28, v67
	s_delay_alu instid0(VALU_DEP_3) | instskip(SKIP_2) | instid1(VALU_DEP_1)
	v_cndmask_b32_e32 v18, 0, v31, vcc_lo
	v_cmp_gt_i32_e32 vcc_lo, s9, v29
	v_dual_cndmask_b32 v29, 0, v32 :: v_dual_add_nc_u32 v44, v19, v67
	v_dual_add_nc_u32 v48, v18, v67 :: v_dual_add_nc_u32 v42, v29, v67
	s_clause 0x3
	flat_load_b64 v[32:33], v44, s[46:47] scale_offset
	flat_load_b64 v[30:31], v46, s[46:47] scale_offset
	;; [unrolled: 1-line block ×4, first 2 shown]
	s_wait_xcnt 0x0
	s_and_saveexec_b32 s45, s3
	s_cbranch_execz .LBB300_47
; %bb.42:                               ;   in Loop: Header=BB300_5 Depth=1
	v_dual_ashrrev_i32 v45, 31, v44 :: v_dual_ashrrev_i32 v47, 31, v46
	v_dual_ashrrev_i32 v49, 31, v48 :: v_dual_ashrrev_i32 v43, 31, v42
	s_delay_alu instid0(VALU_DEP_2) | instskip(NEXT) | instid1(VALU_DEP_3)
	v_lshl_add_u64 v[56:57], v[44:45], 3, v[16:17]
	v_lshl_add_u64 v[58:59], v[46:47], 3, v[16:17]
	s_delay_alu instid0(VALU_DEP_3) | instskip(NEXT) | instid1(VALU_DEP_4)
	v_lshl_add_u64 v[60:61], v[48:49], 3, v[16:17]
	v_lshl_add_u64 v[62:63], v[42:43], 3, v[16:17]
	s_clause 0x3
	flat_load_b64 v[46:47], v[56:57] offset:256
	flat_load_b64 v[44:45], v[58:59] offset:256
	flat_load_b64 v[42:43], v[60:61] offset:256
	flat_load_b64 v[16:17], v[62:63] offset:256
	s_wait_xcnt 0x0
	s_and_saveexec_b32 s46, s4
	s_cbranch_execz .LBB300_46
; %bb.43:                               ;   in Loop: Header=BB300_5 Depth=1
	s_clause 0x3
	flat_load_b64 v[54:55], v[56:57] offset:512
	flat_load_b64 v[52:53], v[58:59] offset:512
	flat_load_b64 v[50:51], v[60:61] offset:512
	flat_load_b64 v[48:49], v[62:63] offset:512
	s_wait_xcnt 0x0
	s_and_saveexec_b32 s47, s5
	s_cbranch_execz .LBB300_45
; %bb.44:                               ;   in Loop: Header=BB300_5 Depth=1
	s_clause 0x3
	flat_load_b64 v[76:77], v[56:57] offset:768
	flat_load_b64 v[78:79], v[58:59] offset:768
	;; [unrolled: 1-line block ×4, first 2 shown]
	s_wait_loadcnt_dscnt 0x303
	s_wait_xcnt 0x3
	v_pk_mul_f32 v[56:57], v[40:41], v[76:77] op_sel:[0,1]
	s_wait_loadcnt_dscnt 0x202
	s_wait_xcnt 0x2
	v_pk_mul_f32 v[58:59], v[38:39], v[78:79] op_sel:[0,1]
	;; [unrolled: 3-line block ×3, first 2 shown]
	v_pk_fma_f32 v[60:61], v[20:21], v[76:77], v[56:57] op_sel_hi:[1,0,1]
	v_pk_fma_f32 v[56:57], v[20:21], v[76:77], v[56:57] neg_lo:[0,0,1] neg_hi:[0,0,1]
	v_pk_fma_f32 v[76:77], v[22:23], v[78:79], v[58:59] op_sel_hi:[1,0,1]
	v_pk_fma_f32 v[58:59], v[22:23], v[78:79], v[58:59] neg_lo:[0,0,1] neg_hi:[0,0,1]
	s_delay_alu instid0(VALU_DEP_4) | instskip(SKIP_1) | instid1(VALU_DEP_4)
	v_mov_b32_e32 v57, v61
	v_pk_fma_f32 v[60:61], v[24:25], v[80:81], v[62:63] op_sel_hi:[1,0,1]
	v_mov_b32_e32 v59, v77
	v_pk_fma_f32 v[62:63], v[24:25], v[80:81], v[62:63] neg_lo:[0,0,1] neg_hi:[0,0,1]
	s_delay_alu instid0(VALU_DEP_4) | instskip(SKIP_2) | instid1(VALU_DEP_2)
	v_pk_add_f32 v[10:11], v[10:11], v[56:57]
	s_wait_loadcnt_dscnt 0x0
	v_pk_mul_f32 v[56:57], v[34:35], v[82:83] op_sel:[0,1]
	v_pk_add_f32 v[10:11], v[58:59], v[10:11]
	s_delay_alu instid0(VALU_DEP_2) | instskip(SKIP_2) | instid1(VALU_DEP_3)
	v_pk_fma_f32 v[58:59], v[26:27], v[82:83], v[56:57] op_sel_hi:[1,0,1]
	v_mov_b32_e32 v63, v61
	v_pk_fma_f32 v[56:57], v[26:27], v[82:83], v[56:57] neg_lo:[0,0,1] neg_hi:[0,0,1]
	v_mov_b32_e32 v57, v59
	s_delay_alu instid0(VALU_DEP_3) | instskip(NEXT) | instid1(VALU_DEP_1)
	v_pk_add_f32 v[10:11], v[62:63], v[10:11]
	v_pk_add_f32 v[10:11], v[56:57], v[10:11]
.LBB300_45:                             ;   in Loop: Header=BB300_5 Depth=1
	s_or_b32 exec_lo, exec_lo, s47
	s_wait_loadcnt_dscnt 0x303
	v_pk_mul_f32 v[56:57], v[40:41], v[54:55] op_sel:[0,1]
	s_wait_loadcnt_dscnt 0x202
	v_pk_mul_f32 v[58:59], v[38:39], v[52:53] op_sel:[0,1]
	;; [unrolled: 2-line block ×3, first 2 shown]
	v_pk_fma_f32 v[60:61], v[20:21], v[54:55], v[56:57] op_sel_hi:[1,0,1]
	v_pk_fma_f32 v[54:55], v[20:21], v[54:55], v[56:57] neg_lo:[0,0,1] neg_hi:[0,0,1]
	v_pk_fma_f32 v[56:57], v[22:23], v[52:53], v[58:59] op_sel_hi:[1,0,1]
	v_pk_fma_f32 v[52:53], v[22:23], v[52:53], v[58:59] neg_lo:[0,0,1] neg_hi:[0,0,1]
	v_pk_fma_f32 v[58:59], v[24:25], v[50:51], v[62:63] op_sel_hi:[1,0,1]
	v_mov_b32_e32 v55, v61
	v_pk_fma_f32 v[50:51], v[24:25], v[50:51], v[62:63] neg_lo:[0,0,1] neg_hi:[0,0,1]
	v_mov_b32_e32 v53, v57
	s_delay_alu instid0(VALU_DEP_3) | instskip(SKIP_2) | instid1(VALU_DEP_2)
	v_pk_add_f32 v[12:13], v[12:13], v[54:55]
	s_wait_loadcnt_dscnt 0x0
	v_pk_mul_f32 v[54:55], v[34:35], v[48:49] op_sel:[0,1]
	v_pk_add_f32 v[12:13], v[52:53], v[12:13]
	s_delay_alu instid0(VALU_DEP_2) | instskip(SKIP_2) | instid1(VALU_DEP_3)
	v_pk_fma_f32 v[52:53], v[26:27], v[48:49], v[54:55] op_sel_hi:[1,0,1]
	v_mov_b32_e32 v51, v59
	v_pk_fma_f32 v[48:49], v[26:27], v[48:49], v[54:55] neg_lo:[0,0,1] neg_hi:[0,0,1]
	v_mov_b32_e32 v49, v53
	s_delay_alu instid0(VALU_DEP_3) | instskip(NEXT) | instid1(VALU_DEP_1)
	v_pk_add_f32 v[12:13], v[50:51], v[12:13]
	v_pk_add_f32 v[12:13], v[48:49], v[12:13]
.LBB300_46:                             ;   in Loop: Header=BB300_5 Depth=1
	s_or_b32 exec_lo, exec_lo, s46
	s_wait_loadcnt_dscnt 0x303
	v_pk_mul_f32 v[48:49], v[40:41], v[46:47] op_sel:[0,1]
	s_wait_loadcnt_dscnt 0x202
	v_pk_mul_f32 v[50:51], v[38:39], v[44:45] op_sel:[0,1]
	;; [unrolled: 2-line block ×3, first 2 shown]
	v_pk_fma_f32 v[52:53], v[20:21], v[46:47], v[48:49] op_sel_hi:[1,0,1]
	v_pk_fma_f32 v[46:47], v[20:21], v[46:47], v[48:49] neg_lo:[0,0,1] neg_hi:[0,0,1]
	v_pk_fma_f32 v[48:49], v[22:23], v[44:45], v[50:51] op_sel_hi:[1,0,1]
	v_pk_fma_f32 v[44:45], v[22:23], v[44:45], v[50:51] neg_lo:[0,0,1] neg_hi:[0,0,1]
	v_pk_fma_f32 v[50:51], v[24:25], v[42:43], v[54:55] op_sel_hi:[1,0,1]
	v_mov_b32_e32 v47, v53
	v_pk_fma_f32 v[42:43], v[24:25], v[42:43], v[54:55] neg_lo:[0,0,1] neg_hi:[0,0,1]
	v_mov_b32_e32 v45, v49
	s_delay_alu instid0(VALU_DEP_3) | instskip(SKIP_2) | instid1(VALU_DEP_2)
	v_pk_add_f32 v[14:15], v[14:15], v[46:47]
	s_wait_loadcnt_dscnt 0x0
	v_pk_mul_f32 v[46:47], v[34:35], v[16:17] op_sel:[0,1]
	v_pk_add_f32 v[14:15], v[44:45], v[14:15]
	s_delay_alu instid0(VALU_DEP_2) | instskip(SKIP_2) | instid1(VALU_DEP_3)
	v_pk_fma_f32 v[44:45], v[26:27], v[16:17], v[46:47] op_sel_hi:[1,0,1]
	v_mov_b32_e32 v43, v51
	v_pk_fma_f32 v[16:17], v[26:27], v[16:17], v[46:47] neg_lo:[0,0,1] neg_hi:[0,0,1]
	v_mov_b32_e32 v17, v45
	s_delay_alu instid0(VALU_DEP_3) | instskip(NEXT) | instid1(VALU_DEP_1)
	v_pk_add_f32 v[14:15], v[42:43], v[14:15]
	v_pk_add_f32 v[14:15], v[16:17], v[14:15]
.LBB300_47:                             ;   in Loop: Header=BB300_5 Depth=1
	s_or_b32 exec_lo, exec_lo, s45
	s_wait_loadcnt_dscnt 0x303
	v_pk_mul_f32 v[16:17], v[40:41], v[32:33] op_sel:[0,1]
	s_wait_loadcnt_dscnt 0x202
	v_pk_mul_f32 v[38:39], v[38:39], v[30:31] op_sel:[0,1]
	;; [unrolled: 2-line block ×3, first 2 shown]
	v_pk_fma_f32 v[40:41], v[20:21], v[32:33], v[16:17] op_sel_hi:[1,0,1]
	v_pk_fma_f32 v[16:17], v[20:21], v[32:33], v[16:17] neg_lo:[0,0,1] neg_hi:[0,0,1]
	v_pk_fma_f32 v[20:21], v[22:23], v[30:31], v[38:39] op_sel_hi:[1,0,1]
	v_pk_fma_f32 v[22:23], v[22:23], v[30:31], v[38:39] neg_lo:[0,0,1] neg_hi:[0,0,1]
	v_pk_fma_f32 v[30:31], v[24:25], v[28:29], v[36:37] op_sel_hi:[1,0,1]
	s_delay_alu instid0(VALU_DEP_3) | instskip(SKIP_1) | instid1(VALU_DEP_2)
	v_dual_mov_b32 v17, v41 :: v_dual_mov_b32 v23, v21
	v_pk_fma_f32 v[20:21], v[24:25], v[28:29], v[36:37] neg_lo:[0,0,1] neg_hi:[0,0,1]
	v_pk_add_f32 v[8:9], v[8:9], v[16:17]
	s_wait_loadcnt_dscnt 0x0
	v_pk_mul_f32 v[16:17], v[34:35], v[18:19] op_sel:[0,1]
	s_delay_alu instid0(VALU_DEP_2) | instskip(NEXT) | instid1(VALU_DEP_2)
	v_pk_add_f32 v[8:9], v[22:23], v[8:9]
	v_pk_fma_f32 v[22:23], v[26:27], v[18:19], v[16:17] op_sel_hi:[1,0,1]
	v_mov_b32_e32 v21, v31
	v_pk_fma_f32 v[16:17], v[26:27], v[18:19], v[16:17] neg_lo:[0,0,1] neg_hi:[0,0,1]
	s_delay_alu instid0(VALU_DEP_3) | instskip(NEXT) | instid1(VALU_DEP_3)
	v_mov_b32_e32 v17, v23
	v_pk_add_f32 v[8:9], v[20:21], v[8:9]
	s_delay_alu instid0(VALU_DEP_1)
	v_pk_add_f32 v[8:9], v[16:17], v[8:9]
.LBB300_48:                             ;   in Loop: Header=BB300_5 Depth=1
	s_or_b32 exec_lo, exec_lo, s7
.LBB300_49:                             ;   in Loop: Header=BB300_5 Depth=1
	ds_store_2addr_b64 v65, v[8:9], v[14:15] offset1:32
	ds_store_2addr_b64 v65, v[12:13], v[10:11] offset0:64 offset1:96
	s_wait_storecnt 0x0
	s_wait_loadcnt_dscnt 0x0
	s_barrier_signal -1
	s_barrier_wait -1
	s_and_saveexec_b32 s7, s0
	s_cbranch_execz .LBB300_3
; %bb.50:                               ;   in Loop: Header=BB300_5 Depth=1
	ds_load_2addr_stride64_b64 v[8:11], v66 offset1:2
	ds_load_2addr_stride64_b64 v[12:15], v66 offset0:4 offset1:6
	ds_load_2addr_stride64_b64 v[16:19], v66 offset0:8 offset1:10
	s_wait_dscnt 0x2
	v_pk_add_f32 v[20:21], v[8:9], v[10:11]
	ds_load_2addr_stride64_b64 v[8:11], v66 offset0:12 offset1:14
	s_wait_dscnt 0x2
	v_pk_add_f32 v[12:13], v[20:21], v[12:13]
	s_delay_alu instid0(VALU_DEP_1) | instskip(SKIP_3) | instid1(VALU_DEP_1)
	v_pk_add_f32 v[20:21], v[12:13], v[14:15]
	ds_load_2addr_stride64_b64 v[12:15], v66 offset0:16 offset1:18
	s_wait_dscnt 0x2
	v_pk_add_f32 v[16:17], v[20:21], v[16:17]
	v_pk_add_f32 v[20:21], v[16:17], v[18:19]
	ds_load_2addr_stride64_b64 v[16:19], v66 offset0:20 offset1:22
	s_wait_dscnt 0x2
	v_pk_add_f32 v[8:9], v[20:21], v[8:9]
	s_delay_alu instid0(VALU_DEP_1) | instskip(SKIP_1) | instid1(VALU_DEP_1)
	v_pk_add_f32 v[8:9], v[8:9], v[10:11]
	s_wait_dscnt 0x1
	v_pk_add_f32 v[12:13], v[8:9], v[12:13]
	ds_load_2addr_stride64_b64 v[8:11], v66 offset0:24 offset1:26
	v_pk_add_f32 v[12:13], v[12:13], v[14:15]
	s_wait_dscnt 0x1
	s_delay_alu instid0(VALU_DEP_1) | instskip(SKIP_3) | instid1(VALU_DEP_1)
	v_pk_add_f32 v[16:17], v[12:13], v[16:17]
	ds_load_2addr_stride64_b64 v[12:15], v66 offset0:28 offset1:30
	v_pk_add_f32 v[16:17], v[16:17], v[18:19]
	s_wait_dscnt 0x1
	v_pk_add_f32 v[8:9], v[16:17], v[8:9]
	s_delay_alu instid0(VALU_DEP_1) | instskip(SKIP_1) | instid1(VALU_DEP_1)
	v_pk_add_f32 v[8:9], v[8:9], v[10:11]
	s_wait_dscnt 0x0
	v_pk_add_f32 v[8:9], v[8:9], v[12:13]
	s_delay_alu instid0(VALU_DEP_1)
	v_pk_add_f32 v[10:11], v[8:9], v[14:15]
	ds_store_b64 v66, v[10:11]
	s_and_b32 exec_lo, exec_lo, s2
	s_cbranch_execz .LBB300_3
; %bb.51:                               ;   in Loop: Header=BB300_5 Depth=1
	v_mov_b64_e32 v[8:9], s[30:31]
	v_mov_b64_e32 v[12:13], s[10:11]
	v_lshl_add_u64 v[6:7], v[4:5], 3, v[6:7]
	s_and_not1_b32 vcc_lo, exec_lo, s39
	s_delay_alu instid0(VALU_DEP_3) | instskip(NEXT) | instid1(VALU_DEP_1)
	v_pk_mul_f32 v[14:15], v[10:11], v[8:9] op_sel:[1,0]
	v_pk_fma_f32 v[8:9], v[10:11], v[12:13], v[14:15] op_sel_hi:[0,1,1] neg_lo:[0,0,1] neg_hi:[0,0,1]
	v_pk_fma_f32 v[10:11], v[10:11], v[12:13], v[14:15] op_sel_hi:[0,1,1]
	s_cbranch_vccnz .LBB300_2
; %bb.52:                               ;   in Loop: Header=BB300_5 Depth=1
	flat_load_b64 v[12:13], v[6:7]
	v_mov_b64_e32 v[14:15], s[28:29]
	v_mov_b64_e32 v[16:17], s[26:27]
	s_wait_loadcnt_dscnt 0x0
	s_delay_alu instid0(VALU_DEP_2) | instskip(NEXT) | instid1(VALU_DEP_1)
	v_pk_mul_f32 v[14:15], v[14:15], v[12:13] op_sel:[0,1]
	v_pk_fma_f32 v[18:19], v[16:17], v[12:13], v[14:15] op_sel_hi:[1,0,1]
	v_mov_b32_e32 v9, v11
	v_pk_fma_f32 v[10:11], v[16:17], v[12:13], v[14:15] neg_lo:[0,0,1] neg_hi:[0,0,1]
	s_delay_alu instid0(VALU_DEP_3) | instskip(NEXT) | instid1(VALU_DEP_1)
	v_mov_b32_e32 v11, v19
	v_pk_add_f32 v[8:9], v[8:9], v[10:11]
	s_delay_alu instid0(VALU_DEP_1)
	v_mov_b32_e32 v11, v9
	s_branch .LBB300_2
.LBB300_53:
	s_sendmsg sendmsg(MSG_DEALLOC_VGPRS)
	s_endpgm
	.section	.rodata,"a",@progbits
	.p2align	6, 0x0
	.amdhsa_kernel _ZL20rocblas_gemvn_kernelILi32ELi16EiPK19rocblas_complex_numIfES1_KPS1_EviiT3_lPKT2_lT1_lS9_lSA_lS6_lPT4_lSA_li
		.amdhsa_group_segment_fixed_size 16384
		.amdhsa_private_segment_fixed_size 0
		.amdhsa_kernarg_size 400
		.amdhsa_user_sgpr_count 2
		.amdhsa_user_sgpr_dispatch_ptr 0
		.amdhsa_user_sgpr_queue_ptr 0
		.amdhsa_user_sgpr_kernarg_segment_ptr 1
		.amdhsa_user_sgpr_dispatch_id 0
		.amdhsa_user_sgpr_kernarg_preload_length 0
		.amdhsa_user_sgpr_kernarg_preload_offset 0
		.amdhsa_user_sgpr_private_segment_size 0
		.amdhsa_wavefront_size32 1
		.amdhsa_uses_dynamic_stack 0
		.amdhsa_enable_private_segment 0
		.amdhsa_system_sgpr_workgroup_id_x 1
		.amdhsa_system_sgpr_workgroup_id_y 0
		.amdhsa_system_sgpr_workgroup_id_z 1
		.amdhsa_system_sgpr_workgroup_info 0
		.amdhsa_system_vgpr_workitem_id 1
		.amdhsa_next_free_vgpr 88
		.amdhsa_next_free_sgpr 52
		.amdhsa_named_barrier_count 0
		.amdhsa_reserve_vcc 1
		.amdhsa_float_round_mode_32 0
		.amdhsa_float_round_mode_16_64 0
		.amdhsa_float_denorm_mode_32 3
		.amdhsa_float_denorm_mode_16_64 3
		.amdhsa_fp16_overflow 0
		.amdhsa_memory_ordered 1
		.amdhsa_forward_progress 1
		.amdhsa_inst_pref_size 34
		.amdhsa_round_robin_scheduling 0
		.amdhsa_exception_fp_ieee_invalid_op 0
		.amdhsa_exception_fp_denorm_src 0
		.amdhsa_exception_fp_ieee_div_zero 0
		.amdhsa_exception_fp_ieee_overflow 0
		.amdhsa_exception_fp_ieee_underflow 0
		.amdhsa_exception_fp_ieee_inexact 0
		.amdhsa_exception_int_div_zero 0
	.end_amdhsa_kernel
	.section	.text._ZL20rocblas_gemvn_kernelILi32ELi16EiPK19rocblas_complex_numIfES1_KPS1_EviiT3_lPKT2_lT1_lS9_lSA_lS6_lPT4_lSA_li,"axG",@progbits,_ZL20rocblas_gemvn_kernelILi32ELi16EiPK19rocblas_complex_numIfES1_KPS1_EviiT3_lPKT2_lT1_lS9_lSA_lS6_lPT4_lSA_li,comdat
.Lfunc_end300:
	.size	_ZL20rocblas_gemvn_kernelILi32ELi16EiPK19rocblas_complex_numIfES1_KPS1_EviiT3_lPKT2_lT1_lS9_lSA_lS6_lPT4_lSA_li, .Lfunc_end300-_ZL20rocblas_gemvn_kernelILi32ELi16EiPK19rocblas_complex_numIfES1_KPS1_EviiT3_lPKT2_lT1_lS9_lSA_lS6_lPT4_lSA_li
                                        ; -- End function
	.set _ZL20rocblas_gemvn_kernelILi32ELi16EiPK19rocblas_complex_numIfES1_KPS1_EviiT3_lPKT2_lT1_lS9_lSA_lS6_lPT4_lSA_li.num_vgpr, 88
	.set _ZL20rocblas_gemvn_kernelILi32ELi16EiPK19rocblas_complex_numIfES1_KPS1_EviiT3_lPKT2_lT1_lS9_lSA_lS6_lPT4_lSA_li.num_agpr, 0
	.set _ZL20rocblas_gemvn_kernelILi32ELi16EiPK19rocblas_complex_numIfES1_KPS1_EviiT3_lPKT2_lT1_lS9_lSA_lS6_lPT4_lSA_li.numbered_sgpr, 52
	.set _ZL20rocblas_gemvn_kernelILi32ELi16EiPK19rocblas_complex_numIfES1_KPS1_EviiT3_lPKT2_lT1_lS9_lSA_lS6_lPT4_lSA_li.num_named_barrier, 0
	.set _ZL20rocblas_gemvn_kernelILi32ELi16EiPK19rocblas_complex_numIfES1_KPS1_EviiT3_lPKT2_lT1_lS9_lSA_lS6_lPT4_lSA_li.private_seg_size, 0
	.set _ZL20rocblas_gemvn_kernelILi32ELi16EiPK19rocblas_complex_numIfES1_KPS1_EviiT3_lPKT2_lT1_lS9_lSA_lS6_lPT4_lSA_li.uses_vcc, 1
	.set _ZL20rocblas_gemvn_kernelILi32ELi16EiPK19rocblas_complex_numIfES1_KPS1_EviiT3_lPKT2_lT1_lS9_lSA_lS6_lPT4_lSA_li.uses_flat_scratch, 1
	.set _ZL20rocblas_gemvn_kernelILi32ELi16EiPK19rocblas_complex_numIfES1_KPS1_EviiT3_lPKT2_lT1_lS9_lSA_lS6_lPT4_lSA_li.has_dyn_sized_stack, 0
	.set _ZL20rocblas_gemvn_kernelILi32ELi16EiPK19rocblas_complex_numIfES1_KPS1_EviiT3_lPKT2_lT1_lS9_lSA_lS6_lPT4_lSA_li.has_recursion, 0
	.set _ZL20rocblas_gemvn_kernelILi32ELi16EiPK19rocblas_complex_numIfES1_KPS1_EviiT3_lPKT2_lT1_lS9_lSA_lS6_lPT4_lSA_li.has_indirect_call, 0
	.section	.AMDGPU.csdata,"",@progbits
; Kernel info:
; codeLenInByte = 4276
; TotalNumSgprs: 54
; NumVgprs: 88
; ScratchSize: 0
; MemoryBound: 0
; FloatMode: 240
; IeeeMode: 1
; LDSByteSize: 16384 bytes/workgroup (compile time only)
; SGPRBlocks: 0
; VGPRBlocks: 5
; NumSGPRsForWavesPerEU: 54
; NumVGPRsForWavesPerEU: 88
; NamedBarCnt: 0
; Occupancy: 10
; WaveLimiterHint : 1
; COMPUTE_PGM_RSRC2:SCRATCH_EN: 0
; COMPUTE_PGM_RSRC2:USER_SGPR: 2
; COMPUTE_PGM_RSRC2:TRAP_HANDLER: 0
; COMPUTE_PGM_RSRC2:TGID_X_EN: 1
; COMPUTE_PGM_RSRC2:TGID_Y_EN: 0
; COMPUTE_PGM_RSRC2:TGID_Z_EN: 1
; COMPUTE_PGM_RSRC2:TIDIG_COMP_CNT: 1
	.section	.text._ZL20rocblas_gemvn_kernelILi32ELi16ElPK19rocblas_complex_numIfES1_KPS1_EviiT3_lPKT2_lT1_lS9_lSA_lS6_lPT4_lSA_li,"axG",@progbits,_ZL20rocblas_gemvn_kernelILi32ELi16ElPK19rocblas_complex_numIfES1_KPS1_EviiT3_lPKT2_lT1_lS9_lSA_lS6_lPT4_lSA_li,comdat
	.globl	_ZL20rocblas_gemvn_kernelILi32ELi16ElPK19rocblas_complex_numIfES1_KPS1_EviiT3_lPKT2_lT1_lS9_lSA_lS6_lPT4_lSA_li ; -- Begin function _ZL20rocblas_gemvn_kernelILi32ELi16ElPK19rocblas_complex_numIfES1_KPS1_EviiT3_lPKT2_lT1_lS9_lSA_lS6_lPT4_lSA_li
	.p2align	8
	.type	_ZL20rocblas_gemvn_kernelILi32ELi16ElPK19rocblas_complex_numIfES1_KPS1_EviiT3_lPKT2_lT1_lS9_lSA_lS6_lPT4_lSA_li,@function
_ZL20rocblas_gemvn_kernelILi32ELi16ElPK19rocblas_complex_numIfES1_KPS1_EviiT3_lPKT2_lT1_lS9_lSA_lS6_lPT4_lSA_li: ; @_ZL20rocblas_gemvn_kernelILi32ELi16ElPK19rocblas_complex_numIfES1_KPS1_EviiT3_lPKT2_lT1_lS9_lSA_lS6_lPT4_lSA_li
; %bb.0:
	s_clause 0x1
	s_load_b64 s[2:3], s[0:1], 0x9c
	s_load_b32 s33, s[0:1], 0x88
	s_bfe_u32 s4, ttmp6, 0x40014
	s_lshr_b32 s5, ttmp7, 16
	s_add_co_i32 s4, s4, 1
	s_bfe_u32 s6, ttmp6, 0x40008
	s_mul_i32 s7, s5, s4
	s_getreg_b32 s4, hwreg(HW_REG_IB_STS2, 6, 4)
	s_add_co_i32 s6, s6, s7
	s_mov_b32 s11, 0
	s_wait_kmcnt 0x0
	s_lshr_b32 s7, s2, 16
	s_and_b32 s2, s2, 0xffff
	s_and_b32 s3, s3, 0xffff
	s_mul_i32 s2, s7, s2
	s_cmp_eq_u32 s4, 0
	s_mul_i32 s2, s2, s3
	s_cselect_b32 s10, s5, s6
	s_cmp_lg_u32 s2, 0x200
	s_cselect_b32 s2, -1, 0
	s_cmp_ge_u32 s10, s33
	s_cselect_b32 s3, -1, 0
	s_delay_alu instid0(SALU_CYCLE_1) | instskip(NEXT) | instid1(SALU_CYCLE_1)
	s_or_b32 s2, s2, s3
	s_and_b32 vcc_lo, exec_lo, s2
	s_cbranch_vccnz .LBB301_53
; %bb.1:
	s_clause 0x3
	s_load_b128 s[12:15], s[0:1], 0x0
	s_load_b64 s[28:29], s[0:1], 0x58
	s_load_b64 s[30:31], s[0:1], 0x48
	s_load_b128 s[16:19], s[0:1], 0x18
	v_and_b32_e32 v12, 0x3ff, v0
	v_bfe_u32 v2, v0, 10, 10
	v_mov_b32_e32 v1, 0
	s_clause 0x3
	s_load_b64 s[34:35], s[0:1], 0x28
	s_load_b128 s[20:23], s[0:1], 0x38
	s_load_b64 s[2:3], s[0:1], 0x78
	s_load_b128 s[24:27], s[0:1], 0x68
	v_dual_lshlrev_b32 v0, 3, v12 :: v_dual_lshlrev_b32 v92, 2, v2
	v_mov_b32_e32 v3, v1
	v_lshl_add_u32 v13, v2, 5, v12
	s_delay_alu instid0(VALU_DEP_3)
	v_lshl_add_u32 v93, v2, 10, v0
	v_lshl_add_u32 v94, v2, 8, v0
	s_wait_kmcnt 0x0
	s_cmp_neq_f32 s14, 0
	s_mov_b32 s6, s12
	v_mad_nc_u64_u32 v[4:5], s30, v92, s[30:31]
	v_mul_u64_e32 v[8:9], s[30:31], v[2:3]
	s_cselect_b32 s5, -1, 0
	s_cmp_neq_f32 s15, 0
	v_mul_u64_e32 v[10:11], s[34:35], v[2:3]
	v_mad_nc_u64_u32 v[6:7], s34, v92, s[34:35]
	s_mov_b32 s36, s29
	s_cselect_b32 s0, -1, 0
	s_mov_b32 s37, s28
	s_or_b32 s8, s5, s0
	s_cmp_neq_f32 s28, 1.0
	v_mad_u32 v5, s31, v92, v5
	s_mov_b32 s38, s15
	s_mov_b32 s39, s14
	s_cselect_b32 s9, -1, 0
	s_cmp_neq_f32 s29, 0
	v_mad_u32 v7, s35, v92, v7
	s_cselect_b32 s49, -1, 0
	s_or_b32 s0, s14, s15
	s_delay_alu instid0(SALU_CYCLE_1) | instskip(NEXT) | instid1(VALU_DEP_2)
	s_and_b32 s1, s0, 0x7fffffff
	v_lshlrev_b64_e32 v[2:3], 3, v[4:5]
	s_cmp_lg_u32 s1, 0
	v_cmp_gt_u32_e64 s0, 0x80, v13
	s_cselect_b32 s44, -1, 0
	s_cmp_eq_u32 s1, 0
	v_lshlrev_b64_e32 v[6:7], 3, v[6:7]
	s_cselect_b32 s45, -1, 0
	s_bfe_u32 s1, ttmp6, 0x4000c
	s_and_b32 s5, ttmp6, 15
	s_add_co_i32 s1, s1, 1
	v_lshlrev_b64_e32 v[8:9], 5, v[8:9]
	s_mul_i32 s1, ttmp9, s1
	v_or_b32_e32 v2, 4, v2
	s_add_co_i32 s5, s5, s1
	s_cmp_eq_u32 s4, 0
	v_lshlrev_b64_e32 v[10:11], 5, v[10:11]
	s_cselect_b32 s1, ttmp9, s5
	s_ashr_i32 s7, s12, 31
	s_lshl_b32 s1, s1, 7
	s_cmp_neq_f32 s28, 0
	v_dual_add_nc_u32 v0, s1, v13 :: v_dual_add_nc_u32 v14, s1, v12
	v_or_b32_e32 v20, s1, v13
	s_cselect_b32 s1, -1, 0
	s_ashr_i32 s4, s13, 31
	s_delay_alu instid0(VALU_DEP_2)
	v_cmp_gt_i64_e32 vcc_lo, s[6:7], v[0:1]
	v_mul_u64_e32 v[4:5], s[2:3], v[0:1]
	v_dual_ashrrev_i32 v15, 31, v14 :: v_dual_bitop2_b32 v0, 3, v92 bitop3:0x54
	v_ashrrev_i32_e32 v21, 31, v20
	s_lshr_b32 s4, s4, 26
	v_or_b32_e32 v8, 4, v8
	s_delay_alu instid0(VALU_DEP_3)
	v_mul_u64_e32 v[16:17], s[34:35], v[0:1]
	v_mul_u64_e32 v[18:19], s[30:31], v[0:1]
	v_or_b32_e32 v0, 2, v92
	v_mul_u64_e32 v[12:13], s[2:3], v[20:21]
	v_add_nc_u32_e32 v21, 64, v14
	s_add_co_i32 s47, s13, s4
	v_add_nc_u32_e32 v26, 0x60, v14
	v_mul_u64_e32 v[22:23], s[34:35], v[0:1]
	v_mul_u64_e32 v[24:25], s[30:31], v[0:1]
	v_add_nc_u32_e32 v0, 32, v14
	s_and_not1_b32 s47, s47, 63
	s_or_b32 s46, s1, s49
	s_sub_co_i32 s6, s13, s47
	v_cmp_gt_i32_e64 s1, s12, v14
	v_cmp_gt_i32_e64 s2, s12, v20
	;; [unrolled: 1-line block ×3, first 2 shown]
	v_lshlrev_b64_e32 v[14:15], 3, v[14:15]
	s_cmp_gt_i32 s6, 0
	v_cmp_gt_i32_e64 s3, s12, v0
	v_cmp_gt_i32_e64 s5, s12, v26
	;; [unrolled: 1-line block ×3, first 2 shown]
	s_cselect_b32 s12, -1, 0
	s_or_b32 s7, s8, s9
	s_and_b32 s48, s0, vcc_lo
	s_lshl_b64 s[40:41], s[30:31], 9
	s_lshl_b64 s[42:43], s[34:35], 9
	s_or_b32 s49, s7, s49
	s_lshl_b64 s[18:19], s[18:19], 3
	s_lshl_b64 s[22:23], s[22:23], 3
	;; [unrolled: 1-line block ×3, first 2 shown]
	v_lshlrev_b64_e32 v[16:17], 3, v[16:17]
	v_lshlrev_b64_e32 v[18:19], 3, v[18:19]
	;; [unrolled: 1-line block ×4, first 2 shown]
	s_branch .LBB301_5
.LBB301_2:                              ;   in Loop: Header=BB301_5 Depth=1
	s_delay_alu instid0(VALU_DEP_1)
	v_mov_b32_e32 v27, v29
	flat_store_b64 v[24:25], v[26:27]
.LBB301_3:                              ;   in Loop: Header=BB301_5 Depth=1
	s_wait_xcnt 0x0
	s_or_b32 exec_lo, exec_lo, s7
.LBB301_4:                              ;   in Loop: Header=BB301_5 Depth=1
	s_add_co_i32 s10, s10, 0x10000
	s_delay_alu instid0(SALU_CYCLE_1)
	s_cmp_lt_u32 s10, s33
	s_cbranch_scc0 .LBB301_53
.LBB301_5:                              ; =>This Loop Header: Depth=1
                                        ;     Child Loop BB301_25 Depth 2
	s_and_not1_b32 vcc_lo, exec_lo, s49
	s_cbranch_vccnz .LBB301_4
; %bb.6:                                ;   in Loop: Header=BB301_5 Depth=1
	s_and_not1_b32 vcc_lo, exec_lo, s45
	s_cbranch_vccnz .LBB301_8
; %bb.7:                                ;   in Loop: Header=BB301_5 Depth=1
	v_mov_b64_e32 v[36:37], 0
	v_mov_b64_e32 v[34:35], 0
	s_cbranch_execz .LBB301_9
	s_branch .LBB301_10
.LBB301_8:                              ;   in Loop: Header=BB301_5 Depth=1
	v_mov_b64_e32 v[36:37], 0
	v_mov_b64_e32 v[34:35], 0
.LBB301_9:                              ;   in Loop: Header=BB301_5 Depth=1
	s_wait_xcnt 0x0
	s_lshl_b64 s[8:9], s[10:11], 3
	s_delay_alu instid0(SALU_CYCLE_1)
	s_add_nc_u64 s[8:9], s[16:17], s[8:9]
	global_load_b64 v[24:25], v1, s[8:9]
	s_wait_loadcnt 0x0
	v_add_nc_u64_e32 v[34:35], s[18:19], v[24:25]
.LBB301_10:                             ;   in Loop: Header=BB301_5 Depth=1
	s_and_not1_b32 vcc_lo, exec_lo, s44
	s_cbranch_vccnz .LBB301_12
; %bb.11:                               ;   in Loop: Header=BB301_5 Depth=1
	s_wait_xcnt 0x0
	s_lshl_b64 s[8:9], s[10:11], 3
	s_delay_alu instid0(SALU_CYCLE_1)
	s_add_nc_u64 s[8:9], s[20:21], s[8:9]
	global_load_b64 v[24:25], v1, s[8:9]
	s_wait_loadcnt 0x0
	v_add_nc_u64_e32 v[36:37], s[22:23], v[24:25]
.LBB301_12:                             ;   in Loop: Header=BB301_5 Depth=1
	s_wait_xcnt 0x0
	s_lshl_b64 s[8:9], s[10:11], 3
	s_and_not1_b32 vcc_lo, exec_lo, s45
	s_add_nc_u64 s[8:9], s[24:25], s[8:9]
	s_mov_b32 s7, -1
	global_load_b64 v[24:25], v1, s[8:9]
	s_wait_loadcnt 0x0
	v_add_nc_u64_e32 v[24:25], s[26:27], v[24:25]
	s_cbranch_vccnz .LBB301_18
; %bb.13:                               ;   in Loop: Header=BB301_5 Depth=1
	s_wait_xcnt 0x0
	s_and_saveexec_b32 s7, s48
	s_cbranch_execz .LBB301_17
; %bb.14:                               ;   in Loop: Header=BB301_5 Depth=1
	v_dual_mov_b32 v28, 0 :: v_dual_mov_b32 v29, 0
	s_delay_alu instid0(VALU_DEP_2)
	v_lshl_add_u64 v[26:27], v[4:5], 3, v[24:25]
	s_and_not1_b32 vcc_lo, exec_lo, s46
	s_cbranch_vccnz .LBB301_16
; %bb.15:                               ;   in Loop: Header=BB301_5 Depth=1
	flat_load_b64 v[28:29], v[26:27]
	v_mov_b64_e32 v[30:31], s[36:37]
	v_mov_b64_e32 v[32:33], s[28:29]
	s_wait_loadcnt_dscnt 0x0
	s_delay_alu instid0(VALU_DEP_2) | instskip(NEXT) | instid1(VALU_DEP_1)
	v_pk_mul_f32 v[30:31], v[30:31], v[28:29] op_sel:[0,1]
	v_pk_fma_f32 v[38:39], v[32:33], v[28:29], v[30:31] op_sel_hi:[1,0,1]
	v_pk_fma_f32 v[28:29], v[32:33], v[28:29], v[30:31] neg_lo:[0,0,1] neg_hi:[0,0,1]
	s_delay_alu instid0(VALU_DEP_2)
	v_mov_b32_e32 v29, v39
.LBB301_16:                             ;   in Loop: Header=BB301_5 Depth=1
	flat_store_b64 v[26:27], v[28:29]
.LBB301_17:                             ;   in Loop: Header=BB301_5 Depth=1
	s_wait_xcnt 0x0
	s_or_b32 exec_lo, exec_lo, s7
	s_mov_b32 s7, 0
.LBB301_18:                             ;   in Loop: Header=BB301_5 Depth=1
	s_delay_alu instid0(SALU_CYCLE_1)
	s_and_not1_b32 vcc_lo, exec_lo, s7
	s_cbranch_vccnz .LBB301_4
; %bb.19:                               ;   in Loop: Header=BB301_5 Depth=1
	v_mov_b64_e32 v[28:29], 0
	v_mov_b64_e32 v[30:31], 0
	;; [unrolled: 1-line block ×4, first 2 shown]
	v_mov_b32_e32 v0, v92
	s_wait_xcnt 0x0
	s_and_saveexec_b32 s7, s6
	s_cbranch_execz .LBB301_31
; %bb.20:                               ;   in Loop: Header=BB301_5 Depth=1
	v_add_nc_u64_e32 v[38:39], v[34:35], v[16:17]
	v_add_nc_u64_e32 v[40:41], v[34:35], v[10:11]
	;; [unrolled: 1-line block ×4, first 2 shown]
	v_mov_b64_e32 v[26:27], 0
	v_mov_b64_e32 v[32:33], 0
	;; [unrolled: 1-line block ×5, first 2 shown]
	v_mov_b32_e32 v0, v92
	s_mov_b32 s8, 0
	s_branch .LBB301_25
.LBB301_21:                             ;   in Loop: Header=BB301_25 Depth=2
	s_or_b32 exec_lo, exec_lo, s52
	s_wait_loadcnt_dscnt 0x303
	v_dual_mul_f32 v84, v59, v83 :: v_dual_mul_f32 v85, v58, v83
	s_wait_loadcnt_dscnt 0x202
	v_dual_mul_f32 v88, v57, v81 :: v_dual_mul_f32 v83, v56, v81
	s_wait_loadcnt_dscnt 0x101
	v_pk_mul_f32 v[86:87], v[74:75], v[78:79] op_sel:[0,1]
	v_dual_fma_f32 v84, v58, v82, -v84 :: v_dual_fmac_f32 v85, v59, v82
	s_delay_alu instid0(VALU_DEP_3) | instskip(NEXT) | instid1(VALU_DEP_3)
	v_dual_fma_f32 v82, v56, v80, -v88 :: v_dual_fmac_f32 v83, v57, v80
	v_pk_fma_f32 v[80:81], v[50:51], v[78:79], v[86:87] op_sel_hi:[1,0,1]
	v_pk_fma_f32 v[78:79], v[50:51], v[78:79], v[86:87] neg_lo:[0,0,1] neg_hi:[0,0,1]
	s_delay_alu instid0(VALU_DEP_4) | instskip(SKIP_3) | instid1(VALU_DEP_3)
	v_pk_add_f32 v[30:31], v[30:31], v[84:85]
	s_wait_loadcnt_dscnt 0x0
	v_pk_mul_f32 v[84:85], v[68:69], v[76:77] op_sel:[0,1]
	v_mov_b32_e32 v79, v81
	v_pk_add_f32 v[30:31], v[82:83], v[30:31]
	s_delay_alu instid0(VALU_DEP_3) | instskip(SKIP_1) | instid1(VALU_DEP_2)
	v_pk_fma_f32 v[80:81], v[48:49], v[76:77], v[84:85] op_sel_hi:[1,0,1]
	v_pk_fma_f32 v[76:77], v[48:49], v[76:77], v[84:85] neg_lo:[0,0,1] neg_hi:[0,0,1]
	v_mov_b32_e32 v77, v81
	s_delay_alu instid0(VALU_DEP_4) | instskip(NEXT) | instid1(VALU_DEP_1)
	v_pk_add_f32 v[30:31], v[78:79], v[30:31]
	v_pk_add_f32 v[30:31], v[76:77], v[30:31]
.LBB301_22:                             ;   in Loop: Header=BB301_25 Depth=2
	s_or_b32 exec_lo, exec_lo, s51
	s_wait_loadcnt_dscnt 0x303
	v_dual_mul_f32 v76, v59, v73 :: v_dual_mul_f32 v77, v58, v73
	s_wait_loadcnt_dscnt 0x202
	v_dual_mul_f32 v78, v57, v71 :: v_dual_mul_f32 v73, v56, v71
	s_wait_loadcnt_dscnt 0x101
	v_pk_mul_f32 v[74:75], v[74:75], v[66:67] op_sel:[0,1]
	v_dual_fma_f32 v76, v58, v72, -v76 :: v_dual_fmac_f32 v77, v59, v72
	s_delay_alu instid0(VALU_DEP_3) | instskip(NEXT) | instid1(VALU_DEP_3)
	v_dual_fma_f32 v72, v56, v70, -v78 :: v_dual_fmac_f32 v73, v57, v70
	v_pk_fma_f32 v[70:71], v[50:51], v[66:67], v[74:75] op_sel_hi:[1,0,1]
	s_wait_loadcnt_dscnt 0x0
	v_pk_mul_f32 v[68:69], v[68:69], v[64:65] op_sel:[0,1]
	v_pk_add_f32 v[32:33], v[32:33], v[76:77]
	v_pk_fma_f32 v[66:67], v[50:51], v[66:67], v[74:75] neg_lo:[0,0,1] neg_hi:[0,0,1]
	v_mov_b32_e32 v67, v71
	s_delay_alu instid0(VALU_DEP_4) | instskip(NEXT) | instid1(VALU_DEP_4)
	v_pk_fma_f32 v[70:71], v[48:49], v[64:65], v[68:69] op_sel_hi:[1,0,1]
	v_pk_add_f32 v[32:33], v[72:73], v[32:33]
	v_pk_fma_f32 v[64:65], v[48:49], v[64:65], v[68:69] neg_lo:[0,0,1] neg_hi:[0,0,1]
	s_delay_alu instid0(VALU_DEP_3) | instskip(NEXT) | instid1(VALU_DEP_3)
	v_mov_b32_e32 v65, v71
	v_pk_add_f32 v[32:33], v[66:67], v[32:33]
	s_delay_alu instid0(VALU_DEP_1)
	v_pk_add_f32 v[32:33], v[64:65], v[32:33]
.LBB301_23:                             ;   in Loop: Header=BB301_25 Depth=2
	s_or_b32 exec_lo, exec_lo, s50
	s_wait_loadcnt_dscnt 0x303
	v_dual_mul_f32 v64, v59, v63 :: v_dual_mul_f32 v65, v58, v63
	s_wait_loadcnt_dscnt 0x202
	v_dual_mul_f32 v68, v57, v61 :: v_dual_mul_f32 v63, v56, v61
	s_wait_loadcnt_dscnt 0x101
	v_pk_mul_f32 v[66:67], v[50:51], v[54:55] op_sel:[1,1] op_sel_hi:[0,1]
	v_dual_fma_f32 v64, v58, v62, -v64 :: v_dual_fmac_f32 v65, v59, v62
	s_delay_alu instid0(VALU_DEP_3) | instskip(NEXT) | instid1(VALU_DEP_3)
	v_dual_fma_f32 v62, v56, v60, -v68 :: v_dual_fmac_f32 v63, v57, v60
	v_pk_fma_f32 v[56:57], v[50:51], v[54:55], v[66:67] op_sel_hi:[1,0,1]
	s_wait_loadcnt_dscnt 0x0
	v_pk_mul_f32 v[58:59], v[48:49], v[52:53] op_sel:[1,1] op_sel_hi:[0,1]
	v_pk_add_f32 v[26:27], v[26:27], v[64:65]
	v_pk_fma_f32 v[50:51], v[50:51], v[54:55], v[66:67] neg_lo:[0,0,1] neg_hi:[0,0,1]
	s_delay_alu instid0(VALU_DEP_3) | instskip(SKIP_1) | instid1(VALU_DEP_4)
	v_pk_fma_f32 v[54:55], v[48:49], v[52:53], v[58:59] op_sel_hi:[1,0,1]
	v_mov_b32_e32 v51, v57
	v_pk_add_f32 v[26:27], v[62:63], v[26:27]
	v_pk_fma_f32 v[48:49], v[48:49], v[52:53], v[58:59] neg_lo:[0,0,1] neg_hi:[0,0,1]
	s_delay_alu instid0(VALU_DEP_4) | instskip(NEXT) | instid1(VALU_DEP_3)
	v_mov_b32_e32 v49, v55
	v_pk_add_f32 v[26:27], v[50:51], v[26:27]
	s_delay_alu instid0(VALU_DEP_1)
	v_pk_add_f32 v[26:27], v[48:49], v[26:27]
.LBB301_24:                             ;   in Loop: Header=BB301_25 Depth=2
	s_or_b32 exec_lo, exec_lo, s9
	v_add_nc_u32_e32 v0, 64, v0
	v_add_nc_u64_e32 v[46:47], s[40:41], v[46:47]
	v_add_nc_u64_e32 v[38:39], s[42:43], v[38:39]
	;; [unrolled: 1-line block ×4, first 2 shown]
	v_cmp_le_i32_e32 vcc_lo, s47, v0
	v_add_nc_u64_e32 v[44:45], s[42:43], v[44:45]
	s_or_b32 s8, vcc_lo, s8
	s_delay_alu instid0(SALU_CYCLE_1)
	s_and_not1_b32 exec_lo, exec_lo, s8
	s_cbranch_execz .LBB301_30
.LBB301_25:                             ;   Parent Loop BB301_5 Depth=1
                                        ; =>  This Inner Loop Header: Depth=2
	s_and_saveexec_b32 s9, s1
	s_cbranch_execz .LBB301_24
; %bb.26:                               ;   in Loop: Header=BB301_25 Depth=2
	s_delay_alu instid0(VALU_DEP_2)
	v_add_nc_u64_e32 v[64:65], v[46:47], v[8:9]
	v_add_nc_u64_e32 v[66:67], v[46:47], v[2:3]
	;; [unrolled: 1-line block ×8, first 2 shown]
	s_clause 0x3
	flat_load_b64 v[58:59], v[64:65] offset:-4
	flat_load_b64 v[56:57], v[66:67] offset:-4
	flat_load_b64 v[50:51], v[68:69]
	flat_load_b64 v[48:49], v[70:71]
	flat_load_b64 v[62:63], v[84:85]
	flat_load_b64 v[60:61], v[86:87]
	flat_load_b64 v[54:55], v[88:89]
	flat_load_b64 v[52:53], v[90:91]
	s_wait_xcnt 0x0
	s_and_saveexec_b32 s50, s3
	s_cbranch_execz .LBB301_23
; %bb.27:                               ;   in Loop: Header=BB301_25 Depth=2
	flat_load_b64 v[72:73], v[84:85] offset:256
	flat_load_b64 v[70:71], v[86:87] offset:256
	;; [unrolled: 1-line block ×4, first 2 shown]
	s_wait_loadcnt_dscnt 0x909
	v_dual_mov_b32 v74, v51 :: v_dual_mov_b32 v75, v50
	s_wait_loadcnt_dscnt 0x808
	v_dual_mov_b32 v68, v49 :: v_dual_mov_b32 v69, v48
	s_wait_xcnt 0x0
	s_and_saveexec_b32 s51, s4
	s_cbranch_execz .LBB301_22
; %bb.28:                               ;   in Loop: Header=BB301_25 Depth=2
	flat_load_b64 v[82:83], v[84:85] offset:512
	flat_load_b64 v[80:81], v[86:87] offset:512
	;; [unrolled: 1-line block ×4, first 2 shown]
	s_wait_xcnt 0x0
	s_and_saveexec_b32 s52, s5
	s_cbranch_execz .LBB301_21
; %bb.29:                               ;   in Loop: Header=BB301_25 Depth=2
	flat_load_b64 v[96:97], v[84:85] offset:768
	flat_load_b64 v[98:99], v[86:87] offset:768
	;; [unrolled: 1-line block ×4, first 2 shown]
	s_wait_loadcnt_dscnt 0x303
	s_wait_xcnt 0x3
	v_dual_mul_f32 v84, v59, v97 :: v_dual_mul_f32 v85, v58, v97
	s_wait_loadcnt_dscnt 0x202
	s_wait_xcnt 0x2
	v_dual_mul_f32 v86, v57, v99 :: v_dual_mul_f32 v87, v56, v99
	s_wait_loadcnt_dscnt 0x101
	s_wait_xcnt 0x1
	v_pk_mul_f32 v[88:89], v[74:75], v[100:101] op_sel:[0,1]
	v_dual_fma_f32 v84, v58, v96, -v84 :: v_dual_fmac_f32 v85, v59, v96
	v_dual_fma_f32 v86, v56, v98, -v86 :: v_dual_fmac_f32 v87, v57, v98
	s_wait_xcnt 0x0
	s_delay_alu instid0(VALU_DEP_3) | instskip(SKIP_4) | instid1(VALU_DEP_2)
	v_pk_fma_f32 v[90:91], v[50:51], v[100:101], v[88:89] op_sel_hi:[1,0,1]
	v_pk_fma_f32 v[88:89], v[50:51], v[100:101], v[88:89] neg_lo:[0,0,1] neg_hi:[0,0,1]
	v_pk_add_f32 v[28:29], v[28:29], v[84:85]
	s_wait_loadcnt_dscnt 0x0
	v_pk_mul_f32 v[84:85], v[68:69], v[102:103] op_sel:[0,1]
	v_pk_add_f32 v[28:29], v[86:87], v[28:29]
	s_delay_alu instid0(VALU_DEP_2) | instskip(SKIP_2) | instid1(VALU_DEP_3)
	v_pk_fma_f32 v[86:87], v[48:49], v[102:103], v[84:85] op_sel_hi:[1,0,1]
	v_mov_b32_e32 v89, v91
	v_pk_fma_f32 v[84:85], v[48:49], v[102:103], v[84:85] neg_lo:[0,0,1] neg_hi:[0,0,1]
	v_mov_b32_e32 v85, v87
	s_delay_alu instid0(VALU_DEP_3) | instskip(NEXT) | instid1(VALU_DEP_1)
	v_pk_add_f32 v[28:29], v[88:89], v[28:29]
	v_pk_add_f32 v[28:29], v[84:85], v[28:29]
	s_branch .LBB301_21
.LBB301_30:                             ;   in Loop: Header=BB301_5 Depth=1
	s_or_b32 exec_lo, exec_lo, s8
.LBB301_31:                             ;   in Loop: Header=BB301_5 Depth=1
	s_delay_alu instid0(SALU_CYCLE_1) | instskip(NEXT) | instid1(SALU_CYCLE_1)
	s_or_b32 exec_lo, exec_lo, s7
	s_and_not1_b32 vcc_lo, exec_lo, s12
	s_cbranch_vccnz .LBB301_49
; %bb.32:                               ;   in Loop: Header=BB301_5 Depth=1
	v_dual_mov_b32 v44, 0 :: v_dual_bitop2_b32 v46, 1, v0 bitop3:0x54
	v_cmp_gt_i32_e32 vcc_lo, s13, v0
	s_delay_alu instid0(VALU_DEP_2)
	v_dual_mov_b32 v45, v44 :: v_dual_mov_b32 v42, v44
	v_dual_mov_b32 v43, v44 :: v_dual_mov_b32 v40, v44
	;; [unrolled: 1-line block ×3, first 2 shown]
	v_mov_b32_e32 v39, v44
	s_and_saveexec_b32 s8, vcc_lo
	s_cbranch_execz .LBB301_40
; %bb.33:                               ;   in Loop: Header=BB301_5 Depth=1
	v_mul_u64_e32 v[38:39], s[30:31], v[0:1]
	v_dual_mov_b32 v41, 0 :: v_dual_mov_b32 v40, 0
	v_dual_mov_b32 v43, 0 :: v_dual_mov_b32 v42, 0
	v_dual_mov_b32 v45, 0 :: v_dual_mov_b32 v44, 0
	s_mov_b32 s9, exec_lo
	s_delay_alu instid0(VALU_DEP_4)
	v_lshl_add_u64 v[38:39], v[38:39], 3, v[36:37]
	flat_load_b64 v[38:39], v[38:39]
	s_wait_xcnt 0x0
	v_cmpx_gt_i32_e64 s13, v46
	s_cbranch_execz .LBB301_39
; %bb.34:                               ;   in Loop: Header=BB301_5 Depth=1
	v_dual_mov_b32 v47, v1 :: v_dual_bitop2_b32 v48, 2, v0 bitop3:0x54
	v_dual_mov_b32 v43, 0 :: v_dual_mov_b32 v42, 0
	v_dual_mov_b32 v45, 0 :: v_dual_mov_b32 v44, 0
	s_delay_alu instid0(VALU_DEP_3) | instskip(SKIP_1) | instid1(VALU_DEP_1)
	v_mul_u64_e32 v[40:41], s[30:31], v[46:47]
	s_mov_b32 s50, exec_lo
	v_lshl_add_u64 v[40:41], v[40:41], 3, v[36:37]
	flat_load_b64 v[40:41], v[40:41]
	s_wait_xcnt 0x0
	v_cmpx_gt_i32_e64 s13, v48
	s_cbranch_execz .LBB301_38
; %bb.35:                               ;   in Loop: Header=BB301_5 Depth=1
	v_dual_mov_b32 v49, v1 :: v_dual_mov_b32 v45, 0
	v_mov_b32_e32 v44, 0
	s_mov_b32 s51, exec_lo
	s_delay_alu instid0(VALU_DEP_2) | instskip(SKIP_1) | instid1(VALU_DEP_2)
	v_mul_u64_e32 v[42:43], s[30:31], v[48:49]
	v_or_b32_e32 v48, 3, v0
	v_lshl_add_u64 v[42:43], v[42:43], 3, v[36:37]
	flat_load_b64 v[42:43], v[42:43]
	s_wait_xcnt 0x0
	v_cmpx_gt_i32_e64 s13, v48
	s_cbranch_execz .LBB301_37
; %bb.36:                               ;   in Loop: Header=BB301_5 Depth=1
	v_mov_b32_e32 v49, v1
	s_delay_alu instid0(VALU_DEP_1) | instskip(NEXT) | instid1(VALU_DEP_1)
	v_mul_u64_e32 v[44:45], s[30:31], v[48:49]
	v_lshl_add_u64 v[36:37], v[44:45], 3, v[36:37]
	flat_load_b64 v[44:45], v[36:37]
.LBB301_37:                             ;   in Loop: Header=BB301_5 Depth=1
	s_wait_xcnt 0x0
	s_or_b32 exec_lo, exec_lo, s51
.LBB301_38:                             ;   in Loop: Header=BB301_5 Depth=1
	s_delay_alu instid0(SALU_CYCLE_1)
	s_or_b32 exec_lo, exec_lo, s50
.LBB301_39:                             ;   in Loop: Header=BB301_5 Depth=1
	s_delay_alu instid0(SALU_CYCLE_1)
	s_or_b32 exec_lo, exec_lo, s9
.LBB301_40:                             ;   in Loop: Header=BB301_5 Depth=1
	s_delay_alu instid0(SALU_CYCLE_1)
	s_or_b32 exec_lo, exec_lo, s8
	s_and_saveexec_b32 s50, s1
	s_cbranch_execz .LBB301_48
; %bb.41:                               ;   in Loop: Header=BB301_5 Depth=1
	v_dual_mov_b32 v47, v1 :: v_dual_bitop2_b32 v36, 2, v0 bitop3:0x54
	v_mov_b32_e32 v37, v1
	v_mul_u64_e32 v[48:49], s[34:35], v[0:1]
	v_or_b32_e32 v0, 3, v0
	s_delay_alu instid0(VALU_DEP_4)
	v_mul_u64_e32 v[50:51], s[34:35], v[46:47]
	v_cmp_gt_i32_e64 s7, s13, v46
	v_mul_u64_e32 v[52:53], s[34:35], v[36:37]
	v_cmp_gt_i32_e64 s8, s13, v36
	;; [unrolled: 2-line block ×3, first 2 shown]
	s_wait_loadcnt_dscnt 0x0
	v_dual_mov_b32 v56, v39 :: v_dual_mov_b32 v57, v38
	v_dual_cndmask_b32 v37, 0, v49 :: v_dual_cndmask_b32 v36, 0, v48
	v_dual_cndmask_b32 v47, 0, v51, s7 :: v_dual_cndmask_b32 v46, 0, v50, s7
	v_dual_cndmask_b32 v49, 0, v53, s8 :: v_dual_cndmask_b32 v48, 0, v52, s8
	;; [unrolled: 1-line block ×3, first 2 shown]
	s_delay_alu instid0(VALU_DEP_4) | instskip(NEXT) | instid1(VALU_DEP_4)
	v_lshl_add_u64 v[36:37], v[36:37], 3, v[34:35]
	v_lshl_add_u64 v[46:47], v[46:47], 3, v[34:35]
	s_delay_alu instid0(VALU_DEP_4)
	v_lshl_add_u64 v[48:49], v[48:49], 3, v[34:35]
	v_dual_mov_b32 v54, v41 :: v_dual_mov_b32 v55, v40
	v_lshl_add_u64 v[34:35], v[50:51], 3, v[34:35]
	v_add_nc_u64_e32 v[76:77], v[36:37], v[14:15]
	v_add_nc_u64_e32 v[74:75], v[46:47], v[14:15]
	;; [unrolled: 1-line block ×3, first 2 shown]
	v_dual_mov_b32 v52, v43 :: v_dual_mov_b32 v53, v42
	v_add_nc_u64_e32 v[78:79], v[34:35], v[14:15]
	s_clause 0x3
	flat_load_b64 v[50:51], v[76:77]
	flat_load_b64 v[46:47], v[74:75]
	flat_load_b64 v[36:37], v[80:81]
	flat_load_b64 v[34:35], v[78:79]
	v_dual_mov_b32 v48, v45 :: v_dual_mov_b32 v49, v44
	s_wait_xcnt 0x0
	s_and_saveexec_b32 s7, s3
	s_cbranch_execz .LBB301_47
; %bb.42:                               ;   in Loop: Header=BB301_5 Depth=1
	s_clause 0x3
	flat_load_b64 v[64:65], v[76:77] offset:256
	flat_load_b64 v[62:63], v[74:75] offset:256
	flat_load_b64 v[60:61], v[80:81] offset:256
	flat_load_b64 v[58:59], v[78:79] offset:256
	s_wait_xcnt 0x0
	s_and_saveexec_b32 s8, s4
	s_cbranch_execz .LBB301_46
; %bb.43:                               ;   in Loop: Header=BB301_5 Depth=1
	s_clause 0x3
	flat_load_b64 v[72:73], v[76:77] offset:512
	flat_load_b64 v[70:71], v[74:75] offset:512
	flat_load_b64 v[68:69], v[80:81] offset:512
	flat_load_b64 v[66:67], v[78:79] offset:512
	;; [unrolled: 9-line block ×3, first 2 shown]
	s_wait_loadcnt_dscnt 0x303
	s_wait_xcnt 0x2
	v_pk_mul_f32 v[74:75], v[56:57], v[82:83] op_sel:[0,1]
	s_wait_loadcnt_dscnt 0x202
	v_pk_mul_f32 v[76:77], v[54:55], v[84:85] op_sel:[0,1]
	s_wait_loadcnt_dscnt 0x101
	s_wait_xcnt 0x1
	v_pk_mul_f32 v[80:81], v[52:53], v[86:87] op_sel:[0,1]
	s_wait_xcnt 0x0
	v_pk_fma_f32 v[78:79], v[38:39], v[82:83], v[74:75] op_sel_hi:[1,0,1]
	v_pk_fma_f32 v[74:75], v[38:39], v[82:83], v[74:75] neg_lo:[0,0,1] neg_hi:[0,0,1]
	v_pk_fma_f32 v[82:83], v[40:41], v[84:85], v[76:77] op_sel_hi:[1,0,1]
	v_pk_fma_f32 v[76:77], v[40:41], v[84:85], v[76:77] neg_lo:[0,0,1] neg_hi:[0,0,1]
	s_delay_alu instid0(VALU_DEP_4) | instskip(SKIP_1) | instid1(VALU_DEP_4)
	v_mov_b32_e32 v75, v79
	v_pk_fma_f32 v[78:79], v[42:43], v[86:87], v[80:81] op_sel_hi:[1,0,1]
	v_mov_b32_e32 v77, v83
	v_pk_fma_f32 v[80:81], v[42:43], v[86:87], v[80:81] neg_lo:[0,0,1] neg_hi:[0,0,1]
	s_delay_alu instid0(VALU_DEP_4) | instskip(SKIP_2) | instid1(VALU_DEP_2)
	v_pk_add_f32 v[28:29], v[28:29], v[74:75]
	s_wait_loadcnt_dscnt 0x0
	v_pk_mul_f32 v[74:75], v[48:49], v[88:89] op_sel:[0,1]
	v_pk_add_f32 v[28:29], v[76:77], v[28:29]
	s_delay_alu instid0(VALU_DEP_2) | instskip(SKIP_2) | instid1(VALU_DEP_3)
	v_pk_fma_f32 v[76:77], v[44:45], v[88:89], v[74:75] op_sel_hi:[1,0,1]
	v_mov_b32_e32 v81, v79
	v_pk_fma_f32 v[74:75], v[44:45], v[88:89], v[74:75] neg_lo:[0,0,1] neg_hi:[0,0,1]
	v_mov_b32_e32 v75, v77
	s_delay_alu instid0(VALU_DEP_3) | instskip(NEXT) | instid1(VALU_DEP_1)
	v_pk_add_f32 v[28:29], v[80:81], v[28:29]
	v_pk_add_f32 v[28:29], v[74:75], v[28:29]
.LBB301_45:                             ;   in Loop: Header=BB301_5 Depth=1
	s_or_b32 exec_lo, exec_lo, s9
	s_wait_loadcnt_dscnt 0x303
	v_pk_mul_f32 v[74:75], v[56:57], v[72:73] op_sel:[0,1]
	s_wait_loadcnt_dscnt 0x202
	v_pk_mul_f32 v[76:77], v[54:55], v[70:71] op_sel:[0,1]
	;; [unrolled: 2-line block ×3, first 2 shown]
	v_pk_fma_f32 v[78:79], v[38:39], v[72:73], v[74:75] op_sel_hi:[1,0,1]
	v_pk_fma_f32 v[72:73], v[38:39], v[72:73], v[74:75] neg_lo:[0,0,1] neg_hi:[0,0,1]
	v_pk_fma_f32 v[74:75], v[40:41], v[70:71], v[76:77] op_sel_hi:[1,0,1]
	v_pk_fma_f32 v[70:71], v[40:41], v[70:71], v[76:77] neg_lo:[0,0,1] neg_hi:[0,0,1]
	v_pk_fma_f32 v[76:77], v[42:43], v[68:69], v[80:81] op_sel_hi:[1,0,1]
	v_mov_b32_e32 v73, v79
	v_pk_fma_f32 v[68:69], v[42:43], v[68:69], v[80:81] neg_lo:[0,0,1] neg_hi:[0,0,1]
	v_mov_b32_e32 v71, v75
	s_delay_alu instid0(VALU_DEP_3) | instskip(SKIP_2) | instid1(VALU_DEP_2)
	v_pk_add_f32 v[30:31], v[30:31], v[72:73]
	s_wait_loadcnt_dscnt 0x0
	v_pk_mul_f32 v[72:73], v[48:49], v[66:67] op_sel:[0,1]
	v_pk_add_f32 v[30:31], v[70:71], v[30:31]
	s_delay_alu instid0(VALU_DEP_2) | instskip(SKIP_2) | instid1(VALU_DEP_3)
	v_pk_fma_f32 v[70:71], v[44:45], v[66:67], v[72:73] op_sel_hi:[1,0,1]
	v_mov_b32_e32 v69, v77
	v_pk_fma_f32 v[66:67], v[44:45], v[66:67], v[72:73] neg_lo:[0,0,1] neg_hi:[0,0,1]
	v_mov_b32_e32 v67, v71
	s_delay_alu instid0(VALU_DEP_3) | instskip(NEXT) | instid1(VALU_DEP_1)
	v_pk_add_f32 v[30:31], v[68:69], v[30:31]
	v_pk_add_f32 v[30:31], v[66:67], v[30:31]
.LBB301_46:                             ;   in Loop: Header=BB301_5 Depth=1
	s_or_b32 exec_lo, exec_lo, s8
	s_wait_loadcnt_dscnt 0x303
	v_pk_mul_f32 v[66:67], v[56:57], v[64:65] op_sel:[0,1]
	s_wait_loadcnt_dscnt 0x202
	v_pk_mul_f32 v[68:69], v[54:55], v[62:63] op_sel:[0,1]
	;; [unrolled: 2-line block ×3, first 2 shown]
	v_pk_fma_f32 v[70:71], v[38:39], v[64:65], v[66:67] op_sel_hi:[1,0,1]
	v_pk_fma_f32 v[64:65], v[38:39], v[64:65], v[66:67] neg_lo:[0,0,1] neg_hi:[0,0,1]
	v_pk_fma_f32 v[66:67], v[40:41], v[62:63], v[68:69] op_sel_hi:[1,0,1]
	v_pk_fma_f32 v[62:63], v[40:41], v[62:63], v[68:69] neg_lo:[0,0,1] neg_hi:[0,0,1]
	v_pk_fma_f32 v[68:69], v[42:43], v[60:61], v[72:73] op_sel_hi:[1,0,1]
	v_mov_b32_e32 v65, v71
	v_pk_fma_f32 v[60:61], v[42:43], v[60:61], v[72:73] neg_lo:[0,0,1] neg_hi:[0,0,1]
	v_mov_b32_e32 v63, v67
	s_delay_alu instid0(VALU_DEP_3) | instskip(SKIP_2) | instid1(VALU_DEP_2)
	v_pk_add_f32 v[32:33], v[32:33], v[64:65]
	s_wait_loadcnt_dscnt 0x0
	v_pk_mul_f32 v[64:65], v[48:49], v[58:59] op_sel:[0,1]
	v_pk_add_f32 v[32:33], v[62:63], v[32:33]
	s_delay_alu instid0(VALU_DEP_2) | instskip(SKIP_2) | instid1(VALU_DEP_3)
	v_pk_fma_f32 v[62:63], v[44:45], v[58:59], v[64:65] op_sel_hi:[1,0,1]
	v_mov_b32_e32 v61, v69
	v_pk_fma_f32 v[58:59], v[44:45], v[58:59], v[64:65] neg_lo:[0,0,1] neg_hi:[0,0,1]
	v_mov_b32_e32 v59, v63
	s_delay_alu instid0(VALU_DEP_3) | instskip(NEXT) | instid1(VALU_DEP_1)
	v_pk_add_f32 v[32:33], v[60:61], v[32:33]
	v_pk_add_f32 v[32:33], v[58:59], v[32:33]
.LBB301_47:                             ;   in Loop: Header=BB301_5 Depth=1
	s_or_b32 exec_lo, exec_lo, s7
	s_wait_loadcnt_dscnt 0x303
	v_pk_mul_f32 v[56:57], v[56:57], v[50:51] op_sel:[0,1]
	s_wait_loadcnt_dscnt 0x202
	v_pk_mul_f32 v[54:55], v[54:55], v[46:47] op_sel:[0,1]
	;; [unrolled: 2-line block ×3, first 2 shown]
	v_pk_fma_f32 v[58:59], v[38:39], v[50:51], v[56:57] op_sel_hi:[1,0,1]
	v_pk_fma_f32 v[38:39], v[38:39], v[50:51], v[56:57] neg_lo:[0,0,1] neg_hi:[0,0,1]
	v_pk_fma_f32 v[50:51], v[40:41], v[46:47], v[54:55] op_sel_hi:[1,0,1]
	v_pk_fma_f32 v[40:41], v[40:41], v[46:47], v[54:55] neg_lo:[0,0,1] neg_hi:[0,0,1]
	v_pk_fma_f32 v[46:47], v[42:43], v[36:37], v[52:53] op_sel_hi:[1,0,1]
	v_mov_b32_e32 v39, v59
	v_pk_fma_f32 v[36:37], v[42:43], v[36:37], v[52:53] neg_lo:[0,0,1] neg_hi:[0,0,1]
	v_mov_b32_e32 v41, v51
	s_delay_alu instid0(VALU_DEP_3) | instskip(SKIP_2) | instid1(VALU_DEP_2)
	v_pk_add_f32 v[26:27], v[26:27], v[38:39]
	s_wait_loadcnt_dscnt 0x0
	v_pk_mul_f32 v[38:39], v[48:49], v[34:35] op_sel:[0,1]
	v_pk_add_f32 v[26:27], v[40:41], v[26:27]
	s_delay_alu instid0(VALU_DEP_2) | instskip(SKIP_2) | instid1(VALU_DEP_3)
	v_pk_fma_f32 v[40:41], v[44:45], v[34:35], v[38:39] op_sel_hi:[1,0,1]
	v_mov_b32_e32 v37, v47
	v_pk_fma_f32 v[34:35], v[44:45], v[34:35], v[38:39] neg_lo:[0,0,1] neg_hi:[0,0,1]
	v_mov_b32_e32 v35, v41
	s_delay_alu instid0(VALU_DEP_3) | instskip(NEXT) | instid1(VALU_DEP_1)
	v_pk_add_f32 v[26:27], v[36:37], v[26:27]
	v_pk_add_f32 v[26:27], v[34:35], v[26:27]
.LBB301_48:                             ;   in Loop: Header=BB301_5 Depth=1
	s_or_b32 exec_lo, exec_lo, s50
.LBB301_49:                             ;   in Loop: Header=BB301_5 Depth=1
	ds_store_2addr_b64 v93, v[26:27], v[32:33] offset1:32
	ds_store_2addr_b64 v93, v[30:31], v[28:29] offset0:64 offset1:96
	s_wait_storecnt 0x0
	s_wait_loadcnt_dscnt 0x0
	s_barrier_signal -1
	s_barrier_wait -1
	s_and_saveexec_b32 s7, s0
	s_cbranch_execz .LBB301_3
; %bb.50:                               ;   in Loop: Header=BB301_5 Depth=1
	ds_load_2addr_stride64_b64 v[26:29], v94 offset1:2
	ds_load_2addr_stride64_b64 v[30:33], v94 offset0:4 offset1:6
	ds_load_2addr_stride64_b64 v[34:37], v94 offset0:8 offset1:10
	s_wait_dscnt 0x2
	v_pk_add_f32 v[38:39], v[26:27], v[28:29]
	ds_load_2addr_stride64_b64 v[26:29], v94 offset0:12 offset1:14
	s_wait_dscnt 0x2
	v_pk_add_f32 v[30:31], v[38:39], v[30:31]
	s_delay_alu instid0(VALU_DEP_1) | instskip(SKIP_3) | instid1(VALU_DEP_1)
	v_pk_add_f32 v[38:39], v[30:31], v[32:33]
	ds_load_2addr_stride64_b64 v[30:33], v94 offset0:16 offset1:18
	s_wait_dscnt 0x2
	v_pk_add_f32 v[34:35], v[38:39], v[34:35]
	v_pk_add_f32 v[38:39], v[34:35], v[36:37]
	ds_load_2addr_stride64_b64 v[34:37], v94 offset0:20 offset1:22
	s_wait_dscnt 0x2
	v_pk_add_f32 v[26:27], v[38:39], v[26:27]
	s_delay_alu instid0(VALU_DEP_1) | instskip(SKIP_1) | instid1(VALU_DEP_1)
	v_pk_add_f32 v[26:27], v[26:27], v[28:29]
	s_wait_dscnt 0x1
	v_pk_add_f32 v[30:31], v[26:27], v[30:31]
	ds_load_2addr_stride64_b64 v[26:29], v94 offset0:24 offset1:26
	v_pk_add_f32 v[30:31], v[30:31], v[32:33]
	s_wait_dscnt 0x1
	s_delay_alu instid0(VALU_DEP_1) | instskip(SKIP_3) | instid1(VALU_DEP_1)
	v_pk_add_f32 v[34:35], v[30:31], v[34:35]
	ds_load_2addr_stride64_b64 v[30:33], v94 offset0:28 offset1:30
	v_pk_add_f32 v[34:35], v[34:35], v[36:37]
	s_wait_dscnt 0x1
	v_pk_add_f32 v[26:27], v[34:35], v[26:27]
	s_delay_alu instid0(VALU_DEP_1) | instskip(SKIP_1) | instid1(VALU_DEP_1)
	v_pk_add_f32 v[26:27], v[26:27], v[28:29]
	s_wait_dscnt 0x0
	v_pk_add_f32 v[26:27], v[26:27], v[30:31]
	s_delay_alu instid0(VALU_DEP_1)
	v_pk_add_f32 v[28:29], v[26:27], v[32:33]
	ds_store_b64 v94, v[28:29]
	s_and_b32 exec_lo, exec_lo, s2
	s_cbranch_execz .LBB301_3
; %bb.51:                               ;   in Loop: Header=BB301_5 Depth=1
	v_mov_b64_e32 v[26:27], s[38:39]
	v_mov_b64_e32 v[30:31], s[14:15]
	v_lshl_add_u64 v[24:25], v[12:13], 3, v[24:25]
	s_and_not1_b32 vcc_lo, exec_lo, s46
	s_delay_alu instid0(VALU_DEP_3) | instskip(NEXT) | instid1(VALU_DEP_1)
	v_pk_mul_f32 v[32:33], v[28:29], v[26:27] op_sel:[1,0]
	v_pk_fma_f32 v[26:27], v[28:29], v[30:31], v[32:33] op_sel_hi:[0,1,1] neg_lo:[0,0,1] neg_hi:[0,0,1]
	v_pk_fma_f32 v[28:29], v[28:29], v[30:31], v[32:33] op_sel_hi:[0,1,1]
	s_cbranch_vccnz .LBB301_2
; %bb.52:                               ;   in Loop: Header=BB301_5 Depth=1
	flat_load_b64 v[30:31], v[24:25]
	v_mov_b64_e32 v[32:33], s[36:37]
	v_mov_b64_e32 v[34:35], s[28:29]
	s_wait_loadcnt_dscnt 0x0
	s_delay_alu instid0(VALU_DEP_2) | instskip(NEXT) | instid1(VALU_DEP_1)
	v_pk_mul_f32 v[32:33], v[32:33], v[30:31] op_sel:[0,1]
	v_pk_fma_f32 v[36:37], v[34:35], v[30:31], v[32:33] op_sel_hi:[1,0,1]
	v_mov_b32_e32 v27, v29
	v_pk_fma_f32 v[28:29], v[34:35], v[30:31], v[32:33] neg_lo:[0,0,1] neg_hi:[0,0,1]
	s_delay_alu instid0(VALU_DEP_3) | instskip(NEXT) | instid1(VALU_DEP_1)
	v_mov_b32_e32 v29, v37
	v_pk_add_f32 v[26:27], v[26:27], v[28:29]
	s_delay_alu instid0(VALU_DEP_1)
	v_mov_b32_e32 v29, v27
	s_branch .LBB301_2
.LBB301_53:
	s_sendmsg sendmsg(MSG_DEALLOC_VGPRS)
	s_endpgm
	.section	.rodata,"a",@progbits
	.p2align	6, 0x0
	.amdhsa_kernel _ZL20rocblas_gemvn_kernelILi32ELi16ElPK19rocblas_complex_numIfES1_KPS1_EviiT3_lPKT2_lT1_lS9_lSA_lS6_lPT4_lSA_li
		.amdhsa_group_segment_fixed_size 16384
		.amdhsa_private_segment_fixed_size 0
		.amdhsa_kernarg_size 400
		.amdhsa_user_sgpr_count 2
		.amdhsa_user_sgpr_dispatch_ptr 0
		.amdhsa_user_sgpr_queue_ptr 0
		.amdhsa_user_sgpr_kernarg_segment_ptr 1
		.amdhsa_user_sgpr_dispatch_id 0
		.amdhsa_user_sgpr_kernarg_preload_length 0
		.amdhsa_user_sgpr_kernarg_preload_offset 0
		.amdhsa_user_sgpr_private_segment_size 0
		.amdhsa_wavefront_size32 1
		.amdhsa_uses_dynamic_stack 0
		.amdhsa_enable_private_segment 0
		.amdhsa_system_sgpr_workgroup_id_x 1
		.amdhsa_system_sgpr_workgroup_id_y 0
		.amdhsa_system_sgpr_workgroup_id_z 1
		.amdhsa_system_sgpr_workgroup_info 0
		.amdhsa_system_vgpr_workitem_id 1
		.amdhsa_next_free_vgpr 104
		.amdhsa_next_free_sgpr 53
		.amdhsa_named_barrier_count 0
		.amdhsa_reserve_vcc 1
		.amdhsa_float_round_mode_32 0
		.amdhsa_float_round_mode_16_64 0
		.amdhsa_float_denorm_mode_32 3
		.amdhsa_float_denorm_mode_16_64 3
		.amdhsa_fp16_overflow 0
		.amdhsa_memory_ordered 1
		.amdhsa_forward_progress 1
		.amdhsa_inst_pref_size 33
		.amdhsa_round_robin_scheduling 0
		.amdhsa_exception_fp_ieee_invalid_op 0
		.amdhsa_exception_fp_denorm_src 0
		.amdhsa_exception_fp_ieee_div_zero 0
		.amdhsa_exception_fp_ieee_overflow 0
		.amdhsa_exception_fp_ieee_underflow 0
		.amdhsa_exception_fp_ieee_inexact 0
		.amdhsa_exception_int_div_zero 0
	.end_amdhsa_kernel
	.section	.text._ZL20rocblas_gemvn_kernelILi32ELi16ElPK19rocblas_complex_numIfES1_KPS1_EviiT3_lPKT2_lT1_lS9_lSA_lS6_lPT4_lSA_li,"axG",@progbits,_ZL20rocblas_gemvn_kernelILi32ELi16ElPK19rocblas_complex_numIfES1_KPS1_EviiT3_lPKT2_lT1_lS9_lSA_lS6_lPT4_lSA_li,comdat
.Lfunc_end301:
	.size	_ZL20rocblas_gemvn_kernelILi32ELi16ElPK19rocblas_complex_numIfES1_KPS1_EviiT3_lPKT2_lT1_lS9_lSA_lS6_lPT4_lSA_li, .Lfunc_end301-_ZL20rocblas_gemvn_kernelILi32ELi16ElPK19rocblas_complex_numIfES1_KPS1_EviiT3_lPKT2_lT1_lS9_lSA_lS6_lPT4_lSA_li
                                        ; -- End function
	.set _ZL20rocblas_gemvn_kernelILi32ELi16ElPK19rocblas_complex_numIfES1_KPS1_EviiT3_lPKT2_lT1_lS9_lSA_lS6_lPT4_lSA_li.num_vgpr, 104
	.set _ZL20rocblas_gemvn_kernelILi32ELi16ElPK19rocblas_complex_numIfES1_KPS1_EviiT3_lPKT2_lT1_lS9_lSA_lS6_lPT4_lSA_li.num_agpr, 0
	.set _ZL20rocblas_gemvn_kernelILi32ELi16ElPK19rocblas_complex_numIfES1_KPS1_EviiT3_lPKT2_lT1_lS9_lSA_lS6_lPT4_lSA_li.numbered_sgpr, 53
	.set _ZL20rocblas_gemvn_kernelILi32ELi16ElPK19rocblas_complex_numIfES1_KPS1_EviiT3_lPKT2_lT1_lS9_lSA_lS6_lPT4_lSA_li.num_named_barrier, 0
	.set _ZL20rocblas_gemvn_kernelILi32ELi16ElPK19rocblas_complex_numIfES1_KPS1_EviiT3_lPKT2_lT1_lS9_lSA_lS6_lPT4_lSA_li.private_seg_size, 0
	.set _ZL20rocblas_gemvn_kernelILi32ELi16ElPK19rocblas_complex_numIfES1_KPS1_EviiT3_lPKT2_lT1_lS9_lSA_lS6_lPT4_lSA_li.uses_vcc, 1
	.set _ZL20rocblas_gemvn_kernelILi32ELi16ElPK19rocblas_complex_numIfES1_KPS1_EviiT3_lPKT2_lT1_lS9_lSA_lS6_lPT4_lSA_li.uses_flat_scratch, 1
	.set _ZL20rocblas_gemvn_kernelILi32ELi16ElPK19rocblas_complex_numIfES1_KPS1_EviiT3_lPKT2_lT1_lS9_lSA_lS6_lPT4_lSA_li.has_dyn_sized_stack, 0
	.set _ZL20rocblas_gemvn_kernelILi32ELi16ElPK19rocblas_complex_numIfES1_KPS1_EviiT3_lPKT2_lT1_lS9_lSA_lS6_lPT4_lSA_li.has_recursion, 0
	.set _ZL20rocblas_gemvn_kernelILi32ELi16ElPK19rocblas_complex_numIfES1_KPS1_EviiT3_lPKT2_lT1_lS9_lSA_lS6_lPT4_lSA_li.has_indirect_call, 0
	.section	.AMDGPU.csdata,"",@progbits
; Kernel info:
; codeLenInByte = 4168
; TotalNumSgprs: 55
; NumVgprs: 104
; ScratchSize: 0
; MemoryBound: 0
; FloatMode: 240
; IeeeMode: 1
; LDSByteSize: 16384 bytes/workgroup (compile time only)
; SGPRBlocks: 0
; VGPRBlocks: 6
; NumSGPRsForWavesPerEU: 55
; NumVGPRsForWavesPerEU: 104
; NamedBarCnt: 0
; Occupancy: 9
; WaveLimiterHint : 1
; COMPUTE_PGM_RSRC2:SCRATCH_EN: 0
; COMPUTE_PGM_RSRC2:USER_SGPR: 2
; COMPUTE_PGM_RSRC2:TRAP_HANDLER: 0
; COMPUTE_PGM_RSRC2:TGID_X_EN: 1
; COMPUTE_PGM_RSRC2:TGID_Y_EN: 0
; COMPUTE_PGM_RSRC2:TGID_Z_EN: 1
; COMPUTE_PGM_RSRC2:TIDIG_COMP_CNT: 1
	.section	.text._ZL20rocblas_gemvn_kernelILi64ELi16EiPK19rocblas_complex_numIfES3_KPS1_EviiT3_lPKT2_lT1_lS9_lSA_lS6_lPT4_lSA_li,"axG",@progbits,_ZL20rocblas_gemvn_kernelILi64ELi16EiPK19rocblas_complex_numIfES3_KPS1_EviiT3_lPKT2_lT1_lS9_lSA_lS6_lPT4_lSA_li,comdat
	.globl	_ZL20rocblas_gemvn_kernelILi64ELi16EiPK19rocblas_complex_numIfES3_KPS1_EviiT3_lPKT2_lT1_lS9_lSA_lS6_lPT4_lSA_li ; -- Begin function _ZL20rocblas_gemvn_kernelILi64ELi16EiPK19rocblas_complex_numIfES3_KPS1_EviiT3_lPKT2_lT1_lS9_lSA_lS6_lPT4_lSA_li
	.p2align	8
	.type	_ZL20rocblas_gemvn_kernelILi64ELi16EiPK19rocblas_complex_numIfES3_KPS1_EviiT3_lPKT2_lT1_lS9_lSA_lS6_lPT4_lSA_li,@function
_ZL20rocblas_gemvn_kernelILi64ELi16EiPK19rocblas_complex_numIfES3_KPS1_EviiT3_lPKT2_lT1_lS9_lSA_lS6_lPT4_lSA_li: ; @_ZL20rocblas_gemvn_kernelILi64ELi16EiPK19rocblas_complex_numIfES3_KPS1_EviiT3_lPKT2_lT1_lS9_lSA_lS6_lPT4_lSA_li
; %bb.0:
	s_clause 0x1
	s_load_b64 s[4:5], s[0:1], 0x9c
	s_load_b32 s33, s[0:1], 0x88
	s_bfe_u32 s2, ttmp6, 0x40014
	s_lshr_b32 s3, ttmp7, 16
	s_add_co_i32 s2, s2, 1
	s_bfe_u32 s6, ttmp6, 0x40008
	s_mul_i32 s7, s3, s2
	s_getreg_b32 s2, hwreg(HW_REG_IB_STS2, 6, 4)
	s_add_co_i32 s6, s6, s7
	s_mov_b32 s29, 0
	s_wait_kmcnt 0x0
	s_lshr_b32 s7, s4, 16
	s_and_b32 s4, s4, 0xffff
	s_and_b32 s5, s5, 0xffff
	s_mul_i32 s4, s7, s4
	s_cmp_eq_u32 s2, 0
	s_mul_i32 s4, s4, s5
	s_cselect_b32 s28, s3, s6
	s_cmp_lg_u32 s4, 0x400
	s_cselect_b32 s3, -1, 0
	s_cmp_ge_u32 s28, s33
	s_cselect_b32 s4, -1, 0
	s_delay_alu instid0(SALU_CYCLE_1) | instskip(NEXT) | instid1(SALU_CYCLE_1)
	s_or_b32 s3, s3, s4
	s_and_b32 vcc_lo, exec_lo, s3
	s_cbranch_vccnz .LBB302_51
; %bb.1:
	s_clause 0x6
	s_load_b32 s4, s[0:1], 0x78
	s_load_b64 s[30:31], s[0:1], 0x0
	s_load_b256 s[8:15], s[0:1], 0x8
	s_load_b32 s36, s[0:1], 0x28
	s_load_b128 s[24:27], s[0:1], 0x38
	s_load_b32 s37, s[0:1], 0x48
	s_load_b256 s[16:23], s[0:1], 0x58
	s_wait_xcnt 0x0
	s_bfe_u32 s0, ttmp6, 0x4000c
	v_and_b32_e32 v6, 0x3ff, v0
	s_add_co_i32 s0, s0, 1
	v_bfe_u32 v7, v0, 10, 10
	s_and_b32 s1, ttmp6, 15
	s_mul_i32 s0, ttmp9, s0
	v_mov_b32_e32 v1, 0
	s_add_co_i32 s1, s1, s0
	v_lshl_add_u32 v5, v7, 6, v6
	v_lshlrev_b32_e32 v66, 2, v7
	s_wait_kmcnt 0x0
	s_ashr_i32 s5, s4, 31
	s_cmp_eq_u32 s2, 0
	s_mov_b32 s2, s30
	s_cselect_b32 s0, ttmp9, s1
	s_ashr_i32 s3, s30, 31
	s_lshl_b32 s38, s0, 8
	s_ashr_i32 s1, s31, 31
	v_dual_add_nc_u32 v0, s38, v5 :: v_dual_add_nc_u32 v67, s38, v6
	v_or_b32_e32 v8, s38, v5
	s_lshr_b32 s0, s1, 26
	v_mul_lo_u32 v11, v7, s36
	s_delay_alu instid0(VALU_DEP_3)
	v_cmp_gt_i64_e32 vcc_lo, s[2:3], v[0:1]
	v_add_nc_u32_e32 v4, 64, v67
	v_add_nc_u32_e32 v9, 0x80, v67
	v_mul_u64_e32 v[2:3], s[4:5], v[0:1]
	v_add_nc_u32_e32 v0, 0xc0, v67
	s_add_co_i32 s39, s31, s0
	v_cmp_gt_i32_e64 s2, s30, v4
	v_mul_lo_u32 v4, s4, v8
	v_cmp_gt_i32_e64 s3, s30, v9
	v_lshlrev_b32_e32 v9, 3, v6
	v_cmp_gt_i32_e64 s4, s30, v0
	v_cmp_gt_u32_e64 s5, 0x100, v5
	s_and_not1_b32 s39, s39, 63
	v_or_b32_e32 v10, 3, v66
	s_sub_co_i32 s6, s31, s39
	v_mad_u32 v71, s37, v66, s37
	s_cmp_gt_i32 s6, 0
	v_cmp_gt_i32_e64 s6, s30, v8
	v_ashrrev_i32_e32 v5, 31, v4
	v_lshl_add_u32 v0, v7, 11, v9
	v_lshl_add_u32 v68, v7, 9, v9
	v_mul_lo_u32 v7, v7, s37
	v_mul_lo_u32 v8, s36, v66
	v_or_b32_e32 v9, 2, v66
	v_mad_u32 v70, s36, v10, v6
	v_mul_lo_u32 v73, s37, v10
	v_cmp_gt_i32_e64 s0, s39, v66
	v_cmp_gt_i32_e64 s1, s30, v67
	v_lshl_add_u32 v75, v11, 2, v6
	s_cselect_b32 s40, -1, 0
	s_and_b32 s30, s5, vcc_lo
	s_lshl_b32 s41, s36, 6
	v_lshlrev_b32_e32 v76, 2, v7
	v_mad_u32 v69, s36, v9, v6
	v_mul_lo_u32 v72, s37, v9
	v_add3_u32 v74, v8, s36, v6
	s_lshl_b32 s42, s37, 6
	s_lshl_b64 s[14:15], s[14:15], 3
	s_lshl_b64 s[26:27], s[26:27], 3
	;; [unrolled: 1-line block ×3, first 2 shown]
	s_branch .LBB302_5
.LBB302_2:                              ;   in Loop: Header=BB302_5 Depth=1
	s_delay_alu instid0(VALU_DEP_1)
	v_mov_b32_e32 v11, v13
	flat_store_b64 v[8:9], v[10:11]
.LBB302_3:                              ;   in Loop: Header=BB302_5 Depth=1
	s_wait_xcnt 0x0
	s_or_b32 exec_lo, exec_lo, s43
.LBB302_4:                              ;   in Loop: Header=BB302_5 Depth=1
	s_add_co_i32 s28, s28, 0x10000
	s_delay_alu instid0(SALU_CYCLE_1)
	s_cmp_lt_u32 s28, s33
	s_cbranch_scc0 .LBB302_51
.LBB302_5:                              ; =>This Loop Header: Depth=1
                                        ;     Child Loop BB302_23 Depth 2
	s_mul_u64 s[34:35], s[10:11], s[28:29]
	s_delay_alu instid0(SALU_CYCLE_1) | instskip(NEXT) | instid1(SALU_CYCLE_1)
	s_lshl_b64 s[34:35], s[34:35], 3
	s_add_nc_u64 s[34:35], s[8:9], s[34:35]
	global_load_b64 v[8:9], v1, s[34:35]
	s_wait_xcnt 0x0
	s_mul_u64 s[34:35], s[18:19], s[28:29]
	s_delay_alu instid0(SALU_CYCLE_1) | instskip(NEXT) | instid1(SALU_CYCLE_1)
	s_lshl_b64 s[34:35], s[34:35], 3
	s_add_nc_u64 s[34:35], s[16:17], s[34:35]
	global_load_b64 v[6:7], v1, s[34:35]
	s_wait_loadcnt 0x1
	s_wait_xcnt 0x0
	v_readfirstlane_b32 s34, v8
	v_readfirstlane_b32 s35, v9
	s_cmp_eq_f32 s34, 0
	s_wait_loadcnt 0x0
	v_cmp_eq_f32_e32 vcc_lo, 1.0, v6
	v_cmp_eq_f32_e64 s7, 0, v7
	s_cselect_b32 s43, -1, 0
	s_cmp_eq_f32 s35, 0
	s_cselect_b32 s44, -1, 0
	s_and_b32 s7, vcc_lo, s7
	s_and_b32 s43, s43, s44
	s_delay_alu instid0(SALU_CYCLE_1) | instskip(NEXT) | instid1(SALU_CYCLE_1)
	s_and_b32 s7, s43, s7
	s_and_b32 vcc_lo, exec_lo, s7
	s_cbranch_vccnz .LBB302_4
; %bb.6:                                ;   in Loop: Header=BB302_5 Depth=1
	s_or_b32 s7, s34, s35
	v_mov_b64_e32 v[20:21], 0
	s_bitset0_b32 s7, 31
	v_mov_b64_e32 v[18:19], 0
	s_cmp_lg_u32 s7, 0
	s_cselect_b32 s43, -1, 0
	s_cmp_eq_u32 s7, 0
	s_cselect_b32 s7, -1, 0
	s_delay_alu instid0(SALU_CYCLE_1)
	s_and_b32 vcc_lo, exec_lo, s7
	s_cbranch_vccnz .LBB302_8
; %bb.7:                                ;   in Loop: Header=BB302_5 Depth=1
	s_lshl_b64 s[44:45], s[28:29], 3
	s_delay_alu instid0(SALU_CYCLE_1)
	s_add_nc_u64 s[44:45], s[12:13], s[44:45]
	global_load_b64 v[8:9], v1, s[44:45]
	s_wait_loadcnt 0x0
	v_add_nc_u64_e32 v[18:19], s[14:15], v[8:9]
.LBB302_8:                              ;   in Loop: Header=BB302_5 Depth=1
	s_and_not1_b32 vcc_lo, exec_lo, s43
	s_cbranch_vccnz .LBB302_10
; %bb.9:                                ;   in Loop: Header=BB302_5 Depth=1
	s_wait_xcnt 0x0
	s_lshl_b64 s[44:45], s[28:29], 3
	s_delay_alu instid0(SALU_CYCLE_1)
	s_add_nc_u64 s[44:45], s[24:25], s[44:45]
	global_load_b64 v[8:9], v1, s[44:45]
	s_wait_loadcnt 0x0
	v_add_nc_u64_e32 v[20:21], s[26:27], v[8:9]
.LBB302_10:                             ;   in Loop: Header=BB302_5 Depth=1
	s_wait_xcnt 0x0
	s_lshl_b64 s[44:45], s[28:29], 3
	s_and_not1_b32 vcc_lo, exec_lo, s7
	s_add_nc_u64 s[44:45], s[20:21], s[44:45]
	s_mov_b32 s7, -1
	global_load_b64 v[8:9], v1, s[44:45]
	s_wait_loadcnt 0x0
	v_add_nc_u64_e32 v[8:9], s[22:23], v[8:9]
	s_cbranch_vccnz .LBB302_16
; %bb.11:                               ;   in Loop: Header=BB302_5 Depth=1
	s_wait_xcnt 0x0
	s_and_saveexec_b32 s43, s30
	s_cbranch_execz .LBB302_15
; %bb.12:                               ;   in Loop: Header=BB302_5 Depth=1
	v_cmp_neq_f32_e32 vcc_lo, 0, v6
	v_cmp_neq_f32_e64 s7, 0, v7
	v_dual_mov_b32 v12, 0 :: v_dual_mov_b32 v13, 0
	v_lshl_add_u64 v[10:11], v[2:3], 3, v[8:9]
	s_or_b32 s7, vcc_lo, s7
	s_delay_alu instid0(SALU_CYCLE_1)
	s_and_not1_b32 vcc_lo, exec_lo, s7
	s_cbranch_vccnz .LBB302_14
; %bb.13:                               ;   in Loop: Header=BB302_5 Depth=1
	flat_load_b64 v[12:13], v[10:11]
	s_wait_loadcnt_dscnt 0x0
	v_pk_mul_f32 v[14:15], v[6:7], v[12:13] op_sel:[1,1] op_sel_hi:[0,1]
	s_delay_alu instid0(VALU_DEP_1) | instskip(SKIP_1) | instid1(VALU_DEP_2)
	v_pk_fma_f32 v[16:17], v[6:7], v[12:13], v[14:15] op_sel_hi:[1,0,1]
	v_pk_fma_f32 v[12:13], v[6:7], v[12:13], v[14:15] neg_lo:[0,0,1] neg_hi:[0,0,1]
	v_mov_b32_e32 v13, v17
.LBB302_14:                             ;   in Loop: Header=BB302_5 Depth=1
	flat_store_b64 v[10:11], v[12:13]
.LBB302_15:                             ;   in Loop: Header=BB302_5 Depth=1
	s_wait_xcnt 0x0
	s_or_b32 exec_lo, exec_lo, s43
	s_mov_b32 s7, 0
.LBB302_16:                             ;   in Loop: Header=BB302_5 Depth=1
	s_delay_alu instid0(SALU_CYCLE_1)
	s_and_not1_b32 vcc_lo, exec_lo, s7
	s_cbranch_vccnz .LBB302_4
; %bb.17:                               ;   in Loop: Header=BB302_5 Depth=1
	v_mov_b64_e32 v[12:13], 0
	v_mov_b64_e32 v[14:15], 0
	;; [unrolled: 1-line block ×4, first 2 shown]
	v_mov_b32_e32 v77, v66
	s_wait_xcnt 0x0
	s_and_saveexec_b32 s7, s0
	s_cbranch_execz .LBB302_29
; %bb.18:                               ;   in Loop: Header=BB302_5 Depth=1
	v_mov_b64_e32 v[10:11], 0
	v_mov_b64_e32 v[16:17], 0
	;; [unrolled: 1-line block ×4, first 2 shown]
	v_dual_mov_b32 v78, v75 :: v_dual_mov_b32 v79, v70
	v_dual_mov_b32 v80, v69 :: v_dual_mov_b32 v81, v74
	v_mov_b32_e32 v77, v66
	s_mov_b32 s43, 0
	s_mov_b32 s44, 0
	s_branch .LBB302_23
.LBB302_19:                             ;   in Loop: Header=BB302_23 Depth=2
	s_or_b32 exec_lo, exec_lo, s48
	s_wait_loadcnt_dscnt 0x303
	v_dual_mul_f32 v58, v33, v57 :: v_dual_mul_f32 v59, v32, v57
	s_wait_loadcnt_dscnt 0x202
	v_dual_mul_f32 v62, v31, v55 :: v_dual_mul_f32 v57, v30, v55
	s_wait_loadcnt_dscnt 0x101
	v_pk_mul_f32 v[60:61], v[48:49], v[52:53] op_sel:[0,1]
	v_dual_fma_f32 v58, v32, v56, -v58 :: v_dual_fmac_f32 v59, v33, v56
	s_delay_alu instid0(VALU_DEP_3) | instskip(NEXT) | instid1(VALU_DEP_3)
	v_dual_fma_f32 v56, v30, v54, -v62 :: v_dual_fmac_f32 v57, v31, v54
	v_pk_fma_f32 v[54:55], v[24:25], v[52:53], v[60:61] op_sel_hi:[1,0,1]
	v_pk_fma_f32 v[52:53], v[24:25], v[52:53], v[60:61] neg_lo:[0,0,1] neg_hi:[0,0,1]
	s_delay_alu instid0(VALU_DEP_4) | instskip(SKIP_3) | instid1(VALU_DEP_3)
	v_pk_add_f32 v[14:15], v[14:15], v[58:59]
	s_wait_loadcnt_dscnt 0x0
	v_pk_mul_f32 v[58:59], v[42:43], v[50:51] op_sel:[0,1]
	v_mov_b32_e32 v53, v55
	v_pk_add_f32 v[14:15], v[56:57], v[14:15]
	s_delay_alu instid0(VALU_DEP_3) | instskip(SKIP_1) | instid1(VALU_DEP_2)
	v_pk_fma_f32 v[54:55], v[22:23], v[50:51], v[58:59] op_sel_hi:[1,0,1]
	v_pk_fma_f32 v[50:51], v[22:23], v[50:51], v[58:59] neg_lo:[0,0,1] neg_hi:[0,0,1]
	v_mov_b32_e32 v51, v55
	s_delay_alu instid0(VALU_DEP_4) | instskip(NEXT) | instid1(VALU_DEP_1)
	v_pk_add_f32 v[14:15], v[52:53], v[14:15]
	v_pk_add_f32 v[14:15], v[50:51], v[14:15]
.LBB302_20:                             ;   in Loop: Header=BB302_23 Depth=2
	s_or_b32 exec_lo, exec_lo, s47
	s_wait_loadcnt_dscnt 0x303
	v_dual_mul_f32 v50, v33, v47 :: v_dual_mul_f32 v51, v32, v47
	s_wait_loadcnt_dscnt 0x202
	v_dual_mul_f32 v52, v31, v45 :: v_dual_mul_f32 v47, v30, v45
	s_wait_loadcnt_dscnt 0x101
	v_pk_mul_f32 v[48:49], v[48:49], v[40:41] op_sel:[0,1]
	v_dual_fma_f32 v50, v32, v46, -v50 :: v_dual_fmac_f32 v51, v33, v46
	s_delay_alu instid0(VALU_DEP_3) | instskip(NEXT) | instid1(VALU_DEP_3)
	v_dual_fma_f32 v46, v30, v44, -v52 :: v_dual_fmac_f32 v47, v31, v44
	v_pk_fma_f32 v[44:45], v[24:25], v[40:41], v[48:49] op_sel_hi:[1,0,1]
	s_wait_loadcnt_dscnt 0x0
	v_pk_mul_f32 v[42:43], v[42:43], v[38:39] op_sel:[0,1]
	v_pk_add_f32 v[16:17], v[16:17], v[50:51]
	v_pk_fma_f32 v[40:41], v[24:25], v[40:41], v[48:49] neg_lo:[0,0,1] neg_hi:[0,0,1]
	v_mov_b32_e32 v41, v45
	s_delay_alu instid0(VALU_DEP_4) | instskip(NEXT) | instid1(VALU_DEP_4)
	v_pk_fma_f32 v[44:45], v[22:23], v[38:39], v[42:43] op_sel_hi:[1,0,1]
	v_pk_add_f32 v[16:17], v[46:47], v[16:17]
	v_pk_fma_f32 v[38:39], v[22:23], v[38:39], v[42:43] neg_lo:[0,0,1] neg_hi:[0,0,1]
	s_delay_alu instid0(VALU_DEP_3) | instskip(NEXT) | instid1(VALU_DEP_3)
	v_mov_b32_e32 v39, v45
	v_pk_add_f32 v[16:17], v[40:41], v[16:17]
	s_delay_alu instid0(VALU_DEP_1)
	v_pk_add_f32 v[16:17], v[38:39], v[16:17]
.LBB302_21:                             ;   in Loop: Header=BB302_23 Depth=2
	s_or_b32 exec_lo, exec_lo, s46
	s_wait_loadcnt_dscnt 0x303
	v_dual_mul_f32 v38, v33, v37 :: v_dual_mul_f32 v39, v32, v37
	s_wait_loadcnt_dscnt 0x202
	v_dual_mul_f32 v42, v31, v35 :: v_dual_mul_f32 v37, v30, v35
	s_wait_loadcnt_dscnt 0x101
	v_pk_mul_f32 v[40:41], v[24:25], v[28:29] op_sel:[1,1] op_sel_hi:[0,1]
	v_dual_fma_f32 v38, v32, v36, -v38 :: v_dual_fmac_f32 v39, v33, v36
	s_delay_alu instid0(VALU_DEP_3) | instskip(NEXT) | instid1(VALU_DEP_3)
	v_dual_fma_f32 v36, v30, v34, -v42 :: v_dual_fmac_f32 v37, v31, v34
	v_pk_fma_f32 v[30:31], v[24:25], v[28:29], v[40:41] op_sel_hi:[1,0,1]
	s_wait_loadcnt_dscnt 0x0
	v_pk_mul_f32 v[32:33], v[22:23], v[26:27] op_sel:[1,1] op_sel_hi:[0,1]
	v_pk_add_f32 v[10:11], v[10:11], v[38:39]
	v_pk_fma_f32 v[24:25], v[24:25], v[28:29], v[40:41] neg_lo:[0,0,1] neg_hi:[0,0,1]
	s_delay_alu instid0(VALU_DEP_3) | instskip(SKIP_1) | instid1(VALU_DEP_4)
	v_pk_fma_f32 v[28:29], v[22:23], v[26:27], v[32:33] op_sel_hi:[1,0,1]
	v_mov_b32_e32 v25, v31
	v_pk_add_f32 v[10:11], v[36:37], v[10:11]
	v_pk_fma_f32 v[22:23], v[22:23], v[26:27], v[32:33] neg_lo:[0,0,1] neg_hi:[0,0,1]
	s_delay_alu instid0(VALU_DEP_4) | instskip(NEXT) | instid1(VALU_DEP_3)
	v_mov_b32_e32 v23, v29
	v_pk_add_f32 v[10:11], v[24:25], v[10:11]
	s_delay_alu instid0(VALU_DEP_1)
	v_pk_add_f32 v[10:11], v[22:23], v[10:11]
.LBB302_22:                             ;   in Loop: Header=BB302_23 Depth=2
	s_or_b32 exec_lo, exec_lo, s45
	v_dual_add_nc_u32 v77, 64, v77 :: v_dual_add_nc_u32 v80, s41, v80
	v_dual_add_nc_u32 v81, s41, v81 :: v_dual_add_nc_u32 v79, s41, v79
	v_add_nc_u32_e32 v78, s41, v78
	s_delay_alu instid0(VALU_DEP_3) | instskip(SKIP_2) | instid1(SALU_CYCLE_1)
	v_cmp_le_i32_e32 vcc_lo, s39, v77
	s_add_co_i32 s44, s44, s42
	s_or_b32 s43, vcc_lo, s43
	s_and_not1_b32 exec_lo, exec_lo, s43
	s_cbranch_execz .LBB302_28
.LBB302_23:                             ;   Parent Loop BB302_5 Depth=1
                                        ; =>  This Inner Loop Header: Depth=2
	s_and_saveexec_b32 s45, s1
	s_cbranch_execz .LBB302_22
; %bb.24:                               ;   in Loop: Header=BB302_23 Depth=2
	v_dual_add_nc_u32 v39, s44, v76 :: v_dual_add_nc_u32 v41, s44, v71
	v_readfirstlane_b32 s46, v20
	v_readfirstlane_b32 s47, v21
	v_dual_add_nc_u32 v43, s44, v72 :: v_dual_add_nc_u32 v45, s44, v73
	v_dual_add_nc_u32 v38, s38, v78 :: v_dual_add_nc_u32 v40, s38, v81
	v_readfirstlane_b32 s48, v18
	v_readfirstlane_b32 s49, v19
	v_dual_add_nc_u32 v44, s38, v80 :: v_dual_add_nc_u32 v42, s38, v79
	s_clause 0x3
	flat_load_b64 v[32:33], v39, s[46:47] scale_offset
	flat_load_b64 v[30:31], v41, s[46:47] scale_offset
	;; [unrolled: 1-line block ×4, first 2 shown]
	s_clause 0x3
	flat_load_b64 v[36:37], v38, s[48:49] scale_offset
	flat_load_b64 v[34:35], v40, s[48:49] scale_offset
	;; [unrolled: 1-line block ×4, first 2 shown]
	s_wait_xcnt 0x0
	s_and_saveexec_b32 s46, s2
	s_cbranch_execz .LBB302_21
; %bb.25:                               ;   in Loop: Header=BB302_23 Depth=2
	v_dual_ashrrev_i32 v39, 31, v38 :: v_dual_ashrrev_i32 v41, 31, v40
	v_dual_ashrrev_i32 v45, 31, v44 :: v_dual_ashrrev_i32 v43, 31, v42
	s_wait_loadcnt_dscnt 0x505
	v_dual_mov_b32 v48, v25 :: v_dual_mov_b32 v49, v24
	s_delay_alu instid0(VALU_DEP_3)
	v_lshl_add_u64 v[64:65], v[38:39], 3, v[18:19]
	v_lshl_add_u64 v[62:63], v[40:41], 3, v[18:19]
	;; [unrolled: 1-line block ×4, first 2 shown]
	s_clause 0x3
	flat_load_b64 v[46:47], v[64:65] offset:512
	flat_load_b64 v[44:45], v[62:63] offset:512
	;; [unrolled: 1-line block ×4, first 2 shown]
	s_wait_loadcnt_dscnt 0x808
	v_dual_mov_b32 v42, v23 :: v_dual_mov_b32 v43, v22
	s_wait_xcnt 0x0
	s_and_saveexec_b32 s47, s3
	s_cbranch_execz .LBB302_20
; %bb.26:                               ;   in Loop: Header=BB302_23 Depth=2
	s_clause 0x3
	flat_load_b64 v[56:57], v[64:65] offset:1024
	flat_load_b64 v[54:55], v[62:63] offset:1024
	;; [unrolled: 1-line block ×4, first 2 shown]
	s_wait_xcnt 0x0
	s_and_saveexec_b32 s48, s4
	s_cbranch_execz .LBB302_19
; %bb.27:                               ;   in Loop: Header=BB302_23 Depth=2
	s_clause 0x3
	flat_load_b64 v[64:65], v[64:65] offset:1536
	flat_load_b64 v[62:63], v[62:63] offset:1536
	;; [unrolled: 1-line block ×4, first 2 shown]
	s_wait_loadcnt_dscnt 0x303
	v_dual_mul_f32 v82, v33, v65 :: v_dual_mul_f32 v83, v32, v65
	s_wait_loadcnt_dscnt 0x202
	s_wait_xcnt 0x3
	v_dual_mul_f32 v86, v31, v63 :: v_dual_mul_f32 v65, v30, v63
	s_wait_loadcnt_dscnt 0x101
	v_pk_mul_f32 v[84:85], v[48:49], v[58:59] op_sel:[0,1]
	v_dual_fma_f32 v82, v32, v64, -v82 :: v_dual_fmac_f32 v83, v33, v64
	s_delay_alu instid0(VALU_DEP_3) | instskip(SKIP_1) | instid1(VALU_DEP_3)
	v_dual_fma_f32 v64, v30, v62, -v86 :: v_dual_fmac_f32 v65, v31, v62
	s_wait_xcnt 0x2
	v_pk_fma_f32 v[62:63], v[24:25], v[58:59], v[84:85] op_sel_hi:[1,0,1]
	s_wait_xcnt 0x1
	v_pk_fma_f32 v[58:59], v[24:25], v[58:59], v[84:85] neg_lo:[0,0,1] neg_hi:[0,0,1]
	v_pk_add_f32 v[12:13], v[12:13], v[82:83]
	s_wait_loadcnt_dscnt 0x0
	v_pk_mul_f32 v[82:83], v[42:43], v[60:61] op_sel:[0,1]
	v_mov_b32_e32 v59, v63
	s_delay_alu instid0(VALU_DEP_3) | instskip(NEXT) | instid1(VALU_DEP_3)
	v_pk_add_f32 v[12:13], v[64:65], v[12:13]
	v_pk_fma_f32 v[62:63], v[22:23], v[60:61], v[82:83] op_sel_hi:[1,0,1]
	s_wait_xcnt 0x0
	v_pk_fma_f32 v[60:61], v[22:23], v[60:61], v[82:83] neg_lo:[0,0,1] neg_hi:[0,0,1]
	s_delay_alu instid0(VALU_DEP_2) | instskip(SKIP_1) | instid1(VALU_DEP_1)
	v_mov_b32_e32 v61, v63
	v_pk_add_f32 v[12:13], v[58:59], v[12:13]
	v_pk_add_f32 v[12:13], v[60:61], v[12:13]
	s_branch .LBB302_19
.LBB302_28:                             ;   in Loop: Header=BB302_5 Depth=1
	s_or_b32 exec_lo, exec_lo, s43
.LBB302_29:                             ;   in Loop: Header=BB302_5 Depth=1
	s_delay_alu instid0(SALU_CYCLE_1) | instskip(NEXT) | instid1(SALU_CYCLE_1)
	s_or_b32 exec_lo, exec_lo, s7
	s_and_not1_b32 vcc_lo, exec_lo, s40
	s_cbranch_vccnz .LBB302_47
; %bb.30:                               ;   in Loop: Header=BB302_5 Depth=1
	v_dual_mov_b32 v28, 0 :: v_dual_bitop2_b32 v30, 1, v77 bitop3:0x54
	v_cmp_gt_i32_e32 vcc_lo, s31, v77
	s_delay_alu instid0(VALU_DEP_2)
	v_dual_mov_b32 v29, v28 :: v_dual_mov_b32 v26, v28
	v_dual_mov_b32 v27, v28 :: v_dual_mov_b32 v24, v28
	;; [unrolled: 1-line block ×3, first 2 shown]
	v_mov_b32_e32 v23, v28
	s_and_saveexec_b32 s43, vcc_lo
	s_cbranch_execz .LBB302_38
; %bb.31:                               ;   in Loop: Header=BB302_5 Depth=1
	v_mul_lo_u32 v22, v77, s37
	v_readfirstlane_b32 s44, v20
	v_readfirstlane_b32 s45, v21
	v_dual_mov_b32 v25, 0 :: v_dual_mov_b32 v24, 0
	v_dual_mov_b32 v27, 0 :: v_dual_mov_b32 v26, 0
	;; [unrolled: 1-line block ×3, first 2 shown]
	flat_load_b64 v[22:23], v22, s[44:45] scale_offset
	s_wait_xcnt 0x0
	s_mov_b32 s44, exec_lo
	v_cmpx_gt_i32_e64 s31, v30
	s_cbranch_execz .LBB302_37
; %bb.32:                               ;   in Loop: Header=BB302_5 Depth=1
	v_mul_lo_u32 v24, v30, s37
	v_readfirstlane_b32 s46, v20
	v_readfirstlane_b32 s47, v21
	v_dual_mov_b32 v27, 0 :: v_dual_bitop2_b32 v31, 2, v77 bitop3:0x54
	v_dual_mov_b32 v26, 0 :: v_dual_mov_b32 v29, 0
	v_mov_b32_e32 v28, 0
	s_mov_b32 s45, exec_lo
	flat_load_b64 v[24:25], v24, s[46:47] scale_offset
	s_wait_xcnt 0x0
	v_cmpx_gt_i32_e64 s31, v31
	s_cbranch_execz .LBB302_36
; %bb.33:                               ;   in Loop: Header=BB302_5 Depth=1
	v_mul_lo_u32 v26, v31, s37
	v_readfirstlane_b32 s46, v20
	v_readfirstlane_b32 s47, v21
	v_dual_mov_b32 v29, 0 :: v_dual_bitop2_b32 v31, 3, v77 bitop3:0x54
	v_mov_b32_e32 v28, 0
	flat_load_b64 v[26:27], v26, s[46:47] scale_offset
	s_wait_xcnt 0x0
	s_mov_b32 s46, exec_lo
	v_cmpx_gt_i32_e64 s31, v31
	s_cbranch_execz .LBB302_35
; %bb.34:                               ;   in Loop: Header=BB302_5 Depth=1
	v_mul_lo_u32 v28, v31, s37
	v_readfirstlane_b32 s48, v20
	v_readfirstlane_b32 s49, v21
	flat_load_b64 v[28:29], v28, s[48:49] scale_offset
.LBB302_35:                             ;   in Loop: Header=BB302_5 Depth=1
	s_wait_xcnt 0x0
	s_or_b32 exec_lo, exec_lo, s46
.LBB302_36:                             ;   in Loop: Header=BB302_5 Depth=1
	s_delay_alu instid0(SALU_CYCLE_1)
	s_or_b32 exec_lo, exec_lo, s45
.LBB302_37:                             ;   in Loop: Header=BB302_5 Depth=1
	s_delay_alu instid0(SALU_CYCLE_1)
	s_or_b32 exec_lo, exec_lo, s44
.LBB302_38:                             ;   in Loop: Header=BB302_5 Depth=1
	s_delay_alu instid0(SALU_CYCLE_1)
	s_or_b32 exec_lo, exec_lo, s43
	s_and_saveexec_b32 s7, s1
	s_cbranch_execz .LBB302_46
; %bb.39:                               ;   in Loop: Header=BB302_5 Depth=1
	v_mul_lo_u32 v21, v77, s36
	v_mul_lo_u32 v32, v30, s36
	v_readfirstlane_b32 s44, v18
	v_readfirstlane_b32 s45, v19
	s_wait_loadcnt_dscnt 0x0
	v_dual_mov_b32 v42, v23 :: v_dual_mov_b32 v43, v22
	v_dual_mov_b32 v40, v25 :: v_dual_mov_b32 v41, v24
	;; [unrolled: 1-line block ×4, first 2 shown]
	v_cndmask_b32_e32 v21, 0, v21, vcc_lo
	v_cmp_gt_i32_e32 vcc_lo, s31, v30
	v_or_b32_e32 v20, 2, v77
	s_delay_alu instid0(VALU_DEP_3) | instskip(SKIP_1) | instid1(VALU_DEP_3)
	v_dual_add_nc_u32 v46, v21, v67 :: v_dual_bitop2_b32 v31, 3, v77 bitop3:0x54
	v_cndmask_b32_e32 v30, 0, v32, vcc_lo
	v_mul_lo_u32 v33, v20, s36
	s_delay_alu instid0(VALU_DEP_3) | instskip(SKIP_1) | instid1(VALU_DEP_3)
	v_mul_lo_u32 v34, v31, s36
	v_cmp_gt_i32_e32 vcc_lo, s31, v20
	v_dual_add_nc_u32 v48, v30, v67 :: v_dual_cndmask_b32 v20, 0, v33, vcc_lo
	v_cmp_gt_i32_e32 vcc_lo, s31, v31
	s_delay_alu instid0(VALU_DEP_2) | instskip(NEXT) | instid1(VALU_DEP_1)
	v_dual_cndmask_b32 v31, 0, v34 :: v_dual_add_nc_u32 v50, v20, v67
	v_add_nc_u32_e32 v44, v31, v67
	s_clause 0x3
	flat_load_b64 v[34:35], v46, s[44:45] scale_offset
	flat_load_b64 v[32:33], v48, s[44:45] scale_offset
	;; [unrolled: 1-line block ×4, first 2 shown]
	s_wait_xcnt 0x0
	s_and_saveexec_b32 s43, s2
	s_cbranch_execz .LBB302_45
; %bb.40:                               ;   in Loop: Header=BB302_5 Depth=1
	v_dual_ashrrev_i32 v47, 31, v46 :: v_dual_ashrrev_i32 v49, 31, v48
	v_dual_ashrrev_i32 v51, 31, v50 :: v_dual_ashrrev_i32 v45, 31, v44
	s_delay_alu instid0(VALU_DEP_2) | instskip(NEXT) | instid1(VALU_DEP_3)
	v_lshl_add_u64 v[58:59], v[46:47], 3, v[18:19]
	v_lshl_add_u64 v[60:61], v[48:49], 3, v[18:19]
	s_delay_alu instid0(VALU_DEP_3) | instskip(NEXT) | instid1(VALU_DEP_4)
	v_lshl_add_u64 v[62:63], v[50:51], 3, v[18:19]
	v_lshl_add_u64 v[64:65], v[44:45], 3, v[18:19]
	s_clause 0x3
	flat_load_b64 v[48:49], v[58:59] offset:512
	flat_load_b64 v[46:47], v[60:61] offset:512
	;; [unrolled: 1-line block ×4, first 2 shown]
	s_wait_xcnt 0x0
	s_and_saveexec_b32 s44, s3
	s_cbranch_execz .LBB302_44
; %bb.41:                               ;   in Loop: Header=BB302_5 Depth=1
	s_clause 0x3
	flat_load_b64 v[56:57], v[58:59] offset:1024
	flat_load_b64 v[54:55], v[60:61] offset:1024
	;; [unrolled: 1-line block ×4, first 2 shown]
	s_wait_xcnt 0x0
	s_and_saveexec_b32 s45, s4
	s_cbranch_execz .LBB302_43
; %bb.42:                               ;   in Loop: Header=BB302_5 Depth=1
	s_clause 0x3
	flat_load_b64 v[58:59], v[58:59] offset:1536
	flat_load_b64 v[60:61], v[60:61] offset:1536
	;; [unrolled: 1-line block ×4, first 2 shown]
	s_wait_loadcnt_dscnt 0x303
	v_pk_mul_f32 v[78:79], v[42:43], v[58:59] op_sel:[0,1]
	s_wait_loadcnt_dscnt 0x202
	v_pk_mul_f32 v[80:81], v[40:41], v[60:61] op_sel:[0,1]
	;; [unrolled: 2-line block ×3, first 2 shown]
	v_pk_fma_f32 v[82:83], v[22:23], v[58:59], v[78:79] op_sel_hi:[1,0,1]
	s_wait_xcnt 0x3
	v_pk_fma_f32 v[58:59], v[22:23], v[58:59], v[78:79] neg_lo:[0,0,1] neg_hi:[0,0,1]
	v_pk_fma_f32 v[78:79], v[24:25], v[60:61], v[80:81] op_sel_hi:[1,0,1]
	s_wait_xcnt 0x2
	v_pk_fma_f32 v[60:61], v[24:25], v[60:61], v[80:81] neg_lo:[0,0,1] neg_hi:[0,0,1]
	v_pk_fma_f32 v[80:81], v[26:27], v[62:63], v[84:85] op_sel_hi:[1,0,1]
	v_mov_b32_e32 v59, v83
	s_wait_xcnt 0x1
	v_pk_fma_f32 v[62:63], v[26:27], v[62:63], v[84:85] neg_lo:[0,0,1] neg_hi:[0,0,1]
	v_mov_b32_e32 v61, v79
	s_delay_alu instid0(VALU_DEP_3) | instskip(SKIP_2) | instid1(VALU_DEP_2)
	v_pk_add_f32 v[12:13], v[12:13], v[58:59]
	s_wait_loadcnt_dscnt 0x0
	v_pk_mul_f32 v[58:59], v[36:37], v[64:65] op_sel:[0,1]
	v_pk_add_f32 v[12:13], v[60:61], v[12:13]
	s_delay_alu instid0(VALU_DEP_2) | instskip(SKIP_2) | instid1(VALU_DEP_3)
	v_pk_fma_f32 v[60:61], v[28:29], v[64:65], v[58:59] op_sel_hi:[1,0,1]
	v_mov_b32_e32 v63, v81
	v_pk_fma_f32 v[58:59], v[28:29], v[64:65], v[58:59] neg_lo:[0,0,1] neg_hi:[0,0,1]
	v_mov_b32_e32 v59, v61
	s_delay_alu instid0(VALU_DEP_3) | instskip(NEXT) | instid1(VALU_DEP_1)
	v_pk_add_f32 v[12:13], v[62:63], v[12:13]
	v_pk_add_f32 v[12:13], v[58:59], v[12:13]
.LBB302_43:                             ;   in Loop: Header=BB302_5 Depth=1
	s_wait_xcnt 0x0
	s_or_b32 exec_lo, exec_lo, s45
	s_wait_loadcnt_dscnt 0x303
	v_pk_mul_f32 v[58:59], v[42:43], v[56:57] op_sel:[0,1]
	s_wait_loadcnt_dscnt 0x202
	v_pk_mul_f32 v[60:61], v[40:41], v[54:55] op_sel:[0,1]
	;; [unrolled: 2-line block ×3, first 2 shown]
	v_pk_fma_f32 v[62:63], v[22:23], v[56:57], v[58:59] op_sel_hi:[1,0,1]
	v_pk_fma_f32 v[56:57], v[22:23], v[56:57], v[58:59] neg_lo:[0,0,1] neg_hi:[0,0,1]
	v_pk_fma_f32 v[58:59], v[24:25], v[54:55], v[60:61] op_sel_hi:[1,0,1]
	v_pk_fma_f32 v[54:55], v[24:25], v[54:55], v[60:61] neg_lo:[0,0,1] neg_hi:[0,0,1]
	v_pk_fma_f32 v[60:61], v[26:27], v[52:53], v[64:65] op_sel_hi:[1,0,1]
	v_mov_b32_e32 v57, v63
	v_pk_fma_f32 v[52:53], v[26:27], v[52:53], v[64:65] neg_lo:[0,0,1] neg_hi:[0,0,1]
	v_mov_b32_e32 v55, v59
	s_delay_alu instid0(VALU_DEP_3) | instskip(SKIP_2) | instid1(VALU_DEP_2)
	v_pk_add_f32 v[14:15], v[14:15], v[56:57]
	s_wait_loadcnt_dscnt 0x0
	v_pk_mul_f32 v[56:57], v[36:37], v[50:51] op_sel:[0,1]
	v_pk_add_f32 v[14:15], v[54:55], v[14:15]
	s_delay_alu instid0(VALU_DEP_2) | instskip(SKIP_2) | instid1(VALU_DEP_3)
	v_pk_fma_f32 v[54:55], v[28:29], v[50:51], v[56:57] op_sel_hi:[1,0,1]
	v_mov_b32_e32 v53, v61
	v_pk_fma_f32 v[50:51], v[28:29], v[50:51], v[56:57] neg_lo:[0,0,1] neg_hi:[0,0,1]
	v_mov_b32_e32 v51, v55
	s_delay_alu instid0(VALU_DEP_3) | instskip(NEXT) | instid1(VALU_DEP_1)
	v_pk_add_f32 v[14:15], v[52:53], v[14:15]
	v_pk_add_f32 v[14:15], v[50:51], v[14:15]
.LBB302_44:                             ;   in Loop: Header=BB302_5 Depth=1
	s_or_b32 exec_lo, exec_lo, s44
	s_wait_loadcnt_dscnt 0x303
	v_pk_mul_f32 v[50:51], v[42:43], v[48:49] op_sel:[0,1]
	s_wait_loadcnt_dscnt 0x202
	v_pk_mul_f32 v[52:53], v[40:41], v[46:47] op_sel:[0,1]
	;; [unrolled: 2-line block ×3, first 2 shown]
	v_pk_fma_f32 v[54:55], v[22:23], v[48:49], v[50:51] op_sel_hi:[1,0,1]
	v_pk_fma_f32 v[48:49], v[22:23], v[48:49], v[50:51] neg_lo:[0,0,1] neg_hi:[0,0,1]
	v_pk_fma_f32 v[50:51], v[24:25], v[46:47], v[52:53] op_sel_hi:[1,0,1]
	v_pk_fma_f32 v[46:47], v[24:25], v[46:47], v[52:53] neg_lo:[0,0,1] neg_hi:[0,0,1]
	v_pk_fma_f32 v[52:53], v[26:27], v[44:45], v[56:57] op_sel_hi:[1,0,1]
	v_mov_b32_e32 v49, v55
	v_pk_fma_f32 v[44:45], v[26:27], v[44:45], v[56:57] neg_lo:[0,0,1] neg_hi:[0,0,1]
	v_mov_b32_e32 v47, v51
	s_delay_alu instid0(VALU_DEP_3) | instskip(SKIP_2) | instid1(VALU_DEP_2)
	v_pk_add_f32 v[16:17], v[16:17], v[48:49]
	s_wait_loadcnt_dscnt 0x0
	v_pk_mul_f32 v[48:49], v[36:37], v[18:19] op_sel:[0,1]
	v_pk_add_f32 v[16:17], v[46:47], v[16:17]
	s_delay_alu instid0(VALU_DEP_2) | instskip(SKIP_2) | instid1(VALU_DEP_3)
	v_pk_fma_f32 v[46:47], v[28:29], v[18:19], v[48:49] op_sel_hi:[1,0,1]
	v_mov_b32_e32 v45, v53
	v_pk_fma_f32 v[18:19], v[28:29], v[18:19], v[48:49] neg_lo:[0,0,1] neg_hi:[0,0,1]
	v_mov_b32_e32 v19, v47
	s_delay_alu instid0(VALU_DEP_3) | instskip(NEXT) | instid1(VALU_DEP_1)
	v_pk_add_f32 v[16:17], v[44:45], v[16:17]
	v_pk_add_f32 v[16:17], v[18:19], v[16:17]
.LBB302_45:                             ;   in Loop: Header=BB302_5 Depth=1
	s_or_b32 exec_lo, exec_lo, s43
	s_wait_loadcnt_dscnt 0x303
	v_pk_mul_f32 v[18:19], v[42:43], v[34:35] op_sel:[0,1]
	s_wait_loadcnt_dscnt 0x202
	v_pk_mul_f32 v[40:41], v[40:41], v[32:33] op_sel:[0,1]
	;; [unrolled: 2-line block ×3, first 2 shown]
	v_pk_fma_f32 v[42:43], v[22:23], v[34:35], v[18:19] op_sel_hi:[1,0,1]
	v_pk_fma_f32 v[18:19], v[22:23], v[34:35], v[18:19] neg_lo:[0,0,1] neg_hi:[0,0,1]
	v_pk_fma_f32 v[22:23], v[24:25], v[32:33], v[40:41] op_sel_hi:[1,0,1]
	v_pk_fma_f32 v[24:25], v[24:25], v[32:33], v[40:41] neg_lo:[0,0,1] neg_hi:[0,0,1]
	v_pk_fma_f32 v[32:33], v[26:27], v[30:31], v[38:39] op_sel_hi:[1,0,1]
	s_delay_alu instid0(VALU_DEP_3) | instskip(SKIP_1) | instid1(VALU_DEP_2)
	v_dual_mov_b32 v19, v43 :: v_dual_mov_b32 v25, v23
	v_pk_fma_f32 v[22:23], v[26:27], v[30:31], v[38:39] neg_lo:[0,0,1] neg_hi:[0,0,1]
	v_pk_add_f32 v[10:11], v[10:11], v[18:19]
	s_wait_loadcnt_dscnt 0x0
	v_pk_mul_f32 v[18:19], v[36:37], v[20:21] op_sel:[0,1]
	s_delay_alu instid0(VALU_DEP_2) | instskip(NEXT) | instid1(VALU_DEP_2)
	v_pk_add_f32 v[10:11], v[24:25], v[10:11]
	v_pk_fma_f32 v[24:25], v[28:29], v[20:21], v[18:19] op_sel_hi:[1,0,1]
	v_mov_b32_e32 v23, v33
	v_pk_fma_f32 v[18:19], v[28:29], v[20:21], v[18:19] neg_lo:[0,0,1] neg_hi:[0,0,1]
	s_delay_alu instid0(VALU_DEP_3) | instskip(NEXT) | instid1(VALU_DEP_3)
	v_mov_b32_e32 v19, v25
	v_pk_add_f32 v[10:11], v[22:23], v[10:11]
	s_delay_alu instid0(VALU_DEP_1)
	v_pk_add_f32 v[10:11], v[18:19], v[10:11]
.LBB302_46:                             ;   in Loop: Header=BB302_5 Depth=1
	s_or_b32 exec_lo, exec_lo, s7
.LBB302_47:                             ;   in Loop: Header=BB302_5 Depth=1
	ds_store_2addr_stride64_b64 v0, v[10:11], v[16:17] offset1:1
	ds_store_2addr_stride64_b64 v0, v[14:15], v[12:13] offset0:2 offset1:3
	s_wait_storecnt 0x0
	s_wait_loadcnt_dscnt 0x0
	s_barrier_signal -1
	s_barrier_wait -1
	s_and_saveexec_b32 s43, s5
	s_cbranch_execz .LBB302_3
; %bb.48:                               ;   in Loop: Header=BB302_5 Depth=1
	ds_load_2addr_stride64_b64 v[10:13], v68 offset1:4
	ds_load_2addr_stride64_b64 v[14:17], v68 offset0:8 offset1:12
	ds_load_2addr_stride64_b64 v[18:21], v68 offset0:16 offset1:20
	s_wait_dscnt 0x2
	v_pk_add_f32 v[22:23], v[10:11], v[12:13]
	ds_load_2addr_stride64_b64 v[10:13], v68 offset0:24 offset1:28
	s_wait_dscnt 0x2
	v_pk_add_f32 v[14:15], v[22:23], v[14:15]
	s_delay_alu instid0(VALU_DEP_1) | instskip(SKIP_3) | instid1(VALU_DEP_1)
	v_pk_add_f32 v[22:23], v[14:15], v[16:17]
	ds_load_2addr_stride64_b64 v[14:17], v68 offset0:32 offset1:36
	s_wait_dscnt 0x2
	v_pk_add_f32 v[18:19], v[22:23], v[18:19]
	v_pk_add_f32 v[22:23], v[18:19], v[20:21]
	ds_load_2addr_stride64_b64 v[18:21], v68 offset0:40 offset1:44
	s_wait_dscnt 0x2
	v_pk_add_f32 v[10:11], v[22:23], v[10:11]
	s_delay_alu instid0(VALU_DEP_1) | instskip(SKIP_1) | instid1(VALU_DEP_1)
	v_pk_add_f32 v[10:11], v[10:11], v[12:13]
	s_wait_dscnt 0x1
	v_pk_add_f32 v[14:15], v[10:11], v[14:15]
	ds_load_2addr_stride64_b64 v[10:13], v68 offset0:48 offset1:52
	v_pk_add_f32 v[14:15], v[14:15], v[16:17]
	s_wait_dscnt 0x1
	s_delay_alu instid0(VALU_DEP_1) | instskip(SKIP_3) | instid1(VALU_DEP_1)
	v_pk_add_f32 v[18:19], v[14:15], v[18:19]
	ds_load_2addr_stride64_b64 v[14:17], v68 offset0:56 offset1:60
	v_pk_add_f32 v[18:19], v[18:19], v[20:21]
	s_wait_dscnt 0x1
	v_pk_add_f32 v[10:11], v[18:19], v[10:11]
	s_delay_alu instid0(VALU_DEP_1) | instskip(SKIP_1) | instid1(VALU_DEP_1)
	v_pk_add_f32 v[10:11], v[10:11], v[12:13]
	s_wait_dscnt 0x0
	v_pk_add_f32 v[10:11], v[10:11], v[14:15]
	s_delay_alu instid0(VALU_DEP_1)
	v_pk_add_f32 v[12:13], v[10:11], v[16:17]
	ds_store_b64 v68, v[12:13]
	s_and_b32 exec_lo, exec_lo, s6
	s_cbranch_execz .LBB302_3
; %bb.49:                               ;   in Loop: Header=BB302_5 Depth=1
	v_mov_b64_e32 v[14:15], s[34:35]
	v_cmp_neq_f32_e32 vcc_lo, 0, v6
	v_cmp_neq_f32_e64 s7, 0, v7
	v_lshl_add_u64 v[8:9], v[4:5], 3, v[8:9]
	s_or_b32 s7, vcc_lo, s7
	v_pk_mul_f32 v[16:17], v[12:13], v[14:15] op_sel:[1,1] op_sel_hi:[1,0]
	s_and_not1_b32 vcc_lo, exec_lo, s7
	s_delay_alu instid0(VALU_DEP_1)
	v_pk_fma_f32 v[10:11], v[12:13], v[14:15], v[16:17] op_sel_hi:[0,1,1] neg_lo:[0,0,1] neg_hi:[0,0,1]
	v_pk_fma_f32 v[12:13], v[12:13], v[14:15], v[16:17] op_sel_hi:[0,1,1]
	s_cbranch_vccnz .LBB302_2
; %bb.50:                               ;   in Loop: Header=BB302_5 Depth=1
	flat_load_b64 v[14:15], v[8:9]
	s_wait_loadcnt_dscnt 0x0
	v_pk_mul_f32 v[16:17], v[6:7], v[14:15] op_sel:[1,1] op_sel_hi:[0,1]
	s_delay_alu instid0(VALU_DEP_1) | instskip(SKIP_1) | instid1(VALU_DEP_2)
	v_pk_fma_f32 v[18:19], v[6:7], v[14:15], v[16:17] op_sel_hi:[1,0,1]
	v_pk_fma_f32 v[6:7], v[6:7], v[14:15], v[16:17] neg_lo:[0,0,1] neg_hi:[0,0,1]
	v_dual_mov_b32 v11, v13 :: v_dual_mov_b32 v7, v19
	s_delay_alu instid0(VALU_DEP_1) | instskip(NEXT) | instid1(VALU_DEP_1)
	v_pk_add_f32 v[10:11], v[10:11], v[6:7]
	v_mov_b32_e32 v13, v11
	s_branch .LBB302_2
.LBB302_51:
	s_sendmsg sendmsg(MSG_DEALLOC_VGPRS)
	s_endpgm
	.section	.rodata,"a",@progbits
	.p2align	6, 0x0
	.amdhsa_kernel _ZL20rocblas_gemvn_kernelILi64ELi16EiPK19rocblas_complex_numIfES3_KPS1_EviiT3_lPKT2_lT1_lS9_lSA_lS6_lPT4_lSA_li
		.amdhsa_group_segment_fixed_size 32768
		.amdhsa_private_segment_fixed_size 0
		.amdhsa_kernarg_size 400
		.amdhsa_user_sgpr_count 2
		.amdhsa_user_sgpr_dispatch_ptr 0
		.amdhsa_user_sgpr_queue_ptr 0
		.amdhsa_user_sgpr_kernarg_segment_ptr 1
		.amdhsa_user_sgpr_dispatch_id 0
		.amdhsa_user_sgpr_kernarg_preload_length 0
		.amdhsa_user_sgpr_kernarg_preload_offset 0
		.amdhsa_user_sgpr_private_segment_size 0
		.amdhsa_wavefront_size32 1
		.amdhsa_uses_dynamic_stack 0
		.amdhsa_enable_private_segment 0
		.amdhsa_system_sgpr_workgroup_id_x 1
		.amdhsa_system_sgpr_workgroup_id_y 0
		.amdhsa_system_sgpr_workgroup_id_z 1
		.amdhsa_system_sgpr_workgroup_info 0
		.amdhsa_system_vgpr_workitem_id 1
		.amdhsa_next_free_vgpr 87
		.amdhsa_next_free_sgpr 50
		.amdhsa_named_barrier_count 0
		.amdhsa_reserve_vcc 1
		.amdhsa_float_round_mode_32 0
		.amdhsa_float_round_mode_16_64 0
		.amdhsa_float_denorm_mode_32 3
		.amdhsa_float_denorm_mode_16_64 3
		.amdhsa_fp16_overflow 0
		.amdhsa_memory_ordered 1
		.amdhsa_forward_progress 1
		.amdhsa_inst_pref_size 34
		.amdhsa_round_robin_scheduling 0
		.amdhsa_exception_fp_ieee_invalid_op 0
		.amdhsa_exception_fp_denorm_src 0
		.amdhsa_exception_fp_ieee_div_zero 0
		.amdhsa_exception_fp_ieee_overflow 0
		.amdhsa_exception_fp_ieee_underflow 0
		.amdhsa_exception_fp_ieee_inexact 0
		.amdhsa_exception_int_div_zero 0
	.end_amdhsa_kernel
	.section	.text._ZL20rocblas_gemvn_kernelILi64ELi16EiPK19rocblas_complex_numIfES3_KPS1_EviiT3_lPKT2_lT1_lS9_lSA_lS6_lPT4_lSA_li,"axG",@progbits,_ZL20rocblas_gemvn_kernelILi64ELi16EiPK19rocblas_complex_numIfES3_KPS1_EviiT3_lPKT2_lT1_lS9_lSA_lS6_lPT4_lSA_li,comdat
.Lfunc_end302:
	.size	_ZL20rocblas_gemvn_kernelILi64ELi16EiPK19rocblas_complex_numIfES3_KPS1_EviiT3_lPKT2_lT1_lS9_lSA_lS6_lPT4_lSA_li, .Lfunc_end302-_ZL20rocblas_gemvn_kernelILi64ELi16EiPK19rocblas_complex_numIfES3_KPS1_EviiT3_lPKT2_lT1_lS9_lSA_lS6_lPT4_lSA_li
                                        ; -- End function
	.set _ZL20rocblas_gemvn_kernelILi64ELi16EiPK19rocblas_complex_numIfES3_KPS1_EviiT3_lPKT2_lT1_lS9_lSA_lS6_lPT4_lSA_li.num_vgpr, 87
	.set _ZL20rocblas_gemvn_kernelILi64ELi16EiPK19rocblas_complex_numIfES3_KPS1_EviiT3_lPKT2_lT1_lS9_lSA_lS6_lPT4_lSA_li.num_agpr, 0
	.set _ZL20rocblas_gemvn_kernelILi64ELi16EiPK19rocblas_complex_numIfES3_KPS1_EviiT3_lPKT2_lT1_lS9_lSA_lS6_lPT4_lSA_li.numbered_sgpr, 50
	.set _ZL20rocblas_gemvn_kernelILi64ELi16EiPK19rocblas_complex_numIfES3_KPS1_EviiT3_lPKT2_lT1_lS9_lSA_lS6_lPT4_lSA_li.num_named_barrier, 0
	.set _ZL20rocblas_gemvn_kernelILi64ELi16EiPK19rocblas_complex_numIfES3_KPS1_EviiT3_lPKT2_lT1_lS9_lSA_lS6_lPT4_lSA_li.private_seg_size, 0
	.set _ZL20rocblas_gemvn_kernelILi64ELi16EiPK19rocblas_complex_numIfES3_KPS1_EviiT3_lPKT2_lT1_lS9_lSA_lS6_lPT4_lSA_li.uses_vcc, 1
	.set _ZL20rocblas_gemvn_kernelILi64ELi16EiPK19rocblas_complex_numIfES3_KPS1_EviiT3_lPKT2_lT1_lS9_lSA_lS6_lPT4_lSA_li.uses_flat_scratch, 1
	.set _ZL20rocblas_gemvn_kernelILi64ELi16EiPK19rocblas_complex_numIfES3_KPS1_EviiT3_lPKT2_lT1_lS9_lSA_lS6_lPT4_lSA_li.has_dyn_sized_stack, 0
	.set _ZL20rocblas_gemvn_kernelILi64ELi16EiPK19rocblas_complex_numIfES3_KPS1_EviiT3_lPKT2_lT1_lS9_lSA_lS6_lPT4_lSA_li.has_recursion, 0
	.set _ZL20rocblas_gemvn_kernelILi64ELi16EiPK19rocblas_complex_numIfES3_KPS1_EviiT3_lPKT2_lT1_lS9_lSA_lS6_lPT4_lSA_li.has_indirect_call, 0
	.section	.AMDGPU.csdata,"",@progbits
; Kernel info:
; codeLenInByte = 4288
; TotalNumSgprs: 52
; NumVgprs: 87
; ScratchSize: 0
; MemoryBound: 0
; FloatMode: 240
; IeeeMode: 1
; LDSByteSize: 32768 bytes/workgroup (compile time only)
; SGPRBlocks: 0
; VGPRBlocks: 5
; NumSGPRsForWavesPerEU: 52
; NumVGPRsForWavesPerEU: 87
; NamedBarCnt: 0
; Occupancy: 10
; WaveLimiterHint : 1
; COMPUTE_PGM_RSRC2:SCRATCH_EN: 0
; COMPUTE_PGM_RSRC2:USER_SGPR: 2
; COMPUTE_PGM_RSRC2:TRAP_HANDLER: 0
; COMPUTE_PGM_RSRC2:TGID_X_EN: 1
; COMPUTE_PGM_RSRC2:TGID_Y_EN: 0
; COMPUTE_PGM_RSRC2:TGID_Z_EN: 1
; COMPUTE_PGM_RSRC2:TIDIG_COMP_CNT: 1
	.section	.text._ZL20rocblas_gemvn_kernelILi64ELi16ElPK19rocblas_complex_numIfES3_KPS1_EviiT3_lPKT2_lT1_lS9_lSA_lS6_lPT4_lSA_li,"axG",@progbits,_ZL20rocblas_gemvn_kernelILi64ELi16ElPK19rocblas_complex_numIfES3_KPS1_EviiT3_lPKT2_lT1_lS9_lSA_lS6_lPT4_lSA_li,comdat
	.globl	_ZL20rocblas_gemvn_kernelILi64ELi16ElPK19rocblas_complex_numIfES3_KPS1_EviiT3_lPKT2_lT1_lS9_lSA_lS6_lPT4_lSA_li ; -- Begin function _ZL20rocblas_gemvn_kernelILi64ELi16ElPK19rocblas_complex_numIfES3_KPS1_EviiT3_lPKT2_lT1_lS9_lSA_lS6_lPT4_lSA_li
	.p2align	8
	.type	_ZL20rocblas_gemvn_kernelILi64ELi16ElPK19rocblas_complex_numIfES3_KPS1_EviiT3_lPKT2_lT1_lS9_lSA_lS6_lPT4_lSA_li,@function
_ZL20rocblas_gemvn_kernelILi64ELi16ElPK19rocblas_complex_numIfES3_KPS1_EviiT3_lPKT2_lT1_lS9_lSA_lS6_lPT4_lSA_li: ; @_ZL20rocblas_gemvn_kernelILi64ELi16ElPK19rocblas_complex_numIfES3_KPS1_EviiT3_lPKT2_lT1_lS9_lSA_lS6_lPT4_lSA_li
; %bb.0:
	s_clause 0x1
	s_load_b64 s[2:3], s[0:1], 0x9c
	s_load_b32 s33, s[0:1], 0x88
	s_bfe_u32 s4, ttmp6, 0x40014
	s_lshr_b32 s5, ttmp7, 16
	s_add_co_i32 s4, s4, 1
	s_bfe_u32 s6, ttmp6, 0x40008
	s_mul_i32 s7, s5, s4
	s_getreg_b32 s4, hwreg(HW_REG_IB_STS2, 6, 4)
	s_add_co_i32 s6, s6, s7
	s_mov_b32 s11, 0
	s_wait_kmcnt 0x0
	s_lshr_b32 s7, s2, 16
	s_and_b32 s2, s2, 0xffff
	s_and_b32 s3, s3, 0xffff
	s_mul_i32 s2, s7, s2
	s_cmp_eq_u32 s4, 0
	s_mul_i32 s2, s2, s3
	s_cselect_b32 s10, s5, s6
	s_cmp_lg_u32 s2, 0x400
	s_cselect_b32 s2, -1, 0
	s_cmp_ge_u32 s10, s33
	s_cselect_b32 s3, -1, 0
	s_delay_alu instid0(SALU_CYCLE_1) | instskip(NEXT) | instid1(SALU_CYCLE_1)
	s_or_b32 s2, s2, s3
	s_and_b32 vcc_lo, exec_lo, s2
	s_cbranch_vccnz .LBB303_51
; %bb.1:
	s_bfe_u32 s5, ttmp6, 0x4000c
	s_clause 0x3
	s_load_b64 s[34:35], s[0:1], 0x0
	s_load_b64 s[36:37], s[0:1], 0x28
	;; [unrolled: 1-line block ×4, first 2 shown]
	s_add_co_i32 s5, s5, 1
	s_and_b32 s6, ttmp6, 15
	s_mul_i32 s5, ttmp9, s5
	v_and_b32_e32 v28, 0x3ff, v0
	v_bfe_u32 v8, v0, 10, 10
	s_add_co_i32 s6, s6, s5
	s_cmp_eq_u32 s4, 0
	s_load_b256 s[12:19], s[0:1], 0x8
	s_cselect_b32 s4, ttmp9, s6
	v_lshl_add_u32 v29, v8, 6, v28
	s_lshl_b32 s6, s4, 8
	v_mov_b32_e32 v1, 0
	s_clause 0x1
	s_load_b128 s[28:31], s[0:1], 0x38
	s_load_b256 s[20:27], s[0:1], 0x58
	v_dual_add_nc_u32 v0, s6, v29 :: v_dual_lshlrev_b32 v94, 2, v8
	v_mov_b32_e32 v9, v1
	s_wait_kmcnt 0x0
	s_ashr_i32 s5, s34, 31
	s_mov_b32 s4, s34
	v_mul_u64_e32 v[2:3], s[2:3], v[0:1]
	v_cmp_gt_i64_e32 vcc_lo, s[4:5], v[0:1]
	v_mul_u64_e32 v[6:7], s[38:39], v[8:9]
	v_dual_add_nc_u32 v10, s6, v28 :: v_dual_bitop2_b32 v0, 3, v94 bitop3:0x54
	v_or_b32_e32 v16, s6, v29
	v_mul_u64_e32 v[18:19], s[36:37], v[8:9]
	v_mad_nc_u64_u32 v[24:25], s38, v94, s[38:39]
	s_delay_alu instid0(VALU_DEP_4)
	v_mul_u64_e32 v[12:13], s[36:37], v[0:1]
	v_mul_u64_e32 v[14:15], s[38:39], v[0:1]
	v_ashrrev_i32_e32 v11, 31, v10
	v_dual_ashrrev_i32 v17, 31, v16 :: v_dual_bitop2_b32 v0, 2, v94 bitop3:0x54
	v_mad_nc_u64_u32 v[26:27], s36, v94, s[36:37]
	s_ashr_i32 s4, s35, 31
	v_add_nc_u32_e32 v9, 0x80, v10
	s_delay_alu instid0(VALU_DEP_3)
	v_mul_u64_e32 v[20:21], s[36:37], v[0:1]
	v_mul_u64_e32 v[22:23], s[38:39], v[0:1]
	;; [unrolled: 1-line block ×3, first 2 shown]
	v_mad_u32 v25, s39, v94, v25
	v_add_nc_u32_e32 v0, 64, v10
	s_lshr_b32 s4, s4, 26
	v_cmp_gt_i32_e64 s1, s34, v10
	s_add_co_i32 s46, s35, s4
	v_mad_u32 v27, s37, v94, v27
	v_cmp_gt_i32_e64 s2, s34, v0
	v_add_nc_u32_e32 v30, 0xc0, v10
	v_cmp_gt_i32_e64 s3, s34, v9
	s_and_not1_b32 s46, s46, 63
	v_cmp_gt_i32_e64 s6, s34, v16
	s_sub_co_i32 s5, s35, s46
	v_cmp_gt_i32_e64 s0, s46, v94
	s_cmp_gt_i32 s5, 0
	v_cmp_gt_u32_e64 s5, 0x100, v29
	v_lshlrev_b64_e32 v[6:7], 5, v[6:7]
	v_lshlrev_b32_e32 v0, 3, v28
	v_cmp_gt_i32_e64 s4, s34, v30
	s_cselect_b32 s47, -1, 0
	v_lshlrev_b64_e32 v[16:17], 5, v[18:19]
	s_and_b32 s34, s5, vcc_lo
	s_lshl_b64 s[40:41], s[38:39], 9
	v_or_b32_e32 v6, 4, v6
	v_lshl_add_u32 v95, v8, 11, v0
	v_lshl_add_u32 v96, v8, 9, v0
	v_lshlrev_b64_e32 v[8:9], 3, v[10:11]
	v_lshlrev_b64_e32 v[10:11], 3, v[12:13]
	;; [unrolled: 1-line block ×7, first 2 shown]
	s_lshl_b64 s[42:43], s[36:37], 9
	s_lshl_b64 s[18:19], s[18:19], 3
	v_or_b32_e32 v12, 4, v12
	s_lshl_b64 s[30:31], s[30:31], 3
	s_lshl_b64 s[26:27], s[26:27], 3
	s_branch .LBB303_5
.LBB303_2:                              ;   in Loop: Header=BB303_5 Depth=1
	s_delay_alu instid0(VALU_DEP_1)
	v_mov_b32_e32 v29, v31
	flat_store_b64 v[26:27], v[28:29]
.LBB303_3:                              ;   in Loop: Header=BB303_5 Depth=1
	s_wait_xcnt 0x0
	s_or_b32 exec_lo, exec_lo, s8
.LBB303_4:                              ;   in Loop: Header=BB303_5 Depth=1
	s_add_co_i32 s10, s10, 0x10000
	s_delay_alu instid0(SALU_CYCLE_1)
	s_cmp_lt_u32 s10, s33
	s_cbranch_scc0 .LBB303_51
.LBB303_5:                              ; =>This Loop Header: Depth=1
                                        ;     Child Loop BB303_23 Depth 2
	s_wait_xcnt 0x0
	s_mul_u64 s[8:9], s[14:15], s[10:11]
	s_delay_alu instid0(SALU_CYCLE_1) | instskip(NEXT) | instid1(SALU_CYCLE_1)
	s_lshl_b64 s[8:9], s[8:9], 3
	s_add_nc_u64 s[8:9], s[12:13], s[8:9]
	global_load_b64 v[26:27], v1, s[8:9]
	s_wait_xcnt 0x0
	s_mul_u64 s[8:9], s[22:23], s[10:11]
	s_delay_alu instid0(SALU_CYCLE_1) | instskip(NEXT) | instid1(SALU_CYCLE_1)
	s_lshl_b64 s[8:9], s[8:9], 3
	s_add_nc_u64 s[8:9], s[20:21], s[8:9]
	global_load_b64 v[24:25], v1, s[8:9]
	s_wait_loadcnt 0x1
	v_readfirstlane_b32 s44, v26
	v_readfirstlane_b32 s45, v27
	s_cmp_eq_f32 s44, 0
	s_wait_loadcnt 0x0
	v_cmp_eq_f32_e32 vcc_lo, 1.0, v24
	v_cmp_eq_f32_e64 s7, 0, v25
	s_wait_xcnt 0x0
	s_cselect_b32 s8, -1, 0
	s_cmp_eq_f32 s45, 0
	s_cselect_b32 s9, -1, 0
	s_and_b32 s7, vcc_lo, s7
	s_and_b32 s8, s8, s9
	s_delay_alu instid0(SALU_CYCLE_1) | instskip(NEXT) | instid1(SALU_CYCLE_1)
	s_and_b32 s7, s8, s7
	s_and_b32 vcc_lo, exec_lo, s7
	s_cbranch_vccnz .LBB303_4
; %bb.6:                                ;   in Loop: Header=BB303_5 Depth=1
	s_or_b32 s7, s44, s45
	v_mov_b64_e32 v[38:39], 0
	s_bitset0_b32 s7, 31
	v_mov_b64_e32 v[36:37], 0
	s_cmp_lg_u32 s7, 0
	s_cselect_b32 s8, -1, 0
	s_cmp_eq_u32 s7, 0
	s_cselect_b32 s7, -1, 0
	s_delay_alu instid0(SALU_CYCLE_1)
	s_and_b32 vcc_lo, exec_lo, s7
	s_cbranch_vccnz .LBB303_8
; %bb.7:                                ;   in Loop: Header=BB303_5 Depth=1
	s_lshl_b64 s[48:49], s[10:11], 3
	s_delay_alu instid0(SALU_CYCLE_1)
	s_add_nc_u64 s[48:49], s[16:17], s[48:49]
	global_load_b64 v[26:27], v1, s[48:49]
	s_wait_loadcnt 0x0
	v_add_nc_u64_e32 v[36:37], s[18:19], v[26:27]
.LBB303_8:                              ;   in Loop: Header=BB303_5 Depth=1
	s_and_not1_b32 vcc_lo, exec_lo, s8
	s_cbranch_vccnz .LBB303_10
; %bb.9:                                ;   in Loop: Header=BB303_5 Depth=1
	s_lshl_b64 s[8:9], s[10:11], 3
	s_delay_alu instid0(SALU_CYCLE_1)
	s_add_nc_u64 s[8:9], s[28:29], s[8:9]
	global_load_b64 v[26:27], v1, s[8:9]
	s_wait_loadcnt 0x0
	v_add_nc_u64_e32 v[38:39], s[30:31], v[26:27]
.LBB303_10:                             ;   in Loop: Header=BB303_5 Depth=1
	s_wait_xcnt 0x0
	s_lshl_b64 s[8:9], s[10:11], 3
	s_and_not1_b32 vcc_lo, exec_lo, s7
	s_add_nc_u64 s[8:9], s[24:25], s[8:9]
	s_mov_b32 s7, -1
	global_load_b64 v[26:27], v1, s[8:9]
	s_wait_loadcnt 0x0
	v_add_nc_u64_e32 v[26:27], s[26:27], v[26:27]
	s_cbranch_vccnz .LBB303_16
; %bb.11:                               ;   in Loop: Header=BB303_5 Depth=1
	s_wait_xcnt 0x0
	s_and_saveexec_b32 s8, s34
	s_cbranch_execz .LBB303_15
; %bb.12:                               ;   in Loop: Header=BB303_5 Depth=1
	v_cmp_neq_f32_e32 vcc_lo, 0, v24
	v_cmp_neq_f32_e64 s7, 0, v25
	v_dual_mov_b32 v30, 0 :: v_dual_mov_b32 v31, 0
	v_lshl_add_u64 v[28:29], v[2:3], 3, v[26:27]
	s_or_b32 s7, vcc_lo, s7
	s_delay_alu instid0(SALU_CYCLE_1)
	s_and_not1_b32 vcc_lo, exec_lo, s7
	s_cbranch_vccnz .LBB303_14
; %bb.13:                               ;   in Loop: Header=BB303_5 Depth=1
	flat_load_b64 v[30:31], v[28:29]
	s_wait_loadcnt_dscnt 0x0
	v_pk_mul_f32 v[32:33], v[24:25], v[30:31] op_sel:[1,1] op_sel_hi:[0,1]
	s_delay_alu instid0(VALU_DEP_1) | instskip(SKIP_1) | instid1(VALU_DEP_2)
	v_pk_fma_f32 v[34:35], v[24:25], v[30:31], v[32:33] op_sel_hi:[1,0,1]
	v_pk_fma_f32 v[30:31], v[24:25], v[30:31], v[32:33] neg_lo:[0,0,1] neg_hi:[0,0,1]
	v_mov_b32_e32 v31, v35
.LBB303_14:                             ;   in Loop: Header=BB303_5 Depth=1
	flat_store_b64 v[28:29], v[30:31]
.LBB303_15:                             ;   in Loop: Header=BB303_5 Depth=1
	s_wait_xcnt 0x0
	s_or_b32 exec_lo, exec_lo, s8
	s_mov_b32 s7, 0
.LBB303_16:                             ;   in Loop: Header=BB303_5 Depth=1
	s_delay_alu instid0(SALU_CYCLE_1)
	s_and_not1_b32 vcc_lo, exec_lo, s7
	s_cbranch_vccnz .LBB303_4
; %bb.17:                               ;   in Loop: Header=BB303_5 Depth=1
	v_mov_b64_e32 v[30:31], 0
	v_mov_b64_e32 v[32:33], 0
	;; [unrolled: 1-line block ×4, first 2 shown]
	v_mov_b32_e32 v0, v94
	s_wait_xcnt 0x0
	s_and_saveexec_b32 s7, s0
	s_cbranch_execz .LBB303_29
; %bb.18:                               ;   in Loop: Header=BB303_5 Depth=1
	v_add_nc_u64_e32 v[40:41], v[36:37], v[10:11]
	v_add_nc_u64_e32 v[42:43], v[36:37], v[16:17]
	;; [unrolled: 1-line block ×4, first 2 shown]
	v_mov_b64_e32 v[28:29], 0
	v_mov_b64_e32 v[34:35], 0
	;; [unrolled: 1-line block ×5, first 2 shown]
	v_mov_b32_e32 v0, v94
	s_mov_b32 s8, 0
	s_branch .LBB303_23
.LBB303_19:                             ;   in Loop: Header=BB303_23 Depth=2
	s_or_b32 exec_lo, exec_lo, s50
	s_wait_loadcnt_dscnt 0x303
	v_dual_mul_f32 v86, v61, v85 :: v_dual_mul_f32 v87, v60, v85
	s_wait_loadcnt_dscnt 0x202
	v_dual_mul_f32 v90, v59, v83 :: v_dual_mul_f32 v85, v58, v83
	s_wait_loadcnt_dscnt 0x101
	v_pk_mul_f32 v[88:89], v[76:77], v[80:81] op_sel:[0,1]
	v_dual_fma_f32 v86, v60, v84, -v86 :: v_dual_fmac_f32 v87, v61, v84
	s_delay_alu instid0(VALU_DEP_3) | instskip(NEXT) | instid1(VALU_DEP_3)
	v_dual_fma_f32 v84, v58, v82, -v90 :: v_dual_fmac_f32 v85, v59, v82
	v_pk_fma_f32 v[82:83], v[52:53], v[80:81], v[88:89] op_sel_hi:[1,0,1]
	v_pk_fma_f32 v[80:81], v[52:53], v[80:81], v[88:89] neg_lo:[0,0,1] neg_hi:[0,0,1]
	s_delay_alu instid0(VALU_DEP_4) | instskip(SKIP_3) | instid1(VALU_DEP_3)
	v_pk_add_f32 v[32:33], v[32:33], v[86:87]
	s_wait_loadcnt_dscnt 0x0
	v_pk_mul_f32 v[86:87], v[70:71], v[78:79] op_sel:[0,1]
	v_mov_b32_e32 v81, v83
	v_pk_add_f32 v[32:33], v[84:85], v[32:33]
	s_delay_alu instid0(VALU_DEP_3) | instskip(SKIP_1) | instid1(VALU_DEP_2)
	v_pk_fma_f32 v[82:83], v[50:51], v[78:79], v[86:87] op_sel_hi:[1,0,1]
	v_pk_fma_f32 v[78:79], v[50:51], v[78:79], v[86:87] neg_lo:[0,0,1] neg_hi:[0,0,1]
	v_mov_b32_e32 v79, v83
	s_delay_alu instid0(VALU_DEP_4) | instskip(NEXT) | instid1(VALU_DEP_1)
	v_pk_add_f32 v[32:33], v[80:81], v[32:33]
	v_pk_add_f32 v[32:33], v[78:79], v[32:33]
.LBB303_20:                             ;   in Loop: Header=BB303_23 Depth=2
	s_or_b32 exec_lo, exec_lo, s49
	s_wait_loadcnt_dscnt 0x303
	v_dual_mul_f32 v78, v61, v75 :: v_dual_mul_f32 v79, v60, v75
	s_wait_loadcnt_dscnt 0x202
	v_dual_mul_f32 v80, v59, v73 :: v_dual_mul_f32 v75, v58, v73
	s_wait_loadcnt_dscnt 0x101
	v_pk_mul_f32 v[76:77], v[76:77], v[68:69] op_sel:[0,1]
	v_dual_fma_f32 v78, v60, v74, -v78 :: v_dual_fmac_f32 v79, v61, v74
	s_delay_alu instid0(VALU_DEP_3) | instskip(NEXT) | instid1(VALU_DEP_3)
	v_dual_fma_f32 v74, v58, v72, -v80 :: v_dual_fmac_f32 v75, v59, v72
	v_pk_fma_f32 v[72:73], v[52:53], v[68:69], v[76:77] op_sel_hi:[1,0,1]
	s_wait_loadcnt_dscnt 0x0
	v_pk_mul_f32 v[70:71], v[70:71], v[66:67] op_sel:[0,1]
	v_pk_add_f32 v[34:35], v[34:35], v[78:79]
	v_pk_fma_f32 v[68:69], v[52:53], v[68:69], v[76:77] neg_lo:[0,0,1] neg_hi:[0,0,1]
	v_mov_b32_e32 v69, v73
	s_delay_alu instid0(VALU_DEP_4) | instskip(NEXT) | instid1(VALU_DEP_4)
	v_pk_fma_f32 v[72:73], v[50:51], v[66:67], v[70:71] op_sel_hi:[1,0,1]
	v_pk_add_f32 v[34:35], v[74:75], v[34:35]
	v_pk_fma_f32 v[66:67], v[50:51], v[66:67], v[70:71] neg_lo:[0,0,1] neg_hi:[0,0,1]
	s_delay_alu instid0(VALU_DEP_3) | instskip(NEXT) | instid1(VALU_DEP_3)
	v_mov_b32_e32 v67, v73
	v_pk_add_f32 v[34:35], v[68:69], v[34:35]
	s_delay_alu instid0(VALU_DEP_1)
	v_pk_add_f32 v[34:35], v[66:67], v[34:35]
.LBB303_21:                             ;   in Loop: Header=BB303_23 Depth=2
	s_or_b32 exec_lo, exec_lo, s48
	s_wait_loadcnt_dscnt 0x303
	v_dual_mul_f32 v66, v61, v65 :: v_dual_mul_f32 v67, v60, v65
	s_wait_loadcnt_dscnt 0x202
	v_dual_mul_f32 v70, v59, v63 :: v_dual_mul_f32 v65, v58, v63
	s_wait_loadcnt_dscnt 0x101
	v_pk_mul_f32 v[68:69], v[52:53], v[56:57] op_sel:[1,1] op_sel_hi:[0,1]
	v_dual_fma_f32 v66, v60, v64, -v66 :: v_dual_fmac_f32 v67, v61, v64
	s_delay_alu instid0(VALU_DEP_3) | instskip(NEXT) | instid1(VALU_DEP_3)
	v_dual_fma_f32 v64, v58, v62, -v70 :: v_dual_fmac_f32 v65, v59, v62
	v_pk_fma_f32 v[58:59], v[52:53], v[56:57], v[68:69] op_sel_hi:[1,0,1]
	s_wait_loadcnt_dscnt 0x0
	v_pk_mul_f32 v[60:61], v[50:51], v[54:55] op_sel:[1,1] op_sel_hi:[0,1]
	v_pk_add_f32 v[28:29], v[28:29], v[66:67]
	v_pk_fma_f32 v[52:53], v[52:53], v[56:57], v[68:69] neg_lo:[0,0,1] neg_hi:[0,0,1]
	s_delay_alu instid0(VALU_DEP_3) | instskip(SKIP_1) | instid1(VALU_DEP_4)
	v_pk_fma_f32 v[56:57], v[50:51], v[54:55], v[60:61] op_sel_hi:[1,0,1]
	v_mov_b32_e32 v53, v59
	v_pk_add_f32 v[28:29], v[64:65], v[28:29]
	v_pk_fma_f32 v[50:51], v[50:51], v[54:55], v[60:61] neg_lo:[0,0,1] neg_hi:[0,0,1]
	s_delay_alu instid0(VALU_DEP_4) | instskip(NEXT) | instid1(VALU_DEP_3)
	v_mov_b32_e32 v51, v57
	v_pk_add_f32 v[28:29], v[52:53], v[28:29]
	s_delay_alu instid0(VALU_DEP_1)
	v_pk_add_f32 v[28:29], v[50:51], v[28:29]
.LBB303_22:                             ;   in Loop: Header=BB303_23 Depth=2
	s_or_b32 exec_lo, exec_lo, s9
	v_add_nc_u32_e32 v0, 64, v0
	v_add_nc_u64_e32 v[48:49], s[40:41], v[48:49]
	v_add_nc_u64_e32 v[40:41], s[42:43], v[40:41]
	;; [unrolled: 1-line block ×4, first 2 shown]
	v_cmp_le_i32_e32 vcc_lo, s46, v0
	v_add_nc_u64_e32 v[46:47], s[42:43], v[46:47]
	s_or_b32 s8, vcc_lo, s8
	s_delay_alu instid0(SALU_CYCLE_1)
	s_and_not1_b32 exec_lo, exec_lo, s8
	s_cbranch_execz .LBB303_28
.LBB303_23:                             ;   Parent Loop BB303_5 Depth=1
                                        ; =>  This Inner Loop Header: Depth=2
	s_and_saveexec_b32 s9, s1
	s_cbranch_execz .LBB303_22
; %bb.24:                               ;   in Loop: Header=BB303_23 Depth=2
	s_delay_alu instid0(VALU_DEP_2)
	v_add_nc_u64_e32 v[50:51], v[48:49], v[6:7]
	v_add_nc_u64_e32 v[52:53], v[48:49], v[12:13]
	;; [unrolled: 1-line block ×8, first 2 shown]
	s_clause 0x3
	flat_load_b64 v[60:61], v[50:51] offset:-4
	flat_load_b64 v[58:59], v[52:53] offset:-4
	flat_load_b64 v[52:53], v[54:55]
	flat_load_b64 v[50:51], v[56:57]
	;; [unrolled: 1-line block ×6, first 2 shown]
	s_wait_xcnt 0x0
	s_and_saveexec_b32 s48, s2
	s_cbranch_execz .LBB303_21
; %bb.25:                               ;   in Loop: Header=BB303_23 Depth=2
	flat_load_b64 v[74:75], v[92:93] offset:512
	flat_load_b64 v[72:73], v[90:91] offset:512
	;; [unrolled: 1-line block ×4, first 2 shown]
	s_wait_loadcnt_dscnt 0x909
	v_dual_mov_b32 v76, v53 :: v_dual_mov_b32 v77, v52
	s_wait_loadcnt_dscnt 0x808
	v_dual_mov_b32 v70, v51 :: v_dual_mov_b32 v71, v50
	s_wait_xcnt 0x0
	s_and_saveexec_b32 s49, s3
	s_cbranch_execz .LBB303_20
; %bb.26:                               ;   in Loop: Header=BB303_23 Depth=2
	flat_load_b64 v[84:85], v[92:93] offset:1024
	flat_load_b64 v[82:83], v[90:91] offset:1024
	;; [unrolled: 1-line block ×4, first 2 shown]
	s_wait_xcnt 0x0
	s_and_saveexec_b32 s50, s4
	s_cbranch_execz .LBB303_19
; %bb.27:                               ;   in Loop: Header=BB303_23 Depth=2
	flat_load_b64 v[92:93], v[92:93] offset:1536
	flat_load_b64 v[90:91], v[90:91] offset:1536
	;; [unrolled: 1-line block ×4, first 2 shown]
	s_wait_loadcnt_dscnt 0x303
	v_dual_mul_f32 v97, v61, v93 :: v_dual_mul_f32 v99, v60, v93
	s_wait_loadcnt_dscnt 0x202
	s_wait_xcnt 0x3
	v_dual_mul_f32 v102, v59, v91 :: v_dual_mul_f32 v93, v58, v91
	s_wait_loadcnt_dscnt 0x101
	v_pk_mul_f32 v[100:101], v[76:77], v[86:87] op_sel:[0,1]
	v_dual_fma_f32 v98, v60, v92, -v97 :: v_dual_fmac_f32 v99, v61, v92
	s_delay_alu instid0(VALU_DEP_3) | instskip(SKIP_1) | instid1(VALU_DEP_3)
	v_dual_fma_f32 v92, v58, v90, -v102 :: v_dual_fmac_f32 v93, v59, v90
	s_wait_xcnt 0x2
	v_pk_fma_f32 v[90:91], v[52:53], v[86:87], v[100:101] op_sel_hi:[1,0,1]
	s_wait_xcnt 0x1
	v_pk_fma_f32 v[86:87], v[52:53], v[86:87], v[100:101] neg_lo:[0,0,1] neg_hi:[0,0,1]
	v_pk_add_f32 v[30:31], v[30:31], v[98:99]
	s_wait_loadcnt_dscnt 0x0
	v_pk_mul_f32 v[98:99], v[70:71], v[88:89] op_sel:[0,1]
	v_mov_b32_e32 v87, v91
	s_delay_alu instid0(VALU_DEP_3) | instskip(NEXT) | instid1(VALU_DEP_3)
	v_pk_add_f32 v[30:31], v[92:93], v[30:31]
	v_pk_fma_f32 v[90:91], v[50:51], v[88:89], v[98:99] op_sel_hi:[1,0,1]
	s_wait_xcnt 0x0
	v_pk_fma_f32 v[88:89], v[50:51], v[88:89], v[98:99] neg_lo:[0,0,1] neg_hi:[0,0,1]
	s_delay_alu instid0(VALU_DEP_2) | instskip(SKIP_1) | instid1(VALU_DEP_1)
	v_mov_b32_e32 v89, v91
	v_pk_add_f32 v[30:31], v[86:87], v[30:31]
	v_pk_add_f32 v[30:31], v[88:89], v[30:31]
	s_branch .LBB303_19
.LBB303_28:                             ;   in Loop: Header=BB303_5 Depth=1
	s_or_b32 exec_lo, exec_lo, s8
.LBB303_29:                             ;   in Loop: Header=BB303_5 Depth=1
	s_delay_alu instid0(SALU_CYCLE_1) | instskip(NEXT) | instid1(SALU_CYCLE_1)
	s_or_b32 exec_lo, exec_lo, s7
	s_and_not1_b32 vcc_lo, exec_lo, s47
	s_cbranch_vccnz .LBB303_47
; %bb.30:                               ;   in Loop: Header=BB303_5 Depth=1
	v_dual_mov_b32 v46, 0 :: v_dual_bitop2_b32 v48, 1, v0 bitop3:0x54
	v_cmp_gt_i32_e32 vcc_lo, s35, v0
	s_delay_alu instid0(VALU_DEP_2)
	v_dual_mov_b32 v47, v46 :: v_dual_mov_b32 v44, v46
	v_dual_mov_b32 v45, v46 :: v_dual_mov_b32 v42, v46
	v_dual_mov_b32 v43, v46 :: v_dual_mov_b32 v40, v46
	v_mov_b32_e32 v41, v46
	s_and_saveexec_b32 s8, vcc_lo
	s_cbranch_execz .LBB303_38
; %bb.31:                               ;   in Loop: Header=BB303_5 Depth=1
	v_mul_u64_e32 v[40:41], s[38:39], v[0:1]
	v_dual_mov_b32 v43, 0 :: v_dual_mov_b32 v42, 0
	v_dual_mov_b32 v45, 0 :: v_dual_mov_b32 v44, 0
	;; [unrolled: 1-line block ×3, first 2 shown]
	s_mov_b32 s9, exec_lo
	s_delay_alu instid0(VALU_DEP_4)
	v_lshl_add_u64 v[40:41], v[40:41], 3, v[38:39]
	flat_load_b64 v[40:41], v[40:41]
	s_wait_xcnt 0x0
	v_cmpx_gt_i32_e64 s35, v48
	s_cbranch_execz .LBB303_37
; %bb.32:                               ;   in Loop: Header=BB303_5 Depth=1
	v_dual_mov_b32 v49, v1 :: v_dual_bitop2_b32 v50, 2, v0 bitop3:0x54
	v_dual_mov_b32 v45, 0 :: v_dual_mov_b32 v44, 0
	v_dual_mov_b32 v47, 0 :: v_dual_mov_b32 v46, 0
	s_delay_alu instid0(VALU_DEP_3) | instskip(SKIP_1) | instid1(VALU_DEP_1)
	v_mul_u64_e32 v[42:43], s[38:39], v[48:49]
	s_mov_b32 s48, exec_lo
	v_lshl_add_u64 v[42:43], v[42:43], 3, v[38:39]
	flat_load_b64 v[42:43], v[42:43]
	s_wait_xcnt 0x0
	v_cmpx_gt_i32_e64 s35, v50
	s_cbranch_execz .LBB303_36
; %bb.33:                               ;   in Loop: Header=BB303_5 Depth=1
	v_dual_mov_b32 v51, v1 :: v_dual_mov_b32 v47, 0
	v_mov_b32_e32 v46, 0
	s_mov_b32 s49, exec_lo
	s_delay_alu instid0(VALU_DEP_2) | instskip(SKIP_1) | instid1(VALU_DEP_2)
	v_mul_u64_e32 v[44:45], s[38:39], v[50:51]
	v_or_b32_e32 v50, 3, v0
	v_lshl_add_u64 v[44:45], v[44:45], 3, v[38:39]
	flat_load_b64 v[44:45], v[44:45]
	s_wait_xcnt 0x0
	v_cmpx_gt_i32_e64 s35, v50
	s_cbranch_execz .LBB303_35
; %bb.34:                               ;   in Loop: Header=BB303_5 Depth=1
	v_mov_b32_e32 v51, v1
	s_delay_alu instid0(VALU_DEP_1) | instskip(NEXT) | instid1(VALU_DEP_1)
	v_mul_u64_e32 v[46:47], s[38:39], v[50:51]
	v_lshl_add_u64 v[38:39], v[46:47], 3, v[38:39]
	flat_load_b64 v[46:47], v[38:39]
.LBB303_35:                             ;   in Loop: Header=BB303_5 Depth=1
	s_wait_xcnt 0x0
	s_or_b32 exec_lo, exec_lo, s49
.LBB303_36:                             ;   in Loop: Header=BB303_5 Depth=1
	s_delay_alu instid0(SALU_CYCLE_1)
	s_or_b32 exec_lo, exec_lo, s48
.LBB303_37:                             ;   in Loop: Header=BB303_5 Depth=1
	s_delay_alu instid0(SALU_CYCLE_1)
	s_or_b32 exec_lo, exec_lo, s9
.LBB303_38:                             ;   in Loop: Header=BB303_5 Depth=1
	s_delay_alu instid0(SALU_CYCLE_1)
	s_or_b32 exec_lo, exec_lo, s8
	s_and_saveexec_b32 s48, s1
	s_cbranch_execz .LBB303_46
; %bb.39:                               ;   in Loop: Header=BB303_5 Depth=1
	v_dual_mov_b32 v49, v1 :: v_dual_bitop2_b32 v38, 2, v0 bitop3:0x54
	v_mov_b32_e32 v39, v1
	v_mul_u64_e32 v[50:51], s[36:37], v[0:1]
	v_or_b32_e32 v0, 3, v0
	s_delay_alu instid0(VALU_DEP_4)
	v_mul_u64_e32 v[52:53], s[36:37], v[48:49]
	v_cmp_gt_i32_e64 s7, s35, v48
	v_mul_u64_e32 v[54:55], s[36:37], v[38:39]
	v_cmp_gt_i32_e64 s8, s35, v38
	;; [unrolled: 2-line block ×3, first 2 shown]
	s_wait_loadcnt_dscnt 0x0
	v_dual_mov_b32 v58, v41 :: v_dual_mov_b32 v59, v40
	v_dual_cndmask_b32 v39, 0, v51 :: v_dual_cndmask_b32 v38, 0, v50
	v_dual_cndmask_b32 v49, 0, v53, s7 :: v_dual_cndmask_b32 v48, 0, v52, s7
	v_dual_cndmask_b32 v51, 0, v55, s8 :: v_dual_cndmask_b32 v50, 0, v54, s8
	;; [unrolled: 1-line block ×3, first 2 shown]
	s_delay_alu instid0(VALU_DEP_4) | instskip(NEXT) | instid1(VALU_DEP_4)
	v_lshl_add_u64 v[38:39], v[38:39], 3, v[36:37]
	v_lshl_add_u64 v[48:49], v[48:49], 3, v[36:37]
	s_delay_alu instid0(VALU_DEP_4)
	v_lshl_add_u64 v[50:51], v[50:51], 3, v[36:37]
	v_dual_mov_b32 v56, v43 :: v_dual_mov_b32 v57, v42
	v_lshl_add_u64 v[36:37], v[52:53], 3, v[36:37]
	v_add_nc_u64_e32 v[76:77], v[38:39], v[8:9]
	v_add_nc_u64_e32 v[78:79], v[48:49], v[8:9]
	v_add_nc_u64_e32 v[80:81], v[50:51], v[8:9]
	v_dual_mov_b32 v54, v45 :: v_dual_mov_b32 v55, v44
	v_add_nc_u64_e32 v[82:83], v[36:37], v[8:9]
	s_clause 0x3
	flat_load_b64 v[52:53], v[76:77]
	flat_load_b64 v[48:49], v[78:79]
	;; [unrolled: 1-line block ×4, first 2 shown]
	v_dual_mov_b32 v50, v47 :: v_dual_mov_b32 v51, v46
	s_wait_xcnt 0x0
	s_and_saveexec_b32 s7, s2
	s_cbranch_execz .LBB303_45
; %bb.40:                               ;   in Loop: Header=BB303_5 Depth=1
	s_clause 0x3
	flat_load_b64 v[66:67], v[76:77] offset:512
	flat_load_b64 v[64:65], v[78:79] offset:512
	flat_load_b64 v[62:63], v[80:81] offset:512
	flat_load_b64 v[60:61], v[82:83] offset:512
	s_wait_xcnt 0x0
	s_and_saveexec_b32 s8, s3
	s_cbranch_execz .LBB303_44
; %bb.41:                               ;   in Loop: Header=BB303_5 Depth=1
	s_clause 0x3
	flat_load_b64 v[74:75], v[76:77] offset:1024
	flat_load_b64 v[72:73], v[78:79] offset:1024
	flat_load_b64 v[70:71], v[80:81] offset:1024
	flat_load_b64 v[68:69], v[82:83] offset:1024
	;; [unrolled: 9-line block ×3, first 2 shown]
	s_wait_loadcnt_dscnt 0x303
	v_pk_mul_f32 v[84:85], v[58:59], v[76:77] op_sel:[0,1]
	s_wait_loadcnt_dscnt 0x202
	v_pk_mul_f32 v[86:87], v[56:57], v[78:79] op_sel:[0,1]
	;; [unrolled: 2-line block ×3, first 2 shown]
	v_pk_fma_f32 v[88:89], v[40:41], v[76:77], v[84:85] op_sel_hi:[1,0,1]
	s_wait_xcnt 0x3
	v_pk_fma_f32 v[76:77], v[40:41], v[76:77], v[84:85] neg_lo:[0,0,1] neg_hi:[0,0,1]
	v_pk_fma_f32 v[84:85], v[42:43], v[78:79], v[86:87] op_sel_hi:[1,0,1]
	s_wait_xcnt 0x2
	v_pk_fma_f32 v[78:79], v[42:43], v[78:79], v[86:87] neg_lo:[0,0,1] neg_hi:[0,0,1]
	v_pk_fma_f32 v[86:87], v[44:45], v[80:81], v[90:91] op_sel_hi:[1,0,1]
	v_mov_b32_e32 v77, v89
	s_wait_xcnt 0x1
	v_pk_fma_f32 v[80:81], v[44:45], v[80:81], v[90:91] neg_lo:[0,0,1] neg_hi:[0,0,1]
	v_mov_b32_e32 v79, v85
	s_delay_alu instid0(VALU_DEP_3) | instskip(SKIP_2) | instid1(VALU_DEP_2)
	v_pk_add_f32 v[30:31], v[30:31], v[76:77]
	s_wait_loadcnt_dscnt 0x0
	v_pk_mul_f32 v[76:77], v[50:51], v[82:83] op_sel:[0,1]
	v_pk_add_f32 v[30:31], v[78:79], v[30:31]
	s_delay_alu instid0(VALU_DEP_2) | instskip(SKIP_2) | instid1(VALU_DEP_3)
	v_pk_fma_f32 v[78:79], v[46:47], v[82:83], v[76:77] op_sel_hi:[1,0,1]
	v_mov_b32_e32 v81, v87
	v_pk_fma_f32 v[76:77], v[46:47], v[82:83], v[76:77] neg_lo:[0,0,1] neg_hi:[0,0,1]
	v_mov_b32_e32 v77, v79
	s_delay_alu instid0(VALU_DEP_3) | instskip(NEXT) | instid1(VALU_DEP_1)
	v_pk_add_f32 v[30:31], v[80:81], v[30:31]
	v_pk_add_f32 v[30:31], v[76:77], v[30:31]
.LBB303_43:                             ;   in Loop: Header=BB303_5 Depth=1
	s_wait_xcnt 0x0
	s_or_b32 exec_lo, exec_lo, s9
	s_wait_loadcnt_dscnt 0x303
	v_pk_mul_f32 v[76:77], v[58:59], v[74:75] op_sel:[0,1]
	s_wait_loadcnt_dscnt 0x202
	v_pk_mul_f32 v[78:79], v[56:57], v[72:73] op_sel:[0,1]
	;; [unrolled: 2-line block ×3, first 2 shown]
	v_pk_fma_f32 v[80:81], v[40:41], v[74:75], v[76:77] op_sel_hi:[1,0,1]
	v_pk_fma_f32 v[74:75], v[40:41], v[74:75], v[76:77] neg_lo:[0,0,1] neg_hi:[0,0,1]
	v_pk_fma_f32 v[76:77], v[42:43], v[72:73], v[78:79] op_sel_hi:[1,0,1]
	v_pk_fma_f32 v[72:73], v[42:43], v[72:73], v[78:79] neg_lo:[0,0,1] neg_hi:[0,0,1]
	v_pk_fma_f32 v[78:79], v[44:45], v[70:71], v[82:83] op_sel_hi:[1,0,1]
	v_mov_b32_e32 v75, v81
	v_pk_fma_f32 v[70:71], v[44:45], v[70:71], v[82:83] neg_lo:[0,0,1] neg_hi:[0,0,1]
	v_mov_b32_e32 v73, v77
	s_delay_alu instid0(VALU_DEP_3) | instskip(SKIP_2) | instid1(VALU_DEP_2)
	v_pk_add_f32 v[32:33], v[32:33], v[74:75]
	s_wait_loadcnt_dscnt 0x0
	v_pk_mul_f32 v[74:75], v[50:51], v[68:69] op_sel:[0,1]
	v_pk_add_f32 v[32:33], v[72:73], v[32:33]
	s_delay_alu instid0(VALU_DEP_2) | instskip(SKIP_2) | instid1(VALU_DEP_3)
	v_pk_fma_f32 v[72:73], v[46:47], v[68:69], v[74:75] op_sel_hi:[1,0,1]
	v_mov_b32_e32 v71, v79
	v_pk_fma_f32 v[68:69], v[46:47], v[68:69], v[74:75] neg_lo:[0,0,1] neg_hi:[0,0,1]
	v_mov_b32_e32 v69, v73
	s_delay_alu instid0(VALU_DEP_3) | instskip(NEXT) | instid1(VALU_DEP_1)
	v_pk_add_f32 v[32:33], v[70:71], v[32:33]
	v_pk_add_f32 v[32:33], v[68:69], v[32:33]
.LBB303_44:                             ;   in Loop: Header=BB303_5 Depth=1
	s_or_b32 exec_lo, exec_lo, s8
	s_wait_loadcnt_dscnt 0x303
	v_pk_mul_f32 v[68:69], v[58:59], v[66:67] op_sel:[0,1]
	s_wait_loadcnt_dscnt 0x202
	v_pk_mul_f32 v[70:71], v[56:57], v[64:65] op_sel:[0,1]
	;; [unrolled: 2-line block ×3, first 2 shown]
	v_pk_fma_f32 v[72:73], v[40:41], v[66:67], v[68:69] op_sel_hi:[1,0,1]
	v_pk_fma_f32 v[66:67], v[40:41], v[66:67], v[68:69] neg_lo:[0,0,1] neg_hi:[0,0,1]
	v_pk_fma_f32 v[68:69], v[42:43], v[64:65], v[70:71] op_sel_hi:[1,0,1]
	v_pk_fma_f32 v[64:65], v[42:43], v[64:65], v[70:71] neg_lo:[0,0,1] neg_hi:[0,0,1]
	v_pk_fma_f32 v[70:71], v[44:45], v[62:63], v[74:75] op_sel_hi:[1,0,1]
	v_mov_b32_e32 v67, v73
	v_pk_fma_f32 v[62:63], v[44:45], v[62:63], v[74:75] neg_lo:[0,0,1] neg_hi:[0,0,1]
	v_mov_b32_e32 v65, v69
	s_delay_alu instid0(VALU_DEP_3) | instskip(SKIP_2) | instid1(VALU_DEP_2)
	v_pk_add_f32 v[34:35], v[34:35], v[66:67]
	s_wait_loadcnt_dscnt 0x0
	v_pk_mul_f32 v[66:67], v[50:51], v[60:61] op_sel:[0,1]
	v_pk_add_f32 v[34:35], v[64:65], v[34:35]
	s_delay_alu instid0(VALU_DEP_2) | instskip(SKIP_2) | instid1(VALU_DEP_3)
	v_pk_fma_f32 v[64:65], v[46:47], v[60:61], v[66:67] op_sel_hi:[1,0,1]
	v_mov_b32_e32 v63, v71
	v_pk_fma_f32 v[60:61], v[46:47], v[60:61], v[66:67] neg_lo:[0,0,1] neg_hi:[0,0,1]
	v_mov_b32_e32 v61, v65
	s_delay_alu instid0(VALU_DEP_3) | instskip(NEXT) | instid1(VALU_DEP_1)
	v_pk_add_f32 v[34:35], v[62:63], v[34:35]
	v_pk_add_f32 v[34:35], v[60:61], v[34:35]
.LBB303_45:                             ;   in Loop: Header=BB303_5 Depth=1
	s_or_b32 exec_lo, exec_lo, s7
	s_wait_loadcnt_dscnt 0x303
	v_pk_mul_f32 v[58:59], v[58:59], v[52:53] op_sel:[0,1]
	s_wait_loadcnt_dscnt 0x202
	v_pk_mul_f32 v[56:57], v[56:57], v[48:49] op_sel:[0,1]
	;; [unrolled: 2-line block ×3, first 2 shown]
	v_pk_fma_f32 v[60:61], v[40:41], v[52:53], v[58:59] op_sel_hi:[1,0,1]
	v_pk_fma_f32 v[40:41], v[40:41], v[52:53], v[58:59] neg_lo:[0,0,1] neg_hi:[0,0,1]
	v_pk_fma_f32 v[52:53], v[42:43], v[48:49], v[56:57] op_sel_hi:[1,0,1]
	v_pk_fma_f32 v[42:43], v[42:43], v[48:49], v[56:57] neg_lo:[0,0,1] neg_hi:[0,0,1]
	v_pk_fma_f32 v[48:49], v[44:45], v[38:39], v[54:55] op_sel_hi:[1,0,1]
	v_mov_b32_e32 v41, v61
	v_pk_fma_f32 v[38:39], v[44:45], v[38:39], v[54:55] neg_lo:[0,0,1] neg_hi:[0,0,1]
	v_mov_b32_e32 v43, v53
	s_delay_alu instid0(VALU_DEP_3) | instskip(SKIP_2) | instid1(VALU_DEP_2)
	v_pk_add_f32 v[28:29], v[28:29], v[40:41]
	s_wait_loadcnt_dscnt 0x0
	v_pk_mul_f32 v[40:41], v[50:51], v[36:37] op_sel:[0,1]
	v_pk_add_f32 v[28:29], v[42:43], v[28:29]
	s_delay_alu instid0(VALU_DEP_2) | instskip(SKIP_2) | instid1(VALU_DEP_3)
	v_pk_fma_f32 v[42:43], v[46:47], v[36:37], v[40:41] op_sel_hi:[1,0,1]
	v_mov_b32_e32 v39, v49
	v_pk_fma_f32 v[36:37], v[46:47], v[36:37], v[40:41] neg_lo:[0,0,1] neg_hi:[0,0,1]
	v_mov_b32_e32 v37, v43
	s_delay_alu instid0(VALU_DEP_3) | instskip(NEXT) | instid1(VALU_DEP_1)
	v_pk_add_f32 v[28:29], v[38:39], v[28:29]
	v_pk_add_f32 v[28:29], v[36:37], v[28:29]
.LBB303_46:                             ;   in Loop: Header=BB303_5 Depth=1
	s_or_b32 exec_lo, exec_lo, s48
.LBB303_47:                             ;   in Loop: Header=BB303_5 Depth=1
	ds_store_2addr_stride64_b64 v95, v[28:29], v[34:35] offset1:1
	ds_store_2addr_stride64_b64 v95, v[32:33], v[30:31] offset0:2 offset1:3
	s_wait_storecnt 0x0
	s_wait_loadcnt_dscnt 0x0
	s_barrier_signal -1
	s_barrier_wait -1
	s_and_saveexec_b32 s8, s5
	s_cbranch_execz .LBB303_3
; %bb.48:                               ;   in Loop: Header=BB303_5 Depth=1
	ds_load_2addr_stride64_b64 v[28:31], v96 offset1:4
	ds_load_2addr_stride64_b64 v[32:35], v96 offset0:8 offset1:12
	ds_load_2addr_stride64_b64 v[36:39], v96 offset0:16 offset1:20
	s_wait_dscnt 0x2
	v_pk_add_f32 v[40:41], v[28:29], v[30:31]
	ds_load_2addr_stride64_b64 v[28:31], v96 offset0:24 offset1:28
	s_wait_dscnt 0x2
	v_pk_add_f32 v[32:33], v[40:41], v[32:33]
	s_delay_alu instid0(VALU_DEP_1) | instskip(SKIP_3) | instid1(VALU_DEP_1)
	v_pk_add_f32 v[40:41], v[32:33], v[34:35]
	ds_load_2addr_stride64_b64 v[32:35], v96 offset0:32 offset1:36
	s_wait_dscnt 0x2
	v_pk_add_f32 v[36:37], v[40:41], v[36:37]
	v_pk_add_f32 v[40:41], v[36:37], v[38:39]
	ds_load_2addr_stride64_b64 v[36:39], v96 offset0:40 offset1:44
	s_wait_dscnt 0x2
	v_pk_add_f32 v[28:29], v[40:41], v[28:29]
	s_delay_alu instid0(VALU_DEP_1) | instskip(SKIP_1) | instid1(VALU_DEP_1)
	v_pk_add_f32 v[28:29], v[28:29], v[30:31]
	s_wait_dscnt 0x1
	v_pk_add_f32 v[32:33], v[28:29], v[32:33]
	ds_load_2addr_stride64_b64 v[28:31], v96 offset0:48 offset1:52
	v_pk_add_f32 v[32:33], v[32:33], v[34:35]
	s_wait_dscnt 0x1
	s_delay_alu instid0(VALU_DEP_1) | instskip(SKIP_3) | instid1(VALU_DEP_1)
	v_pk_add_f32 v[36:37], v[32:33], v[36:37]
	ds_load_2addr_stride64_b64 v[32:35], v96 offset0:56 offset1:60
	v_pk_add_f32 v[36:37], v[36:37], v[38:39]
	s_wait_dscnt 0x1
	v_pk_add_f32 v[28:29], v[36:37], v[28:29]
	s_delay_alu instid0(VALU_DEP_1) | instskip(SKIP_1) | instid1(VALU_DEP_1)
	v_pk_add_f32 v[28:29], v[28:29], v[30:31]
	s_wait_dscnt 0x0
	v_pk_add_f32 v[28:29], v[28:29], v[32:33]
	s_delay_alu instid0(VALU_DEP_1)
	v_pk_add_f32 v[30:31], v[28:29], v[34:35]
	ds_store_b64 v96, v[30:31]
	s_and_b32 exec_lo, exec_lo, s6
	s_cbranch_execz .LBB303_3
; %bb.49:                               ;   in Loop: Header=BB303_5 Depth=1
	v_mov_b64_e32 v[32:33], s[44:45]
	v_cmp_neq_f32_e32 vcc_lo, 0, v24
	v_cmp_neq_f32_e64 s7, 0, v25
	v_lshl_add_u64 v[26:27], v[4:5], 3, v[26:27]
	s_or_b32 s7, vcc_lo, s7
	v_pk_mul_f32 v[34:35], v[30:31], v[32:33] op_sel:[1,1] op_sel_hi:[1,0]
	s_and_not1_b32 vcc_lo, exec_lo, s7
	s_delay_alu instid0(VALU_DEP_1)
	v_pk_fma_f32 v[28:29], v[30:31], v[32:33], v[34:35] op_sel_hi:[0,1,1] neg_lo:[0,0,1] neg_hi:[0,0,1]
	v_pk_fma_f32 v[30:31], v[30:31], v[32:33], v[34:35] op_sel_hi:[0,1,1]
	s_cbranch_vccnz .LBB303_2
; %bb.50:                               ;   in Loop: Header=BB303_5 Depth=1
	flat_load_b64 v[32:33], v[26:27]
	s_wait_loadcnt_dscnt 0x0
	v_pk_mul_f32 v[34:35], v[24:25], v[32:33] op_sel:[1,1] op_sel_hi:[0,1]
	s_delay_alu instid0(VALU_DEP_1) | instskip(SKIP_1) | instid1(VALU_DEP_2)
	v_pk_fma_f32 v[36:37], v[24:25], v[32:33], v[34:35] op_sel_hi:[1,0,1]
	v_pk_fma_f32 v[24:25], v[24:25], v[32:33], v[34:35] neg_lo:[0,0,1] neg_hi:[0,0,1]
	v_dual_mov_b32 v29, v31 :: v_dual_mov_b32 v25, v37
	s_delay_alu instid0(VALU_DEP_1) | instskip(NEXT) | instid1(VALU_DEP_1)
	v_pk_add_f32 v[28:29], v[28:29], v[24:25]
	v_mov_b32_e32 v31, v29
	s_branch .LBB303_2
.LBB303_51:
	s_sendmsg sendmsg(MSG_DEALLOC_VGPRS)
	s_endpgm
	.section	.rodata,"a",@progbits
	.p2align	6, 0x0
	.amdhsa_kernel _ZL20rocblas_gemvn_kernelILi64ELi16ElPK19rocblas_complex_numIfES3_KPS1_EviiT3_lPKT2_lT1_lS9_lSA_lS6_lPT4_lSA_li
		.amdhsa_group_segment_fixed_size 32768
		.amdhsa_private_segment_fixed_size 0
		.amdhsa_kernarg_size 400
		.amdhsa_user_sgpr_count 2
		.amdhsa_user_sgpr_dispatch_ptr 0
		.amdhsa_user_sgpr_queue_ptr 0
		.amdhsa_user_sgpr_kernarg_segment_ptr 1
		.amdhsa_user_sgpr_dispatch_id 0
		.amdhsa_user_sgpr_kernarg_preload_length 0
		.amdhsa_user_sgpr_kernarg_preload_offset 0
		.amdhsa_user_sgpr_private_segment_size 0
		.amdhsa_wavefront_size32 1
		.amdhsa_uses_dynamic_stack 0
		.amdhsa_enable_private_segment 0
		.amdhsa_system_sgpr_workgroup_id_x 1
		.amdhsa_system_sgpr_workgroup_id_y 0
		.amdhsa_system_sgpr_workgroup_id_z 1
		.amdhsa_system_sgpr_workgroup_info 0
		.amdhsa_system_vgpr_workitem_id 1
		.amdhsa_next_free_vgpr 103
		.amdhsa_next_free_sgpr 51
		.amdhsa_named_barrier_count 0
		.amdhsa_reserve_vcc 1
		.amdhsa_float_round_mode_32 0
		.amdhsa_float_round_mode_16_64 0
		.amdhsa_float_denorm_mode_32 3
		.amdhsa_float_denorm_mode_16_64 3
		.amdhsa_fp16_overflow 0
		.amdhsa_memory_ordered 1
		.amdhsa_forward_progress 1
		.amdhsa_inst_pref_size 33
		.amdhsa_round_robin_scheduling 0
		.amdhsa_exception_fp_ieee_invalid_op 0
		.amdhsa_exception_fp_denorm_src 0
		.amdhsa_exception_fp_ieee_div_zero 0
		.amdhsa_exception_fp_ieee_overflow 0
		.amdhsa_exception_fp_ieee_underflow 0
		.amdhsa_exception_fp_ieee_inexact 0
		.amdhsa_exception_int_div_zero 0
	.end_amdhsa_kernel
	.section	.text._ZL20rocblas_gemvn_kernelILi64ELi16ElPK19rocblas_complex_numIfES3_KPS1_EviiT3_lPKT2_lT1_lS9_lSA_lS6_lPT4_lSA_li,"axG",@progbits,_ZL20rocblas_gemvn_kernelILi64ELi16ElPK19rocblas_complex_numIfES3_KPS1_EviiT3_lPKT2_lT1_lS9_lSA_lS6_lPT4_lSA_li,comdat
.Lfunc_end303:
	.size	_ZL20rocblas_gemvn_kernelILi64ELi16ElPK19rocblas_complex_numIfES3_KPS1_EviiT3_lPKT2_lT1_lS9_lSA_lS6_lPT4_lSA_li, .Lfunc_end303-_ZL20rocblas_gemvn_kernelILi64ELi16ElPK19rocblas_complex_numIfES3_KPS1_EviiT3_lPKT2_lT1_lS9_lSA_lS6_lPT4_lSA_li
                                        ; -- End function
	.set _ZL20rocblas_gemvn_kernelILi64ELi16ElPK19rocblas_complex_numIfES3_KPS1_EviiT3_lPKT2_lT1_lS9_lSA_lS6_lPT4_lSA_li.num_vgpr, 103
	.set _ZL20rocblas_gemvn_kernelILi64ELi16ElPK19rocblas_complex_numIfES3_KPS1_EviiT3_lPKT2_lT1_lS9_lSA_lS6_lPT4_lSA_li.num_agpr, 0
	.set _ZL20rocblas_gemvn_kernelILi64ELi16ElPK19rocblas_complex_numIfES3_KPS1_EviiT3_lPKT2_lT1_lS9_lSA_lS6_lPT4_lSA_li.numbered_sgpr, 51
	.set _ZL20rocblas_gemvn_kernelILi64ELi16ElPK19rocblas_complex_numIfES3_KPS1_EviiT3_lPKT2_lT1_lS9_lSA_lS6_lPT4_lSA_li.num_named_barrier, 0
	.set _ZL20rocblas_gemvn_kernelILi64ELi16ElPK19rocblas_complex_numIfES3_KPS1_EviiT3_lPKT2_lT1_lS9_lSA_lS6_lPT4_lSA_li.private_seg_size, 0
	.set _ZL20rocblas_gemvn_kernelILi64ELi16ElPK19rocblas_complex_numIfES3_KPS1_EviiT3_lPKT2_lT1_lS9_lSA_lS6_lPT4_lSA_li.uses_vcc, 1
	.set _ZL20rocblas_gemvn_kernelILi64ELi16ElPK19rocblas_complex_numIfES3_KPS1_EviiT3_lPKT2_lT1_lS9_lSA_lS6_lPT4_lSA_li.uses_flat_scratch, 1
	.set _ZL20rocblas_gemvn_kernelILi64ELi16ElPK19rocblas_complex_numIfES3_KPS1_EviiT3_lPKT2_lT1_lS9_lSA_lS6_lPT4_lSA_li.has_dyn_sized_stack, 0
	.set _ZL20rocblas_gemvn_kernelILi64ELi16ElPK19rocblas_complex_numIfES3_KPS1_EviiT3_lPKT2_lT1_lS9_lSA_lS6_lPT4_lSA_li.has_recursion, 0
	.set _ZL20rocblas_gemvn_kernelILi64ELi16ElPK19rocblas_complex_numIfES3_KPS1_EviiT3_lPKT2_lT1_lS9_lSA_lS6_lPT4_lSA_li.has_indirect_call, 0
	.section	.AMDGPU.csdata,"",@progbits
; Kernel info:
; codeLenInByte = 4200
; TotalNumSgprs: 53
; NumVgprs: 103
; ScratchSize: 0
; MemoryBound: 0
; FloatMode: 240
; IeeeMode: 1
; LDSByteSize: 32768 bytes/workgroup (compile time only)
; SGPRBlocks: 0
; VGPRBlocks: 6
; NumSGPRsForWavesPerEU: 53
; NumVGPRsForWavesPerEU: 103
; NamedBarCnt: 0
; Occupancy: 9
; WaveLimiterHint : 1
; COMPUTE_PGM_RSRC2:SCRATCH_EN: 0
; COMPUTE_PGM_RSRC2:USER_SGPR: 2
; COMPUTE_PGM_RSRC2:TRAP_HANDLER: 0
; COMPUTE_PGM_RSRC2:TGID_X_EN: 1
; COMPUTE_PGM_RSRC2:TGID_Y_EN: 0
; COMPUTE_PGM_RSRC2:TGID_Z_EN: 1
; COMPUTE_PGM_RSRC2:TIDIG_COMP_CNT: 1
	.section	.text._ZL20rocblas_gemvn_kernelILi64ELi16EiPK19rocblas_complex_numIfES1_KPS1_EviiT3_lPKT2_lT1_lS9_lSA_lS6_lPT4_lSA_li,"axG",@progbits,_ZL20rocblas_gemvn_kernelILi64ELi16EiPK19rocblas_complex_numIfES1_KPS1_EviiT3_lPKT2_lT1_lS9_lSA_lS6_lPT4_lSA_li,comdat
	.globl	_ZL20rocblas_gemvn_kernelILi64ELi16EiPK19rocblas_complex_numIfES1_KPS1_EviiT3_lPKT2_lT1_lS9_lSA_lS6_lPT4_lSA_li ; -- Begin function _ZL20rocblas_gemvn_kernelILi64ELi16EiPK19rocblas_complex_numIfES1_KPS1_EviiT3_lPKT2_lT1_lS9_lSA_lS6_lPT4_lSA_li
	.p2align	8
	.type	_ZL20rocblas_gemvn_kernelILi64ELi16EiPK19rocblas_complex_numIfES1_KPS1_EviiT3_lPKT2_lT1_lS9_lSA_lS6_lPT4_lSA_li,@function
_ZL20rocblas_gemvn_kernelILi64ELi16EiPK19rocblas_complex_numIfES1_KPS1_EviiT3_lPKT2_lT1_lS9_lSA_lS6_lPT4_lSA_li: ; @_ZL20rocblas_gemvn_kernelILi64ELi16EiPK19rocblas_complex_numIfES1_KPS1_EviiT3_lPKT2_lT1_lS9_lSA_lS6_lPT4_lSA_li
; %bb.0:
	s_clause 0x1
	s_load_b64 s[4:5], s[0:1], 0x9c
	s_load_b32 s33, s[0:1], 0x88
	s_bfe_u32 s2, ttmp6, 0x40014
	s_lshr_b32 s3, ttmp7, 16
	s_add_co_i32 s2, s2, 1
	s_bfe_u32 s6, ttmp6, 0x40008
	s_mul_i32 s7, s3, s2
	s_getreg_b32 s2, hwreg(HW_REG_IB_STS2, 6, 4)
	s_add_co_i32 s6, s6, s7
	s_mov_b32 s25, 0
	s_wait_kmcnt 0x0
	s_lshr_b32 s7, s4, 16
	s_and_b32 s4, s4, 0xffff
	s_and_b32 s5, s5, 0xffff
	s_mul_i32 s4, s7, s4
	s_cmp_eq_u32 s2, 0
	s_mul_i32 s4, s4, s5
	s_cselect_b32 s24, s3, s6
	s_cmp_lg_u32 s4, 0x400
	s_cselect_b32 s3, -1, 0
	s_cmp_ge_u32 s24, s33
	s_cselect_b32 s4, -1, 0
	s_delay_alu instid0(SALU_CYCLE_1) | instskip(NEXT) | instid1(SALU_CYCLE_1)
	s_or_b32 s3, s3, s4
	s_and_b32 vcc_lo, exec_lo, s3
	s_cbranch_vccnz .LBB304_53
; %bb.1:
	s_clause 0x7
	s_load_b32 s4, s[0:1], 0x78
	s_load_b128 s[8:11], s[0:1], 0x0
	s_load_b64 s[26:27], s[0:1], 0x58
	s_load_b128 s[12:15], s[0:1], 0x18
	s_load_b128 s[16:19], s[0:1], 0x68
	s_load_b32 s34, s[0:1], 0x28
	s_load_b128 s[20:23], s[0:1], 0x38
	s_load_b32 s35, s[0:1], 0x48
	v_and_b32_e32 v6, 0x3ff, v0
	v_bfe_u32 v7, v0, 10, 10
	s_delay_alu instid0(VALU_DEP_2) | instskip(NEXT) | instid1(VALU_DEP_2)
	v_dual_mov_b32 v1, 0 :: v_dual_lshlrev_b32 v0, 3, v6
	v_lshl_add_u32 v2, v7, 6, v6
	s_delay_alu instid0(VALU_DEP_2)
	v_lshl_add_u32 v65, v7, 11, v0
	v_lshl_add_u32 v66, v7, 9, v0
	s_wait_kmcnt 0x0
	s_ashr_i32 s5, s4, 31
	s_cmp_neq_f32 s10, 0
	s_mov_b32 s6, s8
	v_mul_lo_u32 v11, v7, s34
	s_mov_b32 s28, s27
	s_cselect_b32 s3, -1, 0
	s_cmp_neq_f32 s11, 0
	s_mov_b32 s29, s26
	s_mov_b32 s30, s11
	s_cselect_b32 s0, -1, 0
	s_delay_alu instid0(SALU_CYCLE_1) | instskip(SKIP_2) | instid1(VALU_DEP_2)
	s_or_b32 s31, s3, s0
	s_cmp_neq_f32 s26, 1.0
	v_cmp_gt_u32_e64 s0, 0x100, v2
	v_lshl_add_u32 v70, v11, 2, v6
	s_cselect_b32 s41, -1, 0
	s_cmp_neq_f32 s27, 0
	s_cselect_b32 s44, -1, 0
	s_or_b32 s1, s10, s11
	s_delay_alu instid0(SALU_CYCLE_1) | instskip(NEXT) | instid1(SALU_CYCLE_1)
	s_bitset0_b32 s1, 31
	s_cmp_lg_u32 s1, 0
	s_cselect_b32 s36, -1, 0
	s_cmp_eq_u32 s1, 0
	s_cselect_b32 s37, -1, 0
	s_bfe_u32 s1, ttmp6, 0x4000c
	s_and_b32 s3, ttmp6, 15
	s_add_co_i32 s1, s1, 1
	s_delay_alu instid0(SALU_CYCLE_1) | instskip(NEXT) | instid1(SALU_CYCLE_1)
	s_mul_i32 s1, ttmp9, s1
	s_add_co_i32 s3, s3, s1
	s_cmp_eq_u32 s2, 0
	s_cselect_b32 s1, ttmp9, s3
	s_ashr_i32 s7, s8, 31
	s_lshl_b32 s38, s1, 8
	s_delay_alu instid0(SALU_CYCLE_1) | instskip(SKIP_3) | instid1(VALU_DEP_3)
	v_dual_lshlrev_b32 v64, 2, v7 :: v_dual_add_nc_u32 v0, s38, v2
	v_mul_lo_u32 v7, v7, s35
	v_or_b32_e32 v4, s38, v2
	s_cmp_neq_f32 s26, 0
	v_dual_add_nc_u32 v67, s38, v6 :: v_dual_bitop2_b32 v8, 2, v64 bitop3:0x54
	v_mul_u64_e32 v[2:3], s[4:5], v[0:1]
	s_cselect_b32 s1, -1, 0
	s_ashr_i32 s2, s9, 31
	v_or_b32_e32 v9, 3, v64
	v_mul_lo_u32 v10, s34, v64
	s_lshr_b32 s3, s2, 26
	v_lshlrev_b32_e32 v74, 2, v7
	v_cmp_gt_i32_e64 s2, s8, v4
	v_mul_lo_u32 v4, s4, v4
	s_add_co_i32 s40, s9, s3
	v_cmp_gt_i64_e32 vcc_lo, s[6:7], v[0:1]
	v_add_nc_u32_e32 v0, 64, v67
	v_mad_u32 v68, s34, v8, v6
	v_mad_u32 v69, s34, v9, v6
	;; [unrolled: 1-line block ×3, first 2 shown]
	v_mul_lo_u32 v72, s35, v8
	v_mul_lo_u32 v73, s35, v9
	v_add_nc_u32_e32 v5, 0x80, v67
	v_add_nc_u32_e32 v12, 0xc0, v67
	s_and_not1_b32 s40, s40, 63
	s_or_b32 s39, s1, s44
	s_sub_co_i32 s6, s9, s40
	v_cmp_gt_i32_e64 s1, s8, v67
	s_cmp_gt_i32 s6, 0
	v_cmp_gt_i32_e64 s3, s8, v0
	v_cmp_gt_i32_e64 s4, s8, v5
	;; [unrolled: 1-line block ×4, first 2 shown]
	v_ashrrev_i32_e32 v5, 31, v4
	v_add3_u32 v0, v10, s34, v6
	s_cselect_b32 s8, -1, 0
	s_or_b32 s7, s31, s41
	s_and_b32 s41, s0, vcc_lo
	s_mov_b32 s31, s10
	s_lshl_b32 s42, s34, 6
	s_lshl_b32 s43, s35, 6
	s_or_b32 s44, s7, s44
	s_lshl_b64 s[14:15], s[14:15], 3
	s_lshl_b64 s[22:23], s[22:23], 3
	;; [unrolled: 1-line block ×3, first 2 shown]
	s_branch .LBB304_5
.LBB304_2:                              ;   in Loop: Header=BB304_5 Depth=1
	s_delay_alu instid0(VALU_DEP_1)
	v_mov_b32_e32 v9, v11
	flat_store_b64 v[6:7], v[8:9]
.LBB304_3:                              ;   in Loop: Header=BB304_5 Depth=1
	s_wait_xcnt 0x0
	s_or_b32 exec_lo, exec_lo, s7
.LBB304_4:                              ;   in Loop: Header=BB304_5 Depth=1
	s_add_co_i32 s24, s24, 0x10000
	s_delay_alu instid0(SALU_CYCLE_1)
	s_cmp_lt_u32 s24, s33
	s_cbranch_scc0 .LBB304_53
.LBB304_5:                              ; =>This Loop Header: Depth=1
                                        ;     Child Loop BB304_25 Depth 2
	s_and_not1_b32 vcc_lo, exec_lo, s44
	s_cbranch_vccnz .LBB304_4
; %bb.6:                                ;   in Loop: Header=BB304_5 Depth=1
	s_and_not1_b32 vcc_lo, exec_lo, s37
	s_cbranch_vccnz .LBB304_8
; %bb.7:                                ;   in Loop: Header=BB304_5 Depth=1
	v_mov_b64_e32 v[18:19], 0
	v_mov_b64_e32 v[16:17], 0
	s_cbranch_execz .LBB304_9
	s_branch .LBB304_10
.LBB304_8:                              ;   in Loop: Header=BB304_5 Depth=1
	v_mov_b64_e32 v[18:19], 0
	v_mov_b64_e32 v[16:17], 0
.LBB304_9:                              ;   in Loop: Header=BB304_5 Depth=1
	s_wait_xcnt 0x0
	s_lshl_b64 s[46:47], s[24:25], 3
	s_delay_alu instid0(SALU_CYCLE_1)
	s_add_nc_u64 s[46:47], s[12:13], s[46:47]
	global_load_b64 v[6:7], v1, s[46:47]
	s_wait_loadcnt 0x0
	v_add_nc_u64_e32 v[16:17], s[14:15], v[6:7]
.LBB304_10:                             ;   in Loop: Header=BB304_5 Depth=1
	s_and_not1_b32 vcc_lo, exec_lo, s36
	s_cbranch_vccnz .LBB304_12
; %bb.11:                               ;   in Loop: Header=BB304_5 Depth=1
	s_wait_xcnt 0x0
	s_lshl_b64 s[46:47], s[24:25], 3
	s_delay_alu instid0(SALU_CYCLE_1)
	s_add_nc_u64 s[46:47], s[20:21], s[46:47]
	global_load_b64 v[6:7], v1, s[46:47]
	s_wait_loadcnt 0x0
	v_add_nc_u64_e32 v[18:19], s[22:23], v[6:7]
.LBB304_12:                             ;   in Loop: Header=BB304_5 Depth=1
	s_wait_xcnt 0x0
	s_lshl_b64 s[46:47], s[24:25], 3
	s_and_not1_b32 vcc_lo, exec_lo, s37
	s_add_nc_u64 s[46:47], s[16:17], s[46:47]
	s_mov_b32 s7, -1
	global_load_b64 v[6:7], v1, s[46:47]
	s_wait_loadcnt 0x0
	v_add_nc_u64_e32 v[6:7], s[18:19], v[6:7]
	s_cbranch_vccnz .LBB304_18
; %bb.13:                               ;   in Loop: Header=BB304_5 Depth=1
	s_wait_xcnt 0x0
	s_and_saveexec_b32 s7, s41
	s_cbranch_execz .LBB304_17
; %bb.14:                               ;   in Loop: Header=BB304_5 Depth=1
	v_dual_mov_b32 v10, 0 :: v_dual_mov_b32 v11, 0
	s_delay_alu instid0(VALU_DEP_2)
	v_lshl_add_u64 v[8:9], v[2:3], 3, v[6:7]
	s_and_not1_b32 vcc_lo, exec_lo, s39
	s_cbranch_vccnz .LBB304_16
; %bb.15:                               ;   in Loop: Header=BB304_5 Depth=1
	flat_load_b64 v[10:11], v[8:9]
	v_mov_b64_e32 v[12:13], s[28:29]
	v_mov_b64_e32 v[14:15], s[26:27]
	s_wait_loadcnt_dscnt 0x0
	s_delay_alu instid0(VALU_DEP_2) | instskip(NEXT) | instid1(VALU_DEP_1)
	v_pk_mul_f32 v[12:13], v[12:13], v[10:11] op_sel:[0,1]
	v_pk_fma_f32 v[20:21], v[14:15], v[10:11], v[12:13] op_sel_hi:[1,0,1]
	v_pk_fma_f32 v[10:11], v[14:15], v[10:11], v[12:13] neg_lo:[0,0,1] neg_hi:[0,0,1]
	s_delay_alu instid0(VALU_DEP_2)
	v_mov_b32_e32 v11, v21
.LBB304_16:                             ;   in Loop: Header=BB304_5 Depth=1
	flat_store_b64 v[8:9], v[10:11]
.LBB304_17:                             ;   in Loop: Header=BB304_5 Depth=1
	s_wait_xcnt 0x0
	s_or_b32 exec_lo, exec_lo, s7
	s_mov_b32 s7, 0
.LBB304_18:                             ;   in Loop: Header=BB304_5 Depth=1
	s_delay_alu instid0(SALU_CYCLE_1)
	s_and_not1_b32 vcc_lo, exec_lo, s7
	s_cbranch_vccnz .LBB304_4
; %bb.19:                               ;   in Loop: Header=BB304_5 Depth=1
	v_mov_b64_e32 v[10:11], 0
	v_mov_b64_e32 v[12:13], 0
	;; [unrolled: 1-line block ×4, first 2 shown]
	v_mov_b32_e32 v75, v64
	s_wait_xcnt 0x0
	s_and_saveexec_b32 s7, s6
	s_cbranch_execz .LBB304_31
; %bb.20:                               ;   in Loop: Header=BB304_5 Depth=1
	v_mov_b64_e32 v[8:9], 0
	v_mov_b64_e32 v[14:15], 0
	v_mov_b64_e32 v[12:13], 0
	v_mov_b64_e32 v[10:11], 0
	v_dual_mov_b32 v76, v70 :: v_dual_mov_b32 v77, v69
	v_dual_mov_b32 v78, v68 :: v_dual_mov_b32 v79, v0
	v_mov_b32_e32 v75, v64
	s_mov_b32 s45, 0
	s_mov_b32 s46, 0
	s_branch .LBB304_25
.LBB304_21:                             ;   in Loop: Header=BB304_25 Depth=2
	s_or_b32 exec_lo, exec_lo, s50
	s_wait_loadcnt_dscnt 0x303
	v_dual_mul_f32 v56, v31, v55 :: v_dual_mul_f32 v57, v30, v55
	s_wait_loadcnt_dscnt 0x202
	v_dual_mul_f32 v60, v29, v53 :: v_dual_mul_f32 v55, v28, v53
	s_wait_loadcnt_dscnt 0x101
	v_pk_mul_f32 v[58:59], v[46:47], v[50:51] op_sel:[0,1]
	v_dual_fma_f32 v56, v30, v54, -v56 :: v_dual_fmac_f32 v57, v31, v54
	s_delay_alu instid0(VALU_DEP_3) | instskip(NEXT) | instid1(VALU_DEP_3)
	v_dual_fma_f32 v54, v28, v52, -v60 :: v_dual_fmac_f32 v55, v29, v52
	v_pk_fma_f32 v[52:53], v[22:23], v[50:51], v[58:59] op_sel_hi:[1,0,1]
	v_pk_fma_f32 v[50:51], v[22:23], v[50:51], v[58:59] neg_lo:[0,0,1] neg_hi:[0,0,1]
	s_delay_alu instid0(VALU_DEP_4) | instskip(SKIP_3) | instid1(VALU_DEP_3)
	v_pk_add_f32 v[12:13], v[12:13], v[56:57]
	s_wait_loadcnt_dscnt 0x0
	v_pk_mul_f32 v[56:57], v[40:41], v[48:49] op_sel:[0,1]
	v_mov_b32_e32 v51, v53
	v_pk_add_f32 v[12:13], v[54:55], v[12:13]
	s_delay_alu instid0(VALU_DEP_3) | instskip(SKIP_1) | instid1(VALU_DEP_2)
	v_pk_fma_f32 v[52:53], v[20:21], v[48:49], v[56:57] op_sel_hi:[1,0,1]
	v_pk_fma_f32 v[48:49], v[20:21], v[48:49], v[56:57] neg_lo:[0,0,1] neg_hi:[0,0,1]
	v_mov_b32_e32 v49, v53
	s_delay_alu instid0(VALU_DEP_4) | instskip(NEXT) | instid1(VALU_DEP_1)
	v_pk_add_f32 v[12:13], v[50:51], v[12:13]
	v_pk_add_f32 v[12:13], v[48:49], v[12:13]
.LBB304_22:                             ;   in Loop: Header=BB304_25 Depth=2
	s_or_b32 exec_lo, exec_lo, s49
	s_wait_loadcnt_dscnt 0x303
	v_dual_mul_f32 v48, v31, v45 :: v_dual_mul_f32 v49, v30, v45
	s_wait_loadcnt_dscnt 0x202
	v_dual_mul_f32 v50, v29, v43 :: v_dual_mul_f32 v45, v28, v43
	s_wait_loadcnt_dscnt 0x101
	v_pk_mul_f32 v[46:47], v[46:47], v[38:39] op_sel:[0,1]
	v_dual_fma_f32 v48, v30, v44, -v48 :: v_dual_fmac_f32 v49, v31, v44
	s_delay_alu instid0(VALU_DEP_3) | instskip(NEXT) | instid1(VALU_DEP_3)
	v_dual_fma_f32 v44, v28, v42, -v50 :: v_dual_fmac_f32 v45, v29, v42
	v_pk_fma_f32 v[42:43], v[22:23], v[38:39], v[46:47] op_sel_hi:[1,0,1]
	s_wait_loadcnt_dscnt 0x0
	v_pk_mul_f32 v[40:41], v[40:41], v[36:37] op_sel:[0,1]
	v_pk_add_f32 v[14:15], v[14:15], v[48:49]
	v_pk_fma_f32 v[38:39], v[22:23], v[38:39], v[46:47] neg_lo:[0,0,1] neg_hi:[0,0,1]
	v_mov_b32_e32 v39, v43
	s_delay_alu instid0(VALU_DEP_4) | instskip(NEXT) | instid1(VALU_DEP_4)
	v_pk_fma_f32 v[42:43], v[20:21], v[36:37], v[40:41] op_sel_hi:[1,0,1]
	v_pk_add_f32 v[14:15], v[44:45], v[14:15]
	v_pk_fma_f32 v[36:37], v[20:21], v[36:37], v[40:41] neg_lo:[0,0,1] neg_hi:[0,0,1]
	s_delay_alu instid0(VALU_DEP_3) | instskip(NEXT) | instid1(VALU_DEP_3)
	v_mov_b32_e32 v37, v43
	v_pk_add_f32 v[14:15], v[38:39], v[14:15]
	s_delay_alu instid0(VALU_DEP_1)
	v_pk_add_f32 v[14:15], v[36:37], v[14:15]
.LBB304_23:                             ;   in Loop: Header=BB304_25 Depth=2
	s_or_b32 exec_lo, exec_lo, s48
	s_wait_loadcnt_dscnt 0x303
	v_dual_mul_f32 v36, v31, v35 :: v_dual_mul_f32 v37, v30, v35
	s_wait_loadcnt_dscnt 0x202
	v_dual_mul_f32 v40, v29, v33 :: v_dual_mul_f32 v35, v28, v33
	s_wait_loadcnt_dscnt 0x101
	v_pk_mul_f32 v[38:39], v[22:23], v[26:27] op_sel:[1,1] op_sel_hi:[0,1]
	v_dual_fma_f32 v36, v30, v34, -v36 :: v_dual_fmac_f32 v37, v31, v34
	s_delay_alu instid0(VALU_DEP_3) | instskip(NEXT) | instid1(VALU_DEP_3)
	v_dual_fma_f32 v34, v28, v32, -v40 :: v_dual_fmac_f32 v35, v29, v32
	v_pk_fma_f32 v[28:29], v[22:23], v[26:27], v[38:39] op_sel_hi:[1,0,1]
	s_wait_loadcnt_dscnt 0x0
	v_pk_mul_f32 v[30:31], v[20:21], v[24:25] op_sel:[1,1] op_sel_hi:[0,1]
	v_pk_add_f32 v[8:9], v[8:9], v[36:37]
	v_pk_fma_f32 v[22:23], v[22:23], v[26:27], v[38:39] neg_lo:[0,0,1] neg_hi:[0,0,1]
	s_delay_alu instid0(VALU_DEP_3) | instskip(SKIP_1) | instid1(VALU_DEP_4)
	v_pk_fma_f32 v[26:27], v[20:21], v[24:25], v[30:31] op_sel_hi:[1,0,1]
	v_mov_b32_e32 v23, v29
	v_pk_add_f32 v[8:9], v[34:35], v[8:9]
	v_pk_fma_f32 v[20:21], v[20:21], v[24:25], v[30:31] neg_lo:[0,0,1] neg_hi:[0,0,1]
	s_delay_alu instid0(VALU_DEP_4) | instskip(NEXT) | instid1(VALU_DEP_3)
	v_mov_b32_e32 v21, v27
	v_pk_add_f32 v[8:9], v[22:23], v[8:9]
	s_delay_alu instid0(VALU_DEP_1)
	v_pk_add_f32 v[8:9], v[20:21], v[8:9]
.LBB304_24:                             ;   in Loop: Header=BB304_25 Depth=2
	s_or_b32 exec_lo, exec_lo, s47
	v_dual_add_nc_u32 v75, 64, v75 :: v_dual_add_nc_u32 v78, s42, v78
	v_dual_add_nc_u32 v79, s42, v79 :: v_dual_add_nc_u32 v77, s42, v77
	v_add_nc_u32_e32 v76, s42, v76
	s_delay_alu instid0(VALU_DEP_3) | instskip(SKIP_2) | instid1(SALU_CYCLE_1)
	v_cmp_le_i32_e32 vcc_lo, s40, v75
	s_add_co_i32 s46, s46, s43
	s_or_b32 s45, vcc_lo, s45
	s_and_not1_b32 exec_lo, exec_lo, s45
	s_cbranch_execz .LBB304_30
.LBB304_25:                             ;   Parent Loop BB304_5 Depth=1
                                        ; =>  This Inner Loop Header: Depth=2
	s_and_saveexec_b32 s47, s1
	s_cbranch_execz .LBB304_24
; %bb.26:                               ;   in Loop: Header=BB304_25 Depth=2
	v_dual_add_nc_u32 v37, s46, v74 :: v_dual_add_nc_u32 v39, s46, v71
	v_readfirstlane_b32 s48, v18
	v_readfirstlane_b32 s49, v19
	v_dual_add_nc_u32 v41, s46, v72 :: v_dual_add_nc_u32 v43, s46, v73
	v_dual_add_nc_u32 v36, s38, v76 :: v_dual_add_nc_u32 v38, s38, v79
	v_readfirstlane_b32 s50, v16
	v_readfirstlane_b32 s51, v17
	v_dual_add_nc_u32 v42, s38, v78 :: v_dual_add_nc_u32 v40, s38, v77
	s_clause 0x3
	flat_load_b64 v[30:31], v37, s[48:49] scale_offset
	flat_load_b64 v[28:29], v39, s[48:49] scale_offset
	;; [unrolled: 1-line block ×4, first 2 shown]
	s_clause 0x3
	flat_load_b64 v[34:35], v36, s[50:51] scale_offset
	flat_load_b64 v[32:33], v38, s[50:51] scale_offset
	flat_load_b64 v[26:27], v42, s[50:51] scale_offset
	flat_load_b64 v[24:25], v40, s[50:51] scale_offset
	s_wait_xcnt 0x0
	s_and_saveexec_b32 s48, s3
	s_cbranch_execz .LBB304_23
; %bb.27:                               ;   in Loop: Header=BB304_25 Depth=2
	v_dual_ashrrev_i32 v37, 31, v36 :: v_dual_ashrrev_i32 v39, 31, v38
	v_dual_ashrrev_i32 v43, 31, v42 :: v_dual_ashrrev_i32 v41, 31, v40
	s_wait_loadcnt_dscnt 0x505
	v_dual_mov_b32 v46, v23 :: v_dual_mov_b32 v47, v22
	s_delay_alu instid0(VALU_DEP_3)
	v_lshl_add_u64 v[62:63], v[36:37], 3, v[16:17]
	v_lshl_add_u64 v[60:61], v[38:39], 3, v[16:17]
	;; [unrolled: 1-line block ×4, first 2 shown]
	s_clause 0x3
	flat_load_b64 v[44:45], v[62:63] offset:512
	flat_load_b64 v[42:43], v[60:61] offset:512
	;; [unrolled: 1-line block ×4, first 2 shown]
	s_wait_loadcnt_dscnt 0x808
	v_dual_mov_b32 v40, v21 :: v_dual_mov_b32 v41, v20
	s_wait_xcnt 0x0
	s_and_saveexec_b32 s49, s4
	s_cbranch_execz .LBB304_22
; %bb.28:                               ;   in Loop: Header=BB304_25 Depth=2
	s_clause 0x3
	flat_load_b64 v[54:55], v[62:63] offset:1024
	flat_load_b64 v[52:53], v[60:61] offset:1024
	;; [unrolled: 1-line block ×4, first 2 shown]
	s_wait_xcnt 0x0
	s_and_saveexec_b32 s50, s5
	s_cbranch_execz .LBB304_21
; %bb.29:                               ;   in Loop: Header=BB304_25 Depth=2
	s_clause 0x3
	flat_load_b64 v[62:63], v[62:63] offset:1536
	flat_load_b64 v[60:61], v[60:61] offset:1536
	;; [unrolled: 1-line block ×4, first 2 shown]
	s_wait_loadcnt_dscnt 0x303
	v_dual_mul_f32 v80, v31, v63 :: v_dual_mul_f32 v81, v30, v63
	s_wait_loadcnt_dscnt 0x202
	s_wait_xcnt 0x3
	v_dual_mul_f32 v84, v29, v61 :: v_dual_mul_f32 v63, v28, v61
	s_wait_loadcnt_dscnt 0x101
	v_pk_mul_f32 v[82:83], v[46:47], v[56:57] op_sel:[0,1]
	v_dual_fma_f32 v80, v30, v62, -v80 :: v_dual_fmac_f32 v81, v31, v62
	s_delay_alu instid0(VALU_DEP_3) | instskip(SKIP_1) | instid1(VALU_DEP_3)
	v_dual_fma_f32 v62, v28, v60, -v84 :: v_dual_fmac_f32 v63, v29, v60
	s_wait_xcnt 0x2
	v_pk_fma_f32 v[60:61], v[22:23], v[56:57], v[82:83] op_sel_hi:[1,0,1]
	s_wait_xcnt 0x1
	v_pk_fma_f32 v[56:57], v[22:23], v[56:57], v[82:83] neg_lo:[0,0,1] neg_hi:[0,0,1]
	v_pk_add_f32 v[10:11], v[10:11], v[80:81]
	s_wait_loadcnt_dscnt 0x0
	v_pk_mul_f32 v[80:81], v[40:41], v[58:59] op_sel:[0,1]
	v_mov_b32_e32 v57, v61
	s_delay_alu instid0(VALU_DEP_3) | instskip(NEXT) | instid1(VALU_DEP_3)
	v_pk_add_f32 v[10:11], v[62:63], v[10:11]
	v_pk_fma_f32 v[60:61], v[20:21], v[58:59], v[80:81] op_sel_hi:[1,0,1]
	s_wait_xcnt 0x0
	v_pk_fma_f32 v[58:59], v[20:21], v[58:59], v[80:81] neg_lo:[0,0,1] neg_hi:[0,0,1]
	s_delay_alu instid0(VALU_DEP_2) | instskip(SKIP_1) | instid1(VALU_DEP_1)
	v_mov_b32_e32 v59, v61
	v_pk_add_f32 v[10:11], v[56:57], v[10:11]
	v_pk_add_f32 v[10:11], v[58:59], v[10:11]
	s_branch .LBB304_21
.LBB304_30:                             ;   in Loop: Header=BB304_5 Depth=1
	s_or_b32 exec_lo, exec_lo, s45
.LBB304_31:                             ;   in Loop: Header=BB304_5 Depth=1
	s_delay_alu instid0(SALU_CYCLE_1) | instskip(NEXT) | instid1(SALU_CYCLE_1)
	s_or_b32 exec_lo, exec_lo, s7
	s_and_not1_b32 vcc_lo, exec_lo, s8
	s_cbranch_vccnz .LBB304_49
; %bb.32:                               ;   in Loop: Header=BB304_5 Depth=1
	v_dual_mov_b32 v26, 0 :: v_dual_bitop2_b32 v28, 1, v75 bitop3:0x54
	v_cmp_gt_i32_e32 vcc_lo, s9, v75
	s_delay_alu instid0(VALU_DEP_2)
	v_dual_mov_b32 v27, v26 :: v_dual_mov_b32 v24, v26
	v_dual_mov_b32 v25, v26 :: v_dual_mov_b32 v22, v26
	;; [unrolled: 1-line block ×3, first 2 shown]
	v_mov_b32_e32 v21, v26
	s_and_saveexec_b32 s45, vcc_lo
	s_cbranch_execz .LBB304_40
; %bb.33:                               ;   in Loop: Header=BB304_5 Depth=1
	v_mul_lo_u32 v20, v75, s35
	v_readfirstlane_b32 s46, v18
	v_readfirstlane_b32 s47, v19
	v_dual_mov_b32 v23, 0 :: v_dual_mov_b32 v22, 0
	v_dual_mov_b32 v25, 0 :: v_dual_mov_b32 v24, 0
	;; [unrolled: 1-line block ×3, first 2 shown]
	flat_load_b64 v[20:21], v20, s[46:47] scale_offset
	s_wait_xcnt 0x0
	s_mov_b32 s46, exec_lo
	v_cmpx_gt_i32_e64 s9, v28
	s_cbranch_execz .LBB304_39
; %bb.34:                               ;   in Loop: Header=BB304_5 Depth=1
	v_mul_lo_u32 v22, v28, s35
	v_readfirstlane_b32 s48, v18
	v_readfirstlane_b32 s49, v19
	v_dual_mov_b32 v25, 0 :: v_dual_bitop2_b32 v29, 2, v75 bitop3:0x54
	v_dual_mov_b32 v24, 0 :: v_dual_mov_b32 v27, 0
	v_mov_b32_e32 v26, 0
	s_mov_b32 s47, exec_lo
	flat_load_b64 v[22:23], v22, s[48:49] scale_offset
	s_wait_xcnt 0x0
	v_cmpx_gt_i32_e64 s9, v29
	s_cbranch_execz .LBB304_38
; %bb.35:                               ;   in Loop: Header=BB304_5 Depth=1
	v_mul_lo_u32 v24, v29, s35
	v_readfirstlane_b32 s48, v18
	v_readfirstlane_b32 s49, v19
	v_dual_mov_b32 v27, 0 :: v_dual_bitop2_b32 v29, 3, v75 bitop3:0x54
	v_mov_b32_e32 v26, 0
	flat_load_b64 v[24:25], v24, s[48:49] scale_offset
	s_wait_xcnt 0x0
	s_mov_b32 s48, exec_lo
	v_cmpx_gt_i32_e64 s9, v29
	s_cbranch_execz .LBB304_37
; %bb.36:                               ;   in Loop: Header=BB304_5 Depth=1
	v_mul_lo_u32 v26, v29, s35
	v_readfirstlane_b32 s50, v18
	v_readfirstlane_b32 s51, v19
	flat_load_b64 v[26:27], v26, s[50:51] scale_offset
.LBB304_37:                             ;   in Loop: Header=BB304_5 Depth=1
	s_wait_xcnt 0x0
	s_or_b32 exec_lo, exec_lo, s48
.LBB304_38:                             ;   in Loop: Header=BB304_5 Depth=1
	s_delay_alu instid0(SALU_CYCLE_1)
	s_or_b32 exec_lo, exec_lo, s47
.LBB304_39:                             ;   in Loop: Header=BB304_5 Depth=1
	s_delay_alu instid0(SALU_CYCLE_1)
	s_or_b32 exec_lo, exec_lo, s46
.LBB304_40:                             ;   in Loop: Header=BB304_5 Depth=1
	s_delay_alu instid0(SALU_CYCLE_1)
	s_or_b32 exec_lo, exec_lo, s45
	s_and_saveexec_b32 s7, s1
	s_cbranch_execz .LBB304_48
; %bb.41:                               ;   in Loop: Header=BB304_5 Depth=1
	v_mul_lo_u32 v19, v75, s34
	v_mul_lo_u32 v30, v28, s34
	s_wait_loadcnt_dscnt 0x0
	v_dual_mov_b32 v40, v21 :: v_dual_bitop2_b32 v29, 3, v75 bitop3:0x54
	v_readfirstlane_b32 s46, v16
	v_readfirstlane_b32 s47, v17
	v_dual_mov_b32 v38, v23 :: v_dual_mov_b32 v39, v22
	s_delay_alu instid0(VALU_DEP_4)
	v_mul_lo_u32 v32, v29, s34
	v_dual_mov_b32 v36, v25 :: v_dual_mov_b32 v37, v24
	v_cndmask_b32_e32 v19, 0, v19, vcc_lo
	v_cmp_gt_i32_e32 vcc_lo, s9, v28
	v_dual_mov_b32 v34, v27 :: v_dual_bitop2_b32 v18, 2, v75 bitop3:0x54
	v_dual_mov_b32 v35, v26 :: v_dual_mov_b32 v41, v20
	v_cndmask_b32_e32 v28, 0, v30, vcc_lo
	s_delay_alu instid0(VALU_DEP_3) | instskip(SKIP_1) | instid1(VALU_DEP_3)
	v_mul_lo_u32 v31, v18, s34
	v_cmp_gt_i32_e32 vcc_lo, s9, v18
	v_add_nc_u32_e32 v46, v28, v67
	s_delay_alu instid0(VALU_DEP_3) | instskip(SKIP_2) | instid1(VALU_DEP_1)
	v_cndmask_b32_e32 v18, 0, v31, vcc_lo
	v_cmp_gt_i32_e32 vcc_lo, s9, v29
	v_dual_cndmask_b32 v29, 0, v32 :: v_dual_add_nc_u32 v44, v19, v67
	v_dual_add_nc_u32 v48, v18, v67 :: v_dual_add_nc_u32 v42, v29, v67
	s_clause 0x3
	flat_load_b64 v[32:33], v44, s[46:47] scale_offset
	flat_load_b64 v[30:31], v46, s[46:47] scale_offset
	;; [unrolled: 1-line block ×4, first 2 shown]
	s_wait_xcnt 0x0
	s_and_saveexec_b32 s45, s3
	s_cbranch_execz .LBB304_47
; %bb.42:                               ;   in Loop: Header=BB304_5 Depth=1
	v_dual_ashrrev_i32 v45, 31, v44 :: v_dual_ashrrev_i32 v47, 31, v46
	v_dual_ashrrev_i32 v49, 31, v48 :: v_dual_ashrrev_i32 v43, 31, v42
	s_delay_alu instid0(VALU_DEP_2) | instskip(NEXT) | instid1(VALU_DEP_3)
	v_lshl_add_u64 v[56:57], v[44:45], 3, v[16:17]
	v_lshl_add_u64 v[58:59], v[46:47], 3, v[16:17]
	s_delay_alu instid0(VALU_DEP_3) | instskip(NEXT) | instid1(VALU_DEP_4)
	v_lshl_add_u64 v[60:61], v[48:49], 3, v[16:17]
	v_lshl_add_u64 v[62:63], v[42:43], 3, v[16:17]
	s_clause 0x3
	flat_load_b64 v[46:47], v[56:57] offset:512
	flat_load_b64 v[44:45], v[58:59] offset:512
	flat_load_b64 v[42:43], v[60:61] offset:512
	flat_load_b64 v[16:17], v[62:63] offset:512
	s_wait_xcnt 0x0
	s_and_saveexec_b32 s46, s4
	s_cbranch_execz .LBB304_46
; %bb.43:                               ;   in Loop: Header=BB304_5 Depth=1
	s_clause 0x3
	flat_load_b64 v[54:55], v[56:57] offset:1024
	flat_load_b64 v[52:53], v[58:59] offset:1024
	;; [unrolled: 1-line block ×4, first 2 shown]
	s_wait_xcnt 0x0
	s_and_saveexec_b32 s47, s5
	s_cbranch_execz .LBB304_45
; %bb.44:                               ;   in Loop: Header=BB304_5 Depth=1
	s_clause 0x3
	flat_load_b64 v[56:57], v[56:57] offset:1536
	flat_load_b64 v[58:59], v[58:59] offset:1536
	;; [unrolled: 1-line block ×4, first 2 shown]
	s_wait_loadcnt_dscnt 0x303
	v_pk_mul_f32 v[76:77], v[40:41], v[56:57] op_sel:[0,1]
	s_wait_loadcnt_dscnt 0x202
	v_pk_mul_f32 v[78:79], v[38:39], v[58:59] op_sel:[0,1]
	;; [unrolled: 2-line block ×3, first 2 shown]
	v_pk_fma_f32 v[80:81], v[20:21], v[56:57], v[76:77] op_sel_hi:[1,0,1]
	s_wait_xcnt 0x3
	v_pk_fma_f32 v[56:57], v[20:21], v[56:57], v[76:77] neg_lo:[0,0,1] neg_hi:[0,0,1]
	v_pk_fma_f32 v[76:77], v[22:23], v[58:59], v[78:79] op_sel_hi:[1,0,1]
	s_wait_xcnt 0x2
	v_pk_fma_f32 v[58:59], v[22:23], v[58:59], v[78:79] neg_lo:[0,0,1] neg_hi:[0,0,1]
	v_pk_fma_f32 v[78:79], v[24:25], v[60:61], v[82:83] op_sel_hi:[1,0,1]
	v_mov_b32_e32 v57, v81
	s_wait_xcnt 0x1
	v_pk_fma_f32 v[60:61], v[24:25], v[60:61], v[82:83] neg_lo:[0,0,1] neg_hi:[0,0,1]
	v_mov_b32_e32 v59, v77
	s_delay_alu instid0(VALU_DEP_3) | instskip(SKIP_2) | instid1(VALU_DEP_2)
	v_pk_add_f32 v[10:11], v[10:11], v[56:57]
	s_wait_loadcnt_dscnt 0x0
	v_pk_mul_f32 v[56:57], v[34:35], v[62:63] op_sel:[0,1]
	v_pk_add_f32 v[10:11], v[58:59], v[10:11]
	s_delay_alu instid0(VALU_DEP_2) | instskip(SKIP_2) | instid1(VALU_DEP_3)
	v_pk_fma_f32 v[58:59], v[26:27], v[62:63], v[56:57] op_sel_hi:[1,0,1]
	v_mov_b32_e32 v61, v79
	v_pk_fma_f32 v[56:57], v[26:27], v[62:63], v[56:57] neg_lo:[0,0,1] neg_hi:[0,0,1]
	v_mov_b32_e32 v57, v59
	s_delay_alu instid0(VALU_DEP_3) | instskip(NEXT) | instid1(VALU_DEP_1)
	v_pk_add_f32 v[10:11], v[60:61], v[10:11]
	v_pk_add_f32 v[10:11], v[56:57], v[10:11]
.LBB304_45:                             ;   in Loop: Header=BB304_5 Depth=1
	s_wait_xcnt 0x0
	s_or_b32 exec_lo, exec_lo, s47
	s_wait_loadcnt_dscnt 0x303
	v_pk_mul_f32 v[56:57], v[40:41], v[54:55] op_sel:[0,1]
	s_wait_loadcnt_dscnt 0x202
	v_pk_mul_f32 v[58:59], v[38:39], v[52:53] op_sel:[0,1]
	;; [unrolled: 2-line block ×3, first 2 shown]
	v_pk_fma_f32 v[60:61], v[20:21], v[54:55], v[56:57] op_sel_hi:[1,0,1]
	v_pk_fma_f32 v[54:55], v[20:21], v[54:55], v[56:57] neg_lo:[0,0,1] neg_hi:[0,0,1]
	v_pk_fma_f32 v[56:57], v[22:23], v[52:53], v[58:59] op_sel_hi:[1,0,1]
	v_pk_fma_f32 v[52:53], v[22:23], v[52:53], v[58:59] neg_lo:[0,0,1] neg_hi:[0,0,1]
	v_pk_fma_f32 v[58:59], v[24:25], v[50:51], v[62:63] op_sel_hi:[1,0,1]
	v_mov_b32_e32 v55, v61
	v_pk_fma_f32 v[50:51], v[24:25], v[50:51], v[62:63] neg_lo:[0,0,1] neg_hi:[0,0,1]
	v_mov_b32_e32 v53, v57
	s_delay_alu instid0(VALU_DEP_3) | instskip(SKIP_2) | instid1(VALU_DEP_2)
	v_pk_add_f32 v[12:13], v[12:13], v[54:55]
	s_wait_loadcnt_dscnt 0x0
	v_pk_mul_f32 v[54:55], v[34:35], v[48:49] op_sel:[0,1]
	v_pk_add_f32 v[12:13], v[52:53], v[12:13]
	s_delay_alu instid0(VALU_DEP_2) | instskip(SKIP_2) | instid1(VALU_DEP_3)
	v_pk_fma_f32 v[52:53], v[26:27], v[48:49], v[54:55] op_sel_hi:[1,0,1]
	v_mov_b32_e32 v51, v59
	v_pk_fma_f32 v[48:49], v[26:27], v[48:49], v[54:55] neg_lo:[0,0,1] neg_hi:[0,0,1]
	v_mov_b32_e32 v49, v53
	s_delay_alu instid0(VALU_DEP_3) | instskip(NEXT) | instid1(VALU_DEP_1)
	v_pk_add_f32 v[12:13], v[50:51], v[12:13]
	v_pk_add_f32 v[12:13], v[48:49], v[12:13]
.LBB304_46:                             ;   in Loop: Header=BB304_5 Depth=1
	s_or_b32 exec_lo, exec_lo, s46
	s_wait_loadcnt_dscnt 0x303
	v_pk_mul_f32 v[48:49], v[40:41], v[46:47] op_sel:[0,1]
	s_wait_loadcnt_dscnt 0x202
	v_pk_mul_f32 v[50:51], v[38:39], v[44:45] op_sel:[0,1]
	;; [unrolled: 2-line block ×3, first 2 shown]
	v_pk_fma_f32 v[52:53], v[20:21], v[46:47], v[48:49] op_sel_hi:[1,0,1]
	v_pk_fma_f32 v[46:47], v[20:21], v[46:47], v[48:49] neg_lo:[0,0,1] neg_hi:[0,0,1]
	v_pk_fma_f32 v[48:49], v[22:23], v[44:45], v[50:51] op_sel_hi:[1,0,1]
	v_pk_fma_f32 v[44:45], v[22:23], v[44:45], v[50:51] neg_lo:[0,0,1] neg_hi:[0,0,1]
	v_pk_fma_f32 v[50:51], v[24:25], v[42:43], v[54:55] op_sel_hi:[1,0,1]
	v_mov_b32_e32 v47, v53
	v_pk_fma_f32 v[42:43], v[24:25], v[42:43], v[54:55] neg_lo:[0,0,1] neg_hi:[0,0,1]
	v_mov_b32_e32 v45, v49
	s_delay_alu instid0(VALU_DEP_3) | instskip(SKIP_2) | instid1(VALU_DEP_2)
	v_pk_add_f32 v[14:15], v[14:15], v[46:47]
	s_wait_loadcnt_dscnt 0x0
	v_pk_mul_f32 v[46:47], v[34:35], v[16:17] op_sel:[0,1]
	v_pk_add_f32 v[14:15], v[44:45], v[14:15]
	s_delay_alu instid0(VALU_DEP_2) | instskip(SKIP_2) | instid1(VALU_DEP_3)
	v_pk_fma_f32 v[44:45], v[26:27], v[16:17], v[46:47] op_sel_hi:[1,0,1]
	v_mov_b32_e32 v43, v51
	v_pk_fma_f32 v[16:17], v[26:27], v[16:17], v[46:47] neg_lo:[0,0,1] neg_hi:[0,0,1]
	v_mov_b32_e32 v17, v45
	s_delay_alu instid0(VALU_DEP_3) | instskip(NEXT) | instid1(VALU_DEP_1)
	v_pk_add_f32 v[14:15], v[42:43], v[14:15]
	v_pk_add_f32 v[14:15], v[16:17], v[14:15]
.LBB304_47:                             ;   in Loop: Header=BB304_5 Depth=1
	s_or_b32 exec_lo, exec_lo, s45
	s_wait_loadcnt_dscnt 0x303
	v_pk_mul_f32 v[16:17], v[40:41], v[32:33] op_sel:[0,1]
	s_wait_loadcnt_dscnt 0x202
	v_pk_mul_f32 v[38:39], v[38:39], v[30:31] op_sel:[0,1]
	;; [unrolled: 2-line block ×3, first 2 shown]
	v_pk_fma_f32 v[40:41], v[20:21], v[32:33], v[16:17] op_sel_hi:[1,0,1]
	v_pk_fma_f32 v[16:17], v[20:21], v[32:33], v[16:17] neg_lo:[0,0,1] neg_hi:[0,0,1]
	v_pk_fma_f32 v[20:21], v[22:23], v[30:31], v[38:39] op_sel_hi:[1,0,1]
	v_pk_fma_f32 v[22:23], v[22:23], v[30:31], v[38:39] neg_lo:[0,0,1] neg_hi:[0,0,1]
	v_pk_fma_f32 v[30:31], v[24:25], v[28:29], v[36:37] op_sel_hi:[1,0,1]
	s_delay_alu instid0(VALU_DEP_3) | instskip(SKIP_1) | instid1(VALU_DEP_2)
	v_dual_mov_b32 v17, v41 :: v_dual_mov_b32 v23, v21
	v_pk_fma_f32 v[20:21], v[24:25], v[28:29], v[36:37] neg_lo:[0,0,1] neg_hi:[0,0,1]
	v_pk_add_f32 v[8:9], v[8:9], v[16:17]
	s_wait_loadcnt_dscnt 0x0
	v_pk_mul_f32 v[16:17], v[34:35], v[18:19] op_sel:[0,1]
	s_delay_alu instid0(VALU_DEP_2) | instskip(NEXT) | instid1(VALU_DEP_2)
	v_pk_add_f32 v[8:9], v[22:23], v[8:9]
	v_pk_fma_f32 v[22:23], v[26:27], v[18:19], v[16:17] op_sel_hi:[1,0,1]
	v_mov_b32_e32 v21, v31
	v_pk_fma_f32 v[16:17], v[26:27], v[18:19], v[16:17] neg_lo:[0,0,1] neg_hi:[0,0,1]
	s_delay_alu instid0(VALU_DEP_3) | instskip(NEXT) | instid1(VALU_DEP_3)
	v_mov_b32_e32 v17, v23
	v_pk_add_f32 v[8:9], v[20:21], v[8:9]
	s_delay_alu instid0(VALU_DEP_1)
	v_pk_add_f32 v[8:9], v[16:17], v[8:9]
.LBB304_48:                             ;   in Loop: Header=BB304_5 Depth=1
	s_or_b32 exec_lo, exec_lo, s7
.LBB304_49:                             ;   in Loop: Header=BB304_5 Depth=1
	ds_store_2addr_stride64_b64 v65, v[8:9], v[14:15] offset1:1
	ds_store_2addr_stride64_b64 v65, v[12:13], v[10:11] offset0:2 offset1:3
	s_wait_storecnt 0x0
	s_wait_loadcnt_dscnt 0x0
	s_barrier_signal -1
	s_barrier_wait -1
	s_and_saveexec_b32 s7, s0
	s_cbranch_execz .LBB304_3
; %bb.50:                               ;   in Loop: Header=BB304_5 Depth=1
	ds_load_2addr_stride64_b64 v[8:11], v66 offset1:4
	ds_load_2addr_stride64_b64 v[12:15], v66 offset0:8 offset1:12
	ds_load_2addr_stride64_b64 v[16:19], v66 offset0:16 offset1:20
	s_wait_dscnt 0x2
	v_pk_add_f32 v[20:21], v[8:9], v[10:11]
	ds_load_2addr_stride64_b64 v[8:11], v66 offset0:24 offset1:28
	s_wait_dscnt 0x2
	v_pk_add_f32 v[12:13], v[20:21], v[12:13]
	s_delay_alu instid0(VALU_DEP_1) | instskip(SKIP_3) | instid1(VALU_DEP_1)
	v_pk_add_f32 v[20:21], v[12:13], v[14:15]
	ds_load_2addr_stride64_b64 v[12:15], v66 offset0:32 offset1:36
	s_wait_dscnt 0x2
	v_pk_add_f32 v[16:17], v[20:21], v[16:17]
	v_pk_add_f32 v[20:21], v[16:17], v[18:19]
	ds_load_2addr_stride64_b64 v[16:19], v66 offset0:40 offset1:44
	s_wait_dscnt 0x2
	v_pk_add_f32 v[8:9], v[20:21], v[8:9]
	s_delay_alu instid0(VALU_DEP_1) | instskip(SKIP_1) | instid1(VALU_DEP_1)
	v_pk_add_f32 v[8:9], v[8:9], v[10:11]
	s_wait_dscnt 0x1
	v_pk_add_f32 v[12:13], v[8:9], v[12:13]
	ds_load_2addr_stride64_b64 v[8:11], v66 offset0:48 offset1:52
	v_pk_add_f32 v[12:13], v[12:13], v[14:15]
	s_wait_dscnt 0x1
	s_delay_alu instid0(VALU_DEP_1) | instskip(SKIP_3) | instid1(VALU_DEP_1)
	v_pk_add_f32 v[16:17], v[12:13], v[16:17]
	ds_load_2addr_stride64_b64 v[12:15], v66 offset0:56 offset1:60
	v_pk_add_f32 v[16:17], v[16:17], v[18:19]
	s_wait_dscnt 0x1
	v_pk_add_f32 v[8:9], v[16:17], v[8:9]
	s_delay_alu instid0(VALU_DEP_1) | instskip(SKIP_1) | instid1(VALU_DEP_1)
	v_pk_add_f32 v[8:9], v[8:9], v[10:11]
	s_wait_dscnt 0x0
	v_pk_add_f32 v[8:9], v[8:9], v[12:13]
	s_delay_alu instid0(VALU_DEP_1)
	v_pk_add_f32 v[10:11], v[8:9], v[14:15]
	ds_store_b64 v66, v[10:11]
	s_and_b32 exec_lo, exec_lo, s2
	s_cbranch_execz .LBB304_3
; %bb.51:                               ;   in Loop: Header=BB304_5 Depth=1
	v_mov_b64_e32 v[8:9], s[30:31]
	v_mov_b64_e32 v[12:13], s[10:11]
	v_lshl_add_u64 v[6:7], v[4:5], 3, v[6:7]
	s_and_not1_b32 vcc_lo, exec_lo, s39
	s_delay_alu instid0(VALU_DEP_3) | instskip(NEXT) | instid1(VALU_DEP_1)
	v_pk_mul_f32 v[14:15], v[10:11], v[8:9] op_sel:[1,0]
	v_pk_fma_f32 v[8:9], v[10:11], v[12:13], v[14:15] op_sel_hi:[0,1,1] neg_lo:[0,0,1] neg_hi:[0,0,1]
	v_pk_fma_f32 v[10:11], v[10:11], v[12:13], v[14:15] op_sel_hi:[0,1,1]
	s_cbranch_vccnz .LBB304_2
; %bb.52:                               ;   in Loop: Header=BB304_5 Depth=1
	flat_load_b64 v[12:13], v[6:7]
	v_mov_b64_e32 v[14:15], s[28:29]
	v_mov_b64_e32 v[16:17], s[26:27]
	s_wait_loadcnt_dscnt 0x0
	s_delay_alu instid0(VALU_DEP_2) | instskip(NEXT) | instid1(VALU_DEP_1)
	v_pk_mul_f32 v[14:15], v[14:15], v[12:13] op_sel:[0,1]
	v_pk_fma_f32 v[18:19], v[16:17], v[12:13], v[14:15] op_sel_hi:[1,0,1]
	v_mov_b32_e32 v9, v11
	v_pk_fma_f32 v[10:11], v[16:17], v[12:13], v[14:15] neg_lo:[0,0,1] neg_hi:[0,0,1]
	s_delay_alu instid0(VALU_DEP_3) | instskip(NEXT) | instid1(VALU_DEP_1)
	v_mov_b32_e32 v11, v19
	v_pk_add_f32 v[8:9], v[8:9], v[10:11]
	s_delay_alu instid0(VALU_DEP_1)
	v_mov_b32_e32 v11, v9
	s_branch .LBB304_2
.LBB304_53:
	s_sendmsg sendmsg(MSG_DEALLOC_VGPRS)
	s_endpgm
	.section	.rodata,"a",@progbits
	.p2align	6, 0x0
	.amdhsa_kernel _ZL20rocblas_gemvn_kernelILi64ELi16EiPK19rocblas_complex_numIfES1_KPS1_EviiT3_lPKT2_lT1_lS9_lSA_lS6_lPT4_lSA_li
		.amdhsa_group_segment_fixed_size 32768
		.amdhsa_private_segment_fixed_size 0
		.amdhsa_kernarg_size 400
		.amdhsa_user_sgpr_count 2
		.amdhsa_user_sgpr_dispatch_ptr 0
		.amdhsa_user_sgpr_queue_ptr 0
		.amdhsa_user_sgpr_kernarg_segment_ptr 1
		.amdhsa_user_sgpr_dispatch_id 0
		.amdhsa_user_sgpr_kernarg_preload_length 0
		.amdhsa_user_sgpr_kernarg_preload_offset 0
		.amdhsa_user_sgpr_private_segment_size 0
		.amdhsa_wavefront_size32 1
		.amdhsa_uses_dynamic_stack 0
		.amdhsa_enable_private_segment 0
		.amdhsa_system_sgpr_workgroup_id_x 1
		.amdhsa_system_sgpr_workgroup_id_y 0
		.amdhsa_system_sgpr_workgroup_id_z 1
		.amdhsa_system_sgpr_workgroup_info 0
		.amdhsa_system_vgpr_workitem_id 1
		.amdhsa_next_free_vgpr 85
		.amdhsa_next_free_sgpr 52
		.amdhsa_named_barrier_count 0
		.amdhsa_reserve_vcc 1
		.amdhsa_float_round_mode_32 0
		.amdhsa_float_round_mode_16_64 0
		.amdhsa_float_denorm_mode_32 3
		.amdhsa_float_denorm_mode_16_64 3
		.amdhsa_fp16_overflow 0
		.amdhsa_memory_ordered 1
		.amdhsa_forward_progress 1
		.amdhsa_inst_pref_size 34
		.amdhsa_round_robin_scheduling 0
		.amdhsa_exception_fp_ieee_invalid_op 0
		.amdhsa_exception_fp_denorm_src 0
		.amdhsa_exception_fp_ieee_div_zero 0
		.amdhsa_exception_fp_ieee_overflow 0
		.amdhsa_exception_fp_ieee_underflow 0
		.amdhsa_exception_fp_ieee_inexact 0
		.amdhsa_exception_int_div_zero 0
	.end_amdhsa_kernel
	.section	.text._ZL20rocblas_gemvn_kernelILi64ELi16EiPK19rocblas_complex_numIfES1_KPS1_EviiT3_lPKT2_lT1_lS9_lSA_lS6_lPT4_lSA_li,"axG",@progbits,_ZL20rocblas_gemvn_kernelILi64ELi16EiPK19rocblas_complex_numIfES1_KPS1_EviiT3_lPKT2_lT1_lS9_lSA_lS6_lPT4_lSA_li,comdat
.Lfunc_end304:
	.size	_ZL20rocblas_gemvn_kernelILi64ELi16EiPK19rocblas_complex_numIfES1_KPS1_EviiT3_lPKT2_lT1_lS9_lSA_lS6_lPT4_lSA_li, .Lfunc_end304-_ZL20rocblas_gemvn_kernelILi64ELi16EiPK19rocblas_complex_numIfES1_KPS1_EviiT3_lPKT2_lT1_lS9_lSA_lS6_lPT4_lSA_li
                                        ; -- End function
	.set _ZL20rocblas_gemvn_kernelILi64ELi16EiPK19rocblas_complex_numIfES1_KPS1_EviiT3_lPKT2_lT1_lS9_lSA_lS6_lPT4_lSA_li.num_vgpr, 85
	.set _ZL20rocblas_gemvn_kernelILi64ELi16EiPK19rocblas_complex_numIfES1_KPS1_EviiT3_lPKT2_lT1_lS9_lSA_lS6_lPT4_lSA_li.num_agpr, 0
	.set _ZL20rocblas_gemvn_kernelILi64ELi16EiPK19rocblas_complex_numIfES1_KPS1_EviiT3_lPKT2_lT1_lS9_lSA_lS6_lPT4_lSA_li.numbered_sgpr, 52
	.set _ZL20rocblas_gemvn_kernelILi64ELi16EiPK19rocblas_complex_numIfES1_KPS1_EviiT3_lPKT2_lT1_lS9_lSA_lS6_lPT4_lSA_li.num_named_barrier, 0
	.set _ZL20rocblas_gemvn_kernelILi64ELi16EiPK19rocblas_complex_numIfES1_KPS1_EviiT3_lPKT2_lT1_lS9_lSA_lS6_lPT4_lSA_li.private_seg_size, 0
	.set _ZL20rocblas_gemvn_kernelILi64ELi16EiPK19rocblas_complex_numIfES1_KPS1_EviiT3_lPKT2_lT1_lS9_lSA_lS6_lPT4_lSA_li.uses_vcc, 1
	.set _ZL20rocblas_gemvn_kernelILi64ELi16EiPK19rocblas_complex_numIfES1_KPS1_EviiT3_lPKT2_lT1_lS9_lSA_lS6_lPT4_lSA_li.uses_flat_scratch, 1
	.set _ZL20rocblas_gemvn_kernelILi64ELi16EiPK19rocblas_complex_numIfES1_KPS1_EviiT3_lPKT2_lT1_lS9_lSA_lS6_lPT4_lSA_li.has_dyn_sized_stack, 0
	.set _ZL20rocblas_gemvn_kernelILi64ELi16EiPK19rocblas_complex_numIfES1_KPS1_EviiT3_lPKT2_lT1_lS9_lSA_lS6_lPT4_lSA_li.has_recursion, 0
	.set _ZL20rocblas_gemvn_kernelILi64ELi16EiPK19rocblas_complex_numIfES1_KPS1_EviiT3_lPKT2_lT1_lS9_lSA_lS6_lPT4_lSA_li.has_indirect_call, 0
	.section	.AMDGPU.csdata,"",@progbits
; Kernel info:
; codeLenInByte = 4280
; TotalNumSgprs: 54
; NumVgprs: 85
; ScratchSize: 0
; MemoryBound: 0
; FloatMode: 240
; IeeeMode: 1
; LDSByteSize: 32768 bytes/workgroup (compile time only)
; SGPRBlocks: 0
; VGPRBlocks: 5
; NumSGPRsForWavesPerEU: 54
; NumVGPRsForWavesPerEU: 85
; NamedBarCnt: 0
; Occupancy: 10
; WaveLimiterHint : 1
; COMPUTE_PGM_RSRC2:SCRATCH_EN: 0
; COMPUTE_PGM_RSRC2:USER_SGPR: 2
; COMPUTE_PGM_RSRC2:TRAP_HANDLER: 0
; COMPUTE_PGM_RSRC2:TGID_X_EN: 1
; COMPUTE_PGM_RSRC2:TGID_Y_EN: 0
; COMPUTE_PGM_RSRC2:TGID_Z_EN: 1
; COMPUTE_PGM_RSRC2:TIDIG_COMP_CNT: 1
	.section	.text._ZL20rocblas_gemvn_kernelILi64ELi16ElPK19rocblas_complex_numIfES1_KPS1_EviiT3_lPKT2_lT1_lS9_lSA_lS6_lPT4_lSA_li,"axG",@progbits,_ZL20rocblas_gemvn_kernelILi64ELi16ElPK19rocblas_complex_numIfES1_KPS1_EviiT3_lPKT2_lT1_lS9_lSA_lS6_lPT4_lSA_li,comdat
	.globl	_ZL20rocblas_gemvn_kernelILi64ELi16ElPK19rocblas_complex_numIfES1_KPS1_EviiT3_lPKT2_lT1_lS9_lSA_lS6_lPT4_lSA_li ; -- Begin function _ZL20rocblas_gemvn_kernelILi64ELi16ElPK19rocblas_complex_numIfES1_KPS1_EviiT3_lPKT2_lT1_lS9_lSA_lS6_lPT4_lSA_li
	.p2align	8
	.type	_ZL20rocblas_gemvn_kernelILi64ELi16ElPK19rocblas_complex_numIfES1_KPS1_EviiT3_lPKT2_lT1_lS9_lSA_lS6_lPT4_lSA_li,@function
_ZL20rocblas_gemvn_kernelILi64ELi16ElPK19rocblas_complex_numIfES1_KPS1_EviiT3_lPKT2_lT1_lS9_lSA_lS6_lPT4_lSA_li: ; @_ZL20rocblas_gemvn_kernelILi64ELi16ElPK19rocblas_complex_numIfES1_KPS1_EviiT3_lPKT2_lT1_lS9_lSA_lS6_lPT4_lSA_li
; %bb.0:
	s_clause 0x1
	s_load_b64 s[2:3], s[0:1], 0x9c
	s_load_b32 s33, s[0:1], 0x88
	s_bfe_u32 s4, ttmp6, 0x40014
	s_lshr_b32 s5, ttmp7, 16
	s_add_co_i32 s4, s4, 1
	s_bfe_u32 s6, ttmp6, 0x40008
	s_mul_i32 s7, s5, s4
	s_getreg_b32 s4, hwreg(HW_REG_IB_STS2, 6, 4)
	s_add_co_i32 s6, s6, s7
	s_mov_b32 s11, 0
	s_wait_kmcnt 0x0
	s_lshr_b32 s7, s2, 16
	s_and_b32 s2, s2, 0xffff
	s_and_b32 s3, s3, 0xffff
	s_mul_i32 s2, s7, s2
	s_cmp_eq_u32 s4, 0
	s_mul_i32 s2, s2, s3
	s_cselect_b32 s10, s5, s6
	s_cmp_lg_u32 s2, 0x400
	s_cselect_b32 s2, -1, 0
	s_cmp_ge_u32 s10, s33
	s_cselect_b32 s3, -1, 0
	s_delay_alu instid0(SALU_CYCLE_1) | instskip(NEXT) | instid1(SALU_CYCLE_1)
	s_or_b32 s2, s2, s3
	s_and_b32 vcc_lo, exec_lo, s2
	s_cbranch_vccnz .LBB305_53
; %bb.1:
	s_clause 0x3
	s_load_b128 s[12:15], s[0:1], 0x0
	s_load_b64 s[28:29], s[0:1], 0x58
	s_load_b64 s[30:31], s[0:1], 0x48
	s_load_b128 s[16:19], s[0:1], 0x18
	v_and_b32_e32 v12, 0x3ff, v0
	v_bfe_u32 v2, v0, 10, 10
	v_mov_b32_e32 v1, 0
	s_clause 0x3
	s_load_b64 s[34:35], s[0:1], 0x28
	s_load_b128 s[20:23], s[0:1], 0x38
	s_load_b64 s[2:3], s[0:1], 0x78
	s_load_b128 s[24:27], s[0:1], 0x68
	v_dual_lshlrev_b32 v0, 3, v12 :: v_dual_lshlrev_b32 v92, 2, v2
	v_mov_b32_e32 v3, v1
	v_lshl_add_u32 v13, v2, 6, v12
	s_delay_alu instid0(VALU_DEP_3)
	v_lshl_add_u32 v93, v2, 11, v0
	v_lshl_add_u32 v94, v2, 9, v0
	s_wait_kmcnt 0x0
	s_cmp_neq_f32 s14, 0
	s_mov_b32 s6, s12
	v_mad_nc_u64_u32 v[4:5], s30, v92, s[30:31]
	v_mul_u64_e32 v[8:9], s[30:31], v[2:3]
	s_cselect_b32 s5, -1, 0
	s_cmp_neq_f32 s15, 0
	v_mul_u64_e32 v[10:11], s[34:35], v[2:3]
	v_mad_nc_u64_u32 v[6:7], s34, v92, s[34:35]
	s_mov_b32 s36, s29
	s_cselect_b32 s0, -1, 0
	s_mov_b32 s37, s28
	s_or_b32 s8, s5, s0
	s_cmp_neq_f32 s28, 1.0
	v_mad_u32 v5, s31, v92, v5
	s_mov_b32 s38, s15
	s_mov_b32 s39, s14
	s_cselect_b32 s9, -1, 0
	s_cmp_neq_f32 s29, 0
	v_mad_u32 v7, s35, v92, v7
	s_cselect_b32 s49, -1, 0
	s_or_b32 s0, s14, s15
	s_delay_alu instid0(SALU_CYCLE_1) | instskip(NEXT) | instid1(VALU_DEP_2)
	s_and_b32 s1, s0, 0x7fffffff
	v_lshlrev_b64_e32 v[2:3], 3, v[4:5]
	s_cmp_lg_u32 s1, 0
	v_cmp_gt_u32_e64 s0, 0x100, v13
	s_cselect_b32 s44, -1, 0
	s_cmp_eq_u32 s1, 0
	v_lshlrev_b64_e32 v[6:7], 3, v[6:7]
	s_cselect_b32 s45, -1, 0
	s_bfe_u32 s1, ttmp6, 0x4000c
	s_and_b32 s5, ttmp6, 15
	s_add_co_i32 s1, s1, 1
	v_lshlrev_b64_e32 v[8:9], 5, v[8:9]
	s_mul_i32 s1, ttmp9, s1
	v_or_b32_e32 v2, 4, v2
	s_add_co_i32 s5, s5, s1
	s_cmp_eq_u32 s4, 0
	v_lshlrev_b64_e32 v[10:11], 5, v[10:11]
	s_cselect_b32 s1, ttmp9, s5
	s_ashr_i32 s7, s12, 31
	s_lshl_b32 s1, s1, 8
	s_cmp_neq_f32 s28, 0
	v_dual_add_nc_u32 v0, s1, v13 :: v_dual_add_nc_u32 v14, s1, v12
	v_or_b32_e32 v20, s1, v13
	s_cselect_b32 s1, -1, 0
	s_ashr_i32 s4, s13, 31
	s_delay_alu instid0(VALU_DEP_2)
	v_cmp_gt_i64_e32 vcc_lo, s[6:7], v[0:1]
	v_mul_u64_e32 v[4:5], s[2:3], v[0:1]
	v_dual_ashrrev_i32 v15, 31, v14 :: v_dual_bitop2_b32 v0, 3, v92 bitop3:0x54
	v_ashrrev_i32_e32 v21, 31, v20
	s_lshr_b32 s4, s4, 26
	v_or_b32_e32 v8, 4, v8
	s_delay_alu instid0(VALU_DEP_3)
	v_mul_u64_e32 v[16:17], s[34:35], v[0:1]
	v_mul_u64_e32 v[18:19], s[30:31], v[0:1]
	v_or_b32_e32 v0, 2, v92
	v_mul_u64_e32 v[12:13], s[2:3], v[20:21]
	v_add_nc_u32_e32 v21, 0x80, v14
	s_add_co_i32 s47, s13, s4
	v_add_nc_u32_e32 v26, 0xc0, v14
	v_mul_u64_e32 v[22:23], s[34:35], v[0:1]
	v_mul_u64_e32 v[24:25], s[30:31], v[0:1]
	v_add_nc_u32_e32 v0, 64, v14
	s_and_not1_b32 s47, s47, 63
	s_or_b32 s46, s1, s49
	s_sub_co_i32 s6, s13, s47
	v_cmp_gt_i32_e64 s1, s12, v14
	v_cmp_gt_i32_e64 s2, s12, v20
	v_cmp_gt_i32_e64 s4, s12, v21
	v_lshlrev_b64_e32 v[14:15], 3, v[14:15]
	s_cmp_gt_i32 s6, 0
	v_cmp_gt_i32_e64 s3, s12, v0
	v_cmp_gt_i32_e64 s5, s12, v26
	;; [unrolled: 1-line block ×3, first 2 shown]
	s_cselect_b32 s12, -1, 0
	s_or_b32 s7, s8, s9
	s_and_b32 s48, s0, vcc_lo
	s_lshl_b64 s[40:41], s[30:31], 9
	s_lshl_b64 s[42:43], s[34:35], 9
	s_or_b32 s49, s7, s49
	s_lshl_b64 s[18:19], s[18:19], 3
	s_lshl_b64 s[22:23], s[22:23], 3
	;; [unrolled: 1-line block ×3, first 2 shown]
	v_lshlrev_b64_e32 v[16:17], 3, v[16:17]
	v_lshlrev_b64_e32 v[18:19], 3, v[18:19]
	;; [unrolled: 1-line block ×4, first 2 shown]
	s_branch .LBB305_5
.LBB305_2:                              ;   in Loop: Header=BB305_5 Depth=1
	s_delay_alu instid0(VALU_DEP_1)
	v_mov_b32_e32 v27, v29
	flat_store_b64 v[24:25], v[26:27]
.LBB305_3:                              ;   in Loop: Header=BB305_5 Depth=1
	s_wait_xcnt 0x0
	s_or_b32 exec_lo, exec_lo, s7
.LBB305_4:                              ;   in Loop: Header=BB305_5 Depth=1
	s_add_co_i32 s10, s10, 0x10000
	s_delay_alu instid0(SALU_CYCLE_1)
	s_cmp_lt_u32 s10, s33
	s_cbranch_scc0 .LBB305_53
.LBB305_5:                              ; =>This Loop Header: Depth=1
                                        ;     Child Loop BB305_25 Depth 2
	s_and_not1_b32 vcc_lo, exec_lo, s49
	s_cbranch_vccnz .LBB305_4
; %bb.6:                                ;   in Loop: Header=BB305_5 Depth=1
	s_and_not1_b32 vcc_lo, exec_lo, s45
	s_cbranch_vccnz .LBB305_8
; %bb.7:                                ;   in Loop: Header=BB305_5 Depth=1
	v_mov_b64_e32 v[36:37], 0
	v_mov_b64_e32 v[34:35], 0
	s_cbranch_execz .LBB305_9
	s_branch .LBB305_10
.LBB305_8:                              ;   in Loop: Header=BB305_5 Depth=1
	v_mov_b64_e32 v[36:37], 0
	v_mov_b64_e32 v[34:35], 0
.LBB305_9:                              ;   in Loop: Header=BB305_5 Depth=1
	s_wait_xcnt 0x0
	s_lshl_b64 s[8:9], s[10:11], 3
	s_delay_alu instid0(SALU_CYCLE_1)
	s_add_nc_u64 s[8:9], s[16:17], s[8:9]
	global_load_b64 v[24:25], v1, s[8:9]
	s_wait_loadcnt 0x0
	v_add_nc_u64_e32 v[34:35], s[18:19], v[24:25]
.LBB305_10:                             ;   in Loop: Header=BB305_5 Depth=1
	s_and_not1_b32 vcc_lo, exec_lo, s44
	s_cbranch_vccnz .LBB305_12
; %bb.11:                               ;   in Loop: Header=BB305_5 Depth=1
	s_wait_xcnt 0x0
	s_lshl_b64 s[8:9], s[10:11], 3
	s_delay_alu instid0(SALU_CYCLE_1)
	s_add_nc_u64 s[8:9], s[20:21], s[8:9]
	global_load_b64 v[24:25], v1, s[8:9]
	s_wait_loadcnt 0x0
	v_add_nc_u64_e32 v[36:37], s[22:23], v[24:25]
.LBB305_12:                             ;   in Loop: Header=BB305_5 Depth=1
	s_wait_xcnt 0x0
	s_lshl_b64 s[8:9], s[10:11], 3
	s_and_not1_b32 vcc_lo, exec_lo, s45
	s_add_nc_u64 s[8:9], s[24:25], s[8:9]
	s_mov_b32 s7, -1
	global_load_b64 v[24:25], v1, s[8:9]
	s_wait_loadcnt 0x0
	v_add_nc_u64_e32 v[24:25], s[26:27], v[24:25]
	s_cbranch_vccnz .LBB305_18
; %bb.13:                               ;   in Loop: Header=BB305_5 Depth=1
	s_wait_xcnt 0x0
	s_and_saveexec_b32 s7, s48
	s_cbranch_execz .LBB305_17
; %bb.14:                               ;   in Loop: Header=BB305_5 Depth=1
	v_dual_mov_b32 v28, 0 :: v_dual_mov_b32 v29, 0
	s_delay_alu instid0(VALU_DEP_2)
	v_lshl_add_u64 v[26:27], v[4:5], 3, v[24:25]
	s_and_not1_b32 vcc_lo, exec_lo, s46
	s_cbranch_vccnz .LBB305_16
; %bb.15:                               ;   in Loop: Header=BB305_5 Depth=1
	flat_load_b64 v[28:29], v[26:27]
	v_mov_b64_e32 v[30:31], s[36:37]
	v_mov_b64_e32 v[32:33], s[28:29]
	s_wait_loadcnt_dscnt 0x0
	s_delay_alu instid0(VALU_DEP_2) | instskip(NEXT) | instid1(VALU_DEP_1)
	v_pk_mul_f32 v[30:31], v[30:31], v[28:29] op_sel:[0,1]
	v_pk_fma_f32 v[38:39], v[32:33], v[28:29], v[30:31] op_sel_hi:[1,0,1]
	v_pk_fma_f32 v[28:29], v[32:33], v[28:29], v[30:31] neg_lo:[0,0,1] neg_hi:[0,0,1]
	s_delay_alu instid0(VALU_DEP_2)
	v_mov_b32_e32 v29, v39
.LBB305_16:                             ;   in Loop: Header=BB305_5 Depth=1
	flat_store_b64 v[26:27], v[28:29]
.LBB305_17:                             ;   in Loop: Header=BB305_5 Depth=1
	s_wait_xcnt 0x0
	s_or_b32 exec_lo, exec_lo, s7
	s_mov_b32 s7, 0
.LBB305_18:                             ;   in Loop: Header=BB305_5 Depth=1
	s_delay_alu instid0(SALU_CYCLE_1)
	s_and_not1_b32 vcc_lo, exec_lo, s7
	s_cbranch_vccnz .LBB305_4
; %bb.19:                               ;   in Loop: Header=BB305_5 Depth=1
	v_mov_b64_e32 v[28:29], 0
	v_mov_b64_e32 v[30:31], 0
	;; [unrolled: 1-line block ×4, first 2 shown]
	v_mov_b32_e32 v0, v92
	s_wait_xcnt 0x0
	s_and_saveexec_b32 s7, s6
	s_cbranch_execz .LBB305_31
; %bb.20:                               ;   in Loop: Header=BB305_5 Depth=1
	v_add_nc_u64_e32 v[38:39], v[34:35], v[16:17]
	v_add_nc_u64_e32 v[40:41], v[34:35], v[10:11]
	;; [unrolled: 1-line block ×4, first 2 shown]
	v_mov_b64_e32 v[26:27], 0
	v_mov_b64_e32 v[32:33], 0
	;; [unrolled: 1-line block ×5, first 2 shown]
	v_mov_b32_e32 v0, v92
	s_mov_b32 s8, 0
	s_branch .LBB305_25
.LBB305_21:                             ;   in Loop: Header=BB305_25 Depth=2
	s_or_b32 exec_lo, exec_lo, s52
	s_wait_loadcnt_dscnt 0x303
	v_dual_mul_f32 v84, v59, v83 :: v_dual_mul_f32 v85, v58, v83
	s_wait_loadcnt_dscnt 0x202
	v_dual_mul_f32 v88, v57, v81 :: v_dual_mul_f32 v83, v56, v81
	s_wait_loadcnt_dscnt 0x101
	v_pk_mul_f32 v[86:87], v[74:75], v[78:79] op_sel:[0,1]
	v_dual_fma_f32 v84, v58, v82, -v84 :: v_dual_fmac_f32 v85, v59, v82
	s_delay_alu instid0(VALU_DEP_3) | instskip(NEXT) | instid1(VALU_DEP_3)
	v_dual_fma_f32 v82, v56, v80, -v88 :: v_dual_fmac_f32 v83, v57, v80
	v_pk_fma_f32 v[80:81], v[50:51], v[78:79], v[86:87] op_sel_hi:[1,0,1]
	v_pk_fma_f32 v[78:79], v[50:51], v[78:79], v[86:87] neg_lo:[0,0,1] neg_hi:[0,0,1]
	s_delay_alu instid0(VALU_DEP_4) | instskip(SKIP_3) | instid1(VALU_DEP_3)
	v_pk_add_f32 v[30:31], v[30:31], v[84:85]
	s_wait_loadcnt_dscnt 0x0
	v_pk_mul_f32 v[84:85], v[68:69], v[76:77] op_sel:[0,1]
	v_mov_b32_e32 v79, v81
	v_pk_add_f32 v[30:31], v[82:83], v[30:31]
	s_delay_alu instid0(VALU_DEP_3) | instskip(SKIP_1) | instid1(VALU_DEP_2)
	v_pk_fma_f32 v[80:81], v[48:49], v[76:77], v[84:85] op_sel_hi:[1,0,1]
	v_pk_fma_f32 v[76:77], v[48:49], v[76:77], v[84:85] neg_lo:[0,0,1] neg_hi:[0,0,1]
	v_mov_b32_e32 v77, v81
	s_delay_alu instid0(VALU_DEP_4) | instskip(NEXT) | instid1(VALU_DEP_1)
	v_pk_add_f32 v[30:31], v[78:79], v[30:31]
	v_pk_add_f32 v[30:31], v[76:77], v[30:31]
.LBB305_22:                             ;   in Loop: Header=BB305_25 Depth=2
	s_or_b32 exec_lo, exec_lo, s51
	s_wait_loadcnt_dscnt 0x303
	v_dual_mul_f32 v76, v59, v73 :: v_dual_mul_f32 v77, v58, v73
	s_wait_loadcnt_dscnt 0x202
	v_dual_mul_f32 v78, v57, v71 :: v_dual_mul_f32 v73, v56, v71
	s_wait_loadcnt_dscnt 0x101
	v_pk_mul_f32 v[74:75], v[74:75], v[66:67] op_sel:[0,1]
	v_dual_fma_f32 v76, v58, v72, -v76 :: v_dual_fmac_f32 v77, v59, v72
	s_delay_alu instid0(VALU_DEP_3) | instskip(NEXT) | instid1(VALU_DEP_3)
	v_dual_fma_f32 v72, v56, v70, -v78 :: v_dual_fmac_f32 v73, v57, v70
	v_pk_fma_f32 v[70:71], v[50:51], v[66:67], v[74:75] op_sel_hi:[1,0,1]
	s_wait_loadcnt_dscnt 0x0
	v_pk_mul_f32 v[68:69], v[68:69], v[64:65] op_sel:[0,1]
	v_pk_add_f32 v[32:33], v[32:33], v[76:77]
	v_pk_fma_f32 v[66:67], v[50:51], v[66:67], v[74:75] neg_lo:[0,0,1] neg_hi:[0,0,1]
	v_mov_b32_e32 v67, v71
	s_delay_alu instid0(VALU_DEP_4) | instskip(NEXT) | instid1(VALU_DEP_4)
	v_pk_fma_f32 v[70:71], v[48:49], v[64:65], v[68:69] op_sel_hi:[1,0,1]
	v_pk_add_f32 v[32:33], v[72:73], v[32:33]
	v_pk_fma_f32 v[64:65], v[48:49], v[64:65], v[68:69] neg_lo:[0,0,1] neg_hi:[0,0,1]
	s_delay_alu instid0(VALU_DEP_3) | instskip(NEXT) | instid1(VALU_DEP_3)
	v_mov_b32_e32 v65, v71
	v_pk_add_f32 v[32:33], v[66:67], v[32:33]
	s_delay_alu instid0(VALU_DEP_1)
	v_pk_add_f32 v[32:33], v[64:65], v[32:33]
.LBB305_23:                             ;   in Loop: Header=BB305_25 Depth=2
	s_or_b32 exec_lo, exec_lo, s50
	s_wait_loadcnt_dscnt 0x303
	v_dual_mul_f32 v64, v59, v63 :: v_dual_mul_f32 v65, v58, v63
	s_wait_loadcnt_dscnt 0x202
	v_dual_mul_f32 v68, v57, v61 :: v_dual_mul_f32 v63, v56, v61
	s_wait_loadcnt_dscnt 0x101
	v_pk_mul_f32 v[66:67], v[50:51], v[54:55] op_sel:[1,1] op_sel_hi:[0,1]
	v_dual_fma_f32 v64, v58, v62, -v64 :: v_dual_fmac_f32 v65, v59, v62
	s_delay_alu instid0(VALU_DEP_3) | instskip(NEXT) | instid1(VALU_DEP_3)
	v_dual_fma_f32 v62, v56, v60, -v68 :: v_dual_fmac_f32 v63, v57, v60
	v_pk_fma_f32 v[56:57], v[50:51], v[54:55], v[66:67] op_sel_hi:[1,0,1]
	s_wait_loadcnt_dscnt 0x0
	v_pk_mul_f32 v[58:59], v[48:49], v[52:53] op_sel:[1,1] op_sel_hi:[0,1]
	v_pk_add_f32 v[26:27], v[26:27], v[64:65]
	v_pk_fma_f32 v[50:51], v[50:51], v[54:55], v[66:67] neg_lo:[0,0,1] neg_hi:[0,0,1]
	s_delay_alu instid0(VALU_DEP_3) | instskip(SKIP_1) | instid1(VALU_DEP_4)
	v_pk_fma_f32 v[54:55], v[48:49], v[52:53], v[58:59] op_sel_hi:[1,0,1]
	v_mov_b32_e32 v51, v57
	v_pk_add_f32 v[26:27], v[62:63], v[26:27]
	v_pk_fma_f32 v[48:49], v[48:49], v[52:53], v[58:59] neg_lo:[0,0,1] neg_hi:[0,0,1]
	s_delay_alu instid0(VALU_DEP_4) | instskip(NEXT) | instid1(VALU_DEP_3)
	v_mov_b32_e32 v49, v55
	v_pk_add_f32 v[26:27], v[50:51], v[26:27]
	s_delay_alu instid0(VALU_DEP_1)
	v_pk_add_f32 v[26:27], v[48:49], v[26:27]
.LBB305_24:                             ;   in Loop: Header=BB305_25 Depth=2
	s_or_b32 exec_lo, exec_lo, s9
	v_add_nc_u32_e32 v0, 64, v0
	v_add_nc_u64_e32 v[46:47], s[40:41], v[46:47]
	v_add_nc_u64_e32 v[38:39], s[42:43], v[38:39]
	;; [unrolled: 1-line block ×4, first 2 shown]
	v_cmp_le_i32_e32 vcc_lo, s47, v0
	v_add_nc_u64_e32 v[44:45], s[42:43], v[44:45]
	s_or_b32 s8, vcc_lo, s8
	s_delay_alu instid0(SALU_CYCLE_1)
	s_and_not1_b32 exec_lo, exec_lo, s8
	s_cbranch_execz .LBB305_30
.LBB305_25:                             ;   Parent Loop BB305_5 Depth=1
                                        ; =>  This Inner Loop Header: Depth=2
	s_and_saveexec_b32 s9, s1
	s_cbranch_execz .LBB305_24
; %bb.26:                               ;   in Loop: Header=BB305_25 Depth=2
	s_delay_alu instid0(VALU_DEP_2)
	v_add_nc_u64_e32 v[48:49], v[46:47], v[8:9]
	v_add_nc_u64_e32 v[50:51], v[46:47], v[2:3]
	;; [unrolled: 1-line block ×8, first 2 shown]
	s_clause 0x3
	flat_load_b64 v[58:59], v[48:49] offset:-4
	flat_load_b64 v[56:57], v[50:51] offset:-4
	flat_load_b64 v[50:51], v[52:53]
	flat_load_b64 v[48:49], v[54:55]
	;; [unrolled: 1-line block ×6, first 2 shown]
	s_wait_xcnt 0x0
	s_and_saveexec_b32 s50, s3
	s_cbranch_execz .LBB305_23
; %bb.27:                               ;   in Loop: Header=BB305_25 Depth=2
	flat_load_b64 v[72:73], v[90:91] offset:512
	flat_load_b64 v[70:71], v[88:89] offset:512
	;; [unrolled: 1-line block ×4, first 2 shown]
	s_wait_loadcnt_dscnt 0x909
	v_dual_mov_b32 v74, v51 :: v_dual_mov_b32 v75, v50
	s_wait_loadcnt_dscnt 0x808
	v_dual_mov_b32 v68, v49 :: v_dual_mov_b32 v69, v48
	s_wait_xcnt 0x0
	s_and_saveexec_b32 s51, s4
	s_cbranch_execz .LBB305_22
; %bb.28:                               ;   in Loop: Header=BB305_25 Depth=2
	flat_load_b64 v[82:83], v[90:91] offset:1024
	flat_load_b64 v[80:81], v[88:89] offset:1024
	;; [unrolled: 1-line block ×4, first 2 shown]
	s_wait_xcnt 0x0
	s_and_saveexec_b32 s52, s5
	s_cbranch_execz .LBB305_21
; %bb.29:                               ;   in Loop: Header=BB305_25 Depth=2
	flat_load_b64 v[90:91], v[90:91] offset:1536
	flat_load_b64 v[88:89], v[88:89] offset:1536
	;; [unrolled: 1-line block ×4, first 2 shown]
	s_wait_loadcnt_dscnt 0x303
	v_dual_mul_f32 v95, v59, v91 :: v_dual_mul_f32 v97, v58, v91
	s_wait_loadcnt_dscnt 0x202
	s_wait_xcnt 0x3
	v_dual_mul_f32 v100, v57, v89 :: v_dual_mul_f32 v91, v56, v89
	s_wait_loadcnt_dscnt 0x101
	v_pk_mul_f32 v[98:99], v[74:75], v[84:85] op_sel:[0,1]
	v_dual_fma_f32 v96, v58, v90, -v95 :: v_dual_fmac_f32 v97, v59, v90
	s_delay_alu instid0(VALU_DEP_3) | instskip(SKIP_1) | instid1(VALU_DEP_3)
	v_dual_fma_f32 v90, v56, v88, -v100 :: v_dual_fmac_f32 v91, v57, v88
	s_wait_xcnt 0x2
	v_pk_fma_f32 v[88:89], v[50:51], v[84:85], v[98:99] op_sel_hi:[1,0,1]
	s_wait_xcnt 0x1
	v_pk_fma_f32 v[84:85], v[50:51], v[84:85], v[98:99] neg_lo:[0,0,1] neg_hi:[0,0,1]
	v_pk_add_f32 v[28:29], v[28:29], v[96:97]
	s_wait_loadcnt_dscnt 0x0
	v_pk_mul_f32 v[96:97], v[68:69], v[86:87] op_sel:[0,1]
	v_mov_b32_e32 v85, v89
	s_delay_alu instid0(VALU_DEP_3) | instskip(NEXT) | instid1(VALU_DEP_3)
	v_pk_add_f32 v[28:29], v[90:91], v[28:29]
	v_pk_fma_f32 v[88:89], v[48:49], v[86:87], v[96:97] op_sel_hi:[1,0,1]
	s_wait_xcnt 0x0
	v_pk_fma_f32 v[86:87], v[48:49], v[86:87], v[96:97] neg_lo:[0,0,1] neg_hi:[0,0,1]
	s_delay_alu instid0(VALU_DEP_2) | instskip(SKIP_1) | instid1(VALU_DEP_1)
	v_mov_b32_e32 v87, v89
	v_pk_add_f32 v[28:29], v[84:85], v[28:29]
	v_pk_add_f32 v[28:29], v[86:87], v[28:29]
	s_branch .LBB305_21
.LBB305_30:                             ;   in Loop: Header=BB305_5 Depth=1
	s_or_b32 exec_lo, exec_lo, s8
.LBB305_31:                             ;   in Loop: Header=BB305_5 Depth=1
	s_delay_alu instid0(SALU_CYCLE_1) | instskip(NEXT) | instid1(SALU_CYCLE_1)
	s_or_b32 exec_lo, exec_lo, s7
	s_and_not1_b32 vcc_lo, exec_lo, s12
	s_cbranch_vccnz .LBB305_49
; %bb.32:                               ;   in Loop: Header=BB305_5 Depth=1
	v_dual_mov_b32 v44, 0 :: v_dual_bitop2_b32 v46, 1, v0 bitop3:0x54
	v_cmp_gt_i32_e32 vcc_lo, s13, v0
	s_delay_alu instid0(VALU_DEP_2)
	v_dual_mov_b32 v45, v44 :: v_dual_mov_b32 v42, v44
	v_dual_mov_b32 v43, v44 :: v_dual_mov_b32 v40, v44
	;; [unrolled: 1-line block ×3, first 2 shown]
	v_mov_b32_e32 v39, v44
	s_and_saveexec_b32 s8, vcc_lo
	s_cbranch_execz .LBB305_40
; %bb.33:                               ;   in Loop: Header=BB305_5 Depth=1
	v_mul_u64_e32 v[38:39], s[30:31], v[0:1]
	v_dual_mov_b32 v41, 0 :: v_dual_mov_b32 v40, 0
	v_dual_mov_b32 v43, 0 :: v_dual_mov_b32 v42, 0
	;; [unrolled: 1-line block ×3, first 2 shown]
	s_mov_b32 s9, exec_lo
	s_delay_alu instid0(VALU_DEP_4)
	v_lshl_add_u64 v[38:39], v[38:39], 3, v[36:37]
	flat_load_b64 v[38:39], v[38:39]
	s_wait_xcnt 0x0
	v_cmpx_gt_i32_e64 s13, v46
	s_cbranch_execz .LBB305_39
; %bb.34:                               ;   in Loop: Header=BB305_5 Depth=1
	v_dual_mov_b32 v47, v1 :: v_dual_bitop2_b32 v48, 2, v0 bitop3:0x54
	v_dual_mov_b32 v43, 0 :: v_dual_mov_b32 v42, 0
	v_dual_mov_b32 v45, 0 :: v_dual_mov_b32 v44, 0
	s_delay_alu instid0(VALU_DEP_3) | instskip(SKIP_1) | instid1(VALU_DEP_1)
	v_mul_u64_e32 v[40:41], s[30:31], v[46:47]
	s_mov_b32 s50, exec_lo
	v_lshl_add_u64 v[40:41], v[40:41], 3, v[36:37]
	flat_load_b64 v[40:41], v[40:41]
	s_wait_xcnt 0x0
	v_cmpx_gt_i32_e64 s13, v48
	s_cbranch_execz .LBB305_38
; %bb.35:                               ;   in Loop: Header=BB305_5 Depth=1
	v_dual_mov_b32 v49, v1 :: v_dual_mov_b32 v45, 0
	v_mov_b32_e32 v44, 0
	s_mov_b32 s51, exec_lo
	s_delay_alu instid0(VALU_DEP_2) | instskip(SKIP_1) | instid1(VALU_DEP_2)
	v_mul_u64_e32 v[42:43], s[30:31], v[48:49]
	v_or_b32_e32 v48, 3, v0
	v_lshl_add_u64 v[42:43], v[42:43], 3, v[36:37]
	flat_load_b64 v[42:43], v[42:43]
	s_wait_xcnt 0x0
	v_cmpx_gt_i32_e64 s13, v48
	s_cbranch_execz .LBB305_37
; %bb.36:                               ;   in Loop: Header=BB305_5 Depth=1
	v_mov_b32_e32 v49, v1
	s_delay_alu instid0(VALU_DEP_1) | instskip(NEXT) | instid1(VALU_DEP_1)
	v_mul_u64_e32 v[44:45], s[30:31], v[48:49]
	v_lshl_add_u64 v[36:37], v[44:45], 3, v[36:37]
	flat_load_b64 v[44:45], v[36:37]
.LBB305_37:                             ;   in Loop: Header=BB305_5 Depth=1
	s_wait_xcnt 0x0
	s_or_b32 exec_lo, exec_lo, s51
.LBB305_38:                             ;   in Loop: Header=BB305_5 Depth=1
	s_delay_alu instid0(SALU_CYCLE_1)
	s_or_b32 exec_lo, exec_lo, s50
.LBB305_39:                             ;   in Loop: Header=BB305_5 Depth=1
	s_delay_alu instid0(SALU_CYCLE_1)
	s_or_b32 exec_lo, exec_lo, s9
.LBB305_40:                             ;   in Loop: Header=BB305_5 Depth=1
	s_delay_alu instid0(SALU_CYCLE_1)
	s_or_b32 exec_lo, exec_lo, s8
	s_and_saveexec_b32 s50, s1
	s_cbranch_execz .LBB305_48
; %bb.41:                               ;   in Loop: Header=BB305_5 Depth=1
	v_dual_mov_b32 v47, v1 :: v_dual_bitop2_b32 v36, 2, v0 bitop3:0x54
	v_mov_b32_e32 v37, v1
	v_mul_u64_e32 v[48:49], s[34:35], v[0:1]
	v_or_b32_e32 v0, 3, v0
	s_delay_alu instid0(VALU_DEP_4)
	v_mul_u64_e32 v[50:51], s[34:35], v[46:47]
	v_cmp_gt_i32_e64 s7, s13, v46
	v_mul_u64_e32 v[52:53], s[34:35], v[36:37]
	v_cmp_gt_i32_e64 s8, s13, v36
	;; [unrolled: 2-line block ×3, first 2 shown]
	s_wait_loadcnt_dscnt 0x0
	v_dual_mov_b32 v56, v39 :: v_dual_mov_b32 v57, v38
	v_dual_cndmask_b32 v37, 0, v49 :: v_dual_cndmask_b32 v36, 0, v48
	v_dual_cndmask_b32 v47, 0, v51, s7 :: v_dual_cndmask_b32 v46, 0, v50, s7
	v_dual_cndmask_b32 v49, 0, v53, s8 :: v_dual_cndmask_b32 v48, 0, v52, s8
	;; [unrolled: 1-line block ×3, first 2 shown]
	s_delay_alu instid0(VALU_DEP_4) | instskip(NEXT) | instid1(VALU_DEP_4)
	v_lshl_add_u64 v[36:37], v[36:37], 3, v[34:35]
	v_lshl_add_u64 v[46:47], v[46:47], 3, v[34:35]
	s_delay_alu instid0(VALU_DEP_4)
	v_lshl_add_u64 v[48:49], v[48:49], 3, v[34:35]
	v_dual_mov_b32 v54, v41 :: v_dual_mov_b32 v55, v40
	v_lshl_add_u64 v[34:35], v[50:51], 3, v[34:35]
	v_add_nc_u64_e32 v[74:75], v[36:37], v[14:15]
	v_add_nc_u64_e32 v[76:77], v[46:47], v[14:15]
	;; [unrolled: 1-line block ×3, first 2 shown]
	v_dual_mov_b32 v52, v43 :: v_dual_mov_b32 v53, v42
	v_add_nc_u64_e32 v[80:81], v[34:35], v[14:15]
	s_clause 0x3
	flat_load_b64 v[50:51], v[74:75]
	flat_load_b64 v[46:47], v[76:77]
	;; [unrolled: 1-line block ×4, first 2 shown]
	v_dual_mov_b32 v48, v45 :: v_dual_mov_b32 v49, v44
	s_wait_xcnt 0x0
	s_and_saveexec_b32 s7, s3
	s_cbranch_execz .LBB305_47
; %bb.42:                               ;   in Loop: Header=BB305_5 Depth=1
	s_clause 0x3
	flat_load_b64 v[64:65], v[74:75] offset:512
	flat_load_b64 v[62:63], v[76:77] offset:512
	flat_load_b64 v[60:61], v[78:79] offset:512
	flat_load_b64 v[58:59], v[80:81] offset:512
	s_wait_xcnt 0x0
	s_and_saveexec_b32 s8, s4
	s_cbranch_execz .LBB305_46
; %bb.43:                               ;   in Loop: Header=BB305_5 Depth=1
	s_clause 0x3
	flat_load_b64 v[72:73], v[74:75] offset:1024
	flat_load_b64 v[70:71], v[76:77] offset:1024
	flat_load_b64 v[68:69], v[78:79] offset:1024
	flat_load_b64 v[66:67], v[80:81] offset:1024
	;; [unrolled: 9-line block ×3, first 2 shown]
	s_wait_loadcnt_dscnt 0x303
	v_pk_mul_f32 v[82:83], v[56:57], v[74:75] op_sel:[0,1]
	s_wait_loadcnt_dscnt 0x202
	v_pk_mul_f32 v[84:85], v[54:55], v[76:77] op_sel:[0,1]
	;; [unrolled: 2-line block ×3, first 2 shown]
	v_pk_fma_f32 v[86:87], v[38:39], v[74:75], v[82:83] op_sel_hi:[1,0,1]
	s_wait_xcnt 0x3
	v_pk_fma_f32 v[74:75], v[38:39], v[74:75], v[82:83] neg_lo:[0,0,1] neg_hi:[0,0,1]
	v_pk_fma_f32 v[82:83], v[40:41], v[76:77], v[84:85] op_sel_hi:[1,0,1]
	s_wait_xcnt 0x2
	v_pk_fma_f32 v[76:77], v[40:41], v[76:77], v[84:85] neg_lo:[0,0,1] neg_hi:[0,0,1]
	v_pk_fma_f32 v[84:85], v[42:43], v[78:79], v[88:89] op_sel_hi:[1,0,1]
	v_mov_b32_e32 v75, v87
	s_wait_xcnt 0x1
	v_pk_fma_f32 v[78:79], v[42:43], v[78:79], v[88:89] neg_lo:[0,0,1] neg_hi:[0,0,1]
	v_mov_b32_e32 v77, v83
	s_delay_alu instid0(VALU_DEP_3) | instskip(SKIP_2) | instid1(VALU_DEP_2)
	v_pk_add_f32 v[28:29], v[28:29], v[74:75]
	s_wait_loadcnt_dscnt 0x0
	v_pk_mul_f32 v[74:75], v[48:49], v[80:81] op_sel:[0,1]
	v_pk_add_f32 v[28:29], v[76:77], v[28:29]
	s_delay_alu instid0(VALU_DEP_2) | instskip(SKIP_2) | instid1(VALU_DEP_3)
	v_pk_fma_f32 v[76:77], v[44:45], v[80:81], v[74:75] op_sel_hi:[1,0,1]
	v_mov_b32_e32 v79, v85
	v_pk_fma_f32 v[74:75], v[44:45], v[80:81], v[74:75] neg_lo:[0,0,1] neg_hi:[0,0,1]
	v_mov_b32_e32 v75, v77
	s_delay_alu instid0(VALU_DEP_3) | instskip(NEXT) | instid1(VALU_DEP_1)
	v_pk_add_f32 v[28:29], v[78:79], v[28:29]
	v_pk_add_f32 v[28:29], v[74:75], v[28:29]
.LBB305_45:                             ;   in Loop: Header=BB305_5 Depth=1
	s_wait_xcnt 0x0
	s_or_b32 exec_lo, exec_lo, s9
	s_wait_loadcnt_dscnt 0x303
	v_pk_mul_f32 v[74:75], v[56:57], v[72:73] op_sel:[0,1]
	s_wait_loadcnt_dscnt 0x202
	v_pk_mul_f32 v[76:77], v[54:55], v[70:71] op_sel:[0,1]
	s_wait_loadcnt_dscnt 0x101
	v_pk_mul_f32 v[80:81], v[52:53], v[68:69] op_sel:[0,1]
	v_pk_fma_f32 v[78:79], v[38:39], v[72:73], v[74:75] op_sel_hi:[1,0,1]
	v_pk_fma_f32 v[72:73], v[38:39], v[72:73], v[74:75] neg_lo:[0,0,1] neg_hi:[0,0,1]
	v_pk_fma_f32 v[74:75], v[40:41], v[70:71], v[76:77] op_sel_hi:[1,0,1]
	v_pk_fma_f32 v[70:71], v[40:41], v[70:71], v[76:77] neg_lo:[0,0,1] neg_hi:[0,0,1]
	v_pk_fma_f32 v[76:77], v[42:43], v[68:69], v[80:81] op_sel_hi:[1,0,1]
	v_mov_b32_e32 v73, v79
	v_pk_fma_f32 v[68:69], v[42:43], v[68:69], v[80:81] neg_lo:[0,0,1] neg_hi:[0,0,1]
	v_mov_b32_e32 v71, v75
	s_delay_alu instid0(VALU_DEP_3) | instskip(SKIP_2) | instid1(VALU_DEP_2)
	v_pk_add_f32 v[30:31], v[30:31], v[72:73]
	s_wait_loadcnt_dscnt 0x0
	v_pk_mul_f32 v[72:73], v[48:49], v[66:67] op_sel:[0,1]
	v_pk_add_f32 v[30:31], v[70:71], v[30:31]
	s_delay_alu instid0(VALU_DEP_2) | instskip(SKIP_2) | instid1(VALU_DEP_3)
	v_pk_fma_f32 v[70:71], v[44:45], v[66:67], v[72:73] op_sel_hi:[1,0,1]
	v_mov_b32_e32 v69, v77
	v_pk_fma_f32 v[66:67], v[44:45], v[66:67], v[72:73] neg_lo:[0,0,1] neg_hi:[0,0,1]
	v_mov_b32_e32 v67, v71
	s_delay_alu instid0(VALU_DEP_3) | instskip(NEXT) | instid1(VALU_DEP_1)
	v_pk_add_f32 v[30:31], v[68:69], v[30:31]
	v_pk_add_f32 v[30:31], v[66:67], v[30:31]
.LBB305_46:                             ;   in Loop: Header=BB305_5 Depth=1
	s_or_b32 exec_lo, exec_lo, s8
	s_wait_loadcnt_dscnt 0x303
	v_pk_mul_f32 v[66:67], v[56:57], v[64:65] op_sel:[0,1]
	s_wait_loadcnt_dscnt 0x202
	v_pk_mul_f32 v[68:69], v[54:55], v[62:63] op_sel:[0,1]
	;; [unrolled: 2-line block ×3, first 2 shown]
	v_pk_fma_f32 v[70:71], v[38:39], v[64:65], v[66:67] op_sel_hi:[1,0,1]
	v_pk_fma_f32 v[64:65], v[38:39], v[64:65], v[66:67] neg_lo:[0,0,1] neg_hi:[0,0,1]
	v_pk_fma_f32 v[66:67], v[40:41], v[62:63], v[68:69] op_sel_hi:[1,0,1]
	v_pk_fma_f32 v[62:63], v[40:41], v[62:63], v[68:69] neg_lo:[0,0,1] neg_hi:[0,0,1]
	v_pk_fma_f32 v[68:69], v[42:43], v[60:61], v[72:73] op_sel_hi:[1,0,1]
	v_mov_b32_e32 v65, v71
	v_pk_fma_f32 v[60:61], v[42:43], v[60:61], v[72:73] neg_lo:[0,0,1] neg_hi:[0,0,1]
	v_mov_b32_e32 v63, v67
	s_delay_alu instid0(VALU_DEP_3) | instskip(SKIP_2) | instid1(VALU_DEP_2)
	v_pk_add_f32 v[32:33], v[32:33], v[64:65]
	s_wait_loadcnt_dscnt 0x0
	v_pk_mul_f32 v[64:65], v[48:49], v[58:59] op_sel:[0,1]
	v_pk_add_f32 v[32:33], v[62:63], v[32:33]
	s_delay_alu instid0(VALU_DEP_2) | instskip(SKIP_2) | instid1(VALU_DEP_3)
	v_pk_fma_f32 v[62:63], v[44:45], v[58:59], v[64:65] op_sel_hi:[1,0,1]
	v_mov_b32_e32 v61, v69
	v_pk_fma_f32 v[58:59], v[44:45], v[58:59], v[64:65] neg_lo:[0,0,1] neg_hi:[0,0,1]
	v_mov_b32_e32 v59, v63
	s_delay_alu instid0(VALU_DEP_3) | instskip(NEXT) | instid1(VALU_DEP_1)
	v_pk_add_f32 v[32:33], v[60:61], v[32:33]
	v_pk_add_f32 v[32:33], v[58:59], v[32:33]
.LBB305_47:                             ;   in Loop: Header=BB305_5 Depth=1
	s_or_b32 exec_lo, exec_lo, s7
	s_wait_loadcnt_dscnt 0x303
	v_pk_mul_f32 v[56:57], v[56:57], v[50:51] op_sel:[0,1]
	s_wait_loadcnt_dscnt 0x202
	v_pk_mul_f32 v[54:55], v[54:55], v[46:47] op_sel:[0,1]
	;; [unrolled: 2-line block ×3, first 2 shown]
	v_pk_fma_f32 v[58:59], v[38:39], v[50:51], v[56:57] op_sel_hi:[1,0,1]
	v_pk_fma_f32 v[38:39], v[38:39], v[50:51], v[56:57] neg_lo:[0,0,1] neg_hi:[0,0,1]
	v_pk_fma_f32 v[50:51], v[40:41], v[46:47], v[54:55] op_sel_hi:[1,0,1]
	v_pk_fma_f32 v[40:41], v[40:41], v[46:47], v[54:55] neg_lo:[0,0,1] neg_hi:[0,0,1]
	v_pk_fma_f32 v[46:47], v[42:43], v[36:37], v[52:53] op_sel_hi:[1,0,1]
	v_mov_b32_e32 v39, v59
	v_pk_fma_f32 v[36:37], v[42:43], v[36:37], v[52:53] neg_lo:[0,0,1] neg_hi:[0,0,1]
	v_mov_b32_e32 v41, v51
	s_delay_alu instid0(VALU_DEP_3) | instskip(SKIP_2) | instid1(VALU_DEP_2)
	v_pk_add_f32 v[26:27], v[26:27], v[38:39]
	s_wait_loadcnt_dscnt 0x0
	v_pk_mul_f32 v[38:39], v[48:49], v[34:35] op_sel:[0,1]
	v_pk_add_f32 v[26:27], v[40:41], v[26:27]
	s_delay_alu instid0(VALU_DEP_2) | instskip(SKIP_2) | instid1(VALU_DEP_3)
	v_pk_fma_f32 v[40:41], v[44:45], v[34:35], v[38:39] op_sel_hi:[1,0,1]
	v_mov_b32_e32 v37, v47
	v_pk_fma_f32 v[34:35], v[44:45], v[34:35], v[38:39] neg_lo:[0,0,1] neg_hi:[0,0,1]
	v_mov_b32_e32 v35, v41
	s_delay_alu instid0(VALU_DEP_3) | instskip(NEXT) | instid1(VALU_DEP_1)
	v_pk_add_f32 v[26:27], v[36:37], v[26:27]
	v_pk_add_f32 v[26:27], v[34:35], v[26:27]
.LBB305_48:                             ;   in Loop: Header=BB305_5 Depth=1
	s_or_b32 exec_lo, exec_lo, s50
.LBB305_49:                             ;   in Loop: Header=BB305_5 Depth=1
	ds_store_2addr_stride64_b64 v93, v[26:27], v[32:33] offset1:1
	ds_store_2addr_stride64_b64 v93, v[30:31], v[28:29] offset0:2 offset1:3
	s_wait_storecnt 0x0
	s_wait_loadcnt_dscnt 0x0
	s_barrier_signal -1
	s_barrier_wait -1
	s_and_saveexec_b32 s7, s0
	s_cbranch_execz .LBB305_3
; %bb.50:                               ;   in Loop: Header=BB305_5 Depth=1
	ds_load_2addr_stride64_b64 v[26:29], v94 offset1:4
	ds_load_2addr_stride64_b64 v[30:33], v94 offset0:8 offset1:12
	ds_load_2addr_stride64_b64 v[34:37], v94 offset0:16 offset1:20
	s_wait_dscnt 0x2
	v_pk_add_f32 v[38:39], v[26:27], v[28:29]
	ds_load_2addr_stride64_b64 v[26:29], v94 offset0:24 offset1:28
	s_wait_dscnt 0x2
	v_pk_add_f32 v[30:31], v[38:39], v[30:31]
	s_delay_alu instid0(VALU_DEP_1) | instskip(SKIP_3) | instid1(VALU_DEP_1)
	v_pk_add_f32 v[38:39], v[30:31], v[32:33]
	ds_load_2addr_stride64_b64 v[30:33], v94 offset0:32 offset1:36
	s_wait_dscnt 0x2
	v_pk_add_f32 v[34:35], v[38:39], v[34:35]
	v_pk_add_f32 v[38:39], v[34:35], v[36:37]
	ds_load_2addr_stride64_b64 v[34:37], v94 offset0:40 offset1:44
	s_wait_dscnt 0x2
	v_pk_add_f32 v[26:27], v[38:39], v[26:27]
	s_delay_alu instid0(VALU_DEP_1) | instskip(SKIP_1) | instid1(VALU_DEP_1)
	v_pk_add_f32 v[26:27], v[26:27], v[28:29]
	s_wait_dscnt 0x1
	v_pk_add_f32 v[30:31], v[26:27], v[30:31]
	ds_load_2addr_stride64_b64 v[26:29], v94 offset0:48 offset1:52
	v_pk_add_f32 v[30:31], v[30:31], v[32:33]
	s_wait_dscnt 0x1
	s_delay_alu instid0(VALU_DEP_1) | instskip(SKIP_3) | instid1(VALU_DEP_1)
	v_pk_add_f32 v[34:35], v[30:31], v[34:35]
	ds_load_2addr_stride64_b64 v[30:33], v94 offset0:56 offset1:60
	v_pk_add_f32 v[34:35], v[34:35], v[36:37]
	s_wait_dscnt 0x1
	v_pk_add_f32 v[26:27], v[34:35], v[26:27]
	s_delay_alu instid0(VALU_DEP_1) | instskip(SKIP_1) | instid1(VALU_DEP_1)
	v_pk_add_f32 v[26:27], v[26:27], v[28:29]
	s_wait_dscnt 0x0
	v_pk_add_f32 v[26:27], v[26:27], v[30:31]
	s_delay_alu instid0(VALU_DEP_1)
	v_pk_add_f32 v[28:29], v[26:27], v[32:33]
	ds_store_b64 v94, v[28:29]
	s_and_b32 exec_lo, exec_lo, s2
	s_cbranch_execz .LBB305_3
; %bb.51:                               ;   in Loop: Header=BB305_5 Depth=1
	v_mov_b64_e32 v[26:27], s[38:39]
	v_mov_b64_e32 v[30:31], s[14:15]
	v_lshl_add_u64 v[24:25], v[12:13], 3, v[24:25]
	s_and_not1_b32 vcc_lo, exec_lo, s46
	s_delay_alu instid0(VALU_DEP_3) | instskip(NEXT) | instid1(VALU_DEP_1)
	v_pk_mul_f32 v[32:33], v[28:29], v[26:27] op_sel:[1,0]
	v_pk_fma_f32 v[26:27], v[28:29], v[30:31], v[32:33] op_sel_hi:[0,1,1] neg_lo:[0,0,1] neg_hi:[0,0,1]
	v_pk_fma_f32 v[28:29], v[28:29], v[30:31], v[32:33] op_sel_hi:[0,1,1]
	s_cbranch_vccnz .LBB305_2
; %bb.52:                               ;   in Loop: Header=BB305_5 Depth=1
	flat_load_b64 v[30:31], v[24:25]
	v_mov_b64_e32 v[32:33], s[36:37]
	v_mov_b64_e32 v[34:35], s[28:29]
	s_wait_loadcnt_dscnt 0x0
	s_delay_alu instid0(VALU_DEP_2) | instskip(NEXT) | instid1(VALU_DEP_1)
	v_pk_mul_f32 v[32:33], v[32:33], v[30:31] op_sel:[0,1]
	v_pk_fma_f32 v[36:37], v[34:35], v[30:31], v[32:33] op_sel_hi:[1,0,1]
	v_mov_b32_e32 v27, v29
	v_pk_fma_f32 v[28:29], v[34:35], v[30:31], v[32:33] neg_lo:[0,0,1] neg_hi:[0,0,1]
	s_delay_alu instid0(VALU_DEP_3) | instskip(NEXT) | instid1(VALU_DEP_1)
	v_mov_b32_e32 v29, v37
	v_pk_add_f32 v[26:27], v[26:27], v[28:29]
	s_delay_alu instid0(VALU_DEP_1)
	v_mov_b32_e32 v29, v27
	s_branch .LBB305_2
.LBB305_53:
	s_sendmsg sendmsg(MSG_DEALLOC_VGPRS)
	s_endpgm
	.section	.rodata,"a",@progbits
	.p2align	6, 0x0
	.amdhsa_kernel _ZL20rocblas_gemvn_kernelILi64ELi16ElPK19rocblas_complex_numIfES1_KPS1_EviiT3_lPKT2_lT1_lS9_lSA_lS6_lPT4_lSA_li
		.amdhsa_group_segment_fixed_size 32768
		.amdhsa_private_segment_fixed_size 0
		.amdhsa_kernarg_size 400
		.amdhsa_user_sgpr_count 2
		.amdhsa_user_sgpr_dispatch_ptr 0
		.amdhsa_user_sgpr_queue_ptr 0
		.amdhsa_user_sgpr_kernarg_segment_ptr 1
		.amdhsa_user_sgpr_dispatch_id 0
		.amdhsa_user_sgpr_kernarg_preload_length 0
		.amdhsa_user_sgpr_kernarg_preload_offset 0
		.amdhsa_user_sgpr_private_segment_size 0
		.amdhsa_wavefront_size32 1
		.amdhsa_uses_dynamic_stack 0
		.amdhsa_enable_private_segment 0
		.amdhsa_system_sgpr_workgroup_id_x 1
		.amdhsa_system_sgpr_workgroup_id_y 0
		.amdhsa_system_sgpr_workgroup_id_z 1
		.amdhsa_system_sgpr_workgroup_info 0
		.amdhsa_system_vgpr_workitem_id 1
		.amdhsa_next_free_vgpr 101
		.amdhsa_next_free_sgpr 53
		.amdhsa_named_barrier_count 0
		.amdhsa_reserve_vcc 1
		.amdhsa_float_round_mode_32 0
		.amdhsa_float_round_mode_16_64 0
		.amdhsa_float_denorm_mode_32 3
		.amdhsa_float_denorm_mode_16_64 3
		.amdhsa_fp16_overflow 0
		.amdhsa_memory_ordered 1
		.amdhsa_forward_progress 1
		.amdhsa_inst_pref_size 33
		.amdhsa_round_robin_scheduling 0
		.amdhsa_exception_fp_ieee_invalid_op 0
		.amdhsa_exception_fp_denorm_src 0
		.amdhsa_exception_fp_ieee_div_zero 0
		.amdhsa_exception_fp_ieee_overflow 0
		.amdhsa_exception_fp_ieee_underflow 0
		.amdhsa_exception_fp_ieee_inexact 0
		.amdhsa_exception_int_div_zero 0
	.end_amdhsa_kernel
	.section	.text._ZL20rocblas_gemvn_kernelILi64ELi16ElPK19rocblas_complex_numIfES1_KPS1_EviiT3_lPKT2_lT1_lS9_lSA_lS6_lPT4_lSA_li,"axG",@progbits,_ZL20rocblas_gemvn_kernelILi64ELi16ElPK19rocblas_complex_numIfES1_KPS1_EviiT3_lPKT2_lT1_lS9_lSA_lS6_lPT4_lSA_li,comdat
.Lfunc_end305:
	.size	_ZL20rocblas_gemvn_kernelILi64ELi16ElPK19rocblas_complex_numIfES1_KPS1_EviiT3_lPKT2_lT1_lS9_lSA_lS6_lPT4_lSA_li, .Lfunc_end305-_ZL20rocblas_gemvn_kernelILi64ELi16ElPK19rocblas_complex_numIfES1_KPS1_EviiT3_lPKT2_lT1_lS9_lSA_lS6_lPT4_lSA_li
                                        ; -- End function
	.set _ZL20rocblas_gemvn_kernelILi64ELi16ElPK19rocblas_complex_numIfES1_KPS1_EviiT3_lPKT2_lT1_lS9_lSA_lS6_lPT4_lSA_li.num_vgpr, 101
	.set _ZL20rocblas_gemvn_kernelILi64ELi16ElPK19rocblas_complex_numIfES1_KPS1_EviiT3_lPKT2_lT1_lS9_lSA_lS6_lPT4_lSA_li.num_agpr, 0
	.set _ZL20rocblas_gemvn_kernelILi64ELi16ElPK19rocblas_complex_numIfES1_KPS1_EviiT3_lPKT2_lT1_lS9_lSA_lS6_lPT4_lSA_li.numbered_sgpr, 53
	.set _ZL20rocblas_gemvn_kernelILi64ELi16ElPK19rocblas_complex_numIfES1_KPS1_EviiT3_lPKT2_lT1_lS9_lSA_lS6_lPT4_lSA_li.num_named_barrier, 0
	.set _ZL20rocblas_gemvn_kernelILi64ELi16ElPK19rocblas_complex_numIfES1_KPS1_EviiT3_lPKT2_lT1_lS9_lSA_lS6_lPT4_lSA_li.private_seg_size, 0
	.set _ZL20rocblas_gemvn_kernelILi64ELi16ElPK19rocblas_complex_numIfES1_KPS1_EviiT3_lPKT2_lT1_lS9_lSA_lS6_lPT4_lSA_li.uses_vcc, 1
	.set _ZL20rocblas_gemvn_kernelILi64ELi16ElPK19rocblas_complex_numIfES1_KPS1_EviiT3_lPKT2_lT1_lS9_lSA_lS6_lPT4_lSA_li.uses_flat_scratch, 1
	.set _ZL20rocblas_gemvn_kernelILi64ELi16ElPK19rocblas_complex_numIfES1_KPS1_EviiT3_lPKT2_lT1_lS9_lSA_lS6_lPT4_lSA_li.has_dyn_sized_stack, 0
	.set _ZL20rocblas_gemvn_kernelILi64ELi16ElPK19rocblas_complex_numIfES1_KPS1_EviiT3_lPKT2_lT1_lS9_lSA_lS6_lPT4_lSA_li.has_recursion, 0
	.set _ZL20rocblas_gemvn_kernelILi64ELi16ElPK19rocblas_complex_numIfES1_KPS1_EviiT3_lPKT2_lT1_lS9_lSA_lS6_lPT4_lSA_li.has_indirect_call, 0
	.section	.AMDGPU.csdata,"",@progbits
; Kernel info:
; codeLenInByte = 4176
; TotalNumSgprs: 55
; NumVgprs: 101
; ScratchSize: 0
; MemoryBound: 0
; FloatMode: 240
; IeeeMode: 1
; LDSByteSize: 32768 bytes/workgroup (compile time only)
; SGPRBlocks: 0
; VGPRBlocks: 6
; NumSGPRsForWavesPerEU: 55
; NumVGPRsForWavesPerEU: 101
; NamedBarCnt: 0
; Occupancy: 9
; WaveLimiterHint : 1
; COMPUTE_PGM_RSRC2:SCRATCH_EN: 0
; COMPUTE_PGM_RSRC2:USER_SGPR: 2
; COMPUTE_PGM_RSRC2:TRAP_HANDLER: 0
; COMPUTE_PGM_RSRC2:TGID_X_EN: 1
; COMPUTE_PGM_RSRC2:TGID_Y_EN: 0
; COMPUTE_PGM_RSRC2:TGID_Z_EN: 1
; COMPUTE_PGM_RSRC2:TIDIG_COMP_CNT: 1
	.section	.text._ZL22rocblas_gemvtsm_kernelILb0ELi256EPK19rocblas_complex_numIfES3_KPS1_EviiT2_lPKT1_lilS9_lilS6_lPT3_lil,"axG",@progbits,_ZL22rocblas_gemvtsm_kernelILb0ELi256EPK19rocblas_complex_numIfES3_KPS1_EviiT2_lPKT1_lilS9_lilS6_lPT3_lil,comdat
	.globl	_ZL22rocblas_gemvtsm_kernelILb0ELi256EPK19rocblas_complex_numIfES3_KPS1_EviiT2_lPKT1_lilS9_lilS6_lPT3_lil ; -- Begin function _ZL22rocblas_gemvtsm_kernelILb0ELi256EPK19rocblas_complex_numIfES3_KPS1_EviiT2_lPKT1_lilS9_lilS6_lPT3_lil
	.p2align	8
	.type	_ZL22rocblas_gemvtsm_kernelILb0ELi256EPK19rocblas_complex_numIfES3_KPS1_EviiT2_lPKT1_lilS9_lilS6_lPT3_lil,@function
_ZL22rocblas_gemvtsm_kernelILb0ELi256EPK19rocblas_complex_numIfES3_KPS1_EviiT2_lPKT1_lilS9_lilS6_lPT3_lil: ; @_ZL22rocblas_gemvtsm_kernelILb0ELi256EPK19rocblas_complex_numIfES3_KPS1_EviiT2_lPKT1_lilS9_lilS6_lPT3_lil
; %bb.0:
	s_load_b256 s[12:19], s[0:1], 0x8
	s_bfe_u32 s2, ttmp6, 0x4000c
	s_load_b256 s[4:11], s[0:1], 0x58
	s_add_co_i32 s2, s2, 1
	s_and_b32 s3, ttmp6, 15
	s_mul_i32 s2, ttmp9, s2
	s_getreg_b32 s20, hwreg(HW_REG_IB_STS2, 6, 4)
	s_add_co_i32 s3, s3, s2
	s_cmp_eq_u32 s20, 0
	s_mov_b32 s23, 0
	s_cselect_b32 s22, ttmp9, s3
	s_wait_kmcnt 0x0
	s_mul_u64 s[2:3], s[14:15], s[22:23]
	s_delay_alu instid0(SALU_CYCLE_1) | instskip(NEXT) | instid1(SALU_CYCLE_1)
	s_lshl_b64 s[2:3], s[2:3], 3
	s_add_nc_u64 s[2:3], s[12:13], s[2:3]
	s_load_b64 s[14:15], s[2:3], 0x0
	s_wait_xcnt 0x0
	s_mul_u64 s[2:3], s[6:7], s[22:23]
	s_delay_alu instid0(SALU_CYCLE_1) | instskip(NEXT) | instid1(SALU_CYCLE_1)
	s_lshl_b64 s[2:3], s[2:3], 3
	s_add_nc_u64 s[4:5], s[4:5], s[2:3]
	s_load_b64 s[2:3], s[4:5], 0x0
	s_wait_kmcnt 0x0
	s_cmp_eq_f32 s15, 0
	s_cselect_b32 s4, -1, 0
	s_cmp_eq_f32 s14, 0
	s_cselect_b32 s5, -1, 0
	s_delay_alu instid0(SALU_CYCLE_1) | instskip(SKIP_4) | instid1(SALU_CYCLE_1)
	s_and_b32 s4, s5, s4
	s_cmp_eq_f32 s2, 1.0
	s_cselect_b32 s5, -1, 0
	s_cmp_eq_f32 s3, 0
	s_cselect_b32 s6, -1, 0
	s_and_b32 s5, s5, s6
	s_delay_alu instid0(SALU_CYCLE_1) | instskip(NEXT) | instid1(SALU_CYCLE_1)
	s_and_b32 s4, s4, s5
	s_and_b32 vcc_lo, exec_lo, s4
	s_cbranch_vccnz .LBB306_38
; %bb.1:
	s_or_b32 s4, s14, s15
	s_mov_b64 s[20:21], 0
	s_and_b32 s5, s4, 0x7fffffff
	s_mov_b64 s[12:13], 0
	s_cmp_lg_u32 s5, 0
	s_cselect_b32 s4, -1, 0
	s_cmp_eq_u32 s5, 0
	s_cselect_b32 s7, -1, 0
	s_delay_alu instid0(SALU_CYCLE_1)
	s_and_b32 vcc_lo, exec_lo, s7
	s_cbranch_vccnz .LBB306_3
; %bb.2:
	s_lshl_b64 s[12:13], s[22:23], 3
	s_delay_alu instid0(SALU_CYCLE_1)
	s_add_nc_u64 s[12:13], s[16:17], s[12:13]
	s_lshl_b64 s[16:17], s[18:19], 3
	s_load_b64 s[12:13], s[12:13], 0x0
	s_wait_kmcnt 0x0
	s_add_nc_u64 s[12:13], s[12:13], s[16:17]
.LBB306_3:
	s_and_not1_b32 vcc_lo, exec_lo, s4
	s_cbranch_vccnz .LBB306_5
; %bb.4:
	s_load_b128 s[16:19], s[0:1], 0x38
	s_lshl_b64 s[4:5], s[22:23], 3
	s_wait_kmcnt 0x0
	s_add_nc_u64 s[4:5], s[16:17], s[4:5]
	s_lshl_b64 s[16:17], s[18:19], 3
	s_load_b64 s[4:5], s[4:5], 0x0
	s_wait_kmcnt 0x0
	s_add_nc_u64 s[20:21], s[4:5], s[16:17]
.LBB306_5:
	s_lshl_b64 s[4:5], s[22:23], 3
	s_and_not1_b32 vcc_lo, exec_lo, s7
	s_add_nc_u64 s[8:9], s[8:9], s[4:5]
	s_clause 0x1
	s_load_b64 s[4:5], s[0:1], 0x0
	s_load_b32 s6, s[0:1], 0x78
	s_load_b64 s[16:17], s[8:9], 0x0
	s_mov_b32 s7, -1
	s_cbranch_vccnz .LBB306_20
; %bb.6:
	s_cmp_neq_f32 s2, 0
	s_cselect_b32 s7, -1, 0
	s_cmp_neq_f32 s3, 0
	s_wait_xcnt 0x0
	s_cselect_b32 s8, -1, 0
	s_delay_alu instid0(SALU_CYCLE_1)
	s_or_b32 s7, s7, s8
	s_wait_kmcnt 0x0
	s_cmp_gt_i32 s5, 0
	s_cselect_b32 s18, -1, 0
	s_and_b32 vcc_lo, exec_lo, s7
	s_mov_b32 s7, -1
	s_cbranch_vccnz .LBB306_13
; %bb.7:
	s_and_not1_b32 vcc_lo, exec_lo, s18
	s_cbranch_vccnz .LBB306_12
; %bb.8:
	v_mov_b32_e32 v1, 0
	s_ashr_i32 s7, s6, 31
	s_lshl_b64 s[8:9], s[10:11], 3
	v_mov_b64_e32 v[2:3], 0
	s_add_nc_u64 s[8:9], s[16:17], s[8:9]
	v_mul_u64_e32 v[4:5], s[6:7], v[0:1]
	s_delay_alu instid0(VALU_DEP_1)
	v_lshl_add_u64 v[4:5], v[4:5], 3, s[8:9]
	s_lshl_b64 s[8:9], s[6:7], 11
	s_mov_b32 s7, 0
	s_branch .LBB306_10
.LBB306_9:                              ;   in Loop: Header=BB306_10 Depth=1
	s_wait_xcnt 0x0
	s_or_b32 exec_lo, exec_lo, s19
	v_add_nc_u64_e32 v[4:5], s[8:9], v[4:5]
	s_addk_co_i32 s7, 0x100
	s_delay_alu instid0(SALU_CYCLE_1)
	s_cmp_ge_i32 s7, s5
	s_cbranch_scc1 .LBB306_12
.LBB306_10:                             ; =>This Inner Loop Header: Depth=1
	v_add_nc_u32_e32 v1, s7, v0
	s_mov_b32 s19, exec_lo
	s_delay_alu instid0(VALU_DEP_1)
	v_cmpx_gt_i32_e64 s5, v1
	s_cbranch_execz .LBB306_9
; %bb.11:                               ;   in Loop: Header=BB306_10 Depth=1
	flat_store_b64 v[4:5], v[2:3]
	s_branch .LBB306_9
.LBB306_12:
	s_mov_b32 s7, 0
.LBB306_13:
	s_delay_alu instid0(SALU_CYCLE_1)
	s_and_not1_b32 vcc_lo, exec_lo, s7
	s_cbranch_vccnz .LBB306_19
; %bb.14:
	s_and_not1_b32 vcc_lo, exec_lo, s18
	s_cbranch_vccnz .LBB306_19
; %bb.15:
	v_mov_b32_e32 v1, 0
	s_ashr_i32 s7, s6, 31
	s_lshl_b64 s[8:9], s[10:11], 3
	s_delay_alu instid0(SALU_CYCLE_1) | instskip(NEXT) | instid1(VALU_DEP_1)
	s_add_nc_u64 s[18:19], s[16:17], s[8:9]
	v_mul_u64_e32 v[2:3], s[6:7], v[0:1]
	s_mov_b32 s8, s3
	s_mov_b32 s9, s2
	s_delay_alu instid0(VALU_DEP_1)
	v_lshl_add_u64 v[2:3], v[2:3], 3, s[18:19]
	s_lshl_b64 s[18:19], s[6:7], 11
	s_mov_b32 s7, 0
	s_branch .LBB306_17
.LBB306_16:                             ;   in Loop: Header=BB306_17 Depth=1
	s_wait_xcnt 0x0
	s_or_b32 exec_lo, exec_lo, s22
	v_add_nc_u64_e32 v[2:3], s[18:19], v[2:3]
	s_addk_co_i32 s7, 0x100
	s_delay_alu instid0(SALU_CYCLE_1)
	s_cmp_ge_i32 s7, s5
	s_cbranch_scc1 .LBB306_19
.LBB306_17:                             ; =>This Inner Loop Header: Depth=1
	v_add_nc_u32_e32 v1, s7, v0
	s_mov_b32 s22, exec_lo
	s_delay_alu instid0(VALU_DEP_1)
	v_cmpx_gt_i32_e64 s5, v1
	s_cbranch_execz .LBB306_16
; %bb.18:                               ;   in Loop: Header=BB306_17 Depth=1
	flat_load_b64 v[4:5], v[2:3]
	v_mov_b64_e32 v[6:7], s[8:9]
	v_mov_b64_e32 v[8:9], s[2:3]
	s_wait_loadcnt_dscnt 0x0
	s_delay_alu instid0(VALU_DEP_2) | instskip(NEXT) | instid1(VALU_DEP_1)
	v_pk_mul_f32 v[6:7], v[6:7], v[4:5] op_sel:[0,1]
	v_pk_fma_f32 v[10:11], v[8:9], v[4:5], v[6:7] op_sel_hi:[1,0,1]
	v_pk_fma_f32 v[4:5], v[8:9], v[4:5], v[6:7] neg_lo:[0,0,1] neg_hi:[0,0,1]
	s_delay_alu instid0(VALU_DEP_2)
	v_mov_b32_e32 v5, v11
	flat_store_b64 v[2:3], v[4:5]
	s_branch .LBB306_16
.LBB306_19:
	s_mov_b32 s7, 0
.LBB306_20:
	s_delay_alu instid0(SALU_CYCLE_1)
	s_and_not1_b32 vcc_lo, exec_lo, s7
	s_cbranch_vccnz .LBB306_38
; %bb.21:
	s_mov_b32 s7, exec_lo
	s_wait_kmcnt 0x0
	v_cmpx_gt_i32_e64 s4, v0
	s_cbranch_execz .LBB306_23
; %bb.22:
	s_load_b32 s8, s[0:1], 0x48
	v_mov_b32_e32 v1, 0
	v_mov_b64_e32 v[4:5], s[14:15]
	s_wait_kmcnt 0x0
	s_ashr_i32 s9, s8, 31
	s_delay_alu instid0(VALU_DEP_2) | instid1(SALU_CYCLE_1)
	v_mul_u64_e32 v[2:3], s[8:9], v[0:1]
	v_lshlrev_b32_e32 v1, 3, v0
	s_delay_alu instid0(VALU_DEP_2) | instskip(SKIP_3) | instid1(VALU_DEP_1)
	v_lshl_add_u64 v[2:3], v[2:3], 3, s[20:21]
	flat_load_b64 v[2:3], v[2:3]
	s_wait_loadcnt_dscnt 0x0
	v_pk_mul_f32 v[6:7], v[2:3], v[4:5] op_sel:[1,1] op_sel_hi:[0,1]
	v_pk_fma_f32 v[8:9], v[2:3], s[14:15], v[6:7] op_sel_hi:[1,0,1]
	s_wait_xcnt 0x0
	v_pk_fma_f32 v[2:3], v[2:3], v[4:5], v[6:7] neg_lo:[0,0,1] neg_hi:[0,0,1]
	s_delay_alu instid0(VALU_DEP_2)
	v_mov_b32_e32 v3, v9
	ds_store_b64 v1, v[2:3]
.LBB306_23:
	s_or_b32 exec_lo, exec_lo, s7
	s_cmp_lt_i32 s5, 1
	s_wait_storecnt_dscnt 0x0
	s_barrier_signal -1
	s_barrier_wait -1
	s_cbranch_scc1 .LBB306_38
; %bb.24:
	s_load_b32 s20, s[0:1], 0x28
	v_mov_b32_e32 v3, 0
	s_lshl_b64 s[10:11], s[10:11], 3
	s_ashr_i32 s7, s6, 31
	s_add_nc_u64 s[10:11], s[16:17], s[10:11]
	s_wait_xcnt 0x0
	s_mov_b32 s1, 0
	v_mov_b32_e32 v1, v3
	s_mov_b32 s8, s3
	s_mov_b32 s19, 0
	s_wait_kmcnt 0x0
	s_ashr_i32 s21, s20, 31
	s_cmp_neq_f32 s2, 0
	v_mul_u64_e32 v[4:5], s[20:21], v[0:1]
	s_cselect_b32 s0, -1, 0
	s_cmp_neq_f32 s3, 0
	s_cselect_b32 s9, -1, 0
	s_delay_alu instid0(SALU_CYCLE_1)
	s_or_b32 s14, s0, s9
	s_cmp_gt_i32 s4, 0
	s_mov_b32 s9, s2
	s_cselect_b32 s15, -1, 0
	s_and_b32 s18, s4, 7
	s_cmp_gt_u32 s4, 7
	s_cselect_b32 s16, -1, 0
	s_and_b32 s4, s4, 0x7ffffff8
	s_cmp_lg_u32 s18, 0
	s_cselect_b32 s17, -1, 0
	s_delay_alu instid0(VALU_DEP_1) | instskip(SKIP_1) | instid1(VALU_DEP_1)
	v_lshl_add_u64 v[4:5], v[4:5], 3, s[12:13]
	s_lshl_b64 s[12:13], s[20:21], 11
	v_add_nc_u64_e32 v[6:7], 56, v[4:5]
	s_branch .LBB306_27
.LBB306_25:                             ;   in Loop: Header=BB306_27 Depth=1
	flat_store_b64 v[8:9], v[10:11]
.LBB306_26:                             ;   in Loop: Header=BB306_27 Depth=1
	s_wait_xcnt 0x0
	s_or_b32 exec_lo, exec_lo, s20
	v_add_nc_u64_e32 v[6:7], s[12:13], v[6:7]
	v_add_nc_u64_e32 v[4:5], s[12:13], v[4:5]
	s_addk_co_i32 s19, 0x100
	s_delay_alu instid0(SALU_CYCLE_1)
	s_cmp_ge_i32 s19, s5
	s_cbranch_scc1 .LBB306_38
.LBB306_27:                             ; =>This Loop Header: Depth=1
                                        ;     Child Loop BB306_33 Depth 2
                                        ;     Child Loop BB306_37 Depth 2
	v_add_nc_u32_e32 v2, s19, v0
	s_mov_b32 s20, exec_lo
	s_delay_alu instid0(VALU_DEP_1)
	v_cmpx_gt_i32_e64 s5, v2
	s_cbranch_execz .LBB306_26
; %bb.28:                               ;   in Loop: Header=BB306_27 Depth=1
	v_mul_u64_e32 v[8:9], s[6:7], v[2:3]
	s_and_not1_b32 vcc_lo, exec_lo, s14
	s_delay_alu instid0(VALU_DEP_1)
	v_lshl_add_u64 v[8:9], v[8:9], 3, s[10:11]
	s_cbranch_vccnz .LBB306_30
; %bb.29:                               ;   in Loop: Header=BB306_27 Depth=1
	flat_load_b64 v[10:11], v[8:9]
	v_mov_b64_e32 v[12:13], s[8:9]
	v_mov_b64_e32 v[14:15], s[2:3]
	s_wait_loadcnt_dscnt 0x0
	s_delay_alu instid0(VALU_DEP_2) | instskip(NEXT) | instid1(VALU_DEP_1)
	v_pk_mul_f32 v[12:13], v[12:13], v[10:11] op_sel:[0,1]
	v_pk_fma_f32 v[16:17], v[14:15], v[10:11], v[12:13] op_sel_hi:[1,0,1]
	v_pk_fma_f32 v[10:11], v[14:15], v[10:11], v[12:13] neg_lo:[0,0,1] neg_hi:[0,0,1]
	s_delay_alu instid0(VALU_DEP_2)
	v_mov_b32_e32 v11, v17
	s_and_not1_b32 vcc_lo, exec_lo, s15
	s_cbranch_vccz .LBB306_31
	s_branch .LBB306_25
.LBB306_30:                             ;   in Loop: Header=BB306_27 Depth=1
	v_mov_b64_e32 v[10:11], 0
	s_and_not1_b32 vcc_lo, exec_lo, s15
	s_cbranch_vccnz .LBB306_25
.LBB306_31:                             ;   in Loop: Header=BB306_27 Depth=1
	s_and_not1_b32 vcc_lo, exec_lo, s16
	s_mov_b32 s0, 0
	s_cbranch_vccnz .LBB306_35
; %bb.32:                               ;   in Loop: Header=BB306_27 Depth=1
	v_mov_b64_e32 v[12:13], v[6:7]
	s_mov_b32 s21, 0
.LBB306_33:                             ;   Parent Loop BB306_27 Depth=1
                                        ; =>  This Inner Loop Header: Depth=2
	s_clause 0x3
	flat_load_b128 v[14:17], v[12:13] offset:-56
	flat_load_b128 v[18:21], v[12:13] offset:-40
	;; [unrolled: 1-line block ×4, first 2 shown]
	v_mov_b32_e32 v1, s0
	s_wait_xcnt 0x0
	v_add_nc_u64_e32 v[12:13], 64, v[12:13]
	s_add_co_i32 s21, s21, 8
	s_add_co_i32 s0, s0, 64
	ds_load_b128 v[30:33], v1
	ds_load_b128 v[34:37], v1 offset:16
	ds_load_b128 v[38:41], v1 offset:32
	;; [unrolled: 1-line block ×3, first 2 shown]
	s_cmp_eq_u32 s4, s21
	s_wait_dscnt 0x2
	v_dual_mov_b32 v2, v33 :: v_dual_mov_b32 v46, v37
	s_wait_dscnt 0x0
	v_dual_mov_b32 v48, v41 :: v_dual_mov_b32 v50, v45
	s_wait_loadcnt 0x3
	v_dual_mov_b32 v52, v17 :: v_dual_mov_b32 v53, v16
	s_wait_loadcnt 0x2
	v_mov_b32_e32 v58, v21
	v_pk_mul_f32 v[54:55], v[14:15], v[30:31] op_sel:[1,1] op_sel_hi:[0,1]
	v_pk_mul_f32 v[56:57], v[18:19], v[34:35] op_sel:[1,1] op_sel_hi:[0,1]
	s_wait_loadcnt 0x1
	v_dual_mov_b32 v59, v20 :: v_dual_mov_b32 v62, v25
	v_pk_mul_f32 v[52:53], v[52:53], v[2:3] op_sel_hi:[1,0]
	v_pk_fma_f32 v[64:65], v[14:15], v[30:31], v[54:55] op_sel_hi:[1,0,1]
	v_pk_fma_f32 v[14:15], v[14:15], v[30:31], v[54:55] neg_lo:[0,0,1] neg_hi:[0,0,1]
	v_mov_b32_e32 v63, v24
	v_pk_fma_f32 v[54:55], v[18:19], v[34:35], v[56:57] op_sel_hi:[1,0,1]
	v_pk_fma_f32 v[30:31], v[16:17], v[32:33], v[52:53] op_sel_hi:[1,0,1]
	v_mov_b32_e32 v15, v65
	v_pk_fma_f32 v[16:17], v[16:17], v[32:33], v[52:53] neg_lo:[0,0,1] neg_hi:[0,0,1]
	v_pk_mul_f32 v[46:47], v[58:59], v[46:47] op_sel_hi:[1,0]
	v_pk_fma_f32 v[18:19], v[18:19], v[34:35], v[56:57] neg_lo:[0,0,1] neg_hi:[0,0,1]
	v_mov_b32_e32 v17, v31
	v_pk_add_f32 v[10:11], v[10:11], v[14:15]
	v_pk_mul_f32 v[60:61], v[22:23], v[38:39] op_sel:[1,1] op_sel_hi:[0,1]
	s_wait_loadcnt 0x0
	v_mov_b32_e32 v14, v29
	v_pk_fma_f32 v[30:31], v[20:21], v[36:37], v[46:47] op_sel_hi:[1,0,1]
	v_mov_b32_e32 v19, v55
	v_pk_add_f32 v[10:11], v[10:11], v[16:17]
	v_pk_fma_f32 v[20:21], v[20:21], v[36:37], v[46:47] neg_lo:[0,0,1] neg_hi:[0,0,1]
	v_pk_fma_f32 v[16:17], v[22:23], v[38:39], v[60:61] op_sel_hi:[1,0,1]
	v_pk_mul_f32 v[32:33], v[62:63], v[48:49] op_sel_hi:[1,0]
	v_mov_b32_e32 v21, v31
	v_pk_add_f32 v[10:11], v[10:11], v[18:19]
	v_pk_fma_f32 v[18:19], v[22:23], v[38:39], v[60:61] neg_lo:[0,0,1] neg_hi:[0,0,1]
	v_pk_mul_f32 v[66:67], v[26:27], v[42:43] op_sel:[1,1] op_sel_hi:[0,1]
	v_dual_mov_b32 v15, v28 :: v_dual_mov_b32 v19, v17
	v_pk_fma_f32 v[16:17], v[24:25], v[40:41], v[32:33] op_sel_hi:[1,0,1]
	v_pk_add_f32 v[10:11], v[10:11], v[20:21]
	v_pk_fma_f32 v[22:23], v[24:25], v[40:41], v[32:33] neg_lo:[0,0,1] neg_hi:[0,0,1]
	v_pk_fma_f32 v[20:21], v[26:27], v[42:43], v[66:67] op_sel_hi:[1,0,1]
	v_pk_mul_f32 v[14:15], v[14:15], v[50:51] op_sel_hi:[1,0]
	v_mov_b32_e32 v23, v17
	v_pk_add_f32 v[10:11], v[10:11], v[18:19]
	v_pk_fma_f32 v[16:17], v[26:27], v[42:43], v[66:67] neg_lo:[0,0,1] neg_hi:[0,0,1]
	v_mov_b32_e32 v17, v21
	v_pk_fma_f32 v[18:19], v[28:29], v[44:45], v[14:15] op_sel_hi:[1,0,1]
	v_pk_fma_f32 v[14:15], v[28:29], v[44:45], v[14:15] neg_lo:[0,0,1] neg_hi:[0,0,1]
	v_pk_add_f32 v[10:11], v[10:11], v[22:23]
	s_delay_alu instid0(VALU_DEP_3) | instskip(NEXT) | instid1(VALU_DEP_2)
	v_mov_b32_e32 v15, v19
	v_pk_add_f32 v[10:11], v[10:11], v[16:17]
	s_delay_alu instid0(VALU_DEP_1)
	v_pk_add_f32 v[10:11], v[10:11], v[14:15]
	s_cbranch_scc0 .LBB306_33
; %bb.34:                               ;   in Loop: Header=BB306_27 Depth=1
	s_mov_b32 s0, s4
.LBB306_35:                             ;   in Loop: Header=BB306_27 Depth=1
	s_and_not1_b32 vcc_lo, exec_lo, s17
	s_cbranch_vccnz .LBB306_25
; %bb.36:                               ;   in Loop: Header=BB306_27 Depth=1
	v_lshl_add_u64 v[12:13], s[0:1], 3, v[4:5]
	s_lshl_b32 s0, s0, 3
	s_mov_b32 s21, s18
.LBB306_37:                             ;   Parent Loop BB306_27 Depth=1
                                        ; =>  This Inner Loop Header: Depth=2
	flat_load_b64 v[14:15], v[12:13]
	v_mov_b32_e32 v1, s0
	s_wait_xcnt 0x0
	v_add_nc_u64_e32 v[12:13], 8, v[12:13]
	s_add_co_i32 s21, s21, -1
	s_add_co_i32 s0, s0, 8
	s_cmp_lg_u32 s21, 0
	ds_load_b64 v[16:17], v1
	s_wait_loadcnt_dscnt 0x0
	v_pk_mul_f32 v[18:19], v[14:15], v[16:17] op_sel:[1,1] op_sel_hi:[0,1]
	s_delay_alu instid0(VALU_DEP_1) | instskip(SKIP_1) | instid1(VALU_DEP_2)
	v_pk_fma_f32 v[20:21], v[14:15], v[16:17], v[18:19] op_sel_hi:[1,0,1]
	v_pk_fma_f32 v[14:15], v[14:15], v[16:17], v[18:19] neg_lo:[0,0,1] neg_hi:[0,0,1]
	v_mov_b32_e32 v15, v21
	s_delay_alu instid0(VALU_DEP_1)
	v_pk_add_f32 v[10:11], v[10:11], v[14:15]
	s_cbranch_scc1 .LBB306_37
	s_branch .LBB306_25
.LBB306_38:
	s_sendmsg sendmsg(MSG_DEALLOC_VGPRS)
	s_endpgm
	.section	.rodata,"a",@progbits
	.p2align	6, 0x0
	.amdhsa_kernel _ZL22rocblas_gemvtsm_kernelILb0ELi256EPK19rocblas_complex_numIfES3_KPS1_EviiT2_lPKT1_lilS9_lilS6_lPT3_lil
		.amdhsa_group_segment_fixed_size 512
		.amdhsa_private_segment_fixed_size 0
		.amdhsa_kernarg_size 136
		.amdhsa_user_sgpr_count 2
		.amdhsa_user_sgpr_dispatch_ptr 0
		.amdhsa_user_sgpr_queue_ptr 0
		.amdhsa_user_sgpr_kernarg_segment_ptr 1
		.amdhsa_user_sgpr_dispatch_id 0
		.amdhsa_user_sgpr_kernarg_preload_length 0
		.amdhsa_user_sgpr_kernarg_preload_offset 0
		.amdhsa_user_sgpr_private_segment_size 0
		.amdhsa_wavefront_size32 1
		.amdhsa_uses_dynamic_stack 0
		.amdhsa_enable_private_segment 0
		.amdhsa_system_sgpr_workgroup_id_x 1
		.amdhsa_system_sgpr_workgroup_id_y 0
		.amdhsa_system_sgpr_workgroup_id_z 0
		.amdhsa_system_sgpr_workgroup_info 0
		.amdhsa_system_vgpr_workitem_id 0
		.amdhsa_next_free_vgpr 68
		.amdhsa_next_free_sgpr 24
		.amdhsa_named_barrier_count 0
		.amdhsa_reserve_vcc 1
		.amdhsa_float_round_mode_32 0
		.amdhsa_float_round_mode_16_64 0
		.amdhsa_float_denorm_mode_32 3
		.amdhsa_float_denorm_mode_16_64 3
		.amdhsa_fp16_overflow 0
		.amdhsa_memory_ordered 1
		.amdhsa_forward_progress 1
		.amdhsa_inst_pref_size 15
		.amdhsa_round_robin_scheduling 0
		.amdhsa_exception_fp_ieee_invalid_op 0
		.amdhsa_exception_fp_denorm_src 0
		.amdhsa_exception_fp_ieee_div_zero 0
		.amdhsa_exception_fp_ieee_overflow 0
		.amdhsa_exception_fp_ieee_underflow 0
		.amdhsa_exception_fp_ieee_inexact 0
		.amdhsa_exception_int_div_zero 0
	.end_amdhsa_kernel
	.section	.text._ZL22rocblas_gemvtsm_kernelILb0ELi256EPK19rocblas_complex_numIfES3_KPS1_EviiT2_lPKT1_lilS9_lilS6_lPT3_lil,"axG",@progbits,_ZL22rocblas_gemvtsm_kernelILb0ELi256EPK19rocblas_complex_numIfES3_KPS1_EviiT2_lPKT1_lilS9_lilS6_lPT3_lil,comdat
.Lfunc_end306:
	.size	_ZL22rocblas_gemvtsm_kernelILb0ELi256EPK19rocblas_complex_numIfES3_KPS1_EviiT2_lPKT1_lilS9_lilS6_lPT3_lil, .Lfunc_end306-_ZL22rocblas_gemvtsm_kernelILb0ELi256EPK19rocblas_complex_numIfES3_KPS1_EviiT2_lPKT1_lilS9_lilS6_lPT3_lil
                                        ; -- End function
	.set _ZL22rocblas_gemvtsm_kernelILb0ELi256EPK19rocblas_complex_numIfES3_KPS1_EviiT2_lPKT1_lilS9_lilS6_lPT3_lil.num_vgpr, 68
	.set _ZL22rocblas_gemvtsm_kernelILb0ELi256EPK19rocblas_complex_numIfES3_KPS1_EviiT2_lPKT1_lilS9_lilS6_lPT3_lil.num_agpr, 0
	.set _ZL22rocblas_gemvtsm_kernelILb0ELi256EPK19rocblas_complex_numIfES3_KPS1_EviiT2_lPKT1_lilS9_lilS6_lPT3_lil.numbered_sgpr, 24
	.set _ZL22rocblas_gemvtsm_kernelILb0ELi256EPK19rocblas_complex_numIfES3_KPS1_EviiT2_lPKT1_lilS9_lilS6_lPT3_lil.num_named_barrier, 0
	.set _ZL22rocblas_gemvtsm_kernelILb0ELi256EPK19rocblas_complex_numIfES3_KPS1_EviiT2_lPKT1_lilS9_lilS6_lPT3_lil.private_seg_size, 0
	.set _ZL22rocblas_gemvtsm_kernelILb0ELi256EPK19rocblas_complex_numIfES3_KPS1_EviiT2_lPKT1_lilS9_lilS6_lPT3_lil.uses_vcc, 1
	.set _ZL22rocblas_gemvtsm_kernelILb0ELi256EPK19rocblas_complex_numIfES3_KPS1_EviiT2_lPKT1_lilS9_lilS6_lPT3_lil.uses_flat_scratch, 1
	.set _ZL22rocblas_gemvtsm_kernelILb0ELi256EPK19rocblas_complex_numIfES3_KPS1_EviiT2_lPKT1_lilS9_lilS6_lPT3_lil.has_dyn_sized_stack, 0
	.set _ZL22rocblas_gemvtsm_kernelILb0ELi256EPK19rocblas_complex_numIfES3_KPS1_EviiT2_lPKT1_lilS9_lilS6_lPT3_lil.has_recursion, 0
	.set _ZL22rocblas_gemvtsm_kernelILb0ELi256EPK19rocblas_complex_numIfES3_KPS1_EviiT2_lPKT1_lilS9_lilS6_lPT3_lil.has_indirect_call, 0
	.section	.AMDGPU.csdata,"",@progbits
; Kernel info:
; codeLenInByte = 1872
; TotalNumSgprs: 26
; NumVgprs: 68
; ScratchSize: 0
; MemoryBound: 0
; FloatMode: 240
; IeeeMode: 1
; LDSByteSize: 512 bytes/workgroup (compile time only)
; SGPRBlocks: 0
; VGPRBlocks: 4
; NumSGPRsForWavesPerEU: 26
; NumVGPRsForWavesPerEU: 68
; NamedBarCnt: 0
; Occupancy: 12
; WaveLimiterHint : 1
; COMPUTE_PGM_RSRC2:SCRATCH_EN: 0
; COMPUTE_PGM_RSRC2:USER_SGPR: 2
; COMPUTE_PGM_RSRC2:TRAP_HANDLER: 0
; COMPUTE_PGM_RSRC2:TGID_X_EN: 1
; COMPUTE_PGM_RSRC2:TGID_Y_EN: 0
; COMPUTE_PGM_RSRC2:TGID_Z_EN: 0
; COMPUTE_PGM_RSRC2:TIDIG_COMP_CNT: 0
	.section	.text._ZL22rocblas_gemvtsm_kernelILb0ELi256EPK19rocblas_complex_numIfES1_KPS1_EviiT2_lPKT1_lilS9_lilS6_lPT3_lil,"axG",@progbits,_ZL22rocblas_gemvtsm_kernelILb0ELi256EPK19rocblas_complex_numIfES1_KPS1_EviiT2_lPKT1_lilS9_lilS6_lPT3_lil,comdat
	.globl	_ZL22rocblas_gemvtsm_kernelILb0ELi256EPK19rocblas_complex_numIfES1_KPS1_EviiT2_lPKT1_lilS9_lilS6_lPT3_lil ; -- Begin function _ZL22rocblas_gemvtsm_kernelILb0ELi256EPK19rocblas_complex_numIfES1_KPS1_EviiT2_lPKT1_lilS9_lilS6_lPT3_lil
	.p2align	8
	.type	_ZL22rocblas_gemvtsm_kernelILb0ELi256EPK19rocblas_complex_numIfES1_KPS1_EviiT2_lPKT1_lilS9_lilS6_lPT3_lil,@function
_ZL22rocblas_gemvtsm_kernelILb0ELi256EPK19rocblas_complex_numIfES1_KPS1_EviiT2_lPKT1_lilS9_lilS6_lPT3_lil: ; @_ZL22rocblas_gemvtsm_kernelILb0ELi256EPK19rocblas_complex_numIfES1_KPS1_EviiT2_lPKT1_lilS9_lilS6_lPT3_lil
; %bb.0:
	s_clause 0x1
	s_load_b128 s[4:7], s[0:1], 0x0
	s_load_b64 s[2:3], s[0:1], 0x58
	s_wait_kmcnt 0x0
	s_cmp_eq_f32 s7, 0
	s_cselect_b32 s8, -1, 0
	s_cmp_eq_f32 s6, 0
	s_cselect_b32 s9, -1, 0
	s_delay_alu instid0(SALU_CYCLE_1) | instskip(SKIP_4) | instid1(SALU_CYCLE_1)
	s_and_b32 s8, s9, s8
	s_cmp_eq_f32 s2, 1.0
	s_cselect_b32 s9, -1, 0
	s_cmp_eq_f32 s3, 0
	s_cselect_b32 s10, -1, 0
	s_and_b32 s9, s9, s10
	s_delay_alu instid0(SALU_CYCLE_1)
	s_and_b32 s8, s8, s9
	s_mov_b32 s9, 0
	s_and_b32 vcc_lo, exec_lo, s8
	s_cbranch_vccnz .LBB307_40
; %bb.1:
	s_bfe_u32 s8, ttmp6, 0x4000c
	s_and_b32 s10, ttmp6, 15
	s_add_co_i32 s8, s8, 1
	s_getreg_b32 s11, hwreg(HW_REG_IB_STS2, 6, 4)
	s_mul_i32 s8, ttmp9, s8
	s_delay_alu instid0(SALU_CYCLE_1) | instskip(SKIP_3) | instid1(SALU_CYCLE_1)
	s_add_co_i32 s10, s10, s8
	s_cmp_eq_u32 s11, 0
	s_cselect_b32 s8, ttmp9, s10
	s_or_b32 s10, s6, s7
	s_and_b32 s11, s10, 0x7fffffff
	s_delay_alu instid0(SALU_CYCLE_1)
	s_cmp_lg_u32 s11, 0
	s_cselect_b32 s10, -1, 0
	s_cmp_eq_u32 s11, 0
	s_cselect_b32 s18, -1, 0
	s_and_b32 vcc_lo, exec_lo, s10
	s_cbranch_vccnz .LBB307_3
; %bb.2:
	s_mov_b32 s13, 0
	s_mov_b32 s12, s8
	;; [unrolled: 1-line block ×3, first 2 shown]
	s_mov_b64 s[16:17], 0
	s_and_not1_b32 vcc_lo, exec_lo, s11
	s_mov_b64 s[14:15], 0
	s_cbranch_vccz .LBB307_4
	s_branch .LBB307_5
.LBB307_3:
	s_mov_b64 s[12:13], s[8:9]
	s_mov_b64 s[16:17], 0
	;; [unrolled: 1-line block ×3, first 2 shown]
.LBB307_4:
	s_load_b128 s[20:23], s[0:1], 0x18
	s_lshl_b64 s[8:9], s[8:9], 3
	s_wait_kmcnt 0x0
	s_add_nc_u64 s[8:9], s[20:21], s[8:9]
	s_lshl_b64 s[14:15], s[22:23], 3
	s_load_b64 s[8:9], s[8:9], 0x0
	s_wait_kmcnt 0x0
	s_add_nc_u64 s[14:15], s[8:9], s[14:15]
.LBB307_5:
	s_and_not1_b32 vcc_lo, exec_lo, s10
	s_cbranch_vccnz .LBB307_7
; %bb.6:
	s_load_b128 s[8:11], s[0:1], 0x38
	s_lshl_b64 s[16:17], s[12:13], 3
	s_wait_kmcnt 0x0
	s_add_nc_u64 s[8:9], s[8:9], s[16:17]
	s_lshl_b64 s[10:11], s[10:11], 3
	s_load_b64 s[8:9], s[8:9], 0x0
	s_wait_kmcnt 0x0
	s_add_nc_u64 s[16:17], s[8:9], s[10:11]
.LBB307_7:
	s_load_b128 s[8:11], s[0:1], 0x68
	s_lshl_b64 s[20:21], s[12:13], 3
	s_load_b32 s12, s[0:1], 0x78
	s_and_not1_b32 vcc_lo, exec_lo, s18
	s_mov_b32 s13, -1
	s_wait_kmcnt 0x0
	s_add_nc_u64 s[8:9], s[8:9], s[20:21]
	s_load_b64 s[8:9], s[8:9], 0x0
	s_cbranch_vccnz .LBB307_22
; %bb.8:
	s_cmp_neq_f32 s2, 0
	s_cselect_b32 s13, -1, 0
	s_cmp_neq_f32 s3, 0
	s_cselect_b32 s18, -1, 0
	s_delay_alu instid0(SALU_CYCLE_1)
	s_or_b32 s13, s13, s18
	s_cmp_gt_i32 s5, 0
	s_cselect_b32 s20, -1, 0
	s_and_b32 vcc_lo, exec_lo, s13
	s_mov_b32 s13, -1
	s_cbranch_vccnz .LBB307_15
; %bb.9:
	s_and_not1_b32 vcc_lo, exec_lo, s20
	s_cbranch_vccnz .LBB307_14
; %bb.10:
	v_mov_b32_e32 v1, 0
	s_ashr_i32 s13, s12, 31
	s_lshl_b64 s[18:19], s[10:11], 3
	v_mov_b64_e32 v[2:3], 0
	s_wait_kmcnt 0x0
	s_add_nc_u64 s[18:19], s[8:9], s[18:19]
	v_mul_u64_e32 v[4:5], s[12:13], v[0:1]
	s_delay_alu instid0(VALU_DEP_1)
	v_lshl_add_u64 v[4:5], v[4:5], 3, s[18:19]
	s_lshl_b64 s[18:19], s[12:13], 11
	s_mov_b32 s13, 0
	s_branch .LBB307_12
.LBB307_11:                             ;   in Loop: Header=BB307_12 Depth=1
	s_wait_xcnt 0x0
	s_or_b32 exec_lo, exec_lo, s21
	v_add_nc_u64_e32 v[4:5], s[18:19], v[4:5]
	s_addk_co_i32 s13, 0x100
	s_delay_alu instid0(SALU_CYCLE_1)
	s_cmp_ge_i32 s13, s5
	s_cbranch_scc1 .LBB307_14
.LBB307_12:                             ; =>This Inner Loop Header: Depth=1
	v_add_nc_u32_e32 v1, s13, v0
	s_mov_b32 s21, exec_lo
	s_delay_alu instid0(VALU_DEP_1)
	v_cmpx_gt_i32_e64 s5, v1
	s_cbranch_execz .LBB307_11
; %bb.13:                               ;   in Loop: Header=BB307_12 Depth=1
	flat_store_b64 v[4:5], v[2:3]
	s_branch .LBB307_11
.LBB307_14:
	s_mov_b32 s13, 0
.LBB307_15:
	s_delay_alu instid0(SALU_CYCLE_1)
	s_and_not1_b32 vcc_lo, exec_lo, s13
	s_cbranch_vccnz .LBB307_21
; %bb.16:
	s_and_not1_b32 vcc_lo, exec_lo, s20
	s_cbranch_vccnz .LBB307_21
; %bb.17:
	v_mov_b32_e32 v1, 0
	s_ashr_i32 s13, s12, 31
	s_lshl_b64 s[18:19], s[10:11], 3
	s_wait_kmcnt 0x0
	s_add_nc_u64 s[20:21], s[8:9], s[18:19]
	v_mul_u64_e32 v[2:3], s[12:13], v[0:1]
	s_mov_b32 s18, s3
	s_mov_b32 s19, s2
	s_delay_alu instid0(VALU_DEP_1)
	v_lshl_add_u64 v[2:3], v[2:3], 3, s[20:21]
	s_lshl_b64 s[20:21], s[12:13], 11
	s_mov_b32 s13, 0
	s_branch .LBB307_19
.LBB307_18:                             ;   in Loop: Header=BB307_19 Depth=1
	s_wait_xcnt 0x0
	s_or_b32 exec_lo, exec_lo, s22
	v_add_nc_u64_e32 v[2:3], s[20:21], v[2:3]
	s_addk_co_i32 s13, 0x100
	s_delay_alu instid0(SALU_CYCLE_1)
	s_cmp_ge_i32 s13, s5
	s_cbranch_scc1 .LBB307_21
.LBB307_19:                             ; =>This Inner Loop Header: Depth=1
	v_add_nc_u32_e32 v1, s13, v0
	s_mov_b32 s22, exec_lo
	s_delay_alu instid0(VALU_DEP_1)
	v_cmpx_gt_i32_e64 s5, v1
	s_cbranch_execz .LBB307_18
; %bb.20:                               ;   in Loop: Header=BB307_19 Depth=1
	flat_load_b64 v[4:5], v[2:3]
	v_mov_b64_e32 v[6:7], s[18:19]
	v_mov_b64_e32 v[8:9], s[2:3]
	s_wait_loadcnt_dscnt 0x0
	s_delay_alu instid0(VALU_DEP_2) | instskip(NEXT) | instid1(VALU_DEP_1)
	v_pk_mul_f32 v[6:7], v[6:7], v[4:5] op_sel:[0,1]
	v_pk_fma_f32 v[10:11], v[8:9], v[4:5], v[6:7] op_sel_hi:[1,0,1]
	v_pk_fma_f32 v[4:5], v[8:9], v[4:5], v[6:7] neg_lo:[0,0,1] neg_hi:[0,0,1]
	s_delay_alu instid0(VALU_DEP_2)
	v_mov_b32_e32 v5, v11
	flat_store_b64 v[2:3], v[4:5]
	s_branch .LBB307_18
.LBB307_21:
	s_mov_b32 s13, 0
.LBB307_22:
	s_delay_alu instid0(SALU_CYCLE_1)
	s_and_not1_b32 vcc_lo, exec_lo, s13
	s_cbranch_vccnz .LBB307_40
; %bb.23:
	s_mov_b32 s13, exec_lo
	v_cmpx_gt_i32_e64 s4, v0
	s_cbranch_execz .LBB307_25
; %bb.24:
	s_load_b32 s18, s[0:1], 0x48
	v_mov_b32_e32 v1, 0
	v_mov_b64_e32 v[4:5], s[6:7]
	s_wait_kmcnt 0x0
	s_ashr_i32 s19, s18, 31
	s_delay_alu instid0(VALU_DEP_2) | instid1(SALU_CYCLE_1)
	v_mul_u64_e32 v[2:3], s[18:19], v[0:1]
	v_lshlrev_b32_e32 v1, 3, v0
	s_delay_alu instid0(VALU_DEP_2) | instskip(SKIP_3) | instid1(VALU_DEP_1)
	v_lshl_add_u64 v[2:3], v[2:3], 3, s[16:17]
	flat_load_b64 v[2:3], v[2:3]
	s_wait_loadcnt_dscnt 0x0
	v_pk_mul_f32 v[6:7], v[2:3], v[4:5] op_sel:[1,1] op_sel_hi:[0,1]
	v_pk_fma_f32 v[8:9], v[2:3], s[6:7], v[6:7] op_sel_hi:[1,0,1]
	s_wait_xcnt 0x0
	v_pk_fma_f32 v[2:3], v[2:3], v[4:5], v[6:7] neg_lo:[0,0,1] neg_hi:[0,0,1]
	s_delay_alu instid0(VALU_DEP_2)
	v_mov_b32_e32 v3, v9
	ds_store_b64 v1, v[2:3]
.LBB307_25:
	s_or_b32 exec_lo, exec_lo, s13
	s_cmp_lt_i32 s5, 1
	s_wait_storecnt_dscnt 0x0
	s_barrier_signal -1
	s_barrier_wait -1
	s_cbranch_scc1 .LBB307_40
; %bb.26:
	s_load_b32 s20, s[0:1], 0x28
	v_mov_b32_e32 v3, 0
	s_lshl_b64 s[10:11], s[10:11], 3
	s_ashr_i32 s13, s12, 31
	s_wait_xcnt 0x0
	s_mov_b32 s1, 0
	s_mov_b32 s6, s3
	v_mov_b32_e32 v1, v3
	s_wait_kmcnt 0x0
	s_add_nc_u64 s[8:9], s[8:9], s[10:11]
	s_mov_b32 s19, 0
	s_ashr_i32 s21, s20, 31
	s_cmp_neq_f32 s2, 0
	v_mul_u64_e32 v[4:5], s[20:21], v[0:1]
	s_cselect_b32 s0, -1, 0
	s_cmp_neq_f32 s3, 0
	s_cselect_b32 s7, -1, 0
	s_delay_alu instid0(SALU_CYCLE_1)
	s_or_b32 s16, s0, s7
	s_cmp_gt_i32 s4, 0
	s_mov_b32 s7, s2
	s_cselect_b32 s17, -1, 0
	s_and_b32 s18, s4, 7
	s_cmp_gt_u32 s4, 7
	s_delay_alu instid0(VALU_DEP_1)
	v_lshl_add_u64 v[4:5], v[4:5], 3, s[14:15]
	s_cselect_b32 s14, -1, 0
	s_and_b32 s4, s4, 0x7ffffff8
	s_cmp_lg_u32 s18, 0
	s_cselect_b32 s15, -1, 0
	v_add_nc_u64_e32 v[6:7], 56, v[4:5]
	s_lshl_b64 s[10:11], s[20:21], 11
	s_branch .LBB307_29
.LBB307_27:                             ;   in Loop: Header=BB307_29 Depth=1
	flat_store_b64 v[8:9], v[10:11]
.LBB307_28:                             ;   in Loop: Header=BB307_29 Depth=1
	s_wait_xcnt 0x0
	s_or_b32 exec_lo, exec_lo, s20
	v_add_nc_u64_e32 v[6:7], s[10:11], v[6:7]
	v_add_nc_u64_e32 v[4:5], s[10:11], v[4:5]
	s_addk_co_i32 s19, 0x100
	s_delay_alu instid0(SALU_CYCLE_1)
	s_cmp_ge_i32 s19, s5
	s_cbranch_scc1 .LBB307_40
.LBB307_29:                             ; =>This Loop Header: Depth=1
                                        ;     Child Loop BB307_35 Depth 2
                                        ;     Child Loop BB307_39 Depth 2
	v_add_nc_u32_e32 v2, s19, v0
	s_mov_b32 s20, exec_lo
	s_delay_alu instid0(VALU_DEP_1)
	v_cmpx_gt_i32_e64 s5, v2
	s_cbranch_execz .LBB307_28
; %bb.30:                               ;   in Loop: Header=BB307_29 Depth=1
	v_mul_u64_e32 v[8:9], s[12:13], v[2:3]
	s_and_not1_b32 vcc_lo, exec_lo, s16
	s_delay_alu instid0(VALU_DEP_1)
	v_lshl_add_u64 v[8:9], v[8:9], 3, s[8:9]
	s_cbranch_vccnz .LBB307_32
; %bb.31:                               ;   in Loop: Header=BB307_29 Depth=1
	flat_load_b64 v[10:11], v[8:9]
	v_mov_b64_e32 v[12:13], s[6:7]
	v_mov_b64_e32 v[14:15], s[2:3]
	s_wait_loadcnt_dscnt 0x0
	s_delay_alu instid0(VALU_DEP_2) | instskip(NEXT) | instid1(VALU_DEP_1)
	v_pk_mul_f32 v[12:13], v[12:13], v[10:11] op_sel:[0,1]
	v_pk_fma_f32 v[16:17], v[14:15], v[10:11], v[12:13] op_sel_hi:[1,0,1]
	v_pk_fma_f32 v[10:11], v[14:15], v[10:11], v[12:13] neg_lo:[0,0,1] neg_hi:[0,0,1]
	s_delay_alu instid0(VALU_DEP_2)
	v_mov_b32_e32 v11, v17
	s_and_not1_b32 vcc_lo, exec_lo, s17
	s_cbranch_vccz .LBB307_33
	s_branch .LBB307_27
.LBB307_32:                             ;   in Loop: Header=BB307_29 Depth=1
	v_mov_b64_e32 v[10:11], 0
	s_and_not1_b32 vcc_lo, exec_lo, s17
	s_cbranch_vccnz .LBB307_27
.LBB307_33:                             ;   in Loop: Header=BB307_29 Depth=1
	s_and_not1_b32 vcc_lo, exec_lo, s14
	s_mov_b32 s0, 0
	s_cbranch_vccnz .LBB307_37
; %bb.34:                               ;   in Loop: Header=BB307_29 Depth=1
	v_mov_b64_e32 v[12:13], v[6:7]
	s_mov_b32 s21, 0
.LBB307_35:                             ;   Parent Loop BB307_29 Depth=1
                                        ; =>  This Inner Loop Header: Depth=2
	s_clause 0x3
	flat_load_b128 v[14:17], v[12:13] offset:-56
	flat_load_b128 v[18:21], v[12:13] offset:-40
	;; [unrolled: 1-line block ×4, first 2 shown]
	v_mov_b32_e32 v1, s0
	s_wait_xcnt 0x0
	v_add_nc_u64_e32 v[12:13], 64, v[12:13]
	s_add_co_i32 s21, s21, 8
	s_add_co_i32 s0, s0, 64
	ds_load_b128 v[30:33], v1
	ds_load_b128 v[34:37], v1 offset:16
	ds_load_b128 v[38:41], v1 offset:32
	;; [unrolled: 1-line block ×3, first 2 shown]
	s_cmp_eq_u32 s4, s21
	s_wait_dscnt 0x2
	v_dual_mov_b32 v2, v33 :: v_dual_mov_b32 v46, v37
	s_wait_dscnt 0x0
	v_dual_mov_b32 v48, v41 :: v_dual_mov_b32 v50, v45
	s_wait_loadcnt 0x3
	v_dual_mov_b32 v52, v17 :: v_dual_mov_b32 v53, v16
	s_wait_loadcnt 0x2
	v_mov_b32_e32 v58, v21
	v_pk_mul_f32 v[54:55], v[14:15], v[30:31] op_sel:[1,1] op_sel_hi:[0,1]
	v_pk_mul_f32 v[56:57], v[18:19], v[34:35] op_sel:[1,1] op_sel_hi:[0,1]
	s_wait_loadcnt 0x1
	v_dual_mov_b32 v59, v20 :: v_dual_mov_b32 v62, v25
	v_pk_mul_f32 v[52:53], v[52:53], v[2:3] op_sel_hi:[1,0]
	v_pk_fma_f32 v[64:65], v[14:15], v[30:31], v[54:55] op_sel_hi:[1,0,1]
	v_pk_fma_f32 v[14:15], v[14:15], v[30:31], v[54:55] neg_lo:[0,0,1] neg_hi:[0,0,1]
	v_mov_b32_e32 v63, v24
	v_pk_fma_f32 v[54:55], v[18:19], v[34:35], v[56:57] op_sel_hi:[1,0,1]
	v_pk_fma_f32 v[30:31], v[16:17], v[32:33], v[52:53] op_sel_hi:[1,0,1]
	v_mov_b32_e32 v15, v65
	v_pk_fma_f32 v[16:17], v[16:17], v[32:33], v[52:53] neg_lo:[0,0,1] neg_hi:[0,0,1]
	v_pk_mul_f32 v[46:47], v[58:59], v[46:47] op_sel_hi:[1,0]
	v_pk_fma_f32 v[18:19], v[18:19], v[34:35], v[56:57] neg_lo:[0,0,1] neg_hi:[0,0,1]
	v_mov_b32_e32 v17, v31
	v_pk_add_f32 v[10:11], v[10:11], v[14:15]
	v_pk_mul_f32 v[60:61], v[22:23], v[38:39] op_sel:[1,1] op_sel_hi:[0,1]
	s_wait_loadcnt 0x0
	v_mov_b32_e32 v14, v29
	v_pk_fma_f32 v[30:31], v[20:21], v[36:37], v[46:47] op_sel_hi:[1,0,1]
	v_mov_b32_e32 v19, v55
	v_pk_add_f32 v[10:11], v[10:11], v[16:17]
	v_pk_fma_f32 v[20:21], v[20:21], v[36:37], v[46:47] neg_lo:[0,0,1] neg_hi:[0,0,1]
	v_pk_fma_f32 v[16:17], v[22:23], v[38:39], v[60:61] op_sel_hi:[1,0,1]
	v_pk_mul_f32 v[32:33], v[62:63], v[48:49] op_sel_hi:[1,0]
	v_mov_b32_e32 v21, v31
	v_pk_add_f32 v[10:11], v[10:11], v[18:19]
	v_pk_fma_f32 v[18:19], v[22:23], v[38:39], v[60:61] neg_lo:[0,0,1] neg_hi:[0,0,1]
	v_pk_mul_f32 v[66:67], v[26:27], v[42:43] op_sel:[1,1] op_sel_hi:[0,1]
	v_dual_mov_b32 v15, v28 :: v_dual_mov_b32 v19, v17
	v_pk_fma_f32 v[16:17], v[24:25], v[40:41], v[32:33] op_sel_hi:[1,0,1]
	v_pk_add_f32 v[10:11], v[10:11], v[20:21]
	v_pk_fma_f32 v[22:23], v[24:25], v[40:41], v[32:33] neg_lo:[0,0,1] neg_hi:[0,0,1]
	v_pk_fma_f32 v[20:21], v[26:27], v[42:43], v[66:67] op_sel_hi:[1,0,1]
	v_pk_mul_f32 v[14:15], v[14:15], v[50:51] op_sel_hi:[1,0]
	v_mov_b32_e32 v23, v17
	v_pk_add_f32 v[10:11], v[10:11], v[18:19]
	v_pk_fma_f32 v[16:17], v[26:27], v[42:43], v[66:67] neg_lo:[0,0,1] neg_hi:[0,0,1]
	v_mov_b32_e32 v17, v21
	v_pk_fma_f32 v[18:19], v[28:29], v[44:45], v[14:15] op_sel_hi:[1,0,1]
	v_pk_fma_f32 v[14:15], v[28:29], v[44:45], v[14:15] neg_lo:[0,0,1] neg_hi:[0,0,1]
	v_pk_add_f32 v[10:11], v[10:11], v[22:23]
	s_delay_alu instid0(VALU_DEP_3) | instskip(NEXT) | instid1(VALU_DEP_2)
	v_mov_b32_e32 v15, v19
	v_pk_add_f32 v[10:11], v[10:11], v[16:17]
	s_delay_alu instid0(VALU_DEP_1)
	v_pk_add_f32 v[10:11], v[10:11], v[14:15]
	s_cbranch_scc0 .LBB307_35
; %bb.36:                               ;   in Loop: Header=BB307_29 Depth=1
	s_mov_b32 s0, s4
.LBB307_37:                             ;   in Loop: Header=BB307_29 Depth=1
	s_and_not1_b32 vcc_lo, exec_lo, s15
	s_cbranch_vccnz .LBB307_27
; %bb.38:                               ;   in Loop: Header=BB307_29 Depth=1
	v_lshl_add_u64 v[12:13], s[0:1], 3, v[4:5]
	s_lshl_b32 s0, s0, 3
	s_mov_b32 s21, s18
.LBB307_39:                             ;   Parent Loop BB307_29 Depth=1
                                        ; =>  This Inner Loop Header: Depth=2
	flat_load_b64 v[14:15], v[12:13]
	v_mov_b32_e32 v1, s0
	s_wait_xcnt 0x0
	v_add_nc_u64_e32 v[12:13], 8, v[12:13]
	s_add_co_i32 s21, s21, -1
	s_add_co_i32 s0, s0, 8
	s_cmp_lg_u32 s21, 0
	ds_load_b64 v[16:17], v1
	s_wait_loadcnt_dscnt 0x0
	v_pk_mul_f32 v[18:19], v[14:15], v[16:17] op_sel:[1,1] op_sel_hi:[0,1]
	s_delay_alu instid0(VALU_DEP_1) | instskip(SKIP_1) | instid1(VALU_DEP_2)
	v_pk_fma_f32 v[20:21], v[14:15], v[16:17], v[18:19] op_sel_hi:[1,0,1]
	v_pk_fma_f32 v[14:15], v[14:15], v[16:17], v[18:19] neg_lo:[0,0,1] neg_hi:[0,0,1]
	v_mov_b32_e32 v15, v21
	s_delay_alu instid0(VALU_DEP_1)
	v_pk_add_f32 v[10:11], v[10:11], v[14:15]
	s_cbranch_scc1 .LBB307_39
	s_branch .LBB307_27
.LBB307_40:
	s_sendmsg sendmsg(MSG_DEALLOC_VGPRS)
	s_endpgm
	.section	.rodata,"a",@progbits
	.p2align	6, 0x0
	.amdhsa_kernel _ZL22rocblas_gemvtsm_kernelILb0ELi256EPK19rocblas_complex_numIfES1_KPS1_EviiT2_lPKT1_lilS9_lilS6_lPT3_lil
		.amdhsa_group_segment_fixed_size 512
		.amdhsa_private_segment_fixed_size 0
		.amdhsa_kernarg_size 136
		.amdhsa_user_sgpr_count 2
		.amdhsa_user_sgpr_dispatch_ptr 0
		.amdhsa_user_sgpr_queue_ptr 0
		.amdhsa_user_sgpr_kernarg_segment_ptr 1
		.amdhsa_user_sgpr_dispatch_id 0
		.amdhsa_user_sgpr_kernarg_preload_length 0
		.amdhsa_user_sgpr_kernarg_preload_offset 0
		.amdhsa_user_sgpr_private_segment_size 0
		.amdhsa_wavefront_size32 1
		.amdhsa_uses_dynamic_stack 0
		.amdhsa_enable_private_segment 0
		.amdhsa_system_sgpr_workgroup_id_x 1
		.amdhsa_system_sgpr_workgroup_id_y 0
		.amdhsa_system_sgpr_workgroup_id_z 0
		.amdhsa_system_sgpr_workgroup_info 0
		.amdhsa_system_vgpr_workitem_id 0
		.amdhsa_next_free_vgpr 68
		.amdhsa_next_free_sgpr 24
		.amdhsa_named_barrier_count 0
		.amdhsa_reserve_vcc 1
		.amdhsa_float_round_mode_32 0
		.amdhsa_float_round_mode_16_64 0
		.amdhsa_float_denorm_mode_32 3
		.amdhsa_float_denorm_mode_16_64 3
		.amdhsa_fp16_overflow 0
		.amdhsa_memory_ordered 1
		.amdhsa_forward_progress 1
		.amdhsa_inst_pref_size 15
		.amdhsa_round_robin_scheduling 0
		.amdhsa_exception_fp_ieee_invalid_op 0
		.amdhsa_exception_fp_denorm_src 0
		.amdhsa_exception_fp_ieee_div_zero 0
		.amdhsa_exception_fp_ieee_overflow 0
		.amdhsa_exception_fp_ieee_underflow 0
		.amdhsa_exception_fp_ieee_inexact 0
		.amdhsa_exception_int_div_zero 0
	.end_amdhsa_kernel
	.section	.text._ZL22rocblas_gemvtsm_kernelILb0ELi256EPK19rocblas_complex_numIfES1_KPS1_EviiT2_lPKT1_lilS9_lilS6_lPT3_lil,"axG",@progbits,_ZL22rocblas_gemvtsm_kernelILb0ELi256EPK19rocblas_complex_numIfES1_KPS1_EviiT2_lPKT1_lilS9_lilS6_lPT3_lil,comdat
.Lfunc_end307:
	.size	_ZL22rocblas_gemvtsm_kernelILb0ELi256EPK19rocblas_complex_numIfES1_KPS1_EviiT2_lPKT1_lilS9_lilS6_lPT3_lil, .Lfunc_end307-_ZL22rocblas_gemvtsm_kernelILb0ELi256EPK19rocblas_complex_numIfES1_KPS1_EviiT2_lPKT1_lilS9_lilS6_lPT3_lil
                                        ; -- End function
	.set _ZL22rocblas_gemvtsm_kernelILb0ELi256EPK19rocblas_complex_numIfES1_KPS1_EviiT2_lPKT1_lilS9_lilS6_lPT3_lil.num_vgpr, 68
	.set _ZL22rocblas_gemvtsm_kernelILb0ELi256EPK19rocblas_complex_numIfES1_KPS1_EviiT2_lPKT1_lilS9_lilS6_lPT3_lil.num_agpr, 0
	.set _ZL22rocblas_gemvtsm_kernelILb0ELi256EPK19rocblas_complex_numIfES1_KPS1_EviiT2_lPKT1_lilS9_lilS6_lPT3_lil.numbered_sgpr, 24
	.set _ZL22rocblas_gemvtsm_kernelILb0ELi256EPK19rocblas_complex_numIfES1_KPS1_EviiT2_lPKT1_lilS9_lilS6_lPT3_lil.num_named_barrier, 0
	.set _ZL22rocblas_gemvtsm_kernelILb0ELi256EPK19rocblas_complex_numIfES1_KPS1_EviiT2_lPKT1_lilS9_lilS6_lPT3_lil.private_seg_size, 0
	.set _ZL22rocblas_gemvtsm_kernelILb0ELi256EPK19rocblas_complex_numIfES1_KPS1_EviiT2_lPKT1_lilS9_lilS6_lPT3_lil.uses_vcc, 1
	.set _ZL22rocblas_gemvtsm_kernelILb0ELi256EPK19rocblas_complex_numIfES1_KPS1_EviiT2_lPKT1_lilS9_lilS6_lPT3_lil.uses_flat_scratch, 1
	.set _ZL22rocblas_gemvtsm_kernelILb0ELi256EPK19rocblas_complex_numIfES1_KPS1_EviiT2_lPKT1_lilS9_lilS6_lPT3_lil.has_dyn_sized_stack, 0
	.set _ZL22rocblas_gemvtsm_kernelILb0ELi256EPK19rocblas_complex_numIfES1_KPS1_EviiT2_lPKT1_lilS9_lilS6_lPT3_lil.has_recursion, 0
	.set _ZL22rocblas_gemvtsm_kernelILb0ELi256EPK19rocblas_complex_numIfES1_KPS1_EviiT2_lPKT1_lilS9_lilS6_lPT3_lil.has_indirect_call, 0
	.section	.AMDGPU.csdata,"",@progbits
; Kernel info:
; codeLenInByte = 1860
; TotalNumSgprs: 26
; NumVgprs: 68
; ScratchSize: 0
; MemoryBound: 0
; FloatMode: 240
; IeeeMode: 1
; LDSByteSize: 512 bytes/workgroup (compile time only)
; SGPRBlocks: 0
; VGPRBlocks: 4
; NumSGPRsForWavesPerEU: 26
; NumVGPRsForWavesPerEU: 68
; NamedBarCnt: 0
; Occupancy: 12
; WaveLimiterHint : 1
; COMPUTE_PGM_RSRC2:SCRATCH_EN: 0
; COMPUTE_PGM_RSRC2:USER_SGPR: 2
; COMPUTE_PGM_RSRC2:TRAP_HANDLER: 0
; COMPUTE_PGM_RSRC2:TGID_X_EN: 1
; COMPUTE_PGM_RSRC2:TGID_Y_EN: 0
; COMPUTE_PGM_RSRC2:TGID_Z_EN: 0
; COMPUTE_PGM_RSRC2:TIDIG_COMP_CNT: 0
	.section	.text._ZL23rocblas_gemvt_sn_kernelILb0ELi256ELi4EiPK19rocblas_complex_numIfES3_S1_EviiT4_lPKT3_lilS7_lilPT5_i,"axG",@progbits,_ZL23rocblas_gemvt_sn_kernelILb0ELi256ELi4EiPK19rocblas_complex_numIfES3_S1_EviiT4_lPKT3_lilS7_lilPT5_i,comdat
	.globl	_ZL23rocblas_gemvt_sn_kernelILb0ELi256ELi4EiPK19rocblas_complex_numIfES3_S1_EviiT4_lPKT3_lilS7_lilPT5_i ; -- Begin function _ZL23rocblas_gemvt_sn_kernelILb0ELi256ELi4EiPK19rocblas_complex_numIfES3_S1_EviiT4_lPKT3_lilS7_lilPT5_i
	.p2align	8
	.type	_ZL23rocblas_gemvt_sn_kernelILb0ELi256ELi4EiPK19rocblas_complex_numIfES3_S1_EviiT4_lPKT3_lilS7_lilPT5_i,@function
_ZL23rocblas_gemvt_sn_kernelILb0ELi256ELi4EiPK19rocblas_complex_numIfES3_S1_EviiT4_lPKT3_lilS7_lilPT5_i: ; @_ZL23rocblas_gemvt_sn_kernelILb0ELi256ELi4EiPK19rocblas_complex_numIfES3_S1_EviiT4_lPKT3_lilS7_lilPT5_i
; %bb.0:
	s_load_b32 s33, s[2:3], 0x60
	s_bfe_u32 s4, ttmp6, 0x40014
	s_lshr_b32 s5, ttmp7, 16
	s_add_co_i32 s4, s4, 1
	s_bfe_u32 s7, ttmp6, 0x40008
	s_mul_i32 s6, s5, s4
	s_getreg_b32 s4, hwreg(HW_REG_IB_STS2, 6, 4)
	s_add_co_i32 s7, s7, s6
	s_cmp_eq_u32 s4, 0
	s_mov_b32 s25, 0
	s_cselect_b32 s10, s5, s7
	s_wait_kmcnt 0x0
	s_cmp_ge_u32 s10, s33
	s_cbranch_scc1 .LBB308_88
; %bb.1:
	s_load_b64 s[6:7], s[0:1], 0x4
	s_clause 0x5
	s_load_b64 s[26:27], s[2:3], 0x0
	s_load_b256 s[12:19], s[2:3], 0x8
	s_load_b32 s52, s[2:3], 0x28
	s_load_b128 s[20:23], s[2:3], 0x38
	s_load_b32 s53, s[2:3], 0x48
	s_load_b64 s[28:29], s[2:3], 0x58
	v_and_b32_e32 v1, 0x3ff, v0
	s_load_b32 s30, s[2:3], 0x68
	v_bfe_u32 v2, v0, 10, 10
	v_bfe_u32 v3, v0, 20, 10
	v_mbcnt_lo_u32_b32 v45, -1, 0
	s_wait_xcnt 0x0
	v_cmp_eq_u32_e64 s0, 0, v1
	v_mov_b64_e32 v[12:13], 0
	s_mov_b32 s35, s25
	v_mov_b32_e32 v46, 0
	v_lshl_or_b32 v47, v45, 2, 64
	s_mov_b32 s31, s25
	s_wait_kmcnt 0x0
	s_lshr_b32 s1, s6, 16
	s_ashr_i32 s9, s27, 31
	s_cmp_gt_i32 s27, 0
	s_mul_i32 s1, s1, s7
	s_cselect_b32 s2, -1, 0
	s_bfe_u32 s3, ttmp6, 0x4000c
	v_mul_lo_u32 v4, s1, v1
	s_add_co_i32 s3, s3, 1
	s_and_b32 s5, ttmp6, 15
	s_mul_i32 s1, ttmp9, s3
	s_and_b32 s54, s0, s2
	s_add_co_i32 s5, s5, s1
	s_cmp_eq_u32 s4, 0
	v_mul_u32_u24_e32 v2, s7, v2
	s_cselect_b32 s34, ttmp9, s5
	s_ashr_i32 s2, s26, 31
	s_lshl_b32 s3, s34, 10
	s_lshr_b32 s2, s2, 30
	v_add3_u32 v3, v4, v2, v3
	v_lshl_or_b32 v2, v1, 2, s3
	s_add_co_i32 s2, s26, s2
	s_lshr_b32 s1, s9, 30
	s_and_b32 s2, s2, -4
	v_lshl_add_u32 v42, v3, 5, 0x100
	v_mul_lo_u32 v4, s53, v2
	v_dual_ashrrev_i32 v3, 31, v2 :: v_dual_add_nc_u32 v5, 4, v2
	s_add_co_i32 s1, s27, s1
	s_sub_co_i32 s56, s26, s2
	s_and_b32 s55, s1, -4
	v_add_nc_u32_e32 v6, s56, v2
	v_cmp_ge_i32_e64 s1, s26, v5
	v_and_b32_e32 v5, 31, v0
	s_cmp_gt_i32 s55, 0
	v_cmp_gt_u32_e64 s3, 32, v1
	v_cmp_ge_i32_e64 s2, s26, v6
	s_delay_alu instid0(VALU_DEP_3) | instskip(SKIP_3) | instid1(VALU_DEP_2)
	v_dual_lshrrev_b32 v6, 2, v0 :: v_dual_lshlrev_b32 v43, 3, v5
	v_add_nc_u32_e32 v0, s53, v4
	s_cselect_b32 s57, -1, 0
	s_cmp_gt_i32 s56, 0
	v_and_b32_e32 v44, 56, v6
	s_cselect_b32 s26, -1, 0
	v_add_nc_u32_e32 v6, s53, v0
	s_and_b32 s58, s26, s2
	s_cmp_gt_u32 s27, 1
	v_cmp_eq_u32_e64 s4, 0, v5
	s_cselect_b32 s6, -1, 0
	s_cmp_eq_u32 s30, 1
	v_cmp_gt_u32_e64 s5, 8, v1
	v_ashrrev_i32_e32 v1, 31, v0
	v_dual_ashrrev_i32 v5, 31, v4 :: v_dual_add_nc_u32 v8, s53, v6
	s_cselect_b32 s7, -1, 0
	s_and_b32 s59, s27, 0x7ffffffe
	s_and_b32 s60, s6, s7
	v_lshlrev_b64_e32 v[10:11], 3, v[2:3]
	s_cmp_lg_u32 s27, s59
	v_dual_ashrrev_i32 v7, 31, v6 :: v_dual_ashrrev_i32 v9, 31, v8
	s_mov_b32 s8, s27
	s_cselect_b32 s61, -1, 0
	s_lshl_b64 s[38:39], s[34:35], 3
	s_mul_u64 s[36:37], s[8:9], s[30:31]
	s_add_nc_u64 s[40:41], s[28:29], s[38:39]
	s_lshl_b64 s[42:43], s[8:9], 3
	s_lshl_b64 s[44:45], s[30:31], 3
	s_lshl_b32 s35, s52, 2
	s_lshl_b32 s62, s52, 1
	s_mul_i32 s63, s52, 3
	s_lshl_b64 s[18:19], s[18:19], 3
	s_lshl_b64 s[22:23], s[22:23], 3
	s_branch .LBB308_3
.LBB308_2:                              ;   in Loop: Header=BB308_3 Depth=1
	s_add_co_i32 s10, s10, 0x10000
	s_delay_alu instid0(SALU_CYCLE_1)
	s_cmp_lt_u32 s10, s33
	s_cbranch_scc0 .LBB308_88
.LBB308_3:                              ; =>This Loop Header: Depth=1
                                        ;     Child Loop BB308_11 Depth 2
                                        ;     Child Loop BB308_15 Depth 2
	;; [unrolled: 1-line block ×3, first 2 shown]
                                        ;       Child Loop BB308_51 Depth 3
                                        ;       Child Loop BB308_53 Depth 3
                                        ;     Child Loop BB308_69 Depth 2
                                        ;       Child Loop BB308_81 Depth 3
                                        ;       Child Loop BB308_83 Depth 3
	s_mov_b32 s11, s25
	v_mov_b64_e32 v[28:29], 0
	s_mul_u64 s[6:7], s[14:15], s[10:11]
	s_delay_alu instid0(SALU_CYCLE_1) | instskip(NEXT) | instid1(SALU_CYCLE_1)
	s_lshl_b64 s[6:7], s[6:7], 3
	s_add_nc_u64 s[6:7], s[12:13], s[6:7]
	global_load_b64 v[14:15], v46, s[6:7]
	s_wait_loadcnt 0x0
	v_or_b32_e32 v16, v14, v15
	s_delay_alu instid0(VALU_DEP_1) | instskip(SKIP_1) | instid1(VALU_DEP_1)
	v_and_b32_e32 v16, 0x7fffffff, v16
	s_wait_xcnt 0x0
	v_cmp_eq_u32_e64 s6, 0, v16
	v_cmp_ne_u32_e64 s7, 0, v16
	s_and_b32 vcc_lo, exec_lo, s6
	s_cbranch_vccnz .LBB308_5
; %bb.4:                                ;   in Loop: Header=BB308_3 Depth=1
	s_lshl_b64 s[8:9], s[10:11], 3
	s_delay_alu instid0(SALU_CYCLE_1)
	s_add_nc_u64 s[8:9], s[16:17], s[8:9]
	global_load_b64 v[16:17], v46, s[8:9]
	s_wait_loadcnt 0x0
	v_add_nc_u64_e32 v[28:29], s[18:19], v[16:17]
.LBB308_5:                              ;   in Loop: Header=BB308_3 Depth=1
	v_mov_b64_e32 v[16:17], 0
	s_and_not1_b32 vcc_lo, exec_lo, s7
	s_cbranch_vccnz .LBB308_7
; %bb.6:                                ;   in Loop: Header=BB308_3 Depth=1
	s_wait_xcnt 0x0
	s_lshl_b64 s[8:9], s[10:11], 3
	s_delay_alu instid0(SALU_CYCLE_1)
	s_add_nc_u64 s[8:9], s[20:21], s[8:9]
	global_load_b64 v[16:17], v46, s[8:9]
	s_wait_loadcnt 0x0
	v_add_nc_u64_e32 v[16:17], s[22:23], v[16:17]
.LBB308_7:                              ;   in Loop: Header=BB308_3 Depth=1
	s_wait_xcnt 0x0
	s_mul_u64 s[8:9], s[36:37], s[10:11]
	s_and_not1_b32 vcc_lo, exec_lo, s6
	s_lshl_b64 s[8:9], s[8:9], 3
	s_mov_b32 s6, -1
	s_add_nc_u64 s[46:47], s[28:29], s[8:9]
	s_cbranch_vccnz .LBB308_17
; %bb.8:                                ;   in Loop: Header=BB308_3 Depth=1
	s_and_saveexec_b32 s50, s54
	s_cbranch_execz .LBB308_16
; %bb.9:                                ;   in Loop: Header=BB308_3 Depth=1
	s_and_not1_b32 vcc_lo, exec_lo, s60
	s_cbranch_vccnz .LBB308_13
; %bb.10:                               ;   in Loop: Header=BB308_3 Depth=1
	s_add_nc_u64 s[6:7], s[46:47], s[38:39]
	s_mov_b32 s8, 1
	s_mov_b32 s24, 0
	;; [unrolled: 1-line block ×3, first 2 shown]
.LBB308_11:                             ;   Parent Loop BB308_3 Depth=1
                                        ; =>  This Inner Loop Header: Depth=2
	s_mov_b32 s9, s25
	s_wait_xcnt 0x1
	s_lshl_b64 s[64:65], s[24:25], 3
	s_add_co_i32 s49, s49, -2
	s_add_co_i32 s24, s24, 2
	s_wait_xcnt 0x0
	s_lshl_b64 s[66:67], s[8:9], 3
	s_add_co_i32 s8, s8, 2
	s_mov_b32 s48, s59
	s_mov_b32 s51, s61
	s_add_nc_u64 s[64:65], s[6:7], s[64:65]
	s_cmp_lg_u32 s49, 0
	s_add_nc_u64 s[66:67], s[6:7], s[66:67]
	s_clause 0x1
	global_store_b64 v46, v[12:13], s[64:65]
	global_store_b64 v46, v[12:13], s[66:67]
	s_cbranch_scc1 .LBB308_11
; %bb.12:                               ;   in Loop: Header=BB308_3 Depth=1
	s_and_b32 vcc_lo, exec_lo, s51
	s_cbranch_vccnz .LBB308_14
	s_branch .LBB308_16
.LBB308_13:                             ;   in Loop: Header=BB308_3 Depth=1
	s_mov_b32 s48, 0
	s_cbranch_execz .LBB308_16
.LBB308_14:                             ;   in Loop: Header=BB308_3 Depth=1
	s_mov_b32 s49, s25
	s_mul_u64 s[6:7], s[42:43], s[10:11]
	s_lshl_b64 s[8:9], s[48:49], 3
	s_delay_alu instid0(SALU_CYCLE_1) | instskip(SKIP_2) | instid1(SALU_CYCLE_1)
	s_add_nc_u64 s[6:7], s[6:7], s[8:9]
	s_sub_co_i32 s8, s27, s48
	s_mul_u64 s[6:7], s[30:31], s[6:7]
	s_add_nc_u64 s[6:7], s[40:41], s[6:7]
.LBB308_15:                             ;   Parent Loop BB308_3 Depth=1
                                        ; =>  This Inner Loop Header: Depth=2
	s_add_co_i32 s8, s8, -1
	global_store_b64 v46, v[12:13], s[6:7]
	s_cmp_eq_u32 s8, 0
	s_wait_xcnt 0x0
	s_add_nc_u64 s[6:7], s[6:7], s[44:45]
	s_cbranch_scc0 .LBB308_15
.LBB308_16:                             ;   in Loop: Header=BB308_3 Depth=1
	s_wait_xcnt 0x0
	s_or_b32 exec_lo, exec_lo, s50
	s_mov_b32 s6, 0
.LBB308_17:                             ;   in Loop: Header=BB308_3 Depth=1
	s_delay_alu instid0(SALU_CYCLE_1)
	s_and_not1_b32 vcc_lo, exec_lo, s6
	s_cbranch_vccnz .LBB308_2
; %bb.18:                               ;   in Loop: Header=BB308_3 Depth=1
	v_lshl_add_u64 v[18:19], v[2:3], 3, v[28:29]
	v_add_nc_u64_e32 v[28:29], v[28:29], v[10:11]
	v_lshl_add_u64 v[20:21], v[4:5], 3, v[16:17]
	v_lshl_add_u64 v[22:23], v[0:1], 3, v[16:17]
	;; [unrolled: 1-line block ×4, first 2 shown]
	v_cmp_gt_u32_e64 s9, 24, v45
	v_cmp_gt_u32_e64 s8, 28, v45
	;; [unrolled: 1-line block ×3, first 2 shown]
	v_cmp_ne_u32_e64 s6, 31, v45
	s_and_not1_b32 vcc_lo, exec_lo, s57
	s_cbranch_vccnz .LBB308_65
; %bb.19:                               ;   in Loop: Header=BB308_3 Depth=1
	v_cndmask_b32_e64 v30, 0, 8, s9
	v_cndmask_b32_e64 v31, 0, 4, s8
	s_wait_dscnt 0x0
	v_cndmask_b32_e64 v32, 0, 2, s7
	v_add_co_ci_u32_e64 v33, null, 0, v45, s6
	v_add_lshl_u32 v48, v30, v45, 2
	v_add_lshl_u32 v49, v31, v45, 2
	s_delay_alu instid0(VALU_DEP_4) | instskip(NEXT) | instid1(VALU_DEP_4)
	v_add_lshl_u32 v50, v32, v45, 2
	v_dual_mov_b32 v30, v15 :: v_dual_lshlrev_b32 v51, 2, v33
	v_mov_b32_e32 v31, v14
	s_mov_b32 s6, 0
	s_mov_b32 s11, s63
	;; [unrolled: 1-line block ×5, first 2 shown]
	s_branch .LBB308_21
.LBB308_20:                             ;   in Loop: Header=BB308_21 Depth=2
	s_wait_xcnt 0x0
	s_or_b32 exec_lo, exec_lo, s7
	s_add_co_i32 s24, s24, 4
	s_add_co_i32 s65, s65, s35
	s_add_co_i32 s64, s64, s35
	s_add_co_i32 s11, s11, s35
	s_add_co_i32 s6, s6, s35
	s_cmp_ge_i32 s24, s55
	s_cbranch_scc1 .LBB308_66
.LBB308_21:                             ;   Parent Loop BB308_3 Depth=1
                                        ; =>  This Loop Header: Depth=2
                                        ;       Child Loop BB308_51 Depth 3
                                        ;       Child Loop BB308_53 Depth 3
                                        ; implicit-def: $vgpr39
                                        ; implicit-def: $vgpr37
                                        ; implicit-def: $vgpr35
                                        ; implicit-def: $vgpr33
	s_and_saveexec_b32 s7, s1
	s_delay_alu instid0(SALU_CYCLE_1)
	s_xor_b32 s7, exec_lo, s7
	s_cbranch_execnz .LBB308_48
; %bb.22:                               ;   in Loop: Header=BB308_21 Depth=2
	s_and_not1_saveexec_b32 s66, s7
	s_cbranch_execnz .LBB308_49
.LBB308_23:                             ;   in Loop: Header=BB308_21 Depth=2
	s_or_b32 exec_lo, exec_lo, s66
	s_and_saveexec_b32 s7, s3
.LBB308_24:                             ;   in Loop: Header=BB308_21 Depth=2
	ds_store_b64 v43, v[12:13]
.LBB308_25:                             ;   in Loop: Header=BB308_21 Depth=2
	s_or_b32 exec_lo, exec_lo, s7
	ds_bpermute_b32 v40, v47, v38
	ds_bpermute_b32 v41, v47, v39
	s_wait_storecnt_dscnt 0x0
	s_barrier_signal -1
	s_barrier_wait -1
	v_pk_add_f32 v[38:39], v[38:39], v[40:41]
	ds_bpermute_b32 v40, v48, v38
	ds_bpermute_b32 v41, v48, v39
	s_wait_dscnt 0x0
	v_pk_add_f32 v[38:39], v[38:39], v[40:41]
	ds_bpermute_b32 v40, v49, v38
	ds_bpermute_b32 v41, v49, v39
	s_wait_dscnt 0x0
	;; [unrolled: 4-line block ×3, first 2 shown]
	v_pk_add_f32 v[38:39], v[38:39], v[40:41]
	ds_bpermute_b32 v40, v51, v38
	ds_bpermute_b32 v41, v51, v39
	s_and_saveexec_b32 s7, s4
	s_cbranch_execz .LBB308_27
; %bb.26:                               ;   in Loop: Header=BB308_21 Depth=2
	s_wait_dscnt 0x0
	v_pk_add_f32 v[38:39], v[38:39], v[40:41]
	ds_store_b64 v44, v[38:39]
.LBB308_27:                             ;   in Loop: Header=BB308_21 Depth=2
	s_or_b32 exec_lo, exec_lo, s7
	v_mov_b64_e32 v[38:39], 0
	s_wait_dscnt 0x0
	s_barrier_signal -1
	s_barrier_wait -1
	s_and_saveexec_b32 s7, s5
	s_cbranch_execnz .LBB308_54
; %bb.28:                               ;   in Loop: Header=BB308_21 Depth=2
	s_or_b32 exec_lo, exec_lo, s7
	s_and_saveexec_b32 s7, s3
	s_cbranch_execnz .LBB308_55
.LBB308_29:                             ;   in Loop: Header=BB308_21 Depth=2
	s_or_b32 exec_lo, exec_lo, s7
	s_and_saveexec_b32 s7, s3
.LBB308_30:                             ;   in Loop: Header=BB308_21 Depth=2
	ds_store_b64 v43, v[12:13]
.LBB308_31:                             ;   in Loop: Header=BB308_21 Depth=2
	s_or_b32 exec_lo, exec_lo, s7
	ds_bpermute_b32 v40, v47, v36
	ds_bpermute_b32 v41, v47, v37
	s_wait_dscnt 0x0
	s_barrier_signal -1
	s_barrier_wait -1
	v_pk_add_f32 v[36:37], v[36:37], v[40:41]
	ds_bpermute_b32 v40, v48, v36
	ds_bpermute_b32 v41, v48, v37
	s_wait_dscnt 0x0
	v_pk_add_f32 v[36:37], v[36:37], v[40:41]
	ds_bpermute_b32 v40, v49, v36
	ds_bpermute_b32 v41, v49, v37
	s_wait_dscnt 0x0
	;; [unrolled: 4-line block ×3, first 2 shown]
	v_pk_add_f32 v[36:37], v[36:37], v[40:41]
	ds_bpermute_b32 v40, v51, v36
	ds_bpermute_b32 v41, v51, v37
	s_and_saveexec_b32 s7, s4
	s_cbranch_execz .LBB308_33
; %bb.32:                               ;   in Loop: Header=BB308_21 Depth=2
	s_wait_dscnt 0x0
	v_pk_add_f32 v[36:37], v[36:37], v[40:41]
	ds_store_b64 v44, v[36:37]
.LBB308_33:                             ;   in Loop: Header=BB308_21 Depth=2
	s_or_b32 exec_lo, exec_lo, s7
	v_mov_b64_e32 v[36:37], 0
	s_wait_dscnt 0x0
	s_barrier_signal -1
	s_barrier_wait -1
	s_and_saveexec_b32 s7, s5
	s_cbranch_execnz .LBB308_56
; %bb.34:                               ;   in Loop: Header=BB308_21 Depth=2
	s_or_b32 exec_lo, exec_lo, s7
	s_and_saveexec_b32 s7, s3
	s_cbranch_execnz .LBB308_57
.LBB308_35:                             ;   in Loop: Header=BB308_21 Depth=2
	s_or_b32 exec_lo, exec_lo, s7
	s_and_saveexec_b32 s7, s3
.LBB308_36:                             ;   in Loop: Header=BB308_21 Depth=2
	ds_store_b64 v43, v[12:13]
.LBB308_37:                             ;   in Loop: Header=BB308_21 Depth=2
	s_or_b32 exec_lo, exec_lo, s7
	ds_bpermute_b32 v40, v47, v34
	ds_bpermute_b32 v41, v47, v35
	s_wait_dscnt 0x0
	s_barrier_signal -1
	s_barrier_wait -1
	v_pk_add_f32 v[34:35], v[34:35], v[40:41]
	ds_bpermute_b32 v40, v48, v34
	ds_bpermute_b32 v41, v48, v35
	s_wait_dscnt 0x0
	v_pk_add_f32 v[34:35], v[34:35], v[40:41]
	ds_bpermute_b32 v40, v49, v34
	ds_bpermute_b32 v41, v49, v35
	s_wait_dscnt 0x0
	;; [unrolled: 4-line block ×3, first 2 shown]
	v_pk_add_f32 v[34:35], v[34:35], v[40:41]
	ds_bpermute_b32 v40, v51, v34
	ds_bpermute_b32 v41, v51, v35
	s_and_saveexec_b32 s7, s4
	s_cbranch_execz .LBB308_39
; %bb.38:                               ;   in Loop: Header=BB308_21 Depth=2
	s_wait_dscnt 0x0
	v_pk_add_f32 v[34:35], v[34:35], v[40:41]
	ds_store_b64 v44, v[34:35]
.LBB308_39:                             ;   in Loop: Header=BB308_21 Depth=2
	s_or_b32 exec_lo, exec_lo, s7
	v_mov_b64_e32 v[34:35], 0
	s_wait_dscnt 0x0
	s_barrier_signal -1
	s_barrier_wait -1
	s_and_saveexec_b32 s7, s5
	s_cbranch_execnz .LBB308_58
; %bb.40:                               ;   in Loop: Header=BB308_21 Depth=2
	s_or_b32 exec_lo, exec_lo, s7
	s_and_saveexec_b32 s7, s3
	s_cbranch_execnz .LBB308_59
.LBB308_41:                             ;   in Loop: Header=BB308_21 Depth=2
	s_or_b32 exec_lo, exec_lo, s7
	s_and_saveexec_b32 s7, s3
.LBB308_42:                             ;   in Loop: Header=BB308_21 Depth=2
	ds_store_b64 v43, v[12:13]
.LBB308_43:                             ;   in Loop: Header=BB308_21 Depth=2
	s_or_b32 exec_lo, exec_lo, s7
	ds_bpermute_b32 v40, v47, v32
	ds_bpermute_b32 v41, v47, v33
	s_wait_dscnt 0x0
	s_barrier_signal -1
	s_barrier_wait -1
	v_pk_add_f32 v[32:33], v[32:33], v[40:41]
	ds_bpermute_b32 v40, v48, v32
	ds_bpermute_b32 v41, v48, v33
	s_wait_dscnt 0x0
	v_pk_add_f32 v[32:33], v[32:33], v[40:41]
	ds_bpermute_b32 v40, v49, v32
	ds_bpermute_b32 v41, v49, v33
	s_wait_dscnt 0x0
	;; [unrolled: 4-line block ×3, first 2 shown]
	v_pk_add_f32 v[32:33], v[32:33], v[40:41]
	ds_bpermute_b32 v40, v51, v32
	ds_bpermute_b32 v41, v51, v33
	s_and_saveexec_b32 s7, s4
	s_cbranch_execz .LBB308_45
; %bb.44:                               ;   in Loop: Header=BB308_21 Depth=2
	s_wait_dscnt 0x0
	v_pk_add_f32 v[32:33], v[32:33], v[40:41]
	ds_store_b64 v44, v[32:33]
.LBB308_45:                             ;   in Loop: Header=BB308_21 Depth=2
	s_or_b32 exec_lo, exec_lo, s7
	v_mov_b64_e32 v[32:33], 0
	s_wait_dscnt 0x0
	s_barrier_signal -1
	s_barrier_wait -1
	s_and_saveexec_b32 s7, s5
	s_cbranch_execnz .LBB308_60
; %bb.46:                               ;   in Loop: Header=BB308_21 Depth=2
	s_or_b32 exec_lo, exec_lo, s7
	s_and_saveexec_b32 s7, s3
	s_cbranch_execnz .LBB308_61
.LBB308_47:                             ;   in Loop: Header=BB308_21 Depth=2
	s_or_b32 exec_lo, exec_lo, s7
	s_and_saveexec_b32 s7, s0
	s_cbranch_execz .LBB308_20
	s_branch .LBB308_62
.LBB308_48:                             ;   in Loop: Header=BB308_21 Depth=2
	flat_load_b64 v[40:41], v[20:21]
	s_mul_i32 s8, s24, s52
	s_delay_alu instid0(SALU_CYCLE_1)
	s_add_co_i32 s48, s8, s52
	s_ashr_i32 s9, s8, 31
	s_add_co_i32 s50, s48, s52
	v_lshl_add_u64 v[60:61], s[8:9], 3, v[18:19]
	s_add_co_i32 s66, s50, s52
	s_ashr_i32 s49, s48, 31
	s_ashr_i32 s67, s66, 31
	;; [unrolled: 1-line block ×3, first 2 shown]
	v_lshl_add_u64 v[78:79], s[66:67], 3, v[18:19]
	v_lshl_add_u64 v[64:65], s[48:49], 3, v[18:19]
	;; [unrolled: 1-line block ×3, first 2 shown]
	s_wait_loadcnt_dscnt 0x0
	ds_store_b64 v42, v[40:41]
	flat_load_b64 v[76:77], v[22:23]
	s_wait_loadcnt_dscnt 0x0
	ds_store_b64 v42, v[76:77] offset:8
	flat_load_b64 v[32:33], v[24:25]
	s_wait_loadcnt_dscnt 0x0
	ds_store_b64 v42, v[32:33] offset:16
	;; [unrolled: 3-line block ×3, first 2 shown]
	s_clause 0x6
	flat_load_b128 v[32:35], v[60:61]
	flat_load_b128 v[36:39], v[78:79]
	flat_load_b128 v[52:55], v[64:65]
	flat_load_b128 v[56:59], v[68:69]
	flat_load_b128 v[60:63], v[60:61] offset:16
	flat_load_b128 v[64:67], v[64:65] offset:16
	flat_load_b128 v[68:71], v[68:69] offset:16
	ds_load_b128 v[72:75], v42 offset:16
	s_wait_dscnt 0x0
	v_dual_mov_b32 v80, v75 :: v_dual_mov_b32 v81, v74
	s_wait_loadcnt 0x4
	v_mul_f32_e32 v96, v41, v53
	s_wait_loadcnt 0x3
	v_mul_f32_e32 v98, v41, v57
	v_dual_mul_f32 v82, v41, v33 :: v_dual_mul_f32 v83, v40, v33
	v_pk_mul_f32 v[86:87], v[76:77], v[38:39] op_sel:[1,0]
	v_dual_mul_f32 v33, v41, v37 :: v_dual_mul_f32 v85, v40, v37
	v_pk_mul_f32 v[88:89], v[76:77], v[34:35] op_sel:[1,0]
	v_mul_f32_e32 v37, v40, v53
	s_delay_alu instid0(VALU_DEP_4)
	v_pk_fma_f32 v[90:91], v[76:77], v[38:39], v[86:87] op_sel:[0,0,1] op_sel_hi:[1,1,0] neg_lo:[0,0,1] neg_hi:[0,0,1]
	v_pk_fma_f32 v[38:39], v[76:77], v[38:39], v[86:87] op_sel:[0,0,1] op_sel_hi:[0,1,0]
	v_pk_mul_f32 v[86:87], v[76:77], v[54:55] op_sel:[1,0]
	v_dual_mul_f32 v53, v40, v57 :: v_dual_fma_f32 v84, v40, v36, -v33
	s_wait_loadcnt 0x1
	v_dual_fmac_f32 v85, v41, v36 :: v_dual_mov_b32 v38, v67
	v_pk_mul_f32 v[92:93], v[76:77], v[58:59] op_sel:[1,0]
	v_dual_fma_f32 v82, v40, v32, -v82 :: v_dual_fmac_f32 v83, v41, v32
	v_pk_fma_f32 v[94:95], v[76:77], v[34:35], v[88:89] op_sel:[0,0,1] op_sel_hi:[1,1,0] neg_lo:[0,0,1] neg_hi:[0,0,1]
	v_pk_fma_f32 v[88:89], v[76:77], v[34:35], v[88:89] op_sel:[0,0,1] op_sel_hi:[0,1,0]
	v_mov_b32_e32 v32, v63
	v_pk_mul_f32 v[34:35], v[72:73], v[60:61] op_sel:[1,1] op_sel_hi:[0,1]
	v_dual_fma_f32 v36, v40, v52, -v96 :: v_dual_fmac_f32 v37, v41, v52
	v_pk_fma_f32 v[96:97], v[76:77], v[54:55], v[86:87] op_sel:[0,0,1] op_sel_hi:[1,1,0] neg_lo:[0,0,1] neg_hi:[0,0,1]
	v_pk_fma_f32 v[54:55], v[76:77], v[54:55], v[86:87] op_sel:[0,0,1] op_sel_hi:[0,1,0]
	v_dual_fma_f32 v52, v40, v56, -v98 :: v_dual_fmac_f32 v53, v41, v56
	v_pk_mul_f32 v[86:87], v[72:73], v[64:65] op_sel:[1,1] op_sel_hi:[0,1]
	v_pk_fma_f32 v[40:41], v[76:77], v[58:59], v[92:93] op_sel:[0,0,1] op_sel_hi:[1,1,0] neg_lo:[0,0,1] neg_hi:[0,0,1]
	v_pk_fma_f32 v[56:57], v[76:77], v[58:59], v[92:93] op_sel:[0,0,1] op_sel_hi:[0,1,0]
	v_pk_mul_f32 v[32:33], v[80:81], v[32:33] op_sel_hi:[1,0]
	s_wait_loadcnt 0x0
	v_mov_b32_e32 v54, v71
	v_pk_fma_f32 v[58:59], v[72:73], v[60:61], v[34:35] neg_lo:[0,0,1] neg_hi:[0,0,1]
	s_wait_xcnt 0x2
	v_pk_fma_f32 v[60:61], v[72:73], v[60:61], v[34:35] op_sel_hi:[1,0,1]
	v_pk_mul_f32 v[34:35], v[80:81], v[38:39] op_sel_hi:[1,0]
	v_pk_fma_f32 v[76:77], v[74:75], v[62:63], v[32:33] neg_lo:[0,0,1] neg_hi:[0,0,1]
	v_pk_fma_f32 v[62:63], v[74:75], v[62:63], v[32:33] op_sel_hi:[1,0,1]
	v_pk_fma_f32 v[92:93], v[72:73], v[64:65], v[86:87] neg_lo:[0,0,1] neg_hi:[0,0,1]
	s_wait_xcnt 0x1
	v_pk_fma_f32 v[64:65], v[72:73], v[64:65], v[86:87] op_sel_hi:[1,0,1]
	v_pk_fma_f32 v[86:87], v[74:75], v[66:67], v[34:35] neg_lo:[0,0,1] neg_hi:[0,0,1]
	v_pk_fma_f32 v[66:67], v[74:75], v[66:67], v[34:35] op_sel_hi:[1,0,1]
	v_pk_mul_f32 v[32:33], v[72:73], v[68:69] op_sel:[1,1] op_sel_hi:[0,1]
	v_pk_mul_f32 v[34:35], v[80:81], v[54:55] op_sel_hi:[1,0]
	v_dual_mov_b32 v91, v39 :: v_dual_mov_b32 v95, v89
	v_mov_b32_e32 v59, v61
	s_delay_alu instid0(VALU_DEP_4)
	v_pk_fma_f32 v[98:99], v[72:73], v[68:69], v[32:33] neg_lo:[0,0,1] neg_hi:[0,0,1]
	s_wait_xcnt 0x0
	v_pk_fma_f32 v[68:69], v[72:73], v[68:69], v[32:33] op_sel_hi:[1,0,1]
	v_pk_fma_f32 v[100:101], v[74:75], v[70:71], v[34:35] neg_lo:[0,0,1] neg_hi:[0,0,1]
	v_pk_fma_f32 v[70:71], v[74:75], v[70:71], v[34:35] op_sel_hi:[1,0,1]
	flat_load_b128 v[32:35], v[78:79] offset:16
	v_dual_mov_b32 v97, v55 :: v_dual_mov_b32 v93, v65
	v_dual_mov_b32 v41, v57 :: v_dual_mov_b32 v99, v69
	v_pk_add_f32 v[54:55], v[82:83], 0 op_sel_hi:[1,0]
	v_pk_add_f32 v[36:37], v[36:37], 0 op_sel_hi:[1,0]
	;; [unrolled: 1-line block ×3, first 2 shown]
	v_dual_mov_b32 v77, v63 :: v_dual_mov_b32 v87, v67
	s_delay_alu instid0(VALU_DEP_4) | instskip(NEXT) | instid1(VALU_DEP_4)
	v_pk_add_f32 v[54:55], v[54:55], v[94:95]
	v_pk_add_f32 v[36:37], v[36:37], v[96:97]
	s_delay_alu instid0(VALU_DEP_4) | instskip(NEXT) | instid1(VALU_DEP_2)
	v_pk_add_f32 v[40:41], v[52:53], v[40:41]
	v_pk_add_f32 v[36:37], v[36:37], v[92:93]
	s_delay_alu instid0(VALU_DEP_2) | instskip(NEXT) | instid1(VALU_DEP_2)
	v_pk_add_f32 v[40:41], v[40:41], v[98:99]
	v_pk_add_f32 v[36:37], v[36:37], v[86:87]
	s_wait_loadcnt_dscnt 0x0
	v_mov_b32_e32 v38, v35
	s_wait_xcnt 0x0
	s_delay_alu instid0(VALU_DEP_1) | instskip(SKIP_1) | instid1(VALU_DEP_2)
	v_pk_mul_f32 v[78:79], v[80:81], v[38:39] op_sel_hi:[1,0]
	v_pk_mul_f32 v[38:39], v[72:73], v[32:33] op_sel:[1,1] op_sel_hi:[0,1]
	v_pk_fma_f32 v[56:57], v[74:75], v[34:35], v[78:79] neg_lo:[0,0,1] neg_hi:[0,0,1]
	s_delay_alu instid0(VALU_DEP_2) | instskip(SKIP_3) | instid1(VALU_DEP_4)
	v_pk_fma_f32 v[80:81], v[72:73], v[32:33], v[38:39] op_sel_hi:[1,0,1]
	v_pk_fma_f32 v[32:33], v[72:73], v[32:33], v[38:39] neg_lo:[0,0,1] neg_hi:[0,0,1]
	v_pk_add_f32 v[38:39], v[84:85], 0 op_sel_hi:[1,0]
	v_pk_fma_f32 v[34:35], v[74:75], v[34:35], v[78:79] op_sel_hi:[1,0,1]
	v_dual_mov_b32 v101, v71 :: v_dual_mov_b32 v33, v81
	s_delay_alu instid0(VALU_DEP_3) | instskip(NEXT) | instid1(VALU_DEP_3)
	v_pk_add_f32 v[38:39], v[38:39], v[90:91]
	v_mov_b32_e32 v57, v35
	v_pk_add_f32 v[34:35], v[54:55], v[58:59]
	s_delay_alu instid0(VALU_DEP_3) | instskip(NEXT) | instid1(VALU_DEP_2)
	v_pk_add_f32 v[32:33], v[38:39], v[32:33]
	v_pk_add_f32 v[38:39], v[34:35], v[76:77]
	;; [unrolled: 1-line block ×3, first 2 shown]
	s_delay_alu instid0(VALU_DEP_3)
	v_pk_add_f32 v[32:33], v[32:33], v[56:57]
	s_and_not1_saveexec_b32 s66, s7
	s_cbranch_execz .LBB308_23
.LBB308_49:                             ;   in Loop: Header=BB308_21 Depth=2
	v_dual_mov_b32 v39, 0 :: v_dual_mov_b32 v38, 0
	v_dual_mov_b32 v37, 0 :: v_dual_mov_b32 v36, 0
	;; [unrolled: 1-line block ×3, first 2 shown]
	s_wait_dscnt 0x0
	v_dual_mov_b32 v33, 0 :: v_dual_mov_b32 v32, 0
	s_and_saveexec_b32 s67, s2
	s_cbranch_execz .LBB308_64
; %bb.50:                               ;   in Loop: Header=BB308_21 Depth=2
	v_dual_mov_b32 v32, v4 :: v_dual_mov_b32 v33, v42
	s_and_not1_b32 vcc_lo, exec_lo, s26
	s_mov_b32 s7, s56
	s_cbranch_vccnz .LBB308_63
.LBB308_51:                             ;   Parent Loop BB308_3 Depth=1
                                        ;     Parent Loop BB308_21 Depth=2
                                        ; =>    This Inner Loop Header: Depth=3
	v_readfirstlane_b32 s8, v16
	v_readfirstlane_b32 s9, v17
	s_add_co_i32 s7, s7, -1
	s_delay_alu instid0(SALU_CYCLE_1)
	s_cmp_eq_u32 s7, 0
	flat_load_b64 v[34:35], v32, s[8:9] scale_offset
	s_wait_xcnt 0x0
	v_add_nc_u32_e32 v32, s53, v32
	s_wait_loadcnt_dscnt 0x0
	ds_store_b64 v33, v[34:35]
	v_add_nc_u32_e32 v33, 8, v33
	s_cbranch_scc0 .LBB308_51
; %bb.52:                               ;   in Loop: Header=BB308_21 Depth=2
	v_dual_mov_b32 v32, 0 :: v_dual_mov_b32 v52, v42
	s_ashr_i32 s7, s6, 31
	s_mov_b32 s8, s11
	v_lshl_add_u64 v[40:41], s[6:7], 3, v[28:29]
	s_delay_alu instid0(VALU_DEP_2)
	v_dual_mov_b32 v33, v32 :: v_dual_mov_b32 v34, v32
	v_dual_mov_b32 v35, v32 :: v_dual_mov_b32 v36, v32
	;; [unrolled: 1-line block ×3, first 2 shown]
	v_mov_b32_e32 v39, v32
	s_mov_b32 s48, s64
	s_mov_b32 s50, s65
	;; [unrolled: 1-line block ×3, first 2 shown]
.LBB308_53:                             ;   Parent Loop BB308_3 Depth=1
                                        ;     Parent Loop BB308_21 Depth=2
                                        ; =>    This Inner Loop Header: Depth=3
	s_ashr_i32 s51, s50, 31
	s_ashr_i32 s49, s48, 31
	;; [unrolled: 1-line block ×3, first 2 shown]
	v_lshl_add_u64 v[54:55], s[50:51], 3, v[18:19]
	v_lshl_add_u64 v[56:57], s[48:49], 3, v[18:19]
	;; [unrolled: 1-line block ×3, first 2 shown]
	flat_load_b64 v[60:61], v[40:41]
	s_clause 0x2
	flat_load_b64 v[54:55], v[54:55]
	flat_load_b64 v[56:57], v[56:57]
	flat_load_b64 v[58:59], v[58:59]
	ds_load_b64 v[62:63], v52
	s_wait_xcnt 0x3
	v_add_nc_u64_e32 v[40:41], 8, v[40:41]
	s_add_co_i32 s7, s7, -1
	s_add_co_i32 s50, s50, 1
	s_add_co_i32 s48, s48, 1
	;; [unrolled: 1-line block ×3, first 2 shown]
	s_cmp_lg_u32 s7, 0
	s_wait_loadcnt_dscnt 0x300
	v_pk_mul_f32 v[64:65], v[62:63], v[60:61] op_sel:[1,1] op_sel_hi:[0,1]
	s_wait_loadcnt 0x1
	v_pk_mul_f32 v[68:69], v[62:63], v[56:57] op_sel:[1,1] op_sel_hi:[0,1]
	s_wait_loadcnt 0x0
	v_pk_mul_f32 v[70:71], v[62:63], v[58:59] op_sel:[1,1] op_sel_hi:[0,1]
	v_pk_fma_f32 v[66:67], v[62:63], v[60:61], v[64:65] neg_lo:[0,0,1] neg_hi:[0,0,1]
	v_pk_fma_f32 v[60:61], v[62:63], v[60:61], v[64:65] op_sel_hi:[1,0,1]
	v_pk_mul_f32 v[64:65], v[62:63], v[54:55] op_sel:[1,1] op_sel_hi:[0,1]
	v_add_nc_u32_e32 v52, 8, v52
	v_pk_fma_f32 v[72:73], v[62:63], v[58:59], v[70:71] op_sel_hi:[1,0,1]
	s_wait_xcnt 0x0
	v_pk_fma_f32 v[58:59], v[62:63], v[58:59], v[70:71] neg_lo:[0,0,1] neg_hi:[0,0,1]
	v_mov_b32_e32 v67, v61
	v_pk_fma_f32 v[60:61], v[62:63], v[54:55], v[64:65] neg_lo:[0,0,1] neg_hi:[0,0,1]
	v_pk_fma_f32 v[54:55], v[62:63], v[54:55], v[64:65] op_sel_hi:[1,0,1]
	v_pk_fma_f32 v[64:65], v[62:63], v[56:57], v[68:69] op_sel_hi:[1,0,1]
	v_pk_fma_f32 v[56:57], v[62:63], v[56:57], v[68:69] neg_lo:[0,0,1] neg_hi:[0,0,1]
	v_mov_b32_e32 v59, v73
	v_pk_add_f32 v[38:39], v[38:39], v[66:67]
	s_delay_alu instid0(VALU_DEP_4) | instskip(NEXT) | instid1(VALU_DEP_3)
	v_dual_mov_b32 v61, v55 :: v_dual_mov_b32 v57, v65
	v_pk_add_f32 v[32:33], v[32:33], v[58:59]
	s_delay_alu instid0(VALU_DEP_2) | instskip(NEXT) | instid1(VALU_DEP_3)
	v_pk_add_f32 v[36:37], v[36:37], v[60:61]
	v_pk_add_f32 v[34:35], v[34:35], v[56:57]
	s_cbranch_scc1 .LBB308_53
	s_branch .LBB308_64
.LBB308_54:                             ;   in Loop: Header=BB308_21 Depth=2
	ds_load_b64 v[38:39], v43
	s_or_b32 exec_lo, exec_lo, s7
	s_and_saveexec_b32 s7, s3
	s_cbranch_execz .LBB308_29
.LBB308_55:                             ;   in Loop: Header=BB308_21 Depth=2
	s_wait_dscnt 0x0
	ds_bpermute_b32 v40, v49, v38
	ds_bpermute_b32 v41, v49, v39
	s_wait_dscnt 0x0
	v_pk_add_f32 v[38:39], v[38:39], v[40:41]
	ds_bpermute_b32 v40, v50, v38
	ds_bpermute_b32 v41, v50, v39
	s_wait_dscnt 0x0
	v_pk_add_f32 v[38:39], v[38:39], v[40:41]
	;; [unrolled: 4-line block ×3, first 2 shown]
	s_or_b32 exec_lo, exec_lo, s7
	s_and_saveexec_b32 s7, s3
	s_cbranch_execnz .LBB308_30
	s_branch .LBB308_31
.LBB308_56:                             ;   in Loop: Header=BB308_21 Depth=2
	ds_load_b64 v[36:37], v43
	s_or_b32 exec_lo, exec_lo, s7
	s_and_saveexec_b32 s7, s3
	s_cbranch_execz .LBB308_35
.LBB308_57:                             ;   in Loop: Header=BB308_21 Depth=2
	s_wait_dscnt 0x0
	ds_bpermute_b32 v40, v49, v36
	ds_bpermute_b32 v41, v49, v37
	s_wait_dscnt 0x0
	v_pk_add_f32 v[36:37], v[36:37], v[40:41]
	ds_bpermute_b32 v40, v50, v36
	ds_bpermute_b32 v41, v50, v37
	s_wait_dscnt 0x0
	v_pk_add_f32 v[36:37], v[36:37], v[40:41]
	;; [unrolled: 4-line block ×3, first 2 shown]
	s_or_b32 exec_lo, exec_lo, s7
	s_and_saveexec_b32 s7, s3
	s_cbranch_execnz .LBB308_36
	s_branch .LBB308_37
.LBB308_58:                             ;   in Loop: Header=BB308_21 Depth=2
	ds_load_b64 v[34:35], v43
	s_or_b32 exec_lo, exec_lo, s7
	s_and_saveexec_b32 s7, s3
	s_cbranch_execz .LBB308_41
.LBB308_59:                             ;   in Loop: Header=BB308_21 Depth=2
	s_wait_dscnt 0x0
	ds_bpermute_b32 v40, v49, v34
	ds_bpermute_b32 v41, v49, v35
	s_wait_dscnt 0x0
	v_pk_add_f32 v[34:35], v[34:35], v[40:41]
	ds_bpermute_b32 v40, v50, v34
	ds_bpermute_b32 v41, v50, v35
	s_wait_dscnt 0x0
	v_pk_add_f32 v[34:35], v[34:35], v[40:41]
	;; [unrolled: 4-line block ×3, first 2 shown]
	s_or_b32 exec_lo, exec_lo, s7
	s_and_saveexec_b32 s7, s3
	s_cbranch_execnz .LBB308_42
	s_branch .LBB308_43
.LBB308_60:                             ;   in Loop: Header=BB308_21 Depth=2
	ds_load_b64 v[32:33], v43
	s_or_b32 exec_lo, exec_lo, s7
	s_and_saveexec_b32 s7, s3
	s_cbranch_execz .LBB308_47
.LBB308_61:                             ;   in Loop: Header=BB308_21 Depth=2
	s_wait_dscnt 0x0
	ds_bpermute_b32 v40, v49, v32
	ds_bpermute_b32 v41, v49, v33
	s_wait_dscnt 0x0
	v_pk_add_f32 v[32:33], v[32:33], v[40:41]
	ds_bpermute_b32 v40, v50, v32
	ds_bpermute_b32 v41, v50, v33
	s_wait_dscnt 0x0
	v_pk_add_f32 v[32:33], v[32:33], v[40:41]
	;; [unrolled: 4-line block ×3, first 2 shown]
	s_or_b32 exec_lo, exec_lo, s7
	s_and_saveexec_b32 s7, s0
	s_cbranch_execz .LBB308_20
.LBB308_62:                             ;   in Loop: Header=BB308_21 Depth=2
	v_pk_mul_f32 v[40:41], v[38:39], v[30:31] op_sel:[1,0]
	v_pk_mul_f32 v[52:53], v[36:37], v[30:31] op_sel:[1,0]
	;; [unrolled: 1-line block ×3, first 2 shown]
	s_mul_i32 s8, s24, s30
	s_delay_alu instid0(SALU_CYCLE_1)
	s_add_co_i32 s8, s8, s34
	v_pk_fma_f32 v[56:57], v[38:39], v[14:15], v[40:41] op_sel_hi:[0,1,1]
	v_pk_fma_f32 v[38:39], v[38:39], v[14:15], v[40:41] neg_lo:[0,0,1] neg_hi:[0,0,1]
	s_wait_dscnt 0x0
	v_pk_mul_f32 v[40:41], v[32:33], v[30:31] op_sel:[1,0]
	v_pk_fma_f32 v[58:59], v[36:37], v[14:15], v[52:53] op_sel_hi:[0,1,1]
	v_pk_fma_f32 v[36:37], v[36:37], v[14:15], v[52:53] neg_lo:[0,0,1] neg_hi:[0,0,1]
	v_pk_fma_f32 v[52:53], v[34:35], v[14:15], v[54:55] op_sel_hi:[0,1,1]
	v_dual_mov_b32 v56, s8 :: v_dual_mov_b32 v39, v57
	s_add_co_i32 s8, s8, s30
	v_pk_fma_f32 v[34:35], v[34:35], v[14:15], v[54:55] neg_lo:[0,0,1] neg_hi:[0,0,1]
	v_pk_fma_f32 v[54:55], v[32:33], v[14:15], v[40:41] op_sel_hi:[0,1,1]
	v_dual_mov_b32 v37, v59 :: v_dual_mov_b32 v52, s8
	s_add_co_i32 s8, s8, s30
	s_delay_alu instid0(SALU_CYCLE_1)
	v_dual_mov_b32 v35, v53 :: v_dual_mov_b32 v53, s8
	s_add_co_i32 s8, s8, s30
	v_pk_fma_f32 v[32:33], v[32:33], v[14:15], v[40:41] neg_lo:[0,0,1] neg_hi:[0,0,1]
	v_dual_mov_b32 v33, v55 :: v_dual_mov_b32 v40, s8
	s_clause 0x3
	global_store_b64 v56, v[38:39], s[46:47] scale_offset
	global_store_b64 v52, v[36:37], s[46:47] scale_offset
	;; [unrolled: 1-line block ×4, first 2 shown]
	s_branch .LBB308_20
.LBB308_63:                             ;   in Loop: Header=BB308_21 Depth=2
	v_mov_b32_e32 v39, 0
	s_delay_alu instid0(VALU_DEP_1)
	v_dual_mov_b32 v38, v39 :: v_dual_mov_b32 v37, v39
	v_dual_mov_b32 v36, v39 :: v_dual_mov_b32 v35, v39
	;; [unrolled: 1-line block ×3, first 2 shown]
	v_mov_b32_e32 v32, v39
.LBB308_64:                             ;   in Loop: Header=BB308_21 Depth=2
	s_or_b32 exec_lo, exec_lo, s67
	s_delay_alu instid0(SALU_CYCLE_1)
	s_or_b32 exec_lo, exec_lo, s66
	s_and_saveexec_b32 s7, s3
	s_cbranch_execnz .LBB308_24
	s_branch .LBB308_25
.LBB308_65:                             ;   in Loop: Header=BB308_3 Depth=1
	s_mov_b32 s24, 0
.LBB308_66:                             ;   in Loop: Header=BB308_3 Depth=1
	s_delay_alu instid0(SALU_CYCLE_1)
	s_cmp_ge_i32 s24, s27
	s_cbranch_scc1 .LBB308_2
; %bb.67:                               ;   in Loop: Header=BB308_3 Depth=1
	v_cmp_gt_u32_e32 vcc_lo, 24, v45
	s_add_nc_u64 s[6:7], s[46:47], s[38:39]
	s_mul_i32 s8, s52, s24
	v_cndmask_b32_e64 v30, 0, 8, vcc_lo
	v_cmp_gt_u32_e32 vcc_lo, 28, v45
	s_delay_alu instid0(VALU_DEP_2) | instskip(SKIP_3) | instid1(VALU_DEP_3)
	v_add_lshl_u32 v36, v30, v45, 2
	v_cndmask_b32_e64 v31, 0, 4, vcc_lo
	v_cmp_gt_u32_e32 vcc_lo, 30, v45
	v_mov_b32_e32 v30, v15
	v_add_lshl_u32 v37, v31, v45, 2
	s_wait_dscnt 0x0
	v_cndmask_b32_e64 v32, 0, 2, vcc_lo
	v_cmp_ne_u32_e32 vcc_lo, 31, v45
	v_mov_b32_e32 v31, v14
	s_delay_alu instid0(VALU_DEP_3) | instskip(SKIP_1) | instid1(VALU_DEP_1)
	v_add_lshl_u32 v38, v32, v45, 2
	v_add_co_ci_u32_e64 v33, null, 0, v45, vcc_lo
	v_lshlrev_b32_e32 v39, 2, v33
	s_branch .LBB308_69
.LBB308_68:                             ;   in Loop: Header=BB308_69 Depth=2
	s_wait_xcnt 0x0
	s_or_b32 exec_lo, exec_lo, s9
	s_add_co_i32 s24, s24, 1
	s_add_co_i32 s8, s8, s52
	s_cmp_ge_i32 s24, s27
	s_cbranch_scc1 .LBB308_2
.LBB308_69:                             ;   Parent Loop BB308_3 Depth=1
                                        ; =>  This Loop Header: Depth=2
                                        ;       Child Loop BB308_81 Depth 3
                                        ;       Child Loop BB308_83 Depth 3
                                        ; implicit-def: $vgpr33
	s_and_saveexec_b32 s9, s1
	s_delay_alu instid0(SALU_CYCLE_1)
	s_xor_b32 s9, exec_lo, s9
	s_cbranch_execnz .LBB308_78
; %bb.70:                               ;   in Loop: Header=BB308_69 Depth=2
	s_and_not1_saveexec_b32 s11, s9
	s_cbranch_execnz .LBB308_79
.LBB308_71:                             ;   in Loop: Header=BB308_69 Depth=2
	s_or_b32 exec_lo, exec_lo, s11
	s_and_saveexec_b32 s9, s3
.LBB308_72:                             ;   in Loop: Header=BB308_69 Depth=2
	ds_store_b64 v43, v[12:13]
.LBB308_73:                             ;   in Loop: Header=BB308_69 Depth=2
	s_or_b32 exec_lo, exec_lo, s9
	s_wait_dscnt 0x0
	ds_bpermute_b32 v34, v47, v32
	ds_bpermute_b32 v35, v47, v33
	s_wait_storecnt_dscnt 0x0
	s_barrier_signal -1
	s_barrier_wait -1
	v_pk_add_f32 v[32:33], v[32:33], v[34:35]
	ds_bpermute_b32 v34, v36, v32
	ds_bpermute_b32 v35, v36, v33
	s_wait_dscnt 0x0
	v_pk_add_f32 v[32:33], v[32:33], v[34:35]
	ds_bpermute_b32 v34, v37, v32
	ds_bpermute_b32 v35, v37, v33
	s_wait_dscnt 0x0
	;; [unrolled: 4-line block ×3, first 2 shown]
	v_pk_add_f32 v[32:33], v[32:33], v[34:35]
	ds_bpermute_b32 v34, v39, v32
	ds_bpermute_b32 v35, v39, v33
	s_and_saveexec_b32 s9, s4
	s_cbranch_execz .LBB308_75
; %bb.74:                               ;   in Loop: Header=BB308_69 Depth=2
	s_wait_dscnt 0x0
	v_pk_add_f32 v[32:33], v[32:33], v[34:35]
	ds_store_b64 v44, v[32:33]
.LBB308_75:                             ;   in Loop: Header=BB308_69 Depth=2
	s_or_b32 exec_lo, exec_lo, s9
	v_mov_b64_e32 v[32:33], 0
	s_wait_dscnt 0x0
	s_barrier_signal -1
	s_barrier_wait -1
	s_and_saveexec_b32 s9, s5
	s_cbranch_execnz .LBB308_85
; %bb.76:                               ;   in Loop: Header=BB308_69 Depth=2
	s_or_b32 exec_lo, exec_lo, s9
	s_and_saveexec_b32 s9, s3
	s_cbranch_execnz .LBB308_86
.LBB308_77:                             ;   in Loop: Header=BB308_69 Depth=2
	s_or_b32 exec_lo, exec_lo, s9
	s_and_saveexec_b32 s9, s0
	s_cbranch_execz .LBB308_68
	s_branch .LBB308_87
.LBB308_78:                             ;   in Loop: Header=BB308_69 Depth=2
	flat_load_b64 v[40:41], v[20:21]
	s_mul_i32 s46, s24, s52
	s_delay_alu instid0(SALU_CYCLE_1) | instskip(NEXT) | instid1(SALU_CYCLE_1)
	s_ashr_i32 s47, s46, 31
	v_lshl_add_u64 v[54:55], s[46:47], 3, v[18:19]
	s_wait_loadcnt_dscnt 0x0
	ds_store_b64 v42, v[40:41]
	flat_load_b64 v[48:49], v[22:23]
	s_wait_loadcnt_dscnt 0x0
	ds_store_b64 v42, v[48:49] offset:8
	flat_load_b64 v[50:51], v[24:25]
	s_wait_loadcnt_dscnt 0x0
	ds_store_b64 v42, v[50:51] offset:16
	;; [unrolled: 3-line block ×3, first 2 shown]
	s_clause 0x2
	flat_load_b64 v[56:57], v[54:55]
	flat_load_b128 v[32:35], v[54:55] offset:8
	flat_load_b64 v[54:55], v[54:55] offset:24
	s_wait_loadcnt_dscnt 0x202
	v_dual_mul_f32 v58, v41, v57 :: v_dual_mul_f32 v59, v40, v57
	s_wait_loadcnt_dscnt 0x101
	v_pk_mul_f32 v[60:61], v[48:49], v[32:33] op_sel:[1,1] op_sel_hi:[1,0]
	v_dual_mov_b32 v62, v35 :: v_dual_mov_b32 v63, v34
	s_delay_alu instid0(VALU_DEP_3) | instskip(NEXT) | instid1(VALU_DEP_3)
	v_dual_fma_f32 v58, v40, v56, -v58 :: v_dual_fmac_f32 v59, v41, v56
	v_pk_fma_f32 v[40:41], v[48:49], v[32:33], v[60:61] op_sel_hi:[0,1,1]
	v_pk_fma_f32 v[32:33], v[48:49], v[32:33], v[60:61] neg_lo:[0,0,1] neg_hi:[0,0,1]
	s_delay_alu instid0(VALU_DEP_4) | instskip(NEXT) | instid1(VALU_DEP_4)
	v_pk_mul_f32 v[56:57], v[50:51], v[62:63] op_sel:[1,0]
	v_pk_add_f32 v[48:49], v[58:59], 0 op_sel_hi:[1,0]
	s_delay_alu instid0(VALU_DEP_4) | instskip(SKIP_4) | instid1(VALU_DEP_2)
	v_mov_b32_e32 v33, v41
	s_wait_loadcnt_dscnt 0x0
	v_pk_mul_f32 v[58:59], v[52:53], v[54:55] op_sel:[1,1] op_sel_hi:[1,0]
	v_pk_fma_f32 v[40:41], v[50:51], v[34:35], v[56:57] op_sel_hi:[0,1,1]
	v_pk_fma_f32 v[34:35], v[50:51], v[34:35], v[56:57] neg_lo:[0,0,1] neg_hi:[0,0,1]
	v_mov_b32_e32 v35, v41
	v_pk_add_f32 v[32:33], v[48:49], v[32:33]
	v_pk_fma_f32 v[40:41], v[52:53], v[54:55], v[58:59] op_sel_hi:[0,1,1]
	v_pk_fma_f32 v[48:49], v[52:53], v[54:55], v[58:59] neg_lo:[0,0,1] neg_hi:[0,0,1]
	s_delay_alu instid0(VALU_DEP_3) | instskip(NEXT) | instid1(VALU_DEP_3)
	v_pk_add_f32 v[32:33], v[32:33], v[34:35]
	v_mov_b32_e32 v49, v41
	s_delay_alu instid0(VALU_DEP_1)
	v_pk_add_f32 v[32:33], v[32:33], v[48:49]
	s_wait_xcnt 0x0
	s_and_not1_saveexec_b32 s11, s9
	s_cbranch_execz .LBB308_71
.LBB308_79:                             ;   in Loop: Header=BB308_69 Depth=2
	s_wait_dscnt 0x0
	v_mov_b32_e32 v33, 0
	s_delay_alu instid0(VALU_DEP_1)
	v_mov_b32_e32 v32, v33
	s_and_saveexec_b32 s46, s58
	s_cbranch_execz .LBB308_84
; %bb.80:                               ;   in Loop: Header=BB308_69 Depth=2
	v_dual_mov_b32 v32, v4 :: v_dual_mov_b32 v33, v42
	s_mov_b32 s9, s56
.LBB308_81:                             ;   Parent Loop BB308_3 Depth=1
                                        ;     Parent Loop BB308_69 Depth=2
                                        ; =>    This Inner Loop Header: Depth=3
	v_readfirstlane_b32 s48, v16
	v_readfirstlane_b32 s49, v17
	s_add_co_i32 s9, s9, -1
	s_delay_alu instid0(SALU_CYCLE_1)
	s_cmp_eq_u32 s9, 0
	flat_load_b64 v[34:35], v32, s[48:49] scale_offset
	s_wait_xcnt 0x0
	v_add_nc_u32_e32 v32, s53, v32
	s_wait_loadcnt_dscnt 0x0
	ds_store_b64 v33, v[34:35]
	v_add_nc_u32_e32 v33, 8, v33
	s_cbranch_scc0 .LBB308_81
; %bb.82:                               ;   in Loop: Header=BB308_69 Depth=2
	v_dual_mov_b32 v32, 0 :: v_dual_mov_b32 v40, v42
	s_ashr_i32 s9, s8, 31
	s_delay_alu instid0(SALU_CYCLE_1) | instskip(NEXT) | instid1(VALU_DEP_2)
	v_lshl_add_u64 v[34:35], s[8:9], 3, v[28:29]
	v_mov_b32_e32 v33, v32
	s_mov_b32 s9, s56
.LBB308_83:                             ;   Parent Loop BB308_3 Depth=1
                                        ;     Parent Loop BB308_69 Depth=2
                                        ; =>    This Inner Loop Header: Depth=3
	flat_load_b64 v[48:49], v[34:35]
	ds_load_b64 v[50:51], v40
	s_wait_xcnt 0x0
	v_add_nc_u64_e32 v[34:35], 8, v[34:35]
	s_add_co_i32 s9, s9, -1
	v_add_nc_u32_e32 v40, 8, v40
	s_cmp_lg_u32 s9, 0
	s_wait_loadcnt_dscnt 0x0
	v_pk_mul_f32 v[52:53], v[50:51], v[48:49] op_sel:[1,1] op_sel_hi:[0,1]
	s_delay_alu instid0(VALU_DEP_1) | instskip(SKIP_1) | instid1(VALU_DEP_2)
	v_pk_fma_f32 v[54:55], v[50:51], v[48:49], v[52:53] op_sel_hi:[1,0,1]
	v_pk_fma_f32 v[48:49], v[50:51], v[48:49], v[52:53] neg_lo:[0,0,1] neg_hi:[0,0,1]
	v_mov_b32_e32 v49, v55
	s_delay_alu instid0(VALU_DEP_1)
	v_pk_add_f32 v[32:33], v[32:33], v[48:49]
	s_cbranch_scc1 .LBB308_83
.LBB308_84:                             ;   in Loop: Header=BB308_69 Depth=2
	s_or_b32 exec_lo, exec_lo, s46
	s_delay_alu instid0(SALU_CYCLE_1)
	s_or_b32 exec_lo, exec_lo, s11
	s_and_saveexec_b32 s9, s3
	s_cbranch_execnz .LBB308_72
	s_branch .LBB308_73
.LBB308_85:                             ;   in Loop: Header=BB308_69 Depth=2
	ds_load_b64 v[32:33], v43
	s_or_b32 exec_lo, exec_lo, s9
	s_and_saveexec_b32 s9, s3
	s_cbranch_execz .LBB308_77
.LBB308_86:                             ;   in Loop: Header=BB308_69 Depth=2
	s_wait_dscnt 0x0
	ds_bpermute_b32 v34, v37, v32
	ds_bpermute_b32 v35, v37, v33
	s_wait_dscnt 0x0
	v_pk_add_f32 v[32:33], v[32:33], v[34:35]
	ds_bpermute_b32 v34, v38, v32
	ds_bpermute_b32 v35, v38, v33
	s_wait_dscnt 0x0
	v_pk_add_f32 v[32:33], v[32:33], v[34:35]
	;; [unrolled: 4-line block ×3, first 2 shown]
	s_or_b32 exec_lo, exec_lo, s9
	s_and_saveexec_b32 s9, s0
	s_cbranch_execz .LBB308_68
.LBB308_87:                             ;   in Loop: Header=BB308_69 Depth=2
	s_wait_dscnt 0x0
	v_pk_mul_f32 v[34:35], v[32:33], v[30:31] op_sel:[1,0]
	s_mul_u64 s[46:47], s[24:25], s[30:31]
	s_delay_alu instid0(SALU_CYCLE_1) | instskip(NEXT) | instid1(SALU_CYCLE_1)
	s_lshl_b64 s[46:47], s[46:47], 3
	s_add_nc_u64 s[46:47], s[6:7], s[46:47]
	s_delay_alu instid0(VALU_DEP_1) | instskip(SKIP_1) | instid1(VALU_DEP_2)
	v_pk_fma_f32 v[40:41], v[32:33], v[14:15], v[34:35] op_sel_hi:[0,1,1]
	v_pk_fma_f32 v[32:33], v[32:33], v[14:15], v[34:35] neg_lo:[0,0,1] neg_hi:[0,0,1]
	v_mov_b32_e32 v33, v41
	global_store_b64 v46, v[32:33], s[46:47]
	s_branch .LBB308_68
.LBB308_88:
	s_sendmsg sendmsg(MSG_DEALLOC_VGPRS)
	s_endpgm
	.section	.rodata,"a",@progbits
	.p2align	6, 0x0
	.amdhsa_kernel _ZL23rocblas_gemvt_sn_kernelILb0ELi256ELi4EiPK19rocblas_complex_numIfES3_S1_EviiT4_lPKT3_lilS7_lilPT5_i
		.amdhsa_group_segment_fixed_size 8448
		.amdhsa_private_segment_fixed_size 0
		.amdhsa_kernarg_size 360
		.amdhsa_user_sgpr_count 4
		.amdhsa_user_sgpr_dispatch_ptr 1
		.amdhsa_user_sgpr_queue_ptr 0
		.amdhsa_user_sgpr_kernarg_segment_ptr 1
		.amdhsa_user_sgpr_dispatch_id 0
		.amdhsa_user_sgpr_kernarg_preload_length 0
		.amdhsa_user_sgpr_kernarg_preload_offset 0
		.amdhsa_user_sgpr_private_segment_size 0
		.amdhsa_wavefront_size32 1
		.amdhsa_uses_dynamic_stack 0
		.amdhsa_enable_private_segment 0
		.amdhsa_system_sgpr_workgroup_id_x 1
		.amdhsa_system_sgpr_workgroup_id_y 0
		.amdhsa_system_sgpr_workgroup_id_z 1
		.amdhsa_system_sgpr_workgroup_info 0
		.amdhsa_system_vgpr_workitem_id 2
		.amdhsa_next_free_vgpr 102
		.amdhsa_next_free_sgpr 68
		.amdhsa_named_barrier_count 0
		.amdhsa_reserve_vcc 1
		.amdhsa_float_round_mode_32 0
		.amdhsa_float_round_mode_16_64 0
		.amdhsa_float_denorm_mode_32 3
		.amdhsa_float_denorm_mode_16_64 3
		.amdhsa_fp16_overflow 0
		.amdhsa_memory_ordered 1
		.amdhsa_forward_progress 1
		.amdhsa_inst_pref_size 44
		.amdhsa_round_robin_scheduling 0
		.amdhsa_exception_fp_ieee_invalid_op 0
		.amdhsa_exception_fp_denorm_src 0
		.amdhsa_exception_fp_ieee_div_zero 0
		.amdhsa_exception_fp_ieee_overflow 0
		.amdhsa_exception_fp_ieee_underflow 0
		.amdhsa_exception_fp_ieee_inexact 0
		.amdhsa_exception_int_div_zero 0
	.end_amdhsa_kernel
	.section	.text._ZL23rocblas_gemvt_sn_kernelILb0ELi256ELi4EiPK19rocblas_complex_numIfES3_S1_EviiT4_lPKT3_lilS7_lilPT5_i,"axG",@progbits,_ZL23rocblas_gemvt_sn_kernelILb0ELi256ELi4EiPK19rocblas_complex_numIfES3_S1_EviiT4_lPKT3_lilS7_lilPT5_i,comdat
.Lfunc_end308:
	.size	_ZL23rocblas_gemvt_sn_kernelILb0ELi256ELi4EiPK19rocblas_complex_numIfES3_S1_EviiT4_lPKT3_lilS7_lilPT5_i, .Lfunc_end308-_ZL23rocblas_gemvt_sn_kernelILb0ELi256ELi4EiPK19rocblas_complex_numIfES3_S1_EviiT4_lPKT3_lilS7_lilPT5_i
                                        ; -- End function
	.set _ZL23rocblas_gemvt_sn_kernelILb0ELi256ELi4EiPK19rocblas_complex_numIfES3_S1_EviiT4_lPKT3_lilS7_lilPT5_i.num_vgpr, 102
	.set _ZL23rocblas_gemvt_sn_kernelILb0ELi256ELi4EiPK19rocblas_complex_numIfES3_S1_EviiT4_lPKT3_lilS7_lilPT5_i.num_agpr, 0
	.set _ZL23rocblas_gemvt_sn_kernelILb0ELi256ELi4EiPK19rocblas_complex_numIfES3_S1_EviiT4_lPKT3_lilS7_lilPT5_i.numbered_sgpr, 68
	.set _ZL23rocblas_gemvt_sn_kernelILb0ELi256ELi4EiPK19rocblas_complex_numIfES3_S1_EviiT4_lPKT3_lilS7_lilPT5_i.num_named_barrier, 0
	.set _ZL23rocblas_gemvt_sn_kernelILb0ELi256ELi4EiPK19rocblas_complex_numIfES3_S1_EviiT4_lPKT3_lilS7_lilPT5_i.private_seg_size, 0
	.set _ZL23rocblas_gemvt_sn_kernelILb0ELi256ELi4EiPK19rocblas_complex_numIfES3_S1_EviiT4_lPKT3_lilS7_lilPT5_i.uses_vcc, 1
	.set _ZL23rocblas_gemvt_sn_kernelILb0ELi256ELi4EiPK19rocblas_complex_numIfES3_S1_EviiT4_lPKT3_lilS7_lilPT5_i.uses_flat_scratch, 1
	.set _ZL23rocblas_gemvt_sn_kernelILb0ELi256ELi4EiPK19rocblas_complex_numIfES3_S1_EviiT4_lPKT3_lilS7_lilPT5_i.has_dyn_sized_stack, 0
	.set _ZL23rocblas_gemvt_sn_kernelILb0ELi256ELi4EiPK19rocblas_complex_numIfES3_S1_EviiT4_lPKT3_lilS7_lilPT5_i.has_recursion, 0
	.set _ZL23rocblas_gemvt_sn_kernelILb0ELi256ELi4EiPK19rocblas_complex_numIfES3_S1_EviiT4_lPKT3_lilS7_lilPT5_i.has_indirect_call, 0
	.section	.AMDGPU.csdata,"",@progbits
; Kernel info:
; codeLenInByte = 5596
; TotalNumSgprs: 70
; NumVgprs: 102
; ScratchSize: 0
; MemoryBound: 0
; FloatMode: 240
; IeeeMode: 1
; LDSByteSize: 8448 bytes/workgroup (compile time only)
; SGPRBlocks: 0
; VGPRBlocks: 6
; NumSGPRsForWavesPerEU: 70
; NumVGPRsForWavesPerEU: 102
; NamedBarCnt: 0
; Occupancy: 9
; WaveLimiterHint : 0
; COMPUTE_PGM_RSRC2:SCRATCH_EN: 0
; COMPUTE_PGM_RSRC2:USER_SGPR: 4
; COMPUTE_PGM_RSRC2:TRAP_HANDLER: 0
; COMPUTE_PGM_RSRC2:TGID_X_EN: 1
; COMPUTE_PGM_RSRC2:TGID_Y_EN: 0
; COMPUTE_PGM_RSRC2:TGID_Z_EN: 1
; COMPUTE_PGM_RSRC2:TIDIG_COMP_CNT: 2
	.section	.text._ZL23rocblas_gemvt_sn_kernelILb0ELi256ELi4ElPK19rocblas_complex_numIfES3_S1_EviiT4_lPKT3_lilS7_lilPT5_i,"axG",@progbits,_ZL23rocblas_gemvt_sn_kernelILb0ELi256ELi4ElPK19rocblas_complex_numIfES3_S1_EviiT4_lPKT3_lilS7_lilPT5_i,comdat
	.globl	_ZL23rocblas_gemvt_sn_kernelILb0ELi256ELi4ElPK19rocblas_complex_numIfES3_S1_EviiT4_lPKT3_lilS7_lilPT5_i ; -- Begin function _ZL23rocblas_gemvt_sn_kernelILb0ELi256ELi4ElPK19rocblas_complex_numIfES3_S1_EviiT4_lPKT3_lilS7_lilPT5_i
	.p2align	8
	.type	_ZL23rocblas_gemvt_sn_kernelILb0ELi256ELi4ElPK19rocblas_complex_numIfES3_S1_EviiT4_lPKT3_lilS7_lilPT5_i,@function
_ZL23rocblas_gemvt_sn_kernelILb0ELi256ELi4ElPK19rocblas_complex_numIfES3_S1_EviiT4_lPKT3_lilS7_lilPT5_i: ; @_ZL23rocblas_gemvt_sn_kernelILb0ELi256ELi4ElPK19rocblas_complex_numIfES3_S1_EviiT4_lPKT3_lilS7_lilPT5_i
; %bb.0:
	s_load_b32 s33, s[2:3], 0x60
	s_bfe_u32 s4, ttmp6, 0x40014
	s_lshr_b32 s5, ttmp7, 16
	s_add_co_i32 s4, s4, 1
	s_bfe_u32 s7, ttmp6, 0x40008
	s_mul_i32 s6, s5, s4
	s_getreg_b32 s4, hwreg(HW_REG_IB_STS2, 6, 4)
	s_add_co_i32 s7, s7, s6
	s_cmp_eq_u32 s4, 0
	s_mov_b32 s25, 0
	s_cselect_b32 s10, s5, s7
	s_wait_kmcnt 0x0
	s_cmp_ge_u32 s10, s33
	s_cbranch_scc1 .LBB309_88
; %bb.1:
	s_clause 0x1
	s_load_b32 s26, s[2:3], 0x28
	s_load_b32 s6, s[2:3], 0x48
	s_load_b64 s[8:9], s[0:1], 0x4
	s_clause 0x3
	s_load_b64 s[28:29], s[2:3], 0x0
	s_load_b256 s[12:19], s[2:3], 0x8
	s_load_b128 s[20:23], s[2:3], 0x38
	s_load_b64 s[30:31], s[2:3], 0x58
	v_and_b32_e32 v1, 0x3ff, v0
	s_load_b32 s34, s[2:3], 0x68
	v_bfe_u32 v2, v0, 10, 10
	v_bfe_u32 v3, v0, 20, 10
	v_mbcnt_lo_u32_b32 v51, -1, 0
	s_wait_xcnt 0x0
	v_cmp_eq_u32_e64 s0, 0, v1
	v_mov_b64_e32 v[14:15], 0
	s_mov_b32 s35, s25
	v_mov_b32_e32 v52, 0
	v_lshl_or_b32 v53, v51, 2, 64
	s_wait_kmcnt 0x0
	s_ashr_i32 s27, s26, 31
	s_ashr_i32 s7, s6, 31
	s_lshr_b32 s1, s8, 16
	s_ashr_i32 s43, s29, 31
	s_cmp_gt_i32 s29, 0
	s_mul_i32 s1, s1, s9
	s_cselect_b32 s2, -1, 0
	s_bfe_u32 s3, ttmp6, 0x4000c
	v_mul_lo_u32 v4, s1, v1
	s_add_co_i32 s3, s3, 1
	s_and_b32 s5, ttmp6, 15
	s_mul_i32 s1, ttmp9, s3
	s_and_b32 s60, s0, s2
	s_add_co_i32 s5, s5, s1
	s_cmp_eq_u32 s4, 0
	v_mul_u32_u24_e32 v2, s9, v2
	s_cselect_b32 s24, ttmp9, s5
	s_ashr_i32 s2, s28, 31
	s_lshl_b32 s3, s24, 10
	s_lshr_b32 s2, s2, 30
	v_add3_u32 v3, v4, v2, v3
	s_add_co_i32 s2, s28, s2
	v_lshl_or_b32 v2, v1, 2, s3
	s_and_b32 s2, s2, -4
	s_lshr_b32 s1, s43, 30
	s_sub_co_i32 s62, s28, s2
	v_lshl_add_u32 v48, v3, 5, 0x100
	v_dual_ashrrev_i32 v3, 31, v2 :: v_dual_add_nc_u32 v4, 4, v2
	v_dual_add_nc_u32 v5, s62, v2 :: v_dual_bitop2_b32 v6, 1, v2 bitop3:0x54
	v_or_b32_e32 v8, 2, v2
	v_dual_lshrrev_b32 v0, 2, v0 :: v_dual_bitop2_b32 v12, 31, v0 bitop3:0x40
	v_or_b32_e32 v10, 3, v2
	s_add_co_i32 s1, s29, s1
	v_cmp_ge_i32_e64 s2, s28, v5
	s_and_b32 s61, s1, -4
	v_cmp_ge_i32_e64 s1, s28, v4
	v_mul_u64_e32 v[4:5], s[6:7], v[2:3]
	v_dual_ashrrev_i32 v7, 31, v6 :: v_dual_ashrrev_i32 v9, 31, v8
	v_dual_ashrrev_i32 v11, 31, v10 :: v_dual_lshlrev_b32 v49, 3, v12
	s_cmp_gt_i32 s61, 0
	s_delay_alu instid0(VALU_DEP_2) | instskip(NEXT) | instid1(VALU_DEP_3)
	v_mul_u64_e32 v[6:7], s[6:7], v[6:7]
	v_mul_u64_e32 v[8:9], s[6:7], v[8:9]
	s_delay_alu instid0(VALU_DEP_3)
	v_mul_u64_e32 v[10:11], s[6:7], v[10:11]
	s_cselect_b32 s63, -1, 0
	s_cmp_gt_i32 s62, 0
	v_cmp_gt_u32_e64 s3, 32, v1
	s_cselect_b32 s28, -1, 0
	v_cmp_eq_u32_e64 s4, 0, v12
	s_and_b32 s64, s28, s2
	s_cmp_gt_u32 s29, 1
	v_cmp_gt_u32_e64 s5, 8, v1
	s_cselect_b32 s8, -1, 0
	s_cmp_eq_u32 s34, 1
	v_and_b32_e32 v50, 56, v0
	s_cselect_b32 s9, -1, 0
	s_and_b32 s65, s29, 0x7ffffffe
	s_and_b32 s66, s8, s9
	v_lshlrev_b64_e32 v[12:13], 3, v[2:3]
	s_cmp_lg_u32 s29, s65
	s_mov_b32 s42, s29
	s_cselect_b32 s67, -1, 0
	s_lshl_b64 s[38:39], s[24:25], 3
	s_mul_u64 s[36:37], s[42:43], s[34:35]
	s_add_nc_u64 s[40:41], s[30:31], s[38:39]
	s_lshl_b64 s[42:43], s[42:43], 3
	s_lshl_b64 s[44:45], s[34:35], 3
	v_lshlrev_b64_e32 v[0:1], 3, v[4:5]
	s_lshl_b64 s[46:47], s[6:7], 3
	s_mul_u64 s[48:49], s[26:27], 24
	s_lshl_b64 s[50:51], s[26:27], 5
	s_lshl_b64 s[52:53], s[26:27], 4
	;; [unrolled: 1-line block ×5, first 2 shown]
	s_branch .LBB309_3
.LBB309_2:                              ;   in Loop: Header=BB309_3 Depth=1
	s_add_co_i32 s10, s10, 0x10000
	s_delay_alu instid0(SALU_CYCLE_1)
	s_cmp_lt_u32 s10, s33
	s_cbranch_scc0 .LBB309_88
.LBB309_3:                              ; =>This Loop Header: Depth=1
                                        ;     Child Loop BB309_11 Depth 2
                                        ;     Child Loop BB309_15 Depth 2
	;; [unrolled: 1-line block ×3, first 2 shown]
                                        ;       Child Loop BB309_51 Depth 3
                                        ;       Child Loop BB309_53 Depth 3
                                        ;     Child Loop BB309_69 Depth 2
                                        ;       Child Loop BB309_81 Depth 3
                                        ;       Child Loop BB309_83 Depth 3
	s_mov_b32 s11, s25
	v_mov_b64_e32 v[30:31], 0
	s_mul_u64 s[6:7], s[14:15], s[10:11]
	s_delay_alu instid0(SALU_CYCLE_1) | instskip(NEXT) | instid1(SALU_CYCLE_1)
	s_lshl_b64 s[6:7], s[6:7], 3
	s_add_nc_u64 s[6:7], s[12:13], s[6:7]
	global_load_b64 v[16:17], v52, s[6:7]
	s_wait_loadcnt 0x0
	v_or_b32_e32 v18, v16, v17
	s_delay_alu instid0(VALU_DEP_1) | instskip(SKIP_1) | instid1(VALU_DEP_1)
	v_and_b32_e32 v18, 0x7fffffff, v18
	s_wait_xcnt 0x0
	v_cmp_eq_u32_e64 s6, 0, v18
	v_cmp_ne_u32_e64 s7, 0, v18
	s_and_b32 vcc_lo, exec_lo, s6
	s_cbranch_vccnz .LBB309_5
; %bb.4:                                ;   in Loop: Header=BB309_3 Depth=1
	s_lshl_b64 s[8:9], s[10:11], 3
	s_delay_alu instid0(SALU_CYCLE_1)
	s_add_nc_u64 s[8:9], s[16:17], s[8:9]
	global_load_b64 v[18:19], v52, s[8:9]
	s_wait_loadcnt 0x0
	v_add_nc_u64_e32 v[30:31], s[18:19], v[18:19]
.LBB309_5:                              ;   in Loop: Header=BB309_3 Depth=1
	s_wait_dscnt 0x0
	v_mov_b64_e32 v[34:35], 0
	s_and_not1_b32 vcc_lo, exec_lo, s7
	s_cbranch_vccnz .LBB309_7
; %bb.6:                                ;   in Loop: Header=BB309_3 Depth=1
	s_wait_xcnt 0x0
	s_lshl_b64 s[8:9], s[10:11], 3
	s_delay_alu instid0(SALU_CYCLE_1)
	s_add_nc_u64 s[8:9], s[20:21], s[8:9]
	global_load_b64 v[18:19], v52, s[8:9]
	s_wait_loadcnt 0x0
	v_add_nc_u64_e32 v[34:35], s[22:23], v[18:19]
.LBB309_7:                              ;   in Loop: Header=BB309_3 Depth=1
	s_wait_xcnt 0x0
	s_mul_u64 s[8:9], s[36:37], s[10:11]
	s_and_not1_b32 vcc_lo, exec_lo, s6
	s_lshl_b64 s[8:9], s[8:9], 3
	s_mov_b32 s6, -1
	s_add_nc_u64 s[56:57], s[30:31], s[8:9]
	s_cbranch_vccnz .LBB309_17
; %bb.8:                                ;   in Loop: Header=BB309_3 Depth=1
	s_and_saveexec_b32 s68, s60
	s_cbranch_execz .LBB309_16
; %bb.9:                                ;   in Loop: Header=BB309_3 Depth=1
	s_and_not1_b32 vcc_lo, exec_lo, s66
	s_cbranch_vccnz .LBB309_13
; %bb.10:                               ;   in Loop: Header=BB309_3 Depth=1
	s_add_nc_u64 s[6:7], s[56:57], s[38:39]
	s_mov_b32 s8, 1
	s_mov_b32 s24, 0
	s_mov_b32 s59, s65
.LBB309_11:                             ;   Parent Loop BB309_3 Depth=1
                                        ; =>  This Inner Loop Header: Depth=2
	s_mov_b32 s9, s25
	s_wait_xcnt 0x1
	s_lshl_b64 s[70:71], s[24:25], 3
	s_add_co_i32 s59, s59, -2
	s_add_co_i32 s24, s24, 2
	s_wait_xcnt 0x0
	s_lshl_b64 s[72:73], s[8:9], 3
	s_add_co_i32 s8, s8, 2
	s_mov_b32 s58, s65
	s_mov_b32 s69, s67
	s_add_nc_u64 s[70:71], s[6:7], s[70:71]
	s_cmp_lg_u32 s59, 0
	s_add_nc_u64 s[72:73], s[6:7], s[72:73]
	s_clause 0x1
	global_store_b64 v52, v[14:15], s[70:71]
	global_store_b64 v52, v[14:15], s[72:73]
	s_cbranch_scc1 .LBB309_11
; %bb.12:                               ;   in Loop: Header=BB309_3 Depth=1
	s_and_b32 vcc_lo, exec_lo, s69
	s_cbranch_vccnz .LBB309_14
	s_branch .LBB309_16
.LBB309_13:                             ;   in Loop: Header=BB309_3 Depth=1
	s_mov_b32 s58, 0
	s_cbranch_execz .LBB309_16
.LBB309_14:                             ;   in Loop: Header=BB309_3 Depth=1
	s_mov_b32 s59, s25
	s_mul_u64 s[6:7], s[42:43], s[10:11]
	s_lshl_b64 s[8:9], s[58:59], 3
	s_delay_alu instid0(SALU_CYCLE_1) | instskip(SKIP_2) | instid1(SALU_CYCLE_1)
	s_add_nc_u64 s[6:7], s[6:7], s[8:9]
	s_sub_co_i32 s8, s29, s58
	s_mul_u64 s[6:7], s[34:35], s[6:7]
	s_add_nc_u64 s[6:7], s[40:41], s[6:7]
.LBB309_15:                             ;   Parent Loop BB309_3 Depth=1
                                        ; =>  This Inner Loop Header: Depth=2
	s_add_co_i32 s8, s8, -1
	global_store_b64 v52, v[14:15], s[6:7]
	s_cmp_eq_u32 s8, 0
	s_wait_xcnt 0x0
	s_add_nc_u64 s[6:7], s[6:7], s[44:45]
	s_cbranch_scc0 .LBB309_15
.LBB309_16:                             ;   in Loop: Header=BB309_3 Depth=1
	s_wait_xcnt 0x0
	s_or_b32 exec_lo, exec_lo, s68
	s_mov_b32 s6, 0
.LBB309_17:                             ;   in Loop: Header=BB309_3 Depth=1
	s_delay_alu instid0(SALU_CYCLE_1)
	s_and_not1_b32 vcc_lo, exec_lo, s6
	s_cbranch_vccnz .LBB309_2
; %bb.18:                               ;   in Loop: Header=BB309_3 Depth=1
	v_add_nc_u64_e32 v[28:29], v[34:35], v[0:1]
	v_lshl_add_u64 v[18:19], v[2:3], 3, v[30:31]
	v_lshl_add_u64 v[20:21], v[4:5], 3, v[34:35]
	;; [unrolled: 1-line block ×5, first 2 shown]
	v_cmp_gt_u32_e64 s7, 24, v51
	v_cmp_gt_u32_e64 s6, 28, v51
	;; [unrolled: 1-line block ×3, first 2 shown]
	v_cmp_ne_u32_e64 s8, 31, v51
	s_and_not1_b32 vcc_lo, exec_lo, s63
	s_add_nc_u64 s[56:57], s[56:57], s[38:39]
	s_cbranch_vccnz .LBB309_65
; %bb.19:                               ;   in Loop: Header=BB309_3 Depth=1
	v_cndmask_b32_e64 v36, 0, 2, s9
	v_add_co_ci_u32_e64 v37, null, 0, v51, s8
	v_cndmask_b32_e64 v32, 0, 8, s7
	v_cndmask_b32_e64 v33, 0, 4, s6
	s_delay_alu instid0(VALU_DEP_4) | instskip(NEXT) | instid1(VALU_DEP_4)
	v_add_lshl_u32 v56, v36, v51, 2
	v_lshlrev_b32_e32 v57, 2, v37
	v_add_nc_u64_e32 v[34:35], v[34:35], v[0:1]
	v_mov_b64_e32 v[36:37], v[18:19]
	v_add_lshl_u32 v54, v32, v51, 2
	v_add_lshl_u32 v55, v33, v51, 2
	v_dual_mov_b32 v32, v17 :: v_dual_mov_b32 v33, v16
	s_mov_b32 s24, 0
	s_branch .LBB309_21
.LBB309_20:                             ;   in Loop: Header=BB309_21 Depth=2
	s_wait_xcnt 0x0
	s_or_b32 exec_lo, exec_lo, s6
	v_add_nc_u64_e32 v[36:37], s[50:51], v[36:37]
	s_add_co_i32 s24, s24, 4
	s_delay_alu instid0(SALU_CYCLE_1)
	s_cmp_ge_i32 s24, s61
	s_cbranch_scc1 .LBB309_66
.LBB309_21:                             ;   Parent Loop BB309_3 Depth=1
                                        ; =>  This Loop Header: Depth=2
                                        ;       Child Loop BB309_51 Depth 3
                                        ;       Child Loop BB309_53 Depth 3
                                        ; implicit-def: $vgpr43
                                        ; implicit-def: $vgpr45
                                        ; implicit-def: $vgpr41
                                        ; implicit-def: $vgpr39
	s_and_saveexec_b32 s6, s1
	s_delay_alu instid0(SALU_CYCLE_1)
	s_xor_b32 s6, exec_lo, s6
	s_cbranch_execnz .LBB309_48
; %bb.22:                               ;   in Loop: Header=BB309_21 Depth=2
	s_and_not1_saveexec_b32 s6, s6
	s_cbranch_execnz .LBB309_49
.LBB309_23:                             ;   in Loop: Header=BB309_21 Depth=2
	s_or_b32 exec_lo, exec_lo, s6
	s_and_saveexec_b32 s6, s3
.LBB309_24:                             ;   in Loop: Header=BB309_21 Depth=2
	ds_store_b64 v49, v[14:15]
.LBB309_25:                             ;   in Loop: Header=BB309_21 Depth=2
	s_or_b32 exec_lo, exec_lo, s6
	ds_bpermute_b32 v46, v53, v42
	ds_bpermute_b32 v47, v53, v43
	s_wait_storecnt_dscnt 0x0
	s_barrier_signal -1
	s_barrier_wait -1
	v_pk_add_f32 v[42:43], v[42:43], v[46:47]
	ds_bpermute_b32 v46, v54, v42
	ds_bpermute_b32 v47, v54, v43
	s_wait_dscnt 0x0
	v_pk_add_f32 v[42:43], v[42:43], v[46:47]
	ds_bpermute_b32 v46, v55, v42
	ds_bpermute_b32 v47, v55, v43
	s_wait_dscnt 0x0
	;; [unrolled: 4-line block ×3, first 2 shown]
	v_pk_add_f32 v[42:43], v[42:43], v[46:47]
	ds_bpermute_b32 v46, v57, v42
	ds_bpermute_b32 v47, v57, v43
	s_and_saveexec_b32 s6, s4
	s_cbranch_execz .LBB309_27
; %bb.26:                               ;   in Loop: Header=BB309_21 Depth=2
	s_wait_dscnt 0x0
	v_pk_add_f32 v[42:43], v[42:43], v[46:47]
	ds_store_b64 v50, v[42:43]
.LBB309_27:                             ;   in Loop: Header=BB309_21 Depth=2
	s_or_b32 exec_lo, exec_lo, s6
	v_mov_b64_e32 v[42:43], 0
	s_wait_dscnt 0x0
	s_barrier_signal -1
	s_barrier_wait -1
	s_and_saveexec_b32 s6, s5
	s_cbranch_execnz .LBB309_54
; %bb.28:                               ;   in Loop: Header=BB309_21 Depth=2
	s_or_b32 exec_lo, exec_lo, s6
	s_and_saveexec_b32 s6, s3
	s_cbranch_execnz .LBB309_55
.LBB309_29:                             ;   in Loop: Header=BB309_21 Depth=2
	s_or_b32 exec_lo, exec_lo, s6
	s_and_saveexec_b32 s6, s3
.LBB309_30:                             ;   in Loop: Header=BB309_21 Depth=2
	ds_store_b64 v49, v[14:15]
.LBB309_31:                             ;   in Loop: Header=BB309_21 Depth=2
	s_or_b32 exec_lo, exec_lo, s6
	ds_bpermute_b32 v46, v53, v44
	ds_bpermute_b32 v47, v53, v45
	s_wait_dscnt 0x0
	s_barrier_signal -1
	s_barrier_wait -1
	v_pk_add_f32 v[44:45], v[44:45], v[46:47]
	ds_bpermute_b32 v46, v54, v44
	ds_bpermute_b32 v47, v54, v45
	s_wait_dscnt 0x0
	v_pk_add_f32 v[44:45], v[44:45], v[46:47]
	ds_bpermute_b32 v46, v55, v44
	ds_bpermute_b32 v47, v55, v45
	s_wait_dscnt 0x0
	;; [unrolled: 4-line block ×3, first 2 shown]
	v_pk_add_f32 v[44:45], v[44:45], v[46:47]
	ds_bpermute_b32 v46, v57, v44
	ds_bpermute_b32 v47, v57, v45
	s_and_saveexec_b32 s6, s4
	s_cbranch_execz .LBB309_33
; %bb.32:                               ;   in Loop: Header=BB309_21 Depth=2
	s_wait_dscnt 0x0
	v_pk_add_f32 v[44:45], v[44:45], v[46:47]
	ds_store_b64 v50, v[44:45]
.LBB309_33:                             ;   in Loop: Header=BB309_21 Depth=2
	s_or_b32 exec_lo, exec_lo, s6
	v_mov_b64_e32 v[44:45], 0
	s_wait_dscnt 0x0
	s_barrier_signal -1
	s_barrier_wait -1
	s_and_saveexec_b32 s6, s5
	s_cbranch_execnz .LBB309_56
; %bb.34:                               ;   in Loop: Header=BB309_21 Depth=2
	s_or_b32 exec_lo, exec_lo, s6
	s_and_saveexec_b32 s6, s3
	s_cbranch_execnz .LBB309_57
.LBB309_35:                             ;   in Loop: Header=BB309_21 Depth=2
	s_or_b32 exec_lo, exec_lo, s6
	s_and_saveexec_b32 s6, s3
.LBB309_36:                             ;   in Loop: Header=BB309_21 Depth=2
	ds_store_b64 v49, v[14:15]
.LBB309_37:                             ;   in Loop: Header=BB309_21 Depth=2
	s_or_b32 exec_lo, exec_lo, s6
	ds_bpermute_b32 v46, v53, v40
	ds_bpermute_b32 v47, v53, v41
	s_wait_dscnt 0x0
	s_barrier_signal -1
	s_barrier_wait -1
	v_pk_add_f32 v[40:41], v[40:41], v[46:47]
	ds_bpermute_b32 v46, v54, v40
	ds_bpermute_b32 v47, v54, v41
	s_wait_dscnt 0x0
	v_pk_add_f32 v[40:41], v[40:41], v[46:47]
	ds_bpermute_b32 v46, v55, v40
	ds_bpermute_b32 v47, v55, v41
	s_wait_dscnt 0x0
	;; [unrolled: 4-line block ×3, first 2 shown]
	v_pk_add_f32 v[40:41], v[40:41], v[46:47]
	ds_bpermute_b32 v46, v57, v40
	ds_bpermute_b32 v47, v57, v41
	s_and_saveexec_b32 s6, s4
	s_cbranch_execz .LBB309_39
; %bb.38:                               ;   in Loop: Header=BB309_21 Depth=2
	s_wait_dscnt 0x0
	v_pk_add_f32 v[40:41], v[40:41], v[46:47]
	ds_store_b64 v50, v[40:41]
.LBB309_39:                             ;   in Loop: Header=BB309_21 Depth=2
	s_or_b32 exec_lo, exec_lo, s6
	v_mov_b64_e32 v[40:41], 0
	s_wait_dscnt 0x0
	s_barrier_signal -1
	s_barrier_wait -1
	s_and_saveexec_b32 s6, s5
	s_cbranch_execnz .LBB309_58
; %bb.40:                               ;   in Loop: Header=BB309_21 Depth=2
	s_or_b32 exec_lo, exec_lo, s6
	s_and_saveexec_b32 s6, s3
	s_cbranch_execnz .LBB309_59
.LBB309_41:                             ;   in Loop: Header=BB309_21 Depth=2
	s_or_b32 exec_lo, exec_lo, s6
	s_and_saveexec_b32 s6, s3
.LBB309_42:                             ;   in Loop: Header=BB309_21 Depth=2
	ds_store_b64 v49, v[14:15]
.LBB309_43:                             ;   in Loop: Header=BB309_21 Depth=2
	s_or_b32 exec_lo, exec_lo, s6
	ds_bpermute_b32 v46, v53, v38
	ds_bpermute_b32 v47, v53, v39
	s_wait_dscnt 0x0
	s_barrier_signal -1
	s_barrier_wait -1
	v_pk_add_f32 v[38:39], v[38:39], v[46:47]
	ds_bpermute_b32 v46, v54, v38
	ds_bpermute_b32 v47, v54, v39
	s_wait_dscnt 0x0
	v_pk_add_f32 v[38:39], v[38:39], v[46:47]
	ds_bpermute_b32 v46, v55, v38
	ds_bpermute_b32 v47, v55, v39
	s_wait_dscnt 0x0
	;; [unrolled: 4-line block ×3, first 2 shown]
	v_pk_add_f32 v[38:39], v[38:39], v[46:47]
	ds_bpermute_b32 v46, v57, v38
	ds_bpermute_b32 v47, v57, v39
	s_and_saveexec_b32 s6, s4
	s_cbranch_execz .LBB309_45
; %bb.44:                               ;   in Loop: Header=BB309_21 Depth=2
	s_wait_dscnt 0x0
	v_pk_add_f32 v[38:39], v[38:39], v[46:47]
	ds_store_b64 v50, v[38:39]
.LBB309_45:                             ;   in Loop: Header=BB309_21 Depth=2
	s_or_b32 exec_lo, exec_lo, s6
	v_mov_b64_e32 v[38:39], 0
	s_wait_dscnt 0x0
	s_barrier_signal -1
	s_barrier_wait -1
	s_and_saveexec_b32 s6, s5
	s_cbranch_execnz .LBB309_60
; %bb.46:                               ;   in Loop: Header=BB309_21 Depth=2
	s_or_b32 exec_lo, exec_lo, s6
	s_and_saveexec_b32 s6, s3
	s_cbranch_execnz .LBB309_61
.LBB309_47:                             ;   in Loop: Header=BB309_21 Depth=2
	s_or_b32 exec_lo, exec_lo, s6
	s_and_saveexec_b32 s6, s0
	s_cbranch_execz .LBB309_20
	s_branch .LBB309_62
.LBB309_48:                             ;   in Loop: Header=BB309_21 Depth=2
	flat_load_b64 v[46:47], v[20:21]
	s_mul_u64 s[8:9], s[24:25], s[26:27]
	s_or_b32 s70, s24, 3
	s_mov_b32 s71, s25
	v_lshl_add_u64 v[66:67], s[8:9], 3, v[18:19]
	s_mul_u64 s[8:9], s[70:71], s[26:27]
	s_or_b32 s58, s24, 1
	v_lshl_add_u64 v[78:79], s[8:9], 3, v[18:19]
	s_mov_b32 s59, s25
	s_or_b32 s68, s24, 2
	s_mul_u64 s[58:59], s[58:59], s[26:27]
	s_mov_b32 s69, s25
	v_lshl_add_u64 v[70:71], s[58:59], 3, v[18:19]
	s_mul_u64 s[8:9], s[68:69], s[26:27]
	s_delay_alu instid0(SALU_CYCLE_1)
	v_lshl_add_u64 v[74:75], s[8:9], 3, v[18:19]
	s_wait_loadcnt_dscnt 0x0
	ds_store_b64 v48, v[46:47]
	flat_load_b64 v[82:83], v[22:23]
	s_wait_loadcnt_dscnt 0x0
	ds_store_b64 v48, v[82:83] offset:8
	flat_load_b64 v[38:39], v[24:25]
	s_wait_loadcnt_dscnt 0x0
	ds_store_b64 v48, v[38:39] offset:16
	flat_load_b64 v[38:39], v[26:27]
	s_wait_loadcnt_dscnt 0x0
	ds_store_b64 v48, v[38:39] offset:24
	s_clause 0x7
	flat_load_b128 v[38:41], v[66:67]
	flat_load_b128 v[58:61], v[70:71]
	;; [unrolled: 1-line block ×4, first 2 shown]
	flat_load_b128 v[66:69], v[66:67] offset:16
	flat_load_b128 v[70:73], v[70:71] offset:16
	;; [unrolled: 1-line block ×4, first 2 shown]
	s_wait_loadcnt_dscnt 0x707
	v_dual_mul_f32 v84, v47, v39 :: v_dual_mul_f32 v85, v46, v39
	s_wait_loadcnt_dscnt 0x505
	v_dual_mul_f32 v39, v47, v43 :: v_dual_mul_f32 v87, v46, v43
	v_pk_mul_f32 v[88:89], v[82:83], v[44:45] op_sel:[1,0]
	v_pk_mul_f32 v[90:91], v[82:83], v[40:41] op_sel:[1,0]
	s_delay_alu instid0(VALU_DEP_3) | instskip(NEXT) | instid1(VALU_DEP_4)
	v_dual_mul_f32 v94, v47, v59 :: v_dual_fma_f32 v86, v46, v42, -v39
	v_fmac_f32_e32 v87, v47, v42
	s_delay_alu instid0(VALU_DEP_4)
	v_pk_fma_f32 v[42:43], v[82:83], v[44:45], v[88:89] op_sel:[0,0,1] op_sel_hi:[1,1,0] neg_lo:[0,0,1] neg_hi:[0,0,1]
	v_pk_fma_f32 v[44:45], v[82:83], v[44:45], v[88:89] op_sel:[0,0,1] op_sel_hi:[0,1,0]
	v_mul_f32_e32 v89, v46, v59
	s_wait_loadcnt_dscnt 0x404
	v_dual_mul_f32 v43, v47, v63 :: v_dual_fma_f32 v84, v46, v38, -v84
	v_dual_fmac_f32 v85, v47, v38 :: v_dual_mul_f32 v59, v46, v63
	v_pk_fma_f32 v[92:93], v[82:83], v[40:41], v[90:91] op_sel:[0,0,1] op_sel_hi:[1,1,0] neg_lo:[0,0,1] neg_hi:[0,0,1]
	v_pk_fma_f32 v[90:91], v[82:83], v[40:41], v[90:91] op_sel:[0,0,1] op_sel_hi:[0,1,0]
	v_pk_mul_f32 v[38:39], v[82:83], v[60:61] op_sel:[1,0]
	v_pk_mul_f32 v[40:41], v[82:83], v[64:65] op_sel:[1,0]
	v_dual_fma_f32 v88, v46, v58, -v94 :: v_dual_fmac_f32 v89, v47, v58
	v_fma_f32 v58, v46, v62, -v43
	v_fmac_f32_e32 v59, v47, v62
	v_pk_fma_f32 v[46:47], v[82:83], v[60:61], v[38:39] op_sel:[0,0,1] op_sel_hi:[1,1,0] neg_lo:[0,0,1] neg_hi:[0,0,1]
	v_pk_fma_f32 v[60:61], v[82:83], v[60:61], v[38:39] op_sel:[0,0,1] op_sel_hi:[0,1,0]
	v_pk_fma_f32 v[62:63], v[82:83], v[64:65], v[40:41] op_sel:[0,0,1] op_sel_hi:[1,1,0] neg_lo:[0,0,1] neg_hi:[0,0,1]
	v_pk_fma_f32 v[64:65], v[82:83], v[64:65], v[40:41] op_sel:[0,0,1] op_sel_hi:[0,1,0]
	ds_load_b128 v[38:41], v48 offset:16
	s_wait_loadcnt_dscnt 0x304
	v_dual_mov_b32 v44, v69 :: v_dual_mov_b32 v43, v45
	s_wait_dscnt 0x0
	v_dual_mov_b32 v93, v91 :: v_dual_mov_b32 v82, v41
	v_mov_b32_e32 v83, v40
	v_pk_mul_f32 v[96:97], v[38:39], v[66:67] op_sel:[1,1] op_sel_hi:[0,1]
	s_wait_loadcnt 0x2
	v_pk_mul_f32 v[100:101], v[38:39], v[70:71] op_sel:[1,1] op_sel_hi:[0,1]
	s_wait_loadcnt 0x1
	v_pk_mul_f32 v[104:105], v[38:39], v[74:75] op_sel:[1,1] op_sel_hi:[0,1]
	v_pk_add_f32 v[58:59], v[58:59], 0 op_sel_hi:[1,0]
	v_pk_mul_f32 v[94:95], v[82:83], v[44:45] op_sel_hi:[1,0]
	v_mov_b32_e32 v44, v73
	v_pk_fma_f32 v[98:99], v[38:39], v[66:67], v[96:97] neg_lo:[0,0,1] neg_hi:[0,0,1]
	s_wait_xcnt 0x3
	v_pk_fma_f32 v[66:67], v[38:39], v[66:67], v[96:97] op_sel_hi:[1,0,1]
	v_pk_fma_f32 v[102:103], v[38:39], v[70:71], v[100:101] neg_lo:[0,0,1] neg_hi:[0,0,1]
	v_pk_fma_f32 v[96:97], v[40:41], v[68:69], v[94:95] neg_lo:[0,0,1] neg_hi:[0,0,1]
	v_pk_fma_f32 v[68:69], v[40:41], v[68:69], v[94:95] op_sel_hi:[1,0,1]
	v_pk_mul_f32 v[94:95], v[82:83], v[44:45] op_sel_hi:[1,0]
	v_mov_b32_e32 v44, v77
	s_wait_xcnt 0x2
	v_pk_fma_f32 v[70:71], v[38:39], v[70:71], v[100:101] op_sel_hi:[1,0,1]
	v_mov_b32_e32 v99, v67
	v_pk_fma_f32 v[106:107], v[38:39], v[74:75], v[104:105] neg_lo:[0,0,1] neg_hi:[0,0,1]
	v_pk_fma_f32 v[100:101], v[40:41], v[72:73], v[94:95] neg_lo:[0,0,1] neg_hi:[0,0,1]
	v_pk_fma_f32 v[72:73], v[40:41], v[72:73], v[94:95] op_sel_hi:[1,0,1]
	v_pk_mul_f32 v[94:95], v[82:83], v[44:45] op_sel_hi:[1,0]
	s_wait_loadcnt 0x0
	v_mov_b32_e32 v44, v81
	s_wait_xcnt 0x1
	v_pk_fma_f32 v[74:75], v[38:39], v[74:75], v[104:105] op_sel_hi:[1,0,1]
	v_dual_mov_b32 v47, v61 :: v_dual_mov_b32 v103, v71
	v_pk_fma_f32 v[104:105], v[40:41], v[76:77], v[94:95] neg_lo:[0,0,1] neg_hi:[0,0,1]
	v_pk_mul_f32 v[82:83], v[82:83], v[44:45] op_sel_hi:[1,0]
	v_pk_mul_f32 v[44:45], v[38:39], v[78:79] op_sel:[1,1] op_sel_hi:[0,1]
	v_pk_fma_f32 v[76:77], v[40:41], v[76:77], v[94:95] op_sel_hi:[1,0,1]
	v_dual_mov_b32 v63, v65 :: v_dual_mov_b32 v107, v75
	v_pk_add_f32 v[60:61], v[84:85], 0 op_sel_hi:[1,0]
	s_delay_alu instid0(VALU_DEP_4)
	v_pk_fma_f32 v[94:95], v[38:39], v[78:79], v[44:45] op_sel_hi:[1,0,1]
	v_pk_fma_f32 v[38:39], v[38:39], v[78:79], v[44:45] neg_lo:[0,0,1] neg_hi:[0,0,1]
	v_pk_add_f32 v[44:45], v[86:87], 0 op_sel_hi:[1,0]
	v_pk_add_f32 v[64:65], v[88:89], 0 op_sel_hi:[1,0]
	v_pk_fma_f32 v[66:67], v[40:41], v[80:81], v[82:83] neg_lo:[0,0,1] neg_hi:[0,0,1]
	v_mov_b32_e32 v39, v95
	v_pk_fma_f32 v[40:41], v[40:41], v[80:81], v[82:83] op_sel_hi:[1,0,1]
	v_pk_add_f32 v[42:43], v[44:45], v[42:43]
	v_pk_add_f32 v[44:45], v[60:61], v[92:93]
	v_pk_add_f32 v[46:47], v[64:65], v[46:47]
	v_pk_add_f32 v[58:59], v[58:59], v[62:63]
	v_dual_mov_b32 v97, v69 :: v_dual_mov_b32 v101, v73
	v_dual_mov_b32 v105, v77 :: v_dual_mov_b32 v67, v41
	v_pk_add_f32 v[40:41], v[44:45], v[98:99]
	v_pk_add_f32 v[44:45], v[46:47], v[102:103]
	;; [unrolled: 1-line block ×4, first 2 shown]
	s_delay_alu instid0(VALU_DEP_4) | instskip(NEXT) | instid1(VALU_DEP_4)
	v_pk_add_f32 v[42:43], v[40:41], v[96:97]
	v_pk_add_f32 v[44:45], v[44:45], v[100:101]
	s_delay_alu instid0(VALU_DEP_4) | instskip(NEXT) | instid1(VALU_DEP_4)
	v_pk_add_f32 v[40:41], v[46:47], v[104:105]
	v_pk_add_f32 v[38:39], v[38:39], v[66:67]
	s_wait_xcnt 0x0
	s_and_not1_saveexec_b32 s6, s6
	s_cbranch_execz .LBB309_23
.LBB309_49:                             ;   in Loop: Header=BB309_21 Depth=2
	v_dual_mov_b32 v43, 0 :: v_dual_mov_b32 v42, 0
	v_dual_mov_b32 v45, 0 :: v_dual_mov_b32 v44, 0
	;; [unrolled: 1-line block ×3, first 2 shown]
	s_wait_dscnt 0x0
	v_dual_mov_b32 v39, 0 :: v_dual_mov_b32 v38, 0
	s_and_saveexec_b32 s7, s2
	s_cbranch_execz .LBB309_64
; %bb.50:                               ;   in Loop: Header=BB309_21 Depth=2
	v_mov_b64_e32 v[38:39], v[34:35]
	v_mov_b32_e32 v40, v48
	s_and_not1_b32 vcc_lo, exec_lo, s28
	s_mov_b32 s8, s62
	s_cbranch_vccnz .LBB309_63
.LBB309_51:                             ;   Parent Loop BB309_3 Depth=1
                                        ;     Parent Loop BB309_21 Depth=2
                                        ; =>    This Inner Loop Header: Depth=3
	flat_load_b64 v[42:43], v[38:39]
	s_wait_xcnt 0x0
	v_add_nc_u64_e32 v[38:39], s[46:47], v[38:39]
	s_add_co_i32 s8, s8, -1
	s_delay_alu instid0(SALU_CYCLE_1)
	s_cmp_eq_u32 s8, 0
	s_wait_loadcnt_dscnt 0x0
	ds_store_b64 v40, v[42:43]
	v_add_nc_u32_e32 v40, 8, v40
	s_cbranch_scc0 .LBB309_51
; %bb.52:                               ;   in Loop: Header=BB309_21 Depth=2
	v_dual_mov_b32 v38, 0 :: v_dual_mov_b32 v58, v48
	v_mov_b64_e32 v[46:47], v[36:37]
	s_mov_b32 s8, s62
	s_delay_alu instid0(VALU_DEP_2)
	v_dual_mov_b32 v39, v38 :: v_dual_mov_b32 v40, v38
	v_dual_mov_b32 v41, v38 :: v_dual_mov_b32 v44, v38
	;; [unrolled: 1-line block ×3, first 2 shown]
	v_mov_b32_e32 v43, v38
.LBB309_53:                             ;   Parent Loop BB309_3 Depth=1
                                        ;     Parent Loop BB309_21 Depth=2
                                        ; =>    This Inner Loop Header: Depth=3
	v_add_nc_u64_e32 v[60:61], s[54:55], v[46:47]
	v_add_nc_u64_e32 v[62:63], s[52:53], v[46:47]
	;; [unrolled: 1-line block ×3, first 2 shown]
	s_add_co_i32 s8, s8, -1
	s_clause 0x3
	flat_load_b64 v[66:67], v[46:47]
	flat_load_b64 v[60:61], v[60:61]
	;; [unrolled: 1-line block ×4, first 2 shown]
	ds_load_b64 v[68:69], v58
	s_wait_xcnt 0x3
	v_add_nc_u64_e32 v[46:47], 8, v[46:47]
	s_cmp_lg_u32 s8, 0
	s_wait_loadcnt_dscnt 0x300
	v_pk_mul_f32 v[70:71], v[68:69], v[66:67] op_sel:[1,1] op_sel_hi:[0,1]
	s_wait_loadcnt 0x1
	v_pk_mul_f32 v[74:75], v[68:69], v[62:63] op_sel:[1,1] op_sel_hi:[0,1]
	s_wait_loadcnt 0x0
	v_pk_mul_f32 v[76:77], v[68:69], v[64:65] op_sel:[1,1] op_sel_hi:[0,1]
	v_pk_fma_f32 v[72:73], v[68:69], v[66:67], v[70:71] neg_lo:[0,0,1] neg_hi:[0,0,1]
	v_pk_fma_f32 v[66:67], v[68:69], v[66:67], v[70:71] op_sel_hi:[1,0,1]
	v_pk_mul_f32 v[70:71], v[68:69], v[60:61] op_sel:[1,1] op_sel_hi:[0,1]
	v_add_nc_u32_e32 v58, 8, v58
	v_pk_fma_f32 v[78:79], v[68:69], v[64:65], v[76:77] op_sel_hi:[1,0,1]
	s_wait_xcnt 0x0
	v_pk_fma_f32 v[64:65], v[68:69], v[64:65], v[76:77] neg_lo:[0,0,1] neg_hi:[0,0,1]
	v_mov_b32_e32 v73, v67
	v_pk_fma_f32 v[66:67], v[68:69], v[60:61], v[70:71] neg_lo:[0,0,1] neg_hi:[0,0,1]
	v_pk_fma_f32 v[60:61], v[68:69], v[60:61], v[70:71] op_sel_hi:[1,0,1]
	v_pk_fma_f32 v[70:71], v[68:69], v[62:63], v[74:75] op_sel_hi:[1,0,1]
	v_pk_fma_f32 v[62:63], v[68:69], v[62:63], v[74:75] neg_lo:[0,0,1] neg_hi:[0,0,1]
	v_mov_b32_e32 v65, v79
	v_pk_add_f32 v[42:43], v[42:43], v[72:73]
	s_delay_alu instid0(VALU_DEP_4) | instskip(NEXT) | instid1(VALU_DEP_3)
	v_dual_mov_b32 v67, v61 :: v_dual_mov_b32 v63, v71
	v_pk_add_f32 v[38:39], v[38:39], v[64:65]
	s_delay_alu instid0(VALU_DEP_2) | instskip(NEXT) | instid1(VALU_DEP_3)
	v_pk_add_f32 v[44:45], v[44:45], v[66:67]
	v_pk_add_f32 v[40:41], v[40:41], v[62:63]
	s_cbranch_scc1 .LBB309_53
	s_branch .LBB309_64
.LBB309_54:                             ;   in Loop: Header=BB309_21 Depth=2
	ds_load_b64 v[42:43], v49
	s_or_b32 exec_lo, exec_lo, s6
	s_and_saveexec_b32 s6, s3
	s_cbranch_execz .LBB309_29
.LBB309_55:                             ;   in Loop: Header=BB309_21 Depth=2
	s_wait_dscnt 0x0
	ds_bpermute_b32 v46, v55, v42
	ds_bpermute_b32 v47, v55, v43
	s_wait_dscnt 0x0
	v_pk_add_f32 v[42:43], v[42:43], v[46:47]
	ds_bpermute_b32 v46, v56, v42
	ds_bpermute_b32 v47, v56, v43
	s_wait_dscnt 0x0
	v_pk_add_f32 v[42:43], v[42:43], v[46:47]
	;; [unrolled: 4-line block ×3, first 2 shown]
	s_or_b32 exec_lo, exec_lo, s6
	s_and_saveexec_b32 s6, s3
	s_cbranch_execnz .LBB309_30
	s_branch .LBB309_31
.LBB309_56:                             ;   in Loop: Header=BB309_21 Depth=2
	ds_load_b64 v[44:45], v49
	s_or_b32 exec_lo, exec_lo, s6
	s_and_saveexec_b32 s6, s3
	s_cbranch_execz .LBB309_35
.LBB309_57:                             ;   in Loop: Header=BB309_21 Depth=2
	s_wait_dscnt 0x0
	ds_bpermute_b32 v46, v55, v44
	ds_bpermute_b32 v47, v55, v45
	s_wait_dscnt 0x0
	v_pk_add_f32 v[44:45], v[44:45], v[46:47]
	ds_bpermute_b32 v46, v56, v44
	ds_bpermute_b32 v47, v56, v45
	s_wait_dscnt 0x0
	v_pk_add_f32 v[44:45], v[44:45], v[46:47]
	;; [unrolled: 4-line block ×3, first 2 shown]
	s_or_b32 exec_lo, exec_lo, s6
	s_and_saveexec_b32 s6, s3
	s_cbranch_execnz .LBB309_36
	s_branch .LBB309_37
.LBB309_58:                             ;   in Loop: Header=BB309_21 Depth=2
	ds_load_b64 v[40:41], v49
	s_or_b32 exec_lo, exec_lo, s6
	s_and_saveexec_b32 s6, s3
	s_cbranch_execz .LBB309_41
.LBB309_59:                             ;   in Loop: Header=BB309_21 Depth=2
	s_wait_dscnt 0x0
	ds_bpermute_b32 v46, v55, v40
	ds_bpermute_b32 v47, v55, v41
	s_wait_dscnt 0x0
	v_pk_add_f32 v[40:41], v[40:41], v[46:47]
	ds_bpermute_b32 v46, v56, v40
	ds_bpermute_b32 v47, v56, v41
	s_wait_dscnt 0x0
	v_pk_add_f32 v[40:41], v[40:41], v[46:47]
	;; [unrolled: 4-line block ×3, first 2 shown]
	s_or_b32 exec_lo, exec_lo, s6
	s_and_saveexec_b32 s6, s3
	s_cbranch_execnz .LBB309_42
	s_branch .LBB309_43
.LBB309_60:                             ;   in Loop: Header=BB309_21 Depth=2
	ds_load_b64 v[38:39], v49
	s_or_b32 exec_lo, exec_lo, s6
	s_and_saveexec_b32 s6, s3
	s_cbranch_execz .LBB309_47
.LBB309_61:                             ;   in Loop: Header=BB309_21 Depth=2
	s_wait_dscnt 0x0
	ds_bpermute_b32 v46, v55, v38
	ds_bpermute_b32 v47, v55, v39
	s_wait_dscnt 0x0
	v_pk_add_f32 v[38:39], v[38:39], v[46:47]
	ds_bpermute_b32 v46, v56, v38
	ds_bpermute_b32 v47, v56, v39
	s_wait_dscnt 0x0
	v_pk_add_f32 v[38:39], v[38:39], v[46:47]
	;; [unrolled: 4-line block ×3, first 2 shown]
	s_or_b32 exec_lo, exec_lo, s6
	s_and_saveexec_b32 s6, s0
	s_cbranch_execz .LBB309_20
.LBB309_62:                             ;   in Loop: Header=BB309_21 Depth=2
	v_pk_mul_f32 v[46:47], v[42:43], v[32:33] op_sel:[1,0]
	v_pk_mul_f32 v[58:59], v[44:45], v[32:33] op_sel:[1,0]
	s_mul_u64 s[8:9], s[24:25], s[34:35]
	s_or_b32 s58, s24, 1
	s_mov_b32 s59, s25
	v_pk_fma_f32 v[60:61], v[42:43], v[16:17], v[46:47] op_sel_hi:[0,1,1]
	v_pk_fma_f32 v[42:43], v[42:43], v[16:17], v[46:47] neg_lo:[0,0,1] neg_hi:[0,0,1]
	v_pk_fma_f32 v[46:47], v[44:45], v[16:17], v[58:59] op_sel_hi:[0,1,1]
	s_lshl_b64 s[8:9], s[8:9], 3
	s_mul_u64 s[58:59], s[58:59], s[34:35]
	v_mov_b32_e32 v43, v61
	v_pk_fma_f32 v[44:45], v[44:45], v[16:17], v[58:59] neg_lo:[0,0,1] neg_hi:[0,0,1]
	v_mov_b32_e32 v45, v47
	s_add_nc_u64 s[8:9], s[56:57], s[8:9]
	s_lshl_b64 s[58:59], s[58:59], 3
	global_store_b64 v52, v[42:43], s[8:9]
	s_wait_xcnt 0x0
	s_add_nc_u64 s[8:9], s[56:57], s[58:59]
	v_pk_mul_f32 v[42:43], v[40:41], v[32:33] op_sel:[1,0]
	global_store_b64 v52, v[44:45], s[8:9]
	s_wait_dscnt 0x0
	s_wait_xcnt 0x0
	v_pk_mul_f32 v[44:45], v[38:39], v[32:33] op_sel:[1,0]
	s_or_b32 s58, s24, 2
	s_mov_b32 s59, s25
	v_pk_fma_f32 v[46:47], v[40:41], v[16:17], v[42:43] op_sel_hi:[0,1,1]
	v_pk_fma_f32 v[40:41], v[40:41], v[16:17], v[42:43] neg_lo:[0,0,1] neg_hi:[0,0,1]
	v_pk_fma_f32 v[42:43], v[38:39], v[16:17], v[44:45] op_sel_hi:[0,1,1]
	s_mul_u64 s[8:9], s[58:59], s[34:35]
	s_or_b32 s58, s24, 3
	v_mov_b32_e32 v41, v47
	s_mul_u64 s[58:59], s[58:59], s[34:35]
	v_pk_fma_f32 v[38:39], v[38:39], v[16:17], v[44:45] neg_lo:[0,0,1] neg_hi:[0,0,1]
	s_lshl_b64 s[8:9], s[8:9], 3
	v_mov_b32_e32 v39, v43
	s_lshl_b64 s[58:59], s[58:59], 3
	s_add_nc_u64 s[8:9], s[56:57], s[8:9]
	s_add_nc_u64 s[58:59], s[56:57], s[58:59]
	s_clause 0x1
	global_store_b64 v52, v[40:41], s[8:9]
	global_store_b64 v52, v[38:39], s[58:59]
	s_branch .LBB309_20
.LBB309_63:                             ;   in Loop: Header=BB309_21 Depth=2
	v_mov_b32_e32 v43, 0
	s_delay_alu instid0(VALU_DEP_1)
	v_dual_mov_b32 v42, v43 :: v_dual_mov_b32 v45, v43
	v_dual_mov_b32 v44, v43 :: v_dual_mov_b32 v41, v43
	;; [unrolled: 1-line block ×3, first 2 shown]
	v_mov_b32_e32 v38, v43
.LBB309_64:                             ;   in Loop: Header=BB309_21 Depth=2
	s_or_b32 exec_lo, exec_lo, s7
	s_delay_alu instid0(SALU_CYCLE_1)
	s_or_b32 exec_lo, exec_lo, s6
	s_and_saveexec_b32 s6, s3
	s_cbranch_execnz .LBB309_24
	s_branch .LBB309_25
.LBB309_65:                             ;   in Loop: Header=BB309_3 Depth=1
	s_mov_b32 s24, 0
.LBB309_66:                             ;   in Loop: Header=BB309_3 Depth=1
	s_delay_alu instid0(SALU_CYCLE_1)
	s_cmp_ge_i32 s24, s29
	s_cbranch_scc1 .LBB309_2
; %bb.67:                               ;   in Loop: Header=BB309_3 Depth=1
	v_cmp_gt_u32_e32 vcc_lo, 24, v51
	v_add_nc_u64_e32 v[30:31], v[30:31], v[12:13]
	v_cndmask_b32_e64 v32, 0, 8, vcc_lo
	v_cmp_gt_u32_e32 vcc_lo, 28, v51
	s_delay_alu instid0(VALU_DEP_3) | instskip(SKIP_1) | instid1(VALU_DEP_3)
	v_mad_nc_u64_u32 v[30:31], s54, s24, v[30:31]
	s_wait_dscnt 0x0
	v_add_lshl_u32 v38, v32, v51, 2
	v_cndmask_b32_e64 v33, 0, 4, vcc_lo
	v_cmp_gt_u32_e32 vcc_lo, 30, v51
	v_mov_b32_e32 v32, v17
	s_delay_alu instid0(VALU_DEP_3) | instskip(SKIP_4) | instid1(VALU_DEP_4)
	v_add_lshl_u32 v39, v33, v51, 2
	v_cndmask_b32_e64 v34, 0, 2, vcc_lo
	v_cmp_ne_u32_e32 vcc_lo, 31, v51
	v_mad_u32 v31, s55, s24, v31
	v_mov_b32_e32 v33, v16
	v_add_lshl_u32 v40, v34, v51, 2
	v_add_co_ci_u32_e64 v35, null, 0, v51, vcc_lo
	s_delay_alu instid0(VALU_DEP_1)
	v_lshlrev_b32_e32 v41, 2, v35
	s_branch .LBB309_69
.LBB309_68:                             ;   in Loop: Header=BB309_69 Depth=2
	s_wait_xcnt 0x0
	s_or_b32 exec_lo, exec_lo, s6
	v_add_nc_u64_e32 v[30:31], s[54:55], v[30:31]
	s_add_co_i32 s24, s24, 1
	s_delay_alu instid0(SALU_CYCLE_1)
	s_cmp_ge_i32 s24, s29
	s_cbranch_scc1 .LBB309_2
.LBB309_69:                             ;   Parent Loop BB309_3 Depth=1
                                        ; =>  This Loop Header: Depth=2
                                        ;       Child Loop BB309_81 Depth 3
                                        ;       Child Loop BB309_83 Depth 3
                                        ; implicit-def: $vgpr35
	s_and_saveexec_b32 s6, s1
	s_delay_alu instid0(SALU_CYCLE_1)
	s_xor_b32 s6, exec_lo, s6
	s_cbranch_execnz .LBB309_78
; %bb.70:                               ;   in Loop: Header=BB309_69 Depth=2
	s_and_not1_saveexec_b32 s6, s6
	s_cbranch_execnz .LBB309_79
.LBB309_71:                             ;   in Loop: Header=BB309_69 Depth=2
	s_or_b32 exec_lo, exec_lo, s6
	s_and_saveexec_b32 s6, s3
.LBB309_72:                             ;   in Loop: Header=BB309_69 Depth=2
	ds_store_b64 v49, v[14:15]
.LBB309_73:                             ;   in Loop: Header=BB309_69 Depth=2
	s_or_b32 exec_lo, exec_lo, s6
	s_wait_dscnt 0x0
	ds_bpermute_b32 v36, v53, v34
	ds_bpermute_b32 v37, v53, v35
	s_wait_storecnt_dscnt 0x0
	s_barrier_signal -1
	s_barrier_wait -1
	v_pk_add_f32 v[34:35], v[34:35], v[36:37]
	ds_bpermute_b32 v36, v38, v34
	ds_bpermute_b32 v37, v38, v35
	s_wait_dscnt 0x0
	v_pk_add_f32 v[34:35], v[34:35], v[36:37]
	ds_bpermute_b32 v36, v39, v34
	ds_bpermute_b32 v37, v39, v35
	s_wait_dscnt 0x0
	;; [unrolled: 4-line block ×3, first 2 shown]
	v_pk_add_f32 v[34:35], v[34:35], v[36:37]
	ds_bpermute_b32 v36, v41, v34
	ds_bpermute_b32 v37, v41, v35
	s_and_saveexec_b32 s6, s4
	s_cbranch_execz .LBB309_75
; %bb.74:                               ;   in Loop: Header=BB309_69 Depth=2
	s_wait_dscnt 0x0
	v_pk_add_f32 v[34:35], v[34:35], v[36:37]
	ds_store_b64 v50, v[34:35]
.LBB309_75:                             ;   in Loop: Header=BB309_69 Depth=2
	s_or_b32 exec_lo, exec_lo, s6
	v_mov_b64_e32 v[34:35], 0
	s_wait_dscnt 0x0
	s_barrier_signal -1
	s_barrier_wait -1
	s_and_saveexec_b32 s6, s5
	s_cbranch_execnz .LBB309_85
; %bb.76:                               ;   in Loop: Header=BB309_69 Depth=2
	s_or_b32 exec_lo, exec_lo, s6
	s_and_saveexec_b32 s6, s3
	s_cbranch_execnz .LBB309_86
.LBB309_77:                             ;   in Loop: Header=BB309_69 Depth=2
	s_or_b32 exec_lo, exec_lo, s6
	s_and_saveexec_b32 s6, s0
	s_cbranch_execz .LBB309_68
	s_branch .LBB309_87
.LBB309_78:                             ;   in Loop: Header=BB309_69 Depth=2
	flat_load_b64 v[42:43], v[20:21]
	s_mul_u64 s[8:9], s[24:25], s[26:27]
	s_delay_alu instid0(SALU_CYCLE_1)
	v_lshl_add_u64 v[56:57], s[8:9], 3, v[18:19]
	s_wait_loadcnt_dscnt 0x0
	ds_store_b64 v48, v[42:43]
	flat_load_b64 v[44:45], v[22:23]
	s_wait_loadcnt_dscnt 0x0
	ds_store_b64 v48, v[44:45] offset:8
	flat_load_b64 v[46:47], v[24:25]
	s_wait_loadcnt_dscnt 0x0
	ds_store_b64 v48, v[46:47] offset:16
	flat_load_b64 v[54:55], v[26:27]
	s_wait_loadcnt_dscnt 0x0
	ds_store_b64 v48, v[54:55] offset:24
	s_clause 0x2
	flat_load_b64 v[58:59], v[56:57]
	flat_load_b128 v[34:37], v[56:57] offset:8
	flat_load_b64 v[56:57], v[56:57] offset:24
	s_wait_loadcnt_dscnt 0x202
	v_dual_mul_f32 v60, v43, v59 :: v_dual_mul_f32 v61, v42, v59
	s_wait_loadcnt_dscnt 0x101
	v_pk_mul_f32 v[62:63], v[44:45], v[34:35] op_sel:[1,1] op_sel_hi:[1,0]
	v_dual_mov_b32 v64, v37 :: v_dual_mov_b32 v65, v36
	s_delay_alu instid0(VALU_DEP_3) | instskip(NEXT) | instid1(VALU_DEP_3)
	v_dual_fma_f32 v60, v42, v58, -v60 :: v_dual_fmac_f32 v61, v43, v58
	v_pk_fma_f32 v[42:43], v[44:45], v[34:35], v[62:63] op_sel_hi:[0,1,1]
	v_pk_fma_f32 v[34:35], v[44:45], v[34:35], v[62:63] neg_lo:[0,0,1] neg_hi:[0,0,1]
	s_delay_alu instid0(VALU_DEP_4) | instskip(NEXT) | instid1(VALU_DEP_4)
	v_pk_mul_f32 v[58:59], v[46:47], v[64:65] op_sel:[1,0]
	v_pk_add_f32 v[44:45], v[60:61], 0 op_sel_hi:[1,0]
	s_delay_alu instid0(VALU_DEP_4) | instskip(SKIP_4) | instid1(VALU_DEP_2)
	v_mov_b32_e32 v35, v43
	s_wait_loadcnt_dscnt 0x0
	v_pk_mul_f32 v[60:61], v[54:55], v[56:57] op_sel:[1,1] op_sel_hi:[1,0]
	v_pk_fma_f32 v[42:43], v[46:47], v[36:37], v[58:59] op_sel_hi:[0,1,1]
	v_pk_fma_f32 v[36:37], v[46:47], v[36:37], v[58:59] neg_lo:[0,0,1] neg_hi:[0,0,1]
	v_mov_b32_e32 v37, v43
	v_pk_add_f32 v[34:35], v[44:45], v[34:35]
	v_pk_fma_f32 v[42:43], v[54:55], v[56:57], v[60:61] op_sel_hi:[0,1,1]
	v_pk_fma_f32 v[44:45], v[54:55], v[56:57], v[60:61] neg_lo:[0,0,1] neg_hi:[0,0,1]
	s_delay_alu instid0(VALU_DEP_3) | instskip(NEXT) | instid1(VALU_DEP_3)
	v_pk_add_f32 v[34:35], v[34:35], v[36:37]
	v_mov_b32_e32 v45, v43
	s_delay_alu instid0(VALU_DEP_1)
	v_pk_add_f32 v[34:35], v[34:35], v[44:45]
	s_wait_xcnt 0x0
	s_and_not1_saveexec_b32 s6, s6
	s_cbranch_execz .LBB309_71
.LBB309_79:                             ;   in Loop: Header=BB309_69 Depth=2
	s_wait_dscnt 0x0
	v_mov_b32_e32 v35, 0
	s_delay_alu instid0(VALU_DEP_1)
	v_mov_b32_e32 v34, v35
	s_and_saveexec_b32 s7, s64
	s_cbranch_execz .LBB309_84
; %bb.80:                               ;   in Loop: Header=BB309_69 Depth=2
	v_mov_b64_e32 v[34:35], v[28:29]
	v_mov_b32_e32 v36, v48
	s_mov_b32 s8, s62
.LBB309_81:                             ;   Parent Loop BB309_3 Depth=1
                                        ;     Parent Loop BB309_69 Depth=2
                                        ; =>    This Inner Loop Header: Depth=3
	flat_load_b64 v[42:43], v[34:35]
	s_wait_xcnt 0x0
	v_add_nc_u64_e32 v[34:35], s[46:47], v[34:35]
	s_add_co_i32 s8, s8, -1
	s_delay_alu instid0(SALU_CYCLE_1)
	s_cmp_eq_u32 s8, 0
	s_wait_loadcnt_dscnt 0x0
	ds_store_b64 v36, v[42:43]
	v_add_nc_u32_e32 v36, 8, v36
	s_cbranch_scc0 .LBB309_81
; %bb.82:                               ;   in Loop: Header=BB309_69 Depth=2
	v_dual_mov_b32 v34, 0 :: v_dual_mov_b32 v42, v48
	v_mov_b64_e32 v[36:37], v[30:31]
	s_mov_b32 s8, s62
	s_delay_alu instid0(VALU_DEP_2)
	v_mov_b32_e32 v35, v34
.LBB309_83:                             ;   Parent Loop BB309_3 Depth=1
                                        ;     Parent Loop BB309_69 Depth=2
                                        ; =>    This Inner Loop Header: Depth=3
	flat_load_b64 v[44:45], v[36:37]
	ds_load_b64 v[46:47], v42
	s_wait_xcnt 0x0
	v_add_nc_u64_e32 v[36:37], 8, v[36:37]
	s_add_co_i32 s8, s8, -1
	v_add_nc_u32_e32 v42, 8, v42
	s_cmp_lg_u32 s8, 0
	s_wait_loadcnt_dscnt 0x0
	v_pk_mul_f32 v[54:55], v[46:47], v[44:45] op_sel:[1,1] op_sel_hi:[0,1]
	s_delay_alu instid0(VALU_DEP_1) | instskip(SKIP_1) | instid1(VALU_DEP_2)
	v_pk_fma_f32 v[56:57], v[46:47], v[44:45], v[54:55] op_sel_hi:[1,0,1]
	v_pk_fma_f32 v[44:45], v[46:47], v[44:45], v[54:55] neg_lo:[0,0,1] neg_hi:[0,0,1]
	v_mov_b32_e32 v45, v57
	s_delay_alu instid0(VALU_DEP_1)
	v_pk_add_f32 v[34:35], v[34:35], v[44:45]
	s_cbranch_scc1 .LBB309_83
.LBB309_84:                             ;   in Loop: Header=BB309_69 Depth=2
	s_or_b32 exec_lo, exec_lo, s7
	s_delay_alu instid0(SALU_CYCLE_1)
	s_or_b32 exec_lo, exec_lo, s6
	s_and_saveexec_b32 s6, s3
	s_cbranch_execnz .LBB309_72
	s_branch .LBB309_73
.LBB309_85:                             ;   in Loop: Header=BB309_69 Depth=2
	ds_load_b64 v[34:35], v49
	s_or_b32 exec_lo, exec_lo, s6
	s_and_saveexec_b32 s6, s3
	s_cbranch_execz .LBB309_77
.LBB309_86:                             ;   in Loop: Header=BB309_69 Depth=2
	s_wait_dscnt 0x0
	ds_bpermute_b32 v36, v39, v34
	ds_bpermute_b32 v37, v39, v35
	s_wait_dscnt 0x0
	v_pk_add_f32 v[34:35], v[34:35], v[36:37]
	ds_bpermute_b32 v36, v40, v34
	ds_bpermute_b32 v37, v40, v35
	s_wait_dscnt 0x0
	v_pk_add_f32 v[34:35], v[34:35], v[36:37]
	;; [unrolled: 4-line block ×3, first 2 shown]
	s_or_b32 exec_lo, exec_lo, s6
	s_and_saveexec_b32 s6, s0
	s_cbranch_execz .LBB309_68
.LBB309_87:                             ;   in Loop: Header=BB309_69 Depth=2
	s_wait_dscnt 0x0
	v_pk_mul_f32 v[36:37], v[34:35], v[32:33] op_sel:[1,0]
	s_mul_u64 s[8:9], s[24:25], s[34:35]
	s_delay_alu instid0(SALU_CYCLE_1) | instskip(NEXT) | instid1(SALU_CYCLE_1)
	s_lshl_b64 s[8:9], s[8:9], 3
	s_add_nc_u64 s[8:9], s[56:57], s[8:9]
	s_delay_alu instid0(VALU_DEP_1) | instskip(SKIP_1) | instid1(VALU_DEP_2)
	v_pk_fma_f32 v[42:43], v[34:35], v[16:17], v[36:37] op_sel_hi:[0,1,1]
	v_pk_fma_f32 v[34:35], v[34:35], v[16:17], v[36:37] neg_lo:[0,0,1] neg_hi:[0,0,1]
	v_mov_b32_e32 v35, v43
	global_store_b64 v52, v[34:35], s[8:9]
	s_branch .LBB309_68
.LBB309_88:
	s_sendmsg sendmsg(MSG_DEALLOC_VGPRS)
	s_endpgm
	.section	.rodata,"a",@progbits
	.p2align	6, 0x0
	.amdhsa_kernel _ZL23rocblas_gemvt_sn_kernelILb0ELi256ELi4ElPK19rocblas_complex_numIfES3_S1_EviiT4_lPKT3_lilS7_lilPT5_i
		.amdhsa_group_segment_fixed_size 8448
		.amdhsa_private_segment_fixed_size 0
		.amdhsa_kernarg_size 360
		.amdhsa_user_sgpr_count 4
		.amdhsa_user_sgpr_dispatch_ptr 1
		.amdhsa_user_sgpr_queue_ptr 0
		.amdhsa_user_sgpr_kernarg_segment_ptr 1
		.amdhsa_user_sgpr_dispatch_id 0
		.amdhsa_user_sgpr_kernarg_preload_length 0
		.amdhsa_user_sgpr_kernarg_preload_offset 0
		.amdhsa_user_sgpr_private_segment_size 0
		.amdhsa_wavefront_size32 1
		.amdhsa_uses_dynamic_stack 0
		.amdhsa_enable_private_segment 0
		.amdhsa_system_sgpr_workgroup_id_x 1
		.amdhsa_system_sgpr_workgroup_id_y 0
		.amdhsa_system_sgpr_workgroup_id_z 1
		.amdhsa_system_sgpr_workgroup_info 0
		.amdhsa_system_vgpr_workitem_id 2
		.amdhsa_next_free_vgpr 108
		.amdhsa_next_free_sgpr 74
		.amdhsa_named_barrier_count 0
		.amdhsa_reserve_vcc 1
		.amdhsa_float_round_mode_32 0
		.amdhsa_float_round_mode_16_64 0
		.amdhsa_float_denorm_mode_32 3
		.amdhsa_float_denorm_mode_16_64 3
		.amdhsa_fp16_overflow 0
		.amdhsa_memory_ordered 1
		.amdhsa_forward_progress 1
		.amdhsa_inst_pref_size 44
		.amdhsa_round_robin_scheduling 0
		.amdhsa_exception_fp_ieee_invalid_op 0
		.amdhsa_exception_fp_denorm_src 0
		.amdhsa_exception_fp_ieee_div_zero 0
		.amdhsa_exception_fp_ieee_overflow 0
		.amdhsa_exception_fp_ieee_underflow 0
		.amdhsa_exception_fp_ieee_inexact 0
		.amdhsa_exception_int_div_zero 0
	.end_amdhsa_kernel
	.section	.text._ZL23rocblas_gemvt_sn_kernelILb0ELi256ELi4ElPK19rocblas_complex_numIfES3_S1_EviiT4_lPKT3_lilS7_lilPT5_i,"axG",@progbits,_ZL23rocblas_gemvt_sn_kernelILb0ELi256ELi4ElPK19rocblas_complex_numIfES3_S1_EviiT4_lPKT3_lilS7_lilPT5_i,comdat
.Lfunc_end309:
	.size	_ZL23rocblas_gemvt_sn_kernelILb0ELi256ELi4ElPK19rocblas_complex_numIfES3_S1_EviiT4_lPKT3_lilS7_lilPT5_i, .Lfunc_end309-_ZL23rocblas_gemvt_sn_kernelILb0ELi256ELi4ElPK19rocblas_complex_numIfES3_S1_EviiT4_lPKT3_lilS7_lilPT5_i
                                        ; -- End function
	.set _ZL23rocblas_gemvt_sn_kernelILb0ELi256ELi4ElPK19rocblas_complex_numIfES3_S1_EviiT4_lPKT3_lilS7_lilPT5_i.num_vgpr, 108
	.set _ZL23rocblas_gemvt_sn_kernelILb0ELi256ELi4ElPK19rocblas_complex_numIfES3_S1_EviiT4_lPKT3_lilS7_lilPT5_i.num_agpr, 0
	.set _ZL23rocblas_gemvt_sn_kernelILb0ELi256ELi4ElPK19rocblas_complex_numIfES3_S1_EviiT4_lPKT3_lilS7_lilPT5_i.numbered_sgpr, 74
	.set _ZL23rocblas_gemvt_sn_kernelILb0ELi256ELi4ElPK19rocblas_complex_numIfES3_S1_EviiT4_lPKT3_lilS7_lilPT5_i.num_named_barrier, 0
	.set _ZL23rocblas_gemvt_sn_kernelILb0ELi256ELi4ElPK19rocblas_complex_numIfES3_S1_EviiT4_lPKT3_lilS7_lilPT5_i.private_seg_size, 0
	.set _ZL23rocblas_gemvt_sn_kernelILb0ELi256ELi4ElPK19rocblas_complex_numIfES3_S1_EviiT4_lPKT3_lilS7_lilPT5_i.uses_vcc, 1
	.set _ZL23rocblas_gemvt_sn_kernelILb0ELi256ELi4ElPK19rocblas_complex_numIfES3_S1_EviiT4_lPKT3_lilS7_lilPT5_i.uses_flat_scratch, 1
	.set _ZL23rocblas_gemvt_sn_kernelILb0ELi256ELi4ElPK19rocblas_complex_numIfES3_S1_EviiT4_lPKT3_lilS7_lilPT5_i.has_dyn_sized_stack, 0
	.set _ZL23rocblas_gemvt_sn_kernelILb0ELi256ELi4ElPK19rocblas_complex_numIfES3_S1_EviiT4_lPKT3_lilS7_lilPT5_i.has_recursion, 0
	.set _ZL23rocblas_gemvt_sn_kernelILb0ELi256ELi4ElPK19rocblas_complex_numIfES3_S1_EviiT4_lPKT3_lilS7_lilPT5_i.has_indirect_call, 0
	.section	.AMDGPU.csdata,"",@progbits
; Kernel info:
; codeLenInByte = 5576
; TotalNumSgprs: 76
; NumVgprs: 108
; ScratchSize: 0
; MemoryBound: 0
; FloatMode: 240
; IeeeMode: 1
; LDSByteSize: 8448 bytes/workgroup (compile time only)
; SGPRBlocks: 0
; VGPRBlocks: 6
; NumSGPRsForWavesPerEU: 76
; NumVGPRsForWavesPerEU: 108
; NamedBarCnt: 0
; Occupancy: 9
; WaveLimiterHint : 0
; COMPUTE_PGM_RSRC2:SCRATCH_EN: 0
; COMPUTE_PGM_RSRC2:USER_SGPR: 4
; COMPUTE_PGM_RSRC2:TRAP_HANDLER: 0
; COMPUTE_PGM_RSRC2:TGID_X_EN: 1
; COMPUTE_PGM_RSRC2:TGID_Y_EN: 0
; COMPUTE_PGM_RSRC2:TGID_Z_EN: 1
; COMPUTE_PGM_RSRC2:TIDIG_COMP_CNT: 2
	.section	.text._ZL23rocblas_gemvt_sn_reduceILi256ELi8E19rocblas_complex_numIfEPKS1_KPS1_EviT2_lPT3_lilPT1_i,"axG",@progbits,_ZL23rocblas_gemvt_sn_reduceILi256ELi8E19rocblas_complex_numIfEPKS1_KPS1_EviT2_lPT3_lilPT1_i,comdat
	.globl	_ZL23rocblas_gemvt_sn_reduceILi256ELi8E19rocblas_complex_numIfEPKS1_KPS1_EviT2_lPT3_lilPT1_i ; -- Begin function _ZL23rocblas_gemvt_sn_reduceILi256ELi8E19rocblas_complex_numIfEPKS1_KPS1_EviT2_lPT3_lilPT1_i
	.p2align	8
	.type	_ZL23rocblas_gemvt_sn_reduceILi256ELi8E19rocblas_complex_numIfEPKS1_KPS1_EviT2_lPT3_lilPT1_i,@function
_ZL23rocblas_gemvt_sn_reduceILi256ELi8E19rocblas_complex_numIfEPKS1_KPS1_EviT2_lPT3_lilPT1_i: ; @_ZL23rocblas_gemvt_sn_reduceILi256ELi8E19rocblas_complex_numIfEPKS1_KPS1_EviT2_lPT3_lilPT1_i
; %bb.0:
	s_load_b32 s7, s[0:1], 0x40
	s_bfe_u32 s2, ttmp6, 0x40014
	s_lshr_b32 s3, ttmp7, 16
	s_add_co_i32 s2, s2, 1
	s_bfe_u32 s5, ttmp6, 0x40008
	s_mul_i32 s4, s3, s2
	s_getreg_b32 s2, hwreg(HW_REG_IB_STS2, 6, 4)
	s_add_co_i32 s5, s5, s4
	s_cmp_eq_u32 s2, 0
	s_mov_b32 s17, 0
	s_cselect_b32 s16, s3, s5
	s_wait_kmcnt 0x0
	s_cmp_ge_u32 s16, s7
	s_cbranch_scc1 .LBB310_21
; %bb.1:
	v_mbcnt_lo_u32_b32 v4, -1, 0
	s_clause 0x5
	s_load_b32 s18, s[0:1], 0x0
	s_load_b32 s30, s[0:1], 0x4c
	;; [unrolled: 1-line block ×4, first 2 shown]
	s_load_b64 s[20:21], s[0:1], 0x38
	s_load_b256 s[8:15], s[0:1], 0x8
	s_bfe_u32 s4, ttmp6, 0x40010
	s_wait_xcnt 0x0
	s_and_b32 s1, ttmp7, 0xffff
	s_add_co_i32 s4, s4, 1
	v_cmp_gt_u32_e32 vcc_lo, 24, v4
	s_bfe_u32 s5, ttmp6, 0x40004
	s_mul_i32 s4, s1, s4
	v_dual_mov_b32 v3, 0 :: v_dual_lshlrev_b32 v14, 3, v0
	v_cndmask_b32_e64 v5, 0, 8, vcc_lo
	v_cmp_gt_u32_e32 vcc_lo, 28, v4
	s_add_co_i32 s5, s5, s4
	v_and_b32_e32 v1, 31, v0
	v_lshl_or_b32 v16, v4, 2, 64
	v_add_lshl_u32 v17, v5, v4, 2
	v_cndmask_b32_e64 v6, 0, 4, vcc_lo
	v_cmp_gt_u32_e32 vcc_lo, 30, v4
	s_wait_kmcnt 0x0
	s_ashr_i32 s19, s18, 31
	s_ashr_i32 s25, s24, 31
	s_cmp_eq_u32 s2, 0
	v_lshrrev_b32_e32 v5, 2, v0
	v_cndmask_b32_e64 v7, 0, 2, vcc_lo
	v_cmp_ne_u32_e32 vcc_lo, 31, v4
	s_cselect_b32 s22, s1, s5
	s_lshr_b32 s1, s19, 29
	v_add_lshl_u32 v18, v6, v4, 2
	s_add_co_i32 s1, s18, s1
	v_add_co_ci_u32_e64 v8, null, 0, v4, vcc_lo
	v_add_lshl_u32 v19, v7, v4, 2
	v_dual_lshlrev_b32 v4, 6, v0 :: v_dual_bitop2_b32 v21, 56, v5 bitop3:0x40
	v_mov_b32_e32 v5, v3
	s_and_b32 s31, s1, -8
	v_cmp_gt_u32_e64 s0, 32, v0
	s_sub_co_i32 s2, s18, s31
	v_dual_lshlrev_b32 v15, 3, v1 :: v_dual_lshlrev_b32 v20, 2, v8
	v_xad_u32 v2, v0, -1, s18
	s_and_b32 s6, s3, 0xffff
	v_cmp_gt_u32_e64 s2, s2, v0
	v_cmp_eq_u32_e64 s3, 0, v1
	v_cmp_gt_u32_e64 s4, 8, v0
	v_cmp_eq_u32_e64 s5, 0, v0
	v_add_nc_u64_e32 v[0:1], s[20:21], v[4:5]
	v_mov_b64_e32 v[4:5], 0
	s_mov_b32 s23, s17
	v_cmp_gt_i32_e64 s1, s31, v14
	s_mul_u64 s[28:29], s[24:25], s[22:23]
	s_mul_i32 s23, s16, s30
	s_lshl_b32 s33, s6, 3
	s_lshl_b64 s[24:25], s[18:19], 3
	s_add_co_i32 s23, s22, s23
	s_lshl_b32 s34, s30, 16
	s_lshl_b32 s26, s6, 6
	s_mov_b32 s27, s17
	s_lshl_b64 s[14:15], s[14:15], 3
	s_lshl_b64 s[28:29], s[28:29], 3
	s_branch .LBB310_4
.LBB310_2:                              ;   in Loop: Header=BB310_4 Depth=1
	s_wait_dscnt 0x0
	flat_store_b64 v[8:9], v[10:11]
.LBB310_3:                              ;   in Loop: Header=BB310_4 Depth=1
	s_wait_xcnt 0x0
	s_or_b32 exec_lo, exec_lo, s35
	s_add_co_i32 s16, s16, 0x10000
	s_add_co_i32 s23, s23, s34
	s_cmp_lt_u32 s16, s7
	s_cbranch_scc0 .LBB310_21
.LBB310_4:                              ; =>This Loop Header: Depth=1
                                        ;     Child Loop BB310_14 Depth 2
	s_wait_dscnt 0x0
	v_mov_b32_e32 v10, s16
	s_mul_u64 s[36:37], s[10:11], s[16:17]
	s_delay_alu instid0(SALU_CYCLE_1) | instskip(NEXT) | instid1(SALU_CYCLE_1)
	s_lshl_b64 s[36:37], s[36:37], 3
	s_add_nc_u64 s[36:37], s[8:9], s[36:37]
	global_load_b64 v[8:9], v10, s[12:13] scale_offset
	global_load_b64 v[6:7], v3, s[36:37]
	s_wait_xcnt 0x1
	v_mov_b64_e32 v[10:11], 0
	s_wait_xcnt 0x0
	s_and_saveexec_b32 s6, s1
	s_cbranch_execnz .LBB310_13
; %bb.5:                                ;   in Loop: Header=BB310_4 Depth=1
	s_or_b32 exec_lo, exec_lo, s6
	s_and_saveexec_b32 s6, s2
	s_cbranch_execnz .LBB310_16
.LBB310_6:                              ;   in Loop: Header=BB310_4 Depth=1
	s_or_b32 exec_lo, exec_lo, s6
	s_and_saveexec_b32 s6, s0
.LBB310_7:                              ;   in Loop: Header=BB310_4 Depth=1
	ds_store_b64 v15, v[4:5]
.LBB310_8:                              ;   in Loop: Header=BB310_4 Depth=1
	s_or_b32 exec_lo, exec_lo, s6
	ds_bpermute_b32 v12, v16, v10
	ds_bpermute_b32 v13, v16, v11
	s_wait_loadcnt_dscnt 0x0
	s_barrier_signal -1
	s_barrier_wait -1
	v_pk_add_f32 v[10:11], v[10:11], v[12:13]
	ds_bpermute_b32 v12, v17, v10
	ds_bpermute_b32 v13, v17, v11
	s_wait_dscnt 0x0
	v_pk_add_f32 v[10:11], v[10:11], v[12:13]
	ds_bpermute_b32 v12, v18, v10
	ds_bpermute_b32 v13, v18, v11
	s_wait_dscnt 0x0
	;; [unrolled: 4-line block ×3, first 2 shown]
	v_pk_add_f32 v[10:11], v[10:11], v[12:13]
	ds_bpermute_b32 v12, v20, v10
	ds_bpermute_b32 v13, v20, v11
	s_and_saveexec_b32 s6, s3
	s_cbranch_execz .LBB310_10
; %bb.9:                                ;   in Loop: Header=BB310_4 Depth=1
	s_wait_dscnt 0x0
	v_pk_add_f32 v[10:11], v[10:11], v[12:13]
	ds_store_b64 v21, v[10:11]
.LBB310_10:                             ;   in Loop: Header=BB310_4 Depth=1
	s_or_b32 exec_lo, exec_lo, s6
	v_mov_b64_e32 v[10:11], 0
	s_wait_dscnt 0x0
	s_barrier_signal -1
	s_barrier_wait -1
	s_and_saveexec_b32 s6, s4
	s_cbranch_execnz .LBB310_17
; %bb.11:                               ;   in Loop: Header=BB310_4 Depth=1
	s_or_b32 exec_lo, exec_lo, s6
	s_and_saveexec_b32 s6, s0
	s_cbranch_execnz .LBB310_18
.LBB310_12:                             ;   in Loop: Header=BB310_4 Depth=1
	s_or_b32 exec_lo, exec_lo, s6
	s_and_saveexec_b32 s35, s5
	s_cbranch_execz .LBB310_3
	s_branch .LBB310_19
.LBB310_13:                             ;   in Loop: Header=BB310_4 Depth=1
	v_mad_nc_u64_u32 v[12:13], s24, s23, v[0:1]
	v_dual_mov_b32 v10, 0 :: v_dual_mov_b32 v22, v14
	s_mov_b32 s35, 0
	s_delay_alu instid0(VALU_DEP_1) | instskip(NEXT) | instid1(VALU_DEP_3)
	v_mov_b32_e32 v11, v10
	v_mad_u32 v13, s25, s23, v13
.LBB310_14:                             ;   Parent Loop BB310_4 Depth=1
                                        ; =>  This Inner Loop Header: Depth=2
	s_clause 0x3
	global_load_b128 v[24:27], v[12:13], off
	global_load_b128 v[28:31], v[12:13], off offset:16
	global_load_b128 v[32:35], v[12:13], off offset:32
	;; [unrolled: 1-line block ×3, first 2 shown]
	v_add_nc_u32_e32 v22, s33, v22
	s_wait_xcnt 0x0
	v_add_nc_u64_e32 v[12:13], s[26:27], v[12:13]
	s_delay_alu instid0(VALU_DEP_2) | instskip(SKIP_3) | instid1(VALU_DEP_1)
	v_cmp_le_i32_e32 vcc_lo, s31, v22
	s_or_b32 s35, vcc_lo, s35
	s_wait_loadcnt 0x3
	v_pk_add_f32 v[10:11], v[10:11], v[24:25]
	v_pk_add_f32 v[10:11], v[10:11], v[26:27]
	s_wait_loadcnt 0x2
	s_delay_alu instid0(VALU_DEP_1) | instskip(NEXT) | instid1(VALU_DEP_1)
	v_pk_add_f32 v[10:11], v[10:11], v[28:29]
	v_pk_add_f32 v[10:11], v[10:11], v[30:31]
	s_wait_loadcnt 0x1
	s_delay_alu instid0(VALU_DEP_1) | instskip(NEXT) | instid1(VALU_DEP_1)
	;; [unrolled: 4-line block ×3, first 2 shown]
	v_pk_add_f32 v[10:11], v[10:11], v[36:37]
	v_pk_add_f32 v[10:11], v[10:11], v[38:39]
	s_and_not1_b32 exec_lo, exec_lo, s35
	s_cbranch_execnz .LBB310_14
; %bb.15:                               ;   in Loop: Header=BB310_4 Depth=1
	s_or_b32 exec_lo, exec_lo, s35
	s_delay_alu instid0(SALU_CYCLE_1)
	s_or_b32 exec_lo, exec_lo, s6
	s_and_saveexec_b32 s6, s2
	s_cbranch_execz .LBB310_6
.LBB310_16:                             ;   in Loop: Header=BB310_4 Depth=1
	s_mul_i32 s35, s30, s16
	s_mov_b32 s37, s17
	s_add_co_i32 s36, s35, s22
	s_delay_alu instid0(SALU_CYCLE_1) | instskip(NEXT) | instid1(SALU_CYCLE_1)
	s_mul_u64 s[36:37], s[36:37], s[18:19]
	s_lshl_b64 s[36:37], s[36:37], 3
	s_delay_alu instid0(SALU_CYCLE_1) | instskip(NEXT) | instid1(SALU_CYCLE_1)
	s_add_nc_u64 s[36:37], s[20:21], s[36:37]
	v_lshl_add_u64 v[12:13], v[2:3], 3, s[36:37]
	global_load_b64 v[12:13], v[12:13], off
	s_wait_loadcnt 0x0
	v_pk_add_f32 v[10:11], v[10:11], v[12:13]
	s_wait_xcnt 0x0
	s_or_b32 exec_lo, exec_lo, s6
	s_and_saveexec_b32 s6, s0
	s_cbranch_execnz .LBB310_7
	s_branch .LBB310_8
.LBB310_17:                             ;   in Loop: Header=BB310_4 Depth=1
	ds_load_b64 v[10:11], v15
	s_or_b32 exec_lo, exec_lo, s6
	s_and_saveexec_b32 s6, s0
	s_cbranch_execz .LBB310_12
.LBB310_18:                             ;   in Loop: Header=BB310_4 Depth=1
	s_wait_dscnt 0x0
	ds_bpermute_b32 v12, v18, v10
	ds_bpermute_b32 v13, v18, v11
	s_wait_dscnt 0x0
	v_pk_add_f32 v[10:11], v[10:11], v[12:13]
	ds_bpermute_b32 v12, v19, v10
	ds_bpermute_b32 v13, v19, v11
	s_wait_dscnt 0x0
	v_pk_add_f32 v[10:11], v[10:11], v[12:13]
	ds_bpermute_b32 v12, v20, v10
	ds_bpermute_b32 v13, v20, v11
	s_wait_dscnt 0x0
	v_pk_add_f32 v[10:11], v[10:11], v[12:13]
	s_or_b32 exec_lo, exec_lo, s6
	s_and_saveexec_b32 s35, s5
	s_cbranch_execz .LBB310_3
.LBB310_19:                             ;   in Loop: Header=BB310_4 Depth=1
	v_add_nc_u64_e32 v[8:9], s[14:15], v[8:9]
	v_cmp_neq_f32_e32 vcc_lo, 0, v6
	v_cmp_neq_f32_e64 s6, 0, v7
	s_or_b32 s6, vcc_lo, s6
	v_add_nc_u64_e32 v[8:9], s[28:29], v[8:9]
	s_and_not1_b32 vcc_lo, exec_lo, s6
	s_cbranch_vccnz .LBB310_2
; %bb.20:                               ;   in Loop: Header=BB310_4 Depth=1
	flat_load_b64 v[12:13], v[8:9]
	s_wait_loadcnt_dscnt 0x0
	v_pk_mul_f32 v[22:23], v[6:7], v[12:13] op_sel:[1,1] op_sel_hi:[0,1]
	s_delay_alu instid0(VALU_DEP_1) | instskip(SKIP_1) | instid1(VALU_DEP_2)
	v_pk_fma_f32 v[24:25], v[6:7], v[12:13], v[22:23] op_sel_hi:[1,0,1]
	v_pk_fma_f32 v[6:7], v[6:7], v[12:13], v[22:23] neg_lo:[0,0,1] neg_hi:[0,0,1]
	v_mov_b32_e32 v7, v25
	s_delay_alu instid0(VALU_DEP_1)
	v_pk_add_f32 v[10:11], v[10:11], v[6:7]
	s_branch .LBB310_2
.LBB310_21:
	s_endpgm
	.section	.rodata,"a",@progbits
	.p2align	6, 0x0
	.amdhsa_kernel _ZL23rocblas_gemvt_sn_reduceILi256ELi8E19rocblas_complex_numIfEPKS1_KPS1_EviT2_lPT3_lilPT1_i
		.amdhsa_group_segment_fixed_size 256
		.amdhsa_private_segment_fixed_size 0
		.amdhsa_kernarg_size 328
		.amdhsa_user_sgpr_count 2
		.amdhsa_user_sgpr_dispatch_ptr 0
		.amdhsa_user_sgpr_queue_ptr 0
		.amdhsa_user_sgpr_kernarg_segment_ptr 1
		.amdhsa_user_sgpr_dispatch_id 0
		.amdhsa_user_sgpr_kernarg_preload_length 0
		.amdhsa_user_sgpr_kernarg_preload_offset 0
		.amdhsa_user_sgpr_private_segment_size 0
		.amdhsa_wavefront_size32 1
		.amdhsa_uses_dynamic_stack 0
		.amdhsa_enable_private_segment 0
		.amdhsa_system_sgpr_workgroup_id_x 1
		.amdhsa_system_sgpr_workgroup_id_y 1
		.amdhsa_system_sgpr_workgroup_id_z 1
		.amdhsa_system_sgpr_workgroup_info 0
		.amdhsa_system_vgpr_workitem_id 0
		.amdhsa_next_free_vgpr 40
		.amdhsa_next_free_sgpr 38
		.amdhsa_named_barrier_count 0
		.amdhsa_reserve_vcc 1
		.amdhsa_float_round_mode_32 0
		.amdhsa_float_round_mode_16_64 0
		.amdhsa_float_denorm_mode_32 3
		.amdhsa_float_denorm_mode_16_64 3
		.amdhsa_fp16_overflow 0
		.amdhsa_memory_ordered 1
		.amdhsa_forward_progress 1
		.amdhsa_inst_pref_size 11
		.amdhsa_round_robin_scheduling 0
		.amdhsa_exception_fp_ieee_invalid_op 0
		.amdhsa_exception_fp_denorm_src 0
		.amdhsa_exception_fp_ieee_div_zero 0
		.amdhsa_exception_fp_ieee_overflow 0
		.amdhsa_exception_fp_ieee_underflow 0
		.amdhsa_exception_fp_ieee_inexact 0
		.amdhsa_exception_int_div_zero 0
	.end_amdhsa_kernel
	.section	.text._ZL23rocblas_gemvt_sn_reduceILi256ELi8E19rocblas_complex_numIfEPKS1_KPS1_EviT2_lPT3_lilPT1_i,"axG",@progbits,_ZL23rocblas_gemvt_sn_reduceILi256ELi8E19rocblas_complex_numIfEPKS1_KPS1_EviT2_lPT3_lilPT1_i,comdat
.Lfunc_end310:
	.size	_ZL23rocblas_gemvt_sn_reduceILi256ELi8E19rocblas_complex_numIfEPKS1_KPS1_EviT2_lPT3_lilPT1_i, .Lfunc_end310-_ZL23rocblas_gemvt_sn_reduceILi256ELi8E19rocblas_complex_numIfEPKS1_KPS1_EviT2_lPT3_lilPT1_i
                                        ; -- End function
	.set _ZL23rocblas_gemvt_sn_reduceILi256ELi8E19rocblas_complex_numIfEPKS1_KPS1_EviT2_lPT3_lilPT1_i.num_vgpr, 40
	.set _ZL23rocblas_gemvt_sn_reduceILi256ELi8E19rocblas_complex_numIfEPKS1_KPS1_EviT2_lPT3_lilPT1_i.num_agpr, 0
	.set _ZL23rocblas_gemvt_sn_reduceILi256ELi8E19rocblas_complex_numIfEPKS1_KPS1_EviT2_lPT3_lilPT1_i.numbered_sgpr, 38
	.set _ZL23rocblas_gemvt_sn_reduceILi256ELi8E19rocblas_complex_numIfEPKS1_KPS1_EviT2_lPT3_lilPT1_i.num_named_barrier, 0
	.set _ZL23rocblas_gemvt_sn_reduceILi256ELi8E19rocblas_complex_numIfEPKS1_KPS1_EviT2_lPT3_lilPT1_i.private_seg_size, 0
	.set _ZL23rocblas_gemvt_sn_reduceILi256ELi8E19rocblas_complex_numIfEPKS1_KPS1_EviT2_lPT3_lilPT1_i.uses_vcc, 1
	.set _ZL23rocblas_gemvt_sn_reduceILi256ELi8E19rocblas_complex_numIfEPKS1_KPS1_EviT2_lPT3_lilPT1_i.uses_flat_scratch, 0
	.set _ZL23rocblas_gemvt_sn_reduceILi256ELi8E19rocblas_complex_numIfEPKS1_KPS1_EviT2_lPT3_lilPT1_i.has_dyn_sized_stack, 0
	.set _ZL23rocblas_gemvt_sn_reduceILi256ELi8E19rocblas_complex_numIfEPKS1_KPS1_EviT2_lPT3_lilPT1_i.has_recursion, 0
	.set _ZL23rocblas_gemvt_sn_reduceILi256ELi8E19rocblas_complex_numIfEPKS1_KPS1_EviT2_lPT3_lilPT1_i.has_indirect_call, 0
	.section	.AMDGPU.csdata,"",@progbits
; Kernel info:
; codeLenInByte = 1352
; TotalNumSgprs: 40
; NumVgprs: 40
; ScratchSize: 0
; MemoryBound: 0
; FloatMode: 240
; IeeeMode: 1
; LDSByteSize: 256 bytes/workgroup (compile time only)
; SGPRBlocks: 0
; VGPRBlocks: 2
; NumSGPRsForWavesPerEU: 40
; NumVGPRsForWavesPerEU: 40
; NamedBarCnt: 0
; Occupancy: 16
; WaveLimiterHint : 1
; COMPUTE_PGM_RSRC2:SCRATCH_EN: 0
; COMPUTE_PGM_RSRC2:USER_SGPR: 2
; COMPUTE_PGM_RSRC2:TRAP_HANDLER: 0
; COMPUTE_PGM_RSRC2:TGID_X_EN: 1
; COMPUTE_PGM_RSRC2:TGID_Y_EN: 1
; COMPUTE_PGM_RSRC2:TGID_Z_EN: 1
; COMPUTE_PGM_RSRC2:TIDIG_COMP_CNT: 0
	.section	.text._ZL23rocblas_gemvt_sn_kernelILb0ELi256ELi4EiPK19rocblas_complex_numIfES1_S1_EviiT4_lPKT3_lilS7_lilPT5_i,"axG",@progbits,_ZL23rocblas_gemvt_sn_kernelILb0ELi256ELi4EiPK19rocblas_complex_numIfES1_S1_EviiT4_lPKT3_lilS7_lilPT5_i,comdat
	.globl	_ZL23rocblas_gemvt_sn_kernelILb0ELi256ELi4EiPK19rocblas_complex_numIfES1_S1_EviiT4_lPKT3_lilS7_lilPT5_i ; -- Begin function _ZL23rocblas_gemvt_sn_kernelILb0ELi256ELi4EiPK19rocblas_complex_numIfES1_S1_EviiT4_lPKT3_lilS7_lilPT5_i
	.p2align	8
	.type	_ZL23rocblas_gemvt_sn_kernelILb0ELi256ELi4EiPK19rocblas_complex_numIfES1_S1_EviiT4_lPKT3_lilS7_lilPT5_i,@function
_ZL23rocblas_gemvt_sn_kernelILb0ELi256ELi4EiPK19rocblas_complex_numIfES1_S1_EviiT4_lPKT3_lilS7_lilPT5_i: ; @_ZL23rocblas_gemvt_sn_kernelILb0ELi256ELi4EiPK19rocblas_complex_numIfES1_S1_EviiT4_lPKT3_lilS7_lilPT5_i
; %bb.0:
	s_load_b32 s33, s[2:3], 0x60
	s_bfe_u32 s4, ttmp6, 0x40014
	s_lshr_b32 s5, ttmp7, 16
	s_add_co_i32 s4, s4, 1
	s_bfe_u32 s7, ttmp6, 0x40008
	s_mul_i32 s6, s5, s4
	s_getreg_b32 s4, hwreg(HW_REG_IB_STS2, 6, 4)
	s_add_co_i32 s7, s7, s6
	s_cmp_eq_u32 s4, 0
	s_mov_b32 s25, 0
	s_cselect_b32 s10, s5, s7
	s_wait_kmcnt 0x0
	s_cmp_ge_u32 s10, s33
	s_cbranch_scc1 .LBB311_90
; %bb.1:
	s_load_b64 s[6:7], s[0:1], 0x4
	s_clause 0x6
	s_load_b128 s[12:15], s[2:3], 0x0
	s_load_b128 s[16:19], s[2:3], 0x18
	s_load_b32 s52, s[2:3], 0x28
	s_load_b128 s[20:23], s[2:3], 0x38
	s_load_b32 s53, s[2:3], 0x48
	s_load_b64 s[26:27], s[2:3], 0x58
	s_load_b32 s28, s[2:3], 0x68
	v_and_b32_e32 v1, 0x3ff, v0
	v_bfe_u32 v2, v0, 10, 10
	v_bfe_u32 v3, v0, 20, 10
	v_mbcnt_lo_u32_b32 v42, -1, 0
	v_mov_b64_e32 v[12:13], 0
	s_wait_xcnt 0x0
	v_cmp_eq_u32_e64 s0, 0, v1
	v_cmp_gt_u32_e64 s5, 8, v1
	s_mov_b32 s31, s25
	v_lshl_or_b32 v43, v42, 2, 64
	s_mov_b32 s29, s25
	v_mov_b32_e32 v41, 0
	s_wait_kmcnt 0x0
	s_lshr_b32 s1, s6, 16
	s_or_b32 s2, s14, s15
	s_mul_i32 s1, s1, s7
	s_bitset0_b32 s2, 31
	v_mul_u32_u24_e32 v2, s7, v2
	s_cmp_lg_u32 s2, 0
	v_mul_lo_u32 v4, s1, v1
	s_cselect_b32 s54, -1, 0
	s_cmp_eq_u32 s2, 0
	s_mov_b32 s6, s13
	s_cselect_b32 s55, -1, 0
	s_ashr_i32 s7, s13, 31
	s_cmp_gt_i32 s13, 0
	s_mul_u64 s[34:35], s[6:7], s[28:29]
	s_cselect_b32 s1, -1, 0
	s_bfe_u32 s2, ttmp6, 0x4000c
	s_and_b32 s3, ttmp6, 15
	s_add_co_i32 s2, s2, 1
	s_and_b32 s56, s0, s1
	s_mul_i32 s2, ttmp9, s2
	v_add3_u32 v2, v4, v2, v3
	s_add_co_i32 s3, s3, s2
	s_cmp_eq_u32 s4, 0
	s_mov_b32 s36, s15
	s_cselect_b32 s30, ttmp9, s3
	s_ashr_i32 s2, s12, 31
	s_lshl_b32 s3, s30, 10
	v_lshl_add_u32 v38, v2, 5, 0x100
	s_lshr_b32 s2, s2, 30
	v_lshl_or_b32 v2, v1, 2, s3
	s_add_co_i32 s2, s12, s2
	s_lshr_b32 s1, s7, 30
	s_and_b32 s2, s2, -4
	s_add_co_i32 s1, s13, s1
	v_mul_lo_u32 v4, s53, v2
	s_sub_co_i32 s58, s12, s2
	s_delay_alu instid0(SALU_CYCLE_1) | instskip(SKIP_3) | instid1(VALU_DEP_2)
	v_dual_add_nc_u32 v5, 4, v2 :: v_dual_add_nc_u32 v6, s58, v2
	s_and_b32 s57, s1, -4
	v_ashrrev_i32_e32 v3, 31, v2
	s_cmp_gt_i32 s57, 0
	v_cmp_ge_i32_e64 s1, s12, v5
	v_and_b32_e32 v5, 31, v0
	v_cmp_ge_i32_e64 s2, s12, v6
	v_lshrrev_b32_e32 v6, 2, v0
	s_cselect_b32 s59, -1, 0
	s_cmp_gt_i32 s58, 0
	v_dual_lshlrev_b32 v39, 3, v5 :: v_dual_add_nc_u32 v0, s53, v4
	s_delay_alu instid0(VALU_DEP_2)
	v_and_b32_e32 v40, 56, v6
	s_cselect_b32 s12, -1, 0
	v_cmp_gt_u32_e64 s3, 32, v1
	s_and_b32 s60, s12, s2
	v_dual_add_nc_u32 v6, s53, v0 :: v_dual_ashrrev_i32 v1, 31, v0
	s_cmp_gt_u32 s13, 1
	v_lshlrev_b64_e32 v[10:11], 3, v[2:3]
	s_cselect_b32 s8, -1, 0
	s_cmp_eq_u32 s28, 1
	v_add_nc_u32_e32 v8, s53, v6
	s_cselect_b32 s9, -1, 0
	s_and_b32 s61, s13, 0x7ffffffe
	s_and_b32 s62, s8, s9
	s_cmp_lg_u32 s13, s61
	v_cmp_eq_u32_e64 s4, 0, v5
	v_dual_ashrrev_i32 v5, 31, v4 :: v_dual_ashrrev_i32 v7, 31, v6
	v_ashrrev_i32_e32 v9, 31, v8
	s_cselect_b32 s63, -1, 0
	s_lshl_b64 s[38:39], s[30:31], 3
	s_mov_b32 s37, s14
	s_add_nc_u64 s[40:41], s[26:27], s[38:39]
	s_lshl_b64 s[42:43], s[6:7], 3
	s_lshl_b64 s[44:45], s[28:29], 3
	s_lshl_b32 s31, s52, 2
	s_lshl_b32 s64, s52, 1
	s_mul_i32 s65, s52, 3
	s_lshl_b64 s[18:19], s[18:19], 3
	s_lshl_b64 s[22:23], s[22:23], 3
	s_branch .LBB311_3
.LBB311_2:                              ;   in Loop: Header=BB311_3 Depth=1
	s_add_co_i32 s10, s10, 0x10000
	s_delay_alu instid0(SALU_CYCLE_1)
	s_cmp_lt_u32 s10, s33
	s_cbranch_scc0 .LBB311_90
.LBB311_3:                              ; =>This Loop Header: Depth=1
                                        ;     Child Loop BB311_11 Depth 2
                                        ;     Child Loop BB311_17 Depth 2
	;; [unrolled: 1-line block ×3, first 2 shown]
                                        ;       Child Loop BB311_53 Depth 3
                                        ;       Child Loop BB311_55 Depth 3
                                        ;     Child Loop BB311_71 Depth 2
                                        ;       Child Loop BB311_83 Depth 3
                                        ;       Child Loop BB311_85 Depth 3
	s_mov_b32 s11, s25
	s_and_not1_b32 vcc_lo, exec_lo, s55
	s_mov_b32 s6, -1
	s_cbranch_vccz .LBB311_13
; %bb.4:                                ;   in Loop: Header=BB311_3 Depth=1
	v_mov_b64_e32 v[14:15], 0
	v_mov_b64_e32 v[26:27], 0
	s_and_not1_b32 vcc_lo, exec_lo, s6
	s_cbranch_vccz .LBB311_14
.LBB311_5:                              ;   in Loop: Header=BB311_3 Depth=1
	s_and_not1_b32 vcc_lo, exec_lo, s54
	s_cbranch_vccnz .LBB311_7
.LBB311_6:                              ;   in Loop: Header=BB311_3 Depth=1
	s_wait_xcnt 0x0
	s_lshl_b64 s[6:7], s[10:11], 3
	s_delay_alu instid0(SALU_CYCLE_1)
	s_add_nc_u64 s[6:7], s[20:21], s[6:7]
	global_load_b64 v[14:15], v41, s[6:7]
	s_wait_loadcnt 0x0
	v_add_nc_u64_e32 v[14:15], s[22:23], v[14:15]
.LBB311_7:                              ;   in Loop: Header=BB311_3 Depth=1
	s_wait_xcnt 0x0
	s_mul_u64 s[6:7], s[34:35], s[10:11]
	s_and_not1_b32 vcc_lo, exec_lo, s55
	s_lshl_b64 s[6:7], s[6:7], 3
	s_delay_alu instid0(SALU_CYCLE_1)
	s_add_nc_u64 s[46:47], s[26:27], s[6:7]
	s_mov_b32 s6, -1
	s_cbranch_vccnz .LBB311_19
; %bb.8:                                ;   in Loop: Header=BB311_3 Depth=1
	s_and_saveexec_b32 s50, s56
	s_cbranch_execz .LBB311_18
; %bb.9:                                ;   in Loop: Header=BB311_3 Depth=1
	s_and_not1_b32 vcc_lo, exec_lo, s62
	s_cbranch_vccnz .LBB311_15
; %bb.10:                               ;   in Loop: Header=BB311_3 Depth=1
	s_add_nc_u64 s[6:7], s[46:47], s[38:39]
	s_mov_b32 s8, 1
	s_mov_b32 s24, 0
	;; [unrolled: 1-line block ×3, first 2 shown]
.LBB311_11:                             ;   Parent Loop BB311_3 Depth=1
                                        ; =>  This Inner Loop Header: Depth=2
	s_mov_b32 s9, s25
	s_wait_xcnt 0x1
	s_lshl_b64 s[66:67], s[24:25], 3
	s_add_co_i32 s49, s49, -2
	s_add_co_i32 s24, s24, 2
	s_wait_xcnt 0x0
	s_lshl_b64 s[68:69], s[8:9], 3
	s_add_co_i32 s8, s8, 2
	s_mov_b32 s48, s61
	s_mov_b32 s51, s63
	s_add_nc_u64 s[66:67], s[6:7], s[66:67]
	s_cmp_lg_u32 s49, 0
	s_add_nc_u64 s[68:69], s[6:7], s[68:69]
	s_clause 0x1
	global_store_b64 v41, v[12:13], s[66:67]
	global_store_b64 v41, v[12:13], s[68:69]
	s_cbranch_scc1 .LBB311_11
; %bb.12:                               ;   in Loop: Header=BB311_3 Depth=1
	s_and_b32 vcc_lo, exec_lo, s51
	s_cbranch_vccnz .LBB311_16
	s_branch .LBB311_18
.LBB311_13:                             ;   in Loop: Header=BB311_3 Depth=1
	v_mov_b64_e32 v[14:15], 0
	v_mov_b64_e32 v[26:27], 0
	s_cbranch_execnz .LBB311_5
.LBB311_14:                             ;   in Loop: Header=BB311_3 Depth=1
	s_lshl_b64 s[6:7], s[10:11], 3
	s_delay_alu instid0(SALU_CYCLE_1)
	s_add_nc_u64 s[6:7], s[16:17], s[6:7]
	global_load_b64 v[16:17], v41, s[6:7]
	s_wait_loadcnt 0x0
	v_add_nc_u64_e32 v[26:27], s[18:19], v[16:17]
	s_and_not1_b32 vcc_lo, exec_lo, s54
	s_cbranch_vccz .LBB311_6
	s_branch .LBB311_7
.LBB311_15:                             ;   in Loop: Header=BB311_3 Depth=1
	s_mov_b32 s48, 0
	s_cbranch_execz .LBB311_18
.LBB311_16:                             ;   in Loop: Header=BB311_3 Depth=1
	s_mov_b32 s49, s25
	s_mul_u64 s[6:7], s[42:43], s[10:11]
	s_lshl_b64 s[8:9], s[48:49], 3
	s_delay_alu instid0(SALU_CYCLE_1) | instskip(SKIP_2) | instid1(SALU_CYCLE_1)
	s_add_nc_u64 s[6:7], s[6:7], s[8:9]
	s_sub_co_i32 s8, s13, s48
	s_mul_u64 s[6:7], s[28:29], s[6:7]
	s_add_nc_u64 s[6:7], s[40:41], s[6:7]
.LBB311_17:                             ;   Parent Loop BB311_3 Depth=1
                                        ; =>  This Inner Loop Header: Depth=2
	s_add_co_i32 s8, s8, -1
	global_store_b64 v41, v[12:13], s[6:7]
	s_cmp_eq_u32 s8, 0
	s_wait_xcnt 0x0
	s_add_nc_u64 s[6:7], s[6:7], s[44:45]
	s_cbranch_scc0 .LBB311_17
.LBB311_18:                             ;   in Loop: Header=BB311_3 Depth=1
	s_wait_xcnt 0x0
	s_or_b32 exec_lo, exec_lo, s50
	s_mov_b32 s6, 0
.LBB311_19:                             ;   in Loop: Header=BB311_3 Depth=1
	s_delay_alu instid0(SALU_CYCLE_1)
	s_and_not1_b32 vcc_lo, exec_lo, s6
	s_cbranch_vccnz .LBB311_2
; %bb.20:                               ;   in Loop: Header=BB311_3 Depth=1
	v_lshl_add_u64 v[16:17], v[2:3], 3, v[26:27]
	v_add_nc_u64_e32 v[26:27], v[26:27], v[10:11]
	v_lshl_add_u64 v[18:19], v[4:5], 3, v[14:15]
	v_lshl_add_u64 v[20:21], v[0:1], 3, v[14:15]
	;; [unrolled: 1-line block ×4, first 2 shown]
	v_cmp_gt_u32_e64 s9, 24, v42
	v_cmp_gt_u32_e64 s8, 28, v42
	;; [unrolled: 1-line block ×3, first 2 shown]
	v_cmp_ne_u32_e64 s6, 31, v42
	s_and_not1_b32 vcc_lo, exec_lo, s59
	s_cbranch_vccnz .LBB311_67
; %bb.21:                               ;   in Loop: Header=BB311_3 Depth=1
	s_wait_dscnt 0x0
	v_cndmask_b32_e64 v28, 0, 8, s9
	v_cndmask_b32_e64 v29, 0, 4, s8
	v_cndmask_b32_e64 v30, 0, 2, s7
	v_add_co_ci_u32_e64 v31, null, 0, v42, s6
	s_delay_alu instid0(VALU_DEP_4) | instskip(NEXT) | instid1(VALU_DEP_4)
	v_add_lshl_u32 v44, v28, v42, 2
	v_add_lshl_u32 v45, v29, v42, 2
	s_delay_alu instid0(VALU_DEP_4) | instskip(NEXT) | instid1(VALU_DEP_4)
	v_add_lshl_u32 v46, v30, v42, 2
	v_lshlrev_b32_e32 v47, 2, v31
	s_mov_b32 s6, 0
	s_mov_b32 s11, s65
	;; [unrolled: 1-line block ×5, first 2 shown]
	s_branch .LBB311_23
.LBB311_22:                             ;   in Loop: Header=BB311_23 Depth=2
	s_wait_xcnt 0x0
	s_or_b32 exec_lo, exec_lo, s7
	s_add_co_i32 s24, s24, 4
	s_add_co_i32 s67, s67, s31
	;; [unrolled: 1-line block ×5, first 2 shown]
	s_cmp_ge_i32 s24, s57
	s_cbranch_scc1 .LBB311_68
.LBB311_23:                             ;   Parent Loop BB311_3 Depth=1
                                        ; =>  This Loop Header: Depth=2
                                        ;       Child Loop BB311_53 Depth 3
                                        ;       Child Loop BB311_55 Depth 3
                                        ; implicit-def: $vgpr35
                                        ; implicit-def: $vgpr33
                                        ; implicit-def: $vgpr31
                                        ; implicit-def: $vgpr29
	s_and_saveexec_b32 s7, s1
	s_delay_alu instid0(SALU_CYCLE_1)
	s_xor_b32 s7, exec_lo, s7
	s_cbranch_execnz .LBB311_50
; %bb.24:                               ;   in Loop: Header=BB311_23 Depth=2
	s_and_not1_saveexec_b32 s68, s7
	s_cbranch_execnz .LBB311_51
.LBB311_25:                             ;   in Loop: Header=BB311_23 Depth=2
	s_or_b32 exec_lo, exec_lo, s68
	s_and_saveexec_b32 s7, s3
.LBB311_26:                             ;   in Loop: Header=BB311_23 Depth=2
	ds_store_b64 v39, v[12:13]
.LBB311_27:                             ;   in Loop: Header=BB311_23 Depth=2
	s_or_b32 exec_lo, exec_lo, s7
	ds_bpermute_b32 v36, v43, v34
	ds_bpermute_b32 v37, v43, v35
	s_wait_storecnt_dscnt 0x0
	s_barrier_signal -1
	s_barrier_wait -1
	v_pk_add_f32 v[34:35], v[34:35], v[36:37]
	ds_bpermute_b32 v36, v44, v34
	ds_bpermute_b32 v37, v44, v35
	s_wait_dscnt 0x0
	v_pk_add_f32 v[34:35], v[34:35], v[36:37]
	ds_bpermute_b32 v36, v45, v34
	ds_bpermute_b32 v37, v45, v35
	s_wait_dscnt 0x0
	;; [unrolled: 4-line block ×3, first 2 shown]
	v_pk_add_f32 v[34:35], v[34:35], v[36:37]
	ds_bpermute_b32 v36, v47, v34
	ds_bpermute_b32 v37, v47, v35
	s_and_saveexec_b32 s7, s4
	s_cbranch_execz .LBB311_29
; %bb.28:                               ;   in Loop: Header=BB311_23 Depth=2
	s_wait_dscnt 0x0
	v_pk_add_f32 v[34:35], v[34:35], v[36:37]
	ds_store_b64 v40, v[34:35]
.LBB311_29:                             ;   in Loop: Header=BB311_23 Depth=2
	s_or_b32 exec_lo, exec_lo, s7
	v_mov_b64_e32 v[34:35], 0
	s_wait_dscnt 0x0
	s_barrier_signal -1
	s_barrier_wait -1
	s_and_saveexec_b32 s7, s5
	s_cbranch_execnz .LBB311_56
; %bb.30:                               ;   in Loop: Header=BB311_23 Depth=2
	s_or_b32 exec_lo, exec_lo, s7
	s_and_saveexec_b32 s7, s3
	s_cbranch_execnz .LBB311_57
.LBB311_31:                             ;   in Loop: Header=BB311_23 Depth=2
	s_or_b32 exec_lo, exec_lo, s7
	s_and_saveexec_b32 s7, s3
.LBB311_32:                             ;   in Loop: Header=BB311_23 Depth=2
	ds_store_b64 v39, v[12:13]
.LBB311_33:                             ;   in Loop: Header=BB311_23 Depth=2
	s_or_b32 exec_lo, exec_lo, s7
	ds_bpermute_b32 v36, v43, v32
	ds_bpermute_b32 v37, v43, v33
	s_wait_dscnt 0x0
	s_barrier_signal -1
	s_barrier_wait -1
	v_pk_add_f32 v[32:33], v[32:33], v[36:37]
	ds_bpermute_b32 v36, v44, v32
	ds_bpermute_b32 v37, v44, v33
	s_wait_dscnt 0x0
	v_pk_add_f32 v[32:33], v[32:33], v[36:37]
	ds_bpermute_b32 v36, v45, v32
	ds_bpermute_b32 v37, v45, v33
	s_wait_dscnt 0x0
	;; [unrolled: 4-line block ×3, first 2 shown]
	v_pk_add_f32 v[32:33], v[32:33], v[36:37]
	ds_bpermute_b32 v36, v47, v32
	ds_bpermute_b32 v37, v47, v33
	s_and_saveexec_b32 s7, s4
	s_cbranch_execz .LBB311_35
; %bb.34:                               ;   in Loop: Header=BB311_23 Depth=2
	s_wait_dscnt 0x0
	v_pk_add_f32 v[32:33], v[32:33], v[36:37]
	ds_store_b64 v40, v[32:33]
.LBB311_35:                             ;   in Loop: Header=BB311_23 Depth=2
	s_or_b32 exec_lo, exec_lo, s7
	v_mov_b64_e32 v[32:33], 0
	s_wait_dscnt 0x0
	s_barrier_signal -1
	s_barrier_wait -1
	s_and_saveexec_b32 s7, s5
	s_cbranch_execnz .LBB311_58
; %bb.36:                               ;   in Loop: Header=BB311_23 Depth=2
	s_or_b32 exec_lo, exec_lo, s7
	s_and_saveexec_b32 s7, s3
	s_cbranch_execnz .LBB311_59
.LBB311_37:                             ;   in Loop: Header=BB311_23 Depth=2
	s_or_b32 exec_lo, exec_lo, s7
	s_and_saveexec_b32 s7, s3
.LBB311_38:                             ;   in Loop: Header=BB311_23 Depth=2
	ds_store_b64 v39, v[12:13]
.LBB311_39:                             ;   in Loop: Header=BB311_23 Depth=2
	s_or_b32 exec_lo, exec_lo, s7
	ds_bpermute_b32 v36, v43, v30
	ds_bpermute_b32 v37, v43, v31
	s_wait_dscnt 0x0
	s_barrier_signal -1
	s_barrier_wait -1
	v_pk_add_f32 v[30:31], v[30:31], v[36:37]
	ds_bpermute_b32 v36, v44, v30
	ds_bpermute_b32 v37, v44, v31
	s_wait_dscnt 0x0
	v_pk_add_f32 v[30:31], v[30:31], v[36:37]
	ds_bpermute_b32 v36, v45, v30
	ds_bpermute_b32 v37, v45, v31
	s_wait_dscnt 0x0
	;; [unrolled: 4-line block ×3, first 2 shown]
	v_pk_add_f32 v[30:31], v[30:31], v[36:37]
	ds_bpermute_b32 v36, v47, v30
	ds_bpermute_b32 v37, v47, v31
	s_and_saveexec_b32 s7, s4
	s_cbranch_execz .LBB311_41
; %bb.40:                               ;   in Loop: Header=BB311_23 Depth=2
	s_wait_dscnt 0x0
	v_pk_add_f32 v[30:31], v[30:31], v[36:37]
	ds_store_b64 v40, v[30:31]
.LBB311_41:                             ;   in Loop: Header=BB311_23 Depth=2
	s_or_b32 exec_lo, exec_lo, s7
	v_mov_b64_e32 v[30:31], 0
	s_wait_dscnt 0x0
	s_barrier_signal -1
	s_barrier_wait -1
	s_and_saveexec_b32 s7, s5
	s_cbranch_execnz .LBB311_60
; %bb.42:                               ;   in Loop: Header=BB311_23 Depth=2
	s_or_b32 exec_lo, exec_lo, s7
	s_and_saveexec_b32 s7, s3
	s_cbranch_execnz .LBB311_61
.LBB311_43:                             ;   in Loop: Header=BB311_23 Depth=2
	s_or_b32 exec_lo, exec_lo, s7
	s_and_saveexec_b32 s7, s3
.LBB311_44:                             ;   in Loop: Header=BB311_23 Depth=2
	ds_store_b64 v39, v[12:13]
.LBB311_45:                             ;   in Loop: Header=BB311_23 Depth=2
	s_or_b32 exec_lo, exec_lo, s7
	ds_bpermute_b32 v36, v43, v28
	ds_bpermute_b32 v37, v43, v29
	s_wait_dscnt 0x0
	s_barrier_signal -1
	s_barrier_wait -1
	v_pk_add_f32 v[28:29], v[28:29], v[36:37]
	ds_bpermute_b32 v36, v44, v28
	ds_bpermute_b32 v37, v44, v29
	s_wait_dscnt 0x0
	v_pk_add_f32 v[28:29], v[28:29], v[36:37]
	ds_bpermute_b32 v36, v45, v28
	ds_bpermute_b32 v37, v45, v29
	s_wait_dscnt 0x0
	;; [unrolled: 4-line block ×3, first 2 shown]
	v_pk_add_f32 v[28:29], v[28:29], v[36:37]
	ds_bpermute_b32 v36, v47, v28
	ds_bpermute_b32 v37, v47, v29
	s_and_saveexec_b32 s7, s4
	s_cbranch_execz .LBB311_47
; %bb.46:                               ;   in Loop: Header=BB311_23 Depth=2
	s_wait_dscnt 0x0
	v_pk_add_f32 v[28:29], v[28:29], v[36:37]
	ds_store_b64 v40, v[28:29]
.LBB311_47:                             ;   in Loop: Header=BB311_23 Depth=2
	s_or_b32 exec_lo, exec_lo, s7
	v_mov_b64_e32 v[28:29], 0
	s_wait_dscnt 0x0
	s_barrier_signal -1
	s_barrier_wait -1
	s_and_saveexec_b32 s7, s5
	s_cbranch_execnz .LBB311_62
; %bb.48:                               ;   in Loop: Header=BB311_23 Depth=2
	s_or_b32 exec_lo, exec_lo, s7
	s_and_saveexec_b32 s7, s3
	s_cbranch_execnz .LBB311_63
.LBB311_49:                             ;   in Loop: Header=BB311_23 Depth=2
	s_or_b32 exec_lo, exec_lo, s7
	s_and_saveexec_b32 s7, s0
	s_cbranch_execz .LBB311_22
	s_branch .LBB311_64
.LBB311_50:                             ;   in Loop: Header=BB311_23 Depth=2
	flat_load_b64 v[36:37], v[18:19]
	s_mul_i32 s8, s24, s52
	s_delay_alu instid0(SALU_CYCLE_1)
	s_add_co_i32 s48, s8, s52
	s_ashr_i32 s9, s8, 31
	s_add_co_i32 s50, s48, s52
	v_lshl_add_u64 v[56:57], s[8:9], 3, v[16:17]
	s_add_co_i32 s68, s50, s52
	s_ashr_i32 s49, s48, 31
	s_ashr_i32 s69, s68, 31
	;; [unrolled: 1-line block ×3, first 2 shown]
	v_lshl_add_u64 v[74:75], s[68:69], 3, v[16:17]
	v_lshl_add_u64 v[60:61], s[48:49], 3, v[16:17]
	;; [unrolled: 1-line block ×3, first 2 shown]
	s_wait_loadcnt_dscnt 0x0
	ds_store_b64 v38, v[36:37]
	flat_load_b64 v[72:73], v[20:21]
	s_wait_loadcnt_dscnt 0x0
	ds_store_b64 v38, v[72:73] offset:8
	flat_load_b64 v[28:29], v[22:23]
	s_wait_loadcnt_dscnt 0x0
	ds_store_b64 v38, v[28:29] offset:16
	;; [unrolled: 3-line block ×3, first 2 shown]
	s_clause 0x6
	flat_load_b128 v[28:31], v[56:57]
	flat_load_b128 v[32:35], v[74:75]
	;; [unrolled: 1-line block ×4, first 2 shown]
	flat_load_b128 v[56:59], v[56:57] offset:16
	flat_load_b128 v[60:63], v[60:61] offset:16
	flat_load_b128 v[64:67], v[64:65] offset:16
	ds_load_b128 v[68:71], v38 offset:16
	s_wait_dscnt 0x0
	v_dual_mov_b32 v76, v71 :: v_dual_mov_b32 v77, v70
	s_wait_loadcnt 0x4
	v_mul_f32_e32 v92, v37, v49
	s_wait_loadcnt 0x3
	v_mul_f32_e32 v94, v37, v53
	v_dual_mul_f32 v78, v37, v29 :: v_dual_mul_f32 v79, v36, v29
	v_pk_mul_f32 v[82:83], v[72:73], v[34:35] op_sel:[1,0]
	v_dual_mul_f32 v29, v37, v33 :: v_dual_mul_f32 v81, v36, v33
	v_pk_mul_f32 v[84:85], v[72:73], v[30:31] op_sel:[1,0]
	v_mul_f32_e32 v33, v36, v49
	s_delay_alu instid0(VALU_DEP_4)
	v_pk_fma_f32 v[86:87], v[72:73], v[34:35], v[82:83] op_sel:[0,0,1] op_sel_hi:[1,1,0] neg_lo:[0,0,1] neg_hi:[0,0,1]
	v_pk_fma_f32 v[34:35], v[72:73], v[34:35], v[82:83] op_sel:[0,0,1] op_sel_hi:[0,1,0]
	v_pk_mul_f32 v[82:83], v[72:73], v[50:51] op_sel:[1,0]
	v_dual_mul_f32 v49, v36, v53 :: v_dual_fma_f32 v80, v36, v32, -v29
	s_wait_loadcnt 0x1
	v_dual_fmac_f32 v81, v37, v32 :: v_dual_mov_b32 v34, v63
	v_pk_mul_f32 v[88:89], v[72:73], v[54:55] op_sel:[1,0]
	v_dual_fma_f32 v78, v36, v28, -v78 :: v_dual_fmac_f32 v79, v37, v28
	v_pk_fma_f32 v[90:91], v[72:73], v[30:31], v[84:85] op_sel:[0,0,1] op_sel_hi:[1,1,0] neg_lo:[0,0,1] neg_hi:[0,0,1]
	v_pk_fma_f32 v[84:85], v[72:73], v[30:31], v[84:85] op_sel:[0,0,1] op_sel_hi:[0,1,0]
	v_mov_b32_e32 v28, v59
	v_pk_mul_f32 v[30:31], v[68:69], v[56:57] op_sel:[1,1] op_sel_hi:[0,1]
	v_dual_fma_f32 v32, v36, v48, -v92 :: v_dual_fmac_f32 v33, v37, v48
	v_pk_fma_f32 v[92:93], v[72:73], v[50:51], v[82:83] op_sel:[0,0,1] op_sel_hi:[1,1,0] neg_lo:[0,0,1] neg_hi:[0,0,1]
	v_pk_fma_f32 v[50:51], v[72:73], v[50:51], v[82:83] op_sel:[0,0,1] op_sel_hi:[0,1,0]
	v_dual_fma_f32 v48, v36, v52, -v94 :: v_dual_fmac_f32 v49, v37, v52
	v_pk_mul_f32 v[82:83], v[68:69], v[60:61] op_sel:[1,1] op_sel_hi:[0,1]
	v_pk_fma_f32 v[36:37], v[72:73], v[54:55], v[88:89] op_sel:[0,0,1] op_sel_hi:[1,1,0] neg_lo:[0,0,1] neg_hi:[0,0,1]
	v_pk_fma_f32 v[52:53], v[72:73], v[54:55], v[88:89] op_sel:[0,0,1] op_sel_hi:[0,1,0]
	v_pk_mul_f32 v[28:29], v[76:77], v[28:29] op_sel_hi:[1,0]
	s_wait_loadcnt 0x0
	v_mov_b32_e32 v50, v67
	v_pk_fma_f32 v[54:55], v[68:69], v[56:57], v[30:31] neg_lo:[0,0,1] neg_hi:[0,0,1]
	s_wait_xcnt 0x2
	v_pk_fma_f32 v[56:57], v[68:69], v[56:57], v[30:31] op_sel_hi:[1,0,1]
	v_pk_mul_f32 v[30:31], v[76:77], v[34:35] op_sel_hi:[1,0]
	v_pk_fma_f32 v[72:73], v[70:71], v[58:59], v[28:29] neg_lo:[0,0,1] neg_hi:[0,0,1]
	v_pk_fma_f32 v[58:59], v[70:71], v[58:59], v[28:29] op_sel_hi:[1,0,1]
	v_pk_fma_f32 v[88:89], v[68:69], v[60:61], v[82:83] neg_lo:[0,0,1] neg_hi:[0,0,1]
	s_wait_xcnt 0x1
	v_pk_fma_f32 v[60:61], v[68:69], v[60:61], v[82:83] op_sel_hi:[1,0,1]
	v_pk_fma_f32 v[82:83], v[70:71], v[62:63], v[30:31] neg_lo:[0,0,1] neg_hi:[0,0,1]
	v_pk_fma_f32 v[62:63], v[70:71], v[62:63], v[30:31] op_sel_hi:[1,0,1]
	v_pk_mul_f32 v[28:29], v[68:69], v[64:65] op_sel:[1,1] op_sel_hi:[0,1]
	v_pk_mul_f32 v[30:31], v[76:77], v[50:51] op_sel_hi:[1,0]
	v_dual_mov_b32 v87, v35 :: v_dual_mov_b32 v91, v85
	v_mov_b32_e32 v55, v57
	s_delay_alu instid0(VALU_DEP_4)
	v_pk_fma_f32 v[94:95], v[68:69], v[64:65], v[28:29] neg_lo:[0,0,1] neg_hi:[0,0,1]
	s_wait_xcnt 0x0
	v_pk_fma_f32 v[64:65], v[68:69], v[64:65], v[28:29] op_sel_hi:[1,0,1]
	v_pk_fma_f32 v[96:97], v[70:71], v[66:67], v[30:31] neg_lo:[0,0,1] neg_hi:[0,0,1]
	v_pk_fma_f32 v[66:67], v[70:71], v[66:67], v[30:31] op_sel_hi:[1,0,1]
	flat_load_b128 v[28:31], v[74:75] offset:16
	v_dual_mov_b32 v93, v51 :: v_dual_mov_b32 v89, v61
	v_dual_mov_b32 v37, v53 :: v_dual_mov_b32 v95, v65
	v_pk_add_f32 v[50:51], v[78:79], 0 op_sel_hi:[1,0]
	v_pk_add_f32 v[32:33], v[32:33], 0 op_sel_hi:[1,0]
	;; [unrolled: 1-line block ×3, first 2 shown]
	v_dual_mov_b32 v73, v59 :: v_dual_mov_b32 v83, v63
	s_delay_alu instid0(VALU_DEP_4) | instskip(NEXT) | instid1(VALU_DEP_4)
	v_pk_add_f32 v[50:51], v[50:51], v[90:91]
	v_pk_add_f32 v[32:33], v[32:33], v[92:93]
	s_delay_alu instid0(VALU_DEP_4) | instskip(NEXT) | instid1(VALU_DEP_2)
	v_pk_add_f32 v[36:37], v[48:49], v[36:37]
	v_pk_add_f32 v[32:33], v[32:33], v[88:89]
	s_delay_alu instid0(VALU_DEP_2) | instskip(NEXT) | instid1(VALU_DEP_2)
	v_pk_add_f32 v[36:37], v[36:37], v[94:95]
	v_pk_add_f32 v[32:33], v[32:33], v[82:83]
	s_wait_loadcnt_dscnt 0x0
	v_mov_b32_e32 v34, v31
	s_wait_xcnt 0x0
	s_delay_alu instid0(VALU_DEP_1) | instskip(SKIP_1) | instid1(VALU_DEP_2)
	v_pk_mul_f32 v[74:75], v[76:77], v[34:35] op_sel_hi:[1,0]
	v_pk_mul_f32 v[34:35], v[68:69], v[28:29] op_sel:[1,1] op_sel_hi:[0,1]
	v_pk_fma_f32 v[52:53], v[70:71], v[30:31], v[74:75] neg_lo:[0,0,1] neg_hi:[0,0,1]
	s_delay_alu instid0(VALU_DEP_2) | instskip(SKIP_3) | instid1(VALU_DEP_4)
	v_pk_fma_f32 v[76:77], v[68:69], v[28:29], v[34:35] op_sel_hi:[1,0,1]
	v_pk_fma_f32 v[28:29], v[68:69], v[28:29], v[34:35] neg_lo:[0,0,1] neg_hi:[0,0,1]
	v_pk_add_f32 v[34:35], v[80:81], 0 op_sel_hi:[1,0]
	v_pk_fma_f32 v[30:31], v[70:71], v[30:31], v[74:75] op_sel_hi:[1,0,1]
	v_dual_mov_b32 v97, v67 :: v_dual_mov_b32 v29, v77
	s_delay_alu instid0(VALU_DEP_3) | instskip(NEXT) | instid1(VALU_DEP_3)
	v_pk_add_f32 v[34:35], v[34:35], v[86:87]
	v_mov_b32_e32 v53, v31
	v_pk_add_f32 v[30:31], v[50:51], v[54:55]
	s_delay_alu instid0(VALU_DEP_3) | instskip(NEXT) | instid1(VALU_DEP_2)
	v_pk_add_f32 v[28:29], v[34:35], v[28:29]
	v_pk_add_f32 v[34:35], v[30:31], v[72:73]
	;; [unrolled: 1-line block ×3, first 2 shown]
	s_delay_alu instid0(VALU_DEP_3)
	v_pk_add_f32 v[28:29], v[28:29], v[52:53]
	s_and_not1_saveexec_b32 s68, s7
	s_cbranch_execz .LBB311_25
.LBB311_51:                             ;   in Loop: Header=BB311_23 Depth=2
	v_dual_mov_b32 v35, 0 :: v_dual_mov_b32 v34, 0
	v_dual_mov_b32 v33, 0 :: v_dual_mov_b32 v32, 0
	;; [unrolled: 1-line block ×3, first 2 shown]
	s_wait_dscnt 0x0
	v_dual_mov_b32 v29, 0 :: v_dual_mov_b32 v28, 0
	s_and_saveexec_b32 s69, s2
	s_cbranch_execz .LBB311_66
; %bb.52:                               ;   in Loop: Header=BB311_23 Depth=2
	v_dual_mov_b32 v28, v4 :: v_dual_mov_b32 v29, v38
	s_and_not1_b32 vcc_lo, exec_lo, s12
	s_mov_b32 s7, s58
	s_cbranch_vccnz .LBB311_65
.LBB311_53:                             ;   Parent Loop BB311_3 Depth=1
                                        ;     Parent Loop BB311_23 Depth=2
                                        ; =>    This Inner Loop Header: Depth=3
	v_readfirstlane_b32 s8, v14
	v_readfirstlane_b32 s9, v15
	s_add_co_i32 s7, s7, -1
	s_delay_alu instid0(SALU_CYCLE_1)
	s_cmp_eq_u32 s7, 0
	flat_load_b64 v[30:31], v28, s[8:9] scale_offset
	s_wait_xcnt 0x0
	v_add_nc_u32_e32 v28, s53, v28
	s_wait_loadcnt_dscnt 0x0
	ds_store_b64 v29, v[30:31]
	v_add_nc_u32_e32 v29, 8, v29
	s_cbranch_scc0 .LBB311_53
; %bb.54:                               ;   in Loop: Header=BB311_23 Depth=2
	v_dual_mov_b32 v28, 0 :: v_dual_mov_b32 v48, v38
	s_ashr_i32 s7, s6, 31
	s_mov_b32 s8, s11
	v_lshl_add_u64 v[36:37], s[6:7], 3, v[26:27]
	s_delay_alu instid0(VALU_DEP_2)
	v_dual_mov_b32 v29, v28 :: v_dual_mov_b32 v30, v28
	v_dual_mov_b32 v31, v28 :: v_dual_mov_b32 v32, v28
	;; [unrolled: 1-line block ×3, first 2 shown]
	v_mov_b32_e32 v35, v28
	s_mov_b32 s48, s66
	s_mov_b32 s50, s67
	;; [unrolled: 1-line block ×3, first 2 shown]
.LBB311_55:                             ;   Parent Loop BB311_3 Depth=1
                                        ;     Parent Loop BB311_23 Depth=2
                                        ; =>    This Inner Loop Header: Depth=3
	s_ashr_i32 s51, s50, 31
	s_ashr_i32 s49, s48, 31
	;; [unrolled: 1-line block ×3, first 2 shown]
	v_lshl_add_u64 v[50:51], s[50:51], 3, v[16:17]
	v_lshl_add_u64 v[52:53], s[48:49], 3, v[16:17]
	;; [unrolled: 1-line block ×3, first 2 shown]
	flat_load_b64 v[56:57], v[36:37]
	s_clause 0x2
	flat_load_b64 v[50:51], v[50:51]
	flat_load_b64 v[52:53], v[52:53]
	flat_load_b64 v[54:55], v[54:55]
	ds_load_b64 v[58:59], v48
	s_wait_xcnt 0x3
	v_add_nc_u64_e32 v[36:37], 8, v[36:37]
	s_add_co_i32 s7, s7, -1
	s_add_co_i32 s50, s50, 1
	s_add_co_i32 s48, s48, 1
	;; [unrolled: 1-line block ×3, first 2 shown]
	s_cmp_lg_u32 s7, 0
	s_wait_loadcnt_dscnt 0x300
	v_pk_mul_f32 v[60:61], v[58:59], v[56:57] op_sel:[1,1] op_sel_hi:[0,1]
	s_wait_loadcnt 0x1
	v_pk_mul_f32 v[64:65], v[58:59], v[52:53] op_sel:[1,1] op_sel_hi:[0,1]
	s_wait_loadcnt 0x0
	v_pk_mul_f32 v[66:67], v[58:59], v[54:55] op_sel:[1,1] op_sel_hi:[0,1]
	v_pk_fma_f32 v[62:63], v[58:59], v[56:57], v[60:61] neg_lo:[0,0,1] neg_hi:[0,0,1]
	v_pk_fma_f32 v[56:57], v[58:59], v[56:57], v[60:61] op_sel_hi:[1,0,1]
	v_pk_mul_f32 v[60:61], v[58:59], v[50:51] op_sel:[1,1] op_sel_hi:[0,1]
	v_add_nc_u32_e32 v48, 8, v48
	v_pk_fma_f32 v[68:69], v[58:59], v[54:55], v[66:67] op_sel_hi:[1,0,1]
	s_wait_xcnt 0x0
	v_pk_fma_f32 v[54:55], v[58:59], v[54:55], v[66:67] neg_lo:[0,0,1] neg_hi:[0,0,1]
	v_mov_b32_e32 v63, v57
	v_pk_fma_f32 v[56:57], v[58:59], v[50:51], v[60:61] neg_lo:[0,0,1] neg_hi:[0,0,1]
	v_pk_fma_f32 v[50:51], v[58:59], v[50:51], v[60:61] op_sel_hi:[1,0,1]
	v_pk_fma_f32 v[60:61], v[58:59], v[52:53], v[64:65] op_sel_hi:[1,0,1]
	v_pk_fma_f32 v[52:53], v[58:59], v[52:53], v[64:65] neg_lo:[0,0,1] neg_hi:[0,0,1]
	v_mov_b32_e32 v55, v69
	v_pk_add_f32 v[34:35], v[34:35], v[62:63]
	s_delay_alu instid0(VALU_DEP_4) | instskip(NEXT) | instid1(VALU_DEP_3)
	v_dual_mov_b32 v57, v51 :: v_dual_mov_b32 v53, v61
	v_pk_add_f32 v[28:29], v[28:29], v[54:55]
	s_delay_alu instid0(VALU_DEP_2) | instskip(NEXT) | instid1(VALU_DEP_3)
	v_pk_add_f32 v[32:33], v[32:33], v[56:57]
	v_pk_add_f32 v[30:31], v[30:31], v[52:53]
	s_cbranch_scc1 .LBB311_55
	s_branch .LBB311_66
.LBB311_56:                             ;   in Loop: Header=BB311_23 Depth=2
	ds_load_b64 v[34:35], v39
	s_or_b32 exec_lo, exec_lo, s7
	s_and_saveexec_b32 s7, s3
	s_cbranch_execz .LBB311_31
.LBB311_57:                             ;   in Loop: Header=BB311_23 Depth=2
	s_wait_dscnt 0x0
	ds_bpermute_b32 v36, v45, v34
	ds_bpermute_b32 v37, v45, v35
	s_wait_dscnt 0x0
	v_pk_add_f32 v[34:35], v[34:35], v[36:37]
	ds_bpermute_b32 v36, v46, v34
	ds_bpermute_b32 v37, v46, v35
	s_wait_dscnt 0x0
	v_pk_add_f32 v[34:35], v[34:35], v[36:37]
	;; [unrolled: 4-line block ×3, first 2 shown]
	s_or_b32 exec_lo, exec_lo, s7
	s_and_saveexec_b32 s7, s3
	s_cbranch_execnz .LBB311_32
	s_branch .LBB311_33
.LBB311_58:                             ;   in Loop: Header=BB311_23 Depth=2
	ds_load_b64 v[32:33], v39
	s_or_b32 exec_lo, exec_lo, s7
	s_and_saveexec_b32 s7, s3
	s_cbranch_execz .LBB311_37
.LBB311_59:                             ;   in Loop: Header=BB311_23 Depth=2
	s_wait_dscnt 0x0
	ds_bpermute_b32 v36, v45, v32
	ds_bpermute_b32 v37, v45, v33
	s_wait_dscnt 0x0
	v_pk_add_f32 v[32:33], v[32:33], v[36:37]
	ds_bpermute_b32 v36, v46, v32
	ds_bpermute_b32 v37, v46, v33
	s_wait_dscnt 0x0
	v_pk_add_f32 v[32:33], v[32:33], v[36:37]
	;; [unrolled: 4-line block ×3, first 2 shown]
	s_or_b32 exec_lo, exec_lo, s7
	s_and_saveexec_b32 s7, s3
	s_cbranch_execnz .LBB311_38
	s_branch .LBB311_39
.LBB311_60:                             ;   in Loop: Header=BB311_23 Depth=2
	ds_load_b64 v[30:31], v39
	s_or_b32 exec_lo, exec_lo, s7
	s_and_saveexec_b32 s7, s3
	s_cbranch_execz .LBB311_43
.LBB311_61:                             ;   in Loop: Header=BB311_23 Depth=2
	s_wait_dscnt 0x0
	ds_bpermute_b32 v36, v45, v30
	ds_bpermute_b32 v37, v45, v31
	s_wait_dscnt 0x0
	v_pk_add_f32 v[30:31], v[30:31], v[36:37]
	ds_bpermute_b32 v36, v46, v30
	ds_bpermute_b32 v37, v46, v31
	s_wait_dscnt 0x0
	v_pk_add_f32 v[30:31], v[30:31], v[36:37]
	;; [unrolled: 4-line block ×3, first 2 shown]
	s_or_b32 exec_lo, exec_lo, s7
	s_and_saveexec_b32 s7, s3
	s_cbranch_execnz .LBB311_44
	s_branch .LBB311_45
.LBB311_62:                             ;   in Loop: Header=BB311_23 Depth=2
	ds_load_b64 v[28:29], v39
	s_or_b32 exec_lo, exec_lo, s7
	s_and_saveexec_b32 s7, s3
	s_cbranch_execz .LBB311_49
.LBB311_63:                             ;   in Loop: Header=BB311_23 Depth=2
	s_wait_dscnt 0x0
	ds_bpermute_b32 v36, v45, v28
	ds_bpermute_b32 v37, v45, v29
	s_wait_dscnt 0x0
	v_pk_add_f32 v[28:29], v[28:29], v[36:37]
	ds_bpermute_b32 v36, v46, v28
	ds_bpermute_b32 v37, v46, v29
	s_wait_dscnt 0x0
	v_pk_add_f32 v[28:29], v[28:29], v[36:37]
	;; [unrolled: 4-line block ×3, first 2 shown]
	s_or_b32 exec_lo, exec_lo, s7
	s_and_saveexec_b32 s7, s0
	s_cbranch_execz .LBB311_22
.LBB311_64:                             ;   in Loop: Header=BB311_23 Depth=2
	v_mov_b64_e32 v[36:37], s[36:37]
	v_mov_b64_e32 v[48:49], s[14:15]
	s_mul_i32 s8, s24, s28
	s_delay_alu instid0(SALU_CYCLE_1) | instskip(NEXT) | instid1(VALU_DEP_2)
	s_add_co_i32 s8, s8, s30
	v_pk_mul_f32 v[52:53], v[32:33], v[36:37] op_sel:[1,0]
	v_pk_mul_f32 v[50:51], v[34:35], v[36:37] op_sel:[1,0]
	;; [unrolled: 1-line block ×3, first 2 shown]
	s_wait_dscnt 0x0
	v_pk_mul_f32 v[36:37], v[28:29], v[36:37] op_sel:[1,0]
	v_pk_fma_f32 v[58:59], v[32:33], v[48:49], v[52:53] op_sel_hi:[0,1,1]
	v_pk_fma_f32 v[56:57], v[34:35], v[48:49], v[50:51] op_sel_hi:[0,1,1]
	v_pk_fma_f32 v[34:35], v[34:35], v[48:49], v[50:51] neg_lo:[0,0,1] neg_hi:[0,0,1]
	v_pk_fma_f32 v[50:51], v[30:31], v[48:49], v[54:55] op_sel_hi:[0,1,1]
	v_mov_b32_e32 v60, s8
	s_add_co_i32 s8, s8, s28
	v_pk_fma_f32 v[32:33], v[32:33], v[48:49], v[52:53] neg_lo:[0,0,1] neg_hi:[0,0,1]
	v_pk_fma_f32 v[52:53], v[28:29], v[48:49], v[36:37] op_sel_hi:[0,1,1]
	v_dual_mov_b32 v33, v59 :: v_dual_mov_b32 v50, s8
	s_add_co_i32 s8, s8, s28
	v_mov_b32_e32 v35, v57
	v_pk_fma_f32 v[30:31], v[30:31], v[48:49], v[54:55] neg_lo:[0,0,1] neg_hi:[0,0,1]
	v_dual_mov_b32 v31, v51 :: v_dual_mov_b32 v51, s8
	s_add_co_i32 s8, s8, s28
	v_pk_fma_f32 v[28:29], v[28:29], v[48:49], v[36:37] neg_lo:[0,0,1] neg_hi:[0,0,1]
	v_dual_mov_b32 v29, v53 :: v_dual_mov_b32 v36, s8
	s_clause 0x3
	global_store_b64 v60, v[34:35], s[46:47] scale_offset
	global_store_b64 v50, v[32:33], s[46:47] scale_offset
	;; [unrolled: 1-line block ×4, first 2 shown]
	s_branch .LBB311_22
.LBB311_65:                             ;   in Loop: Header=BB311_23 Depth=2
	v_mov_b32_e32 v35, 0
	s_delay_alu instid0(VALU_DEP_1)
	v_dual_mov_b32 v34, v35 :: v_dual_mov_b32 v33, v35
	v_dual_mov_b32 v32, v35 :: v_dual_mov_b32 v31, v35
	;; [unrolled: 1-line block ×3, first 2 shown]
	v_mov_b32_e32 v28, v35
.LBB311_66:                             ;   in Loop: Header=BB311_23 Depth=2
	s_or_b32 exec_lo, exec_lo, s69
	s_delay_alu instid0(SALU_CYCLE_1)
	s_or_b32 exec_lo, exec_lo, s68
	s_and_saveexec_b32 s7, s3
	s_cbranch_execnz .LBB311_26
	s_branch .LBB311_27
.LBB311_67:                             ;   in Loop: Header=BB311_3 Depth=1
	s_mov_b32 s24, 0
.LBB311_68:                             ;   in Loop: Header=BB311_3 Depth=1
	s_delay_alu instid0(SALU_CYCLE_1)
	s_cmp_ge_i32 s24, s13
	s_cbranch_scc1 .LBB311_2
; %bb.69:                               ;   in Loop: Header=BB311_3 Depth=1
	v_cmp_gt_u32_e32 vcc_lo, 24, v42
	s_add_nc_u64 s[6:7], s[46:47], s[38:39]
	s_mul_i32 s8, s52, s24
	s_wait_dscnt 0x0
	v_cndmask_b32_e64 v28, 0, 8, vcc_lo
	v_cmp_gt_u32_e32 vcc_lo, 28, v42
	s_delay_alu instid0(VALU_DEP_2) | instskip(SKIP_2) | instid1(VALU_DEP_2)
	v_add_lshl_u32 v32, v28, v42, 2
	v_cndmask_b32_e64 v29, 0, 4, vcc_lo
	v_cmp_gt_u32_e32 vcc_lo, 30, v42
	v_add_lshl_u32 v33, v29, v42, 2
	v_cndmask_b32_e64 v30, 0, 2, vcc_lo
	v_cmp_ne_u32_e32 vcc_lo, 31, v42
	s_delay_alu instid0(VALU_DEP_2) | instskip(SKIP_1) | instid1(VALU_DEP_1)
	v_add_lshl_u32 v34, v30, v42, 2
	v_add_co_ci_u32_e64 v31, null, 0, v42, vcc_lo
	v_lshlrev_b32_e32 v35, 2, v31
	s_branch .LBB311_71
.LBB311_70:                             ;   in Loop: Header=BB311_71 Depth=2
	s_wait_xcnt 0x0
	s_or_b32 exec_lo, exec_lo, s9
	s_add_co_i32 s24, s24, 1
	s_add_co_i32 s8, s8, s52
	s_cmp_ge_i32 s24, s13
	s_cbranch_scc1 .LBB311_2
.LBB311_71:                             ;   Parent Loop BB311_3 Depth=1
                                        ; =>  This Loop Header: Depth=2
                                        ;       Child Loop BB311_83 Depth 3
                                        ;       Child Loop BB311_85 Depth 3
                                        ; implicit-def: $vgpr29
	s_and_saveexec_b32 s9, s1
	s_delay_alu instid0(SALU_CYCLE_1)
	s_xor_b32 s9, exec_lo, s9
	s_cbranch_execnz .LBB311_80
; %bb.72:                               ;   in Loop: Header=BB311_71 Depth=2
	s_and_not1_saveexec_b32 s11, s9
	s_cbranch_execnz .LBB311_81
.LBB311_73:                             ;   in Loop: Header=BB311_71 Depth=2
	s_or_b32 exec_lo, exec_lo, s11
	s_and_saveexec_b32 s9, s3
.LBB311_74:                             ;   in Loop: Header=BB311_71 Depth=2
	ds_store_b64 v39, v[12:13]
.LBB311_75:                             ;   in Loop: Header=BB311_71 Depth=2
	s_or_b32 exec_lo, exec_lo, s9
	s_wait_dscnt 0x0
	ds_bpermute_b32 v30, v43, v28
	ds_bpermute_b32 v31, v43, v29
	s_wait_storecnt_dscnt 0x0
	s_barrier_signal -1
	s_barrier_wait -1
	v_pk_add_f32 v[28:29], v[28:29], v[30:31]
	ds_bpermute_b32 v30, v32, v28
	ds_bpermute_b32 v31, v32, v29
	s_wait_dscnt 0x0
	v_pk_add_f32 v[28:29], v[28:29], v[30:31]
	ds_bpermute_b32 v30, v33, v28
	ds_bpermute_b32 v31, v33, v29
	s_wait_dscnt 0x0
	;; [unrolled: 4-line block ×3, first 2 shown]
	v_pk_add_f32 v[28:29], v[28:29], v[30:31]
	ds_bpermute_b32 v30, v35, v28
	ds_bpermute_b32 v31, v35, v29
	s_and_saveexec_b32 s9, s4
	s_cbranch_execz .LBB311_77
; %bb.76:                               ;   in Loop: Header=BB311_71 Depth=2
	s_wait_dscnt 0x0
	v_pk_add_f32 v[28:29], v[28:29], v[30:31]
	ds_store_b64 v40, v[28:29]
.LBB311_77:                             ;   in Loop: Header=BB311_71 Depth=2
	s_or_b32 exec_lo, exec_lo, s9
	v_mov_b64_e32 v[28:29], 0
	s_wait_dscnt 0x0
	s_barrier_signal -1
	s_barrier_wait -1
	s_and_saveexec_b32 s9, s5
	s_cbranch_execnz .LBB311_87
; %bb.78:                               ;   in Loop: Header=BB311_71 Depth=2
	s_or_b32 exec_lo, exec_lo, s9
	s_and_saveexec_b32 s9, s3
	s_cbranch_execnz .LBB311_88
.LBB311_79:                             ;   in Loop: Header=BB311_71 Depth=2
	s_or_b32 exec_lo, exec_lo, s9
	s_and_saveexec_b32 s9, s0
	s_cbranch_execz .LBB311_70
	s_branch .LBB311_89
.LBB311_80:                             ;   in Loop: Header=BB311_71 Depth=2
	flat_load_b64 v[36:37], v[18:19]
	s_mul_i32 s46, s24, s52
	s_delay_alu instid0(SALU_CYCLE_1) | instskip(NEXT) | instid1(SALU_CYCLE_1)
	s_ashr_i32 s47, s46, 31
	v_lshl_add_u64 v[50:51], s[46:47], 3, v[16:17]
	s_wait_loadcnt_dscnt 0x0
	ds_store_b64 v38, v[36:37]
	flat_load_b64 v[44:45], v[20:21]
	s_wait_loadcnt_dscnt 0x0
	ds_store_b64 v38, v[44:45] offset:8
	flat_load_b64 v[46:47], v[22:23]
	s_wait_loadcnt_dscnt 0x0
	ds_store_b64 v38, v[46:47] offset:16
	;; [unrolled: 3-line block ×3, first 2 shown]
	s_clause 0x2
	flat_load_b64 v[52:53], v[50:51]
	flat_load_b128 v[28:31], v[50:51] offset:8
	flat_load_b64 v[50:51], v[50:51] offset:24
	s_wait_loadcnt_dscnt 0x202
	v_dual_mul_f32 v54, v37, v53 :: v_dual_mul_f32 v55, v36, v53
	s_wait_loadcnt_dscnt 0x101
	v_pk_mul_f32 v[56:57], v[44:45], v[28:29] op_sel:[1,1] op_sel_hi:[1,0]
	v_dual_mov_b32 v58, v31 :: v_dual_mov_b32 v59, v30
	s_delay_alu instid0(VALU_DEP_3) | instskip(NEXT) | instid1(VALU_DEP_3)
	v_dual_fma_f32 v54, v36, v52, -v54 :: v_dual_fmac_f32 v55, v37, v52
	v_pk_fma_f32 v[36:37], v[44:45], v[28:29], v[56:57] op_sel_hi:[0,1,1]
	v_pk_fma_f32 v[28:29], v[44:45], v[28:29], v[56:57] neg_lo:[0,0,1] neg_hi:[0,0,1]
	s_delay_alu instid0(VALU_DEP_4) | instskip(NEXT) | instid1(VALU_DEP_4)
	v_pk_mul_f32 v[52:53], v[46:47], v[58:59] op_sel:[1,0]
	v_pk_add_f32 v[44:45], v[54:55], 0 op_sel_hi:[1,0]
	s_delay_alu instid0(VALU_DEP_4) | instskip(SKIP_4) | instid1(VALU_DEP_2)
	v_mov_b32_e32 v29, v37
	s_wait_loadcnt_dscnt 0x0
	v_pk_mul_f32 v[54:55], v[48:49], v[50:51] op_sel:[1,1] op_sel_hi:[1,0]
	v_pk_fma_f32 v[36:37], v[46:47], v[30:31], v[52:53] op_sel_hi:[0,1,1]
	v_pk_fma_f32 v[30:31], v[46:47], v[30:31], v[52:53] neg_lo:[0,0,1] neg_hi:[0,0,1]
	v_mov_b32_e32 v31, v37
	v_pk_add_f32 v[28:29], v[44:45], v[28:29]
	v_pk_fma_f32 v[36:37], v[48:49], v[50:51], v[54:55] op_sel_hi:[0,1,1]
	v_pk_fma_f32 v[44:45], v[48:49], v[50:51], v[54:55] neg_lo:[0,0,1] neg_hi:[0,0,1]
	s_delay_alu instid0(VALU_DEP_3) | instskip(NEXT) | instid1(VALU_DEP_3)
	v_pk_add_f32 v[28:29], v[28:29], v[30:31]
	v_mov_b32_e32 v45, v37
	s_delay_alu instid0(VALU_DEP_1)
	v_pk_add_f32 v[28:29], v[28:29], v[44:45]
	s_wait_xcnt 0x0
	s_and_not1_saveexec_b32 s11, s9
	s_cbranch_execz .LBB311_73
.LBB311_81:                             ;   in Loop: Header=BB311_71 Depth=2
	s_wait_dscnt 0x0
	v_mov_b32_e32 v29, 0
	s_delay_alu instid0(VALU_DEP_1)
	v_mov_b32_e32 v28, v29
	s_and_saveexec_b32 s46, s60
	s_cbranch_execz .LBB311_86
; %bb.82:                               ;   in Loop: Header=BB311_71 Depth=2
	v_dual_mov_b32 v28, v4 :: v_dual_mov_b32 v29, v38
	s_mov_b32 s9, s58
.LBB311_83:                             ;   Parent Loop BB311_3 Depth=1
                                        ;     Parent Loop BB311_71 Depth=2
                                        ; =>    This Inner Loop Header: Depth=3
	v_readfirstlane_b32 s48, v14
	v_readfirstlane_b32 s49, v15
	s_add_co_i32 s9, s9, -1
	s_delay_alu instid0(SALU_CYCLE_1)
	s_cmp_eq_u32 s9, 0
	flat_load_b64 v[30:31], v28, s[48:49] scale_offset
	s_wait_xcnt 0x0
	v_add_nc_u32_e32 v28, s53, v28
	s_wait_loadcnt_dscnt 0x0
	ds_store_b64 v29, v[30:31]
	v_add_nc_u32_e32 v29, 8, v29
	s_cbranch_scc0 .LBB311_83
; %bb.84:                               ;   in Loop: Header=BB311_71 Depth=2
	v_dual_mov_b32 v28, 0 :: v_dual_mov_b32 v36, v38
	s_ashr_i32 s9, s8, 31
	s_delay_alu instid0(SALU_CYCLE_1) | instskip(NEXT) | instid1(VALU_DEP_2)
	v_lshl_add_u64 v[30:31], s[8:9], 3, v[26:27]
	v_mov_b32_e32 v29, v28
	s_mov_b32 s9, s58
.LBB311_85:                             ;   Parent Loop BB311_3 Depth=1
                                        ;     Parent Loop BB311_71 Depth=2
                                        ; =>    This Inner Loop Header: Depth=3
	flat_load_b64 v[44:45], v[30:31]
	ds_load_b64 v[46:47], v36
	s_wait_xcnt 0x0
	v_add_nc_u64_e32 v[30:31], 8, v[30:31]
	s_add_co_i32 s9, s9, -1
	v_add_nc_u32_e32 v36, 8, v36
	s_cmp_lg_u32 s9, 0
	s_wait_loadcnt_dscnt 0x0
	v_pk_mul_f32 v[48:49], v[46:47], v[44:45] op_sel:[1,1] op_sel_hi:[0,1]
	s_delay_alu instid0(VALU_DEP_1) | instskip(SKIP_1) | instid1(VALU_DEP_2)
	v_pk_fma_f32 v[50:51], v[46:47], v[44:45], v[48:49] op_sel_hi:[1,0,1]
	v_pk_fma_f32 v[44:45], v[46:47], v[44:45], v[48:49] neg_lo:[0,0,1] neg_hi:[0,0,1]
	v_mov_b32_e32 v45, v51
	s_delay_alu instid0(VALU_DEP_1)
	v_pk_add_f32 v[28:29], v[28:29], v[44:45]
	s_cbranch_scc1 .LBB311_85
.LBB311_86:                             ;   in Loop: Header=BB311_71 Depth=2
	s_or_b32 exec_lo, exec_lo, s46
	s_delay_alu instid0(SALU_CYCLE_1)
	s_or_b32 exec_lo, exec_lo, s11
	s_and_saveexec_b32 s9, s3
	s_cbranch_execnz .LBB311_74
	s_branch .LBB311_75
.LBB311_87:                             ;   in Loop: Header=BB311_71 Depth=2
	ds_load_b64 v[28:29], v39
	s_or_b32 exec_lo, exec_lo, s9
	s_and_saveexec_b32 s9, s3
	s_cbranch_execz .LBB311_79
.LBB311_88:                             ;   in Loop: Header=BB311_71 Depth=2
	s_wait_dscnt 0x0
	ds_bpermute_b32 v30, v33, v28
	ds_bpermute_b32 v31, v33, v29
	s_wait_dscnt 0x0
	v_pk_add_f32 v[28:29], v[28:29], v[30:31]
	ds_bpermute_b32 v30, v34, v28
	ds_bpermute_b32 v31, v34, v29
	s_wait_dscnt 0x0
	v_pk_add_f32 v[28:29], v[28:29], v[30:31]
	ds_bpermute_b32 v30, v35, v28
	ds_bpermute_b32 v31, v35, v29
	s_wait_dscnt 0x0
	v_pk_add_f32 v[28:29], v[28:29], v[30:31]
	s_or_b32 exec_lo, exec_lo, s9
	s_and_saveexec_b32 s9, s0
	s_cbranch_execz .LBB311_70
.LBB311_89:                             ;   in Loop: Header=BB311_71 Depth=2
	v_mov_b64_e32 v[30:31], s[36:37]
	v_mov_b64_e32 v[36:37], s[14:15]
	s_mul_u64 s[46:47], s[24:25], s[28:29]
	s_delay_alu instid0(SALU_CYCLE_1) | instskip(NEXT) | instid1(SALU_CYCLE_1)
	s_lshl_b64 s[46:47], s[46:47], 3
	s_add_nc_u64 s[46:47], s[6:7], s[46:47]
	s_wait_dscnt 0x0
	s_delay_alu instid0(VALU_DEP_2) | instskip(NEXT) | instid1(VALU_DEP_1)
	v_pk_mul_f32 v[30:31], v[28:29], v[30:31] op_sel:[1,0]
	v_pk_fma_f32 v[44:45], v[28:29], v[36:37], v[30:31] op_sel_hi:[0,1,1]
	v_pk_fma_f32 v[28:29], v[28:29], v[36:37], v[30:31] neg_lo:[0,0,1] neg_hi:[0,0,1]
	s_delay_alu instid0(VALU_DEP_2)
	v_mov_b32_e32 v29, v45
	global_store_b64 v41, v[28:29], s[46:47]
	s_branch .LBB311_70
.LBB311_90:
	s_sendmsg sendmsg(MSG_DEALLOC_VGPRS)
	s_endpgm
	.section	.rodata,"a",@progbits
	.p2align	6, 0x0
	.amdhsa_kernel _ZL23rocblas_gemvt_sn_kernelILb0ELi256ELi4EiPK19rocblas_complex_numIfES1_S1_EviiT4_lPKT3_lilS7_lilPT5_i
		.amdhsa_group_segment_fixed_size 8448
		.amdhsa_private_segment_fixed_size 0
		.amdhsa_kernarg_size 360
		.amdhsa_user_sgpr_count 4
		.amdhsa_user_sgpr_dispatch_ptr 1
		.amdhsa_user_sgpr_queue_ptr 0
		.amdhsa_user_sgpr_kernarg_segment_ptr 1
		.amdhsa_user_sgpr_dispatch_id 0
		.amdhsa_user_sgpr_kernarg_preload_length 0
		.amdhsa_user_sgpr_kernarg_preload_offset 0
		.amdhsa_user_sgpr_private_segment_size 0
		.amdhsa_wavefront_size32 1
		.amdhsa_uses_dynamic_stack 0
		.amdhsa_enable_private_segment 0
		.amdhsa_system_sgpr_workgroup_id_x 1
		.amdhsa_system_sgpr_workgroup_id_y 0
		.amdhsa_system_sgpr_workgroup_id_z 1
		.amdhsa_system_sgpr_workgroup_info 0
		.amdhsa_system_vgpr_workitem_id 2
		.amdhsa_next_free_vgpr 98
		.amdhsa_next_free_sgpr 70
		.amdhsa_named_barrier_count 0
		.amdhsa_reserve_vcc 1
		.amdhsa_float_round_mode_32 0
		.amdhsa_float_round_mode_16_64 0
		.amdhsa_float_denorm_mode_32 3
		.amdhsa_float_denorm_mode_16_64 3
		.amdhsa_fp16_overflow 0
		.amdhsa_memory_ordered 1
		.amdhsa_forward_progress 1
		.amdhsa_inst_pref_size 44
		.amdhsa_round_robin_scheduling 0
		.amdhsa_exception_fp_ieee_invalid_op 0
		.amdhsa_exception_fp_denorm_src 0
		.amdhsa_exception_fp_ieee_div_zero 0
		.amdhsa_exception_fp_ieee_overflow 0
		.amdhsa_exception_fp_ieee_underflow 0
		.amdhsa_exception_fp_ieee_inexact 0
		.amdhsa_exception_int_div_zero 0
	.end_amdhsa_kernel
	.section	.text._ZL23rocblas_gemvt_sn_kernelILb0ELi256ELi4EiPK19rocblas_complex_numIfES1_S1_EviiT4_lPKT3_lilS7_lilPT5_i,"axG",@progbits,_ZL23rocblas_gemvt_sn_kernelILb0ELi256ELi4EiPK19rocblas_complex_numIfES1_S1_EviiT4_lPKT3_lilS7_lilPT5_i,comdat
.Lfunc_end311:
	.size	_ZL23rocblas_gemvt_sn_kernelILb0ELi256ELi4EiPK19rocblas_complex_numIfES1_S1_EviiT4_lPKT3_lilS7_lilPT5_i, .Lfunc_end311-_ZL23rocblas_gemvt_sn_kernelILb0ELi256ELi4EiPK19rocblas_complex_numIfES1_S1_EviiT4_lPKT3_lilS7_lilPT5_i
                                        ; -- End function
	.set _ZL23rocblas_gemvt_sn_kernelILb0ELi256ELi4EiPK19rocblas_complex_numIfES1_S1_EviiT4_lPKT3_lilS7_lilPT5_i.num_vgpr, 98
	.set _ZL23rocblas_gemvt_sn_kernelILb0ELi256ELi4EiPK19rocblas_complex_numIfES1_S1_EviiT4_lPKT3_lilS7_lilPT5_i.num_agpr, 0
	.set _ZL23rocblas_gemvt_sn_kernelILb0ELi256ELi4EiPK19rocblas_complex_numIfES1_S1_EviiT4_lPKT3_lilS7_lilPT5_i.numbered_sgpr, 70
	.set _ZL23rocblas_gemvt_sn_kernelILb0ELi256ELi4EiPK19rocblas_complex_numIfES1_S1_EviiT4_lPKT3_lilS7_lilPT5_i.num_named_barrier, 0
	.set _ZL23rocblas_gemvt_sn_kernelILb0ELi256ELi4EiPK19rocblas_complex_numIfES1_S1_EviiT4_lPKT3_lilS7_lilPT5_i.private_seg_size, 0
	.set _ZL23rocblas_gemvt_sn_kernelILb0ELi256ELi4EiPK19rocblas_complex_numIfES1_S1_EviiT4_lPKT3_lilS7_lilPT5_i.uses_vcc, 1
	.set _ZL23rocblas_gemvt_sn_kernelILb0ELi256ELi4EiPK19rocblas_complex_numIfES1_S1_EviiT4_lPKT3_lilS7_lilPT5_i.uses_flat_scratch, 1
	.set _ZL23rocblas_gemvt_sn_kernelILb0ELi256ELi4EiPK19rocblas_complex_numIfES1_S1_EviiT4_lPKT3_lilS7_lilPT5_i.has_dyn_sized_stack, 0
	.set _ZL23rocblas_gemvt_sn_kernelILb0ELi256ELi4EiPK19rocblas_complex_numIfES1_S1_EviiT4_lPKT3_lilS7_lilPT5_i.has_recursion, 0
	.set _ZL23rocblas_gemvt_sn_kernelILb0ELi256ELi4EiPK19rocblas_complex_numIfES1_S1_EviiT4_lPKT3_lilS7_lilPT5_i.has_indirect_call, 0
	.section	.AMDGPU.csdata,"",@progbits
; Kernel info:
; codeLenInByte = 5608
; TotalNumSgprs: 72
; NumVgprs: 98
; ScratchSize: 0
; MemoryBound: 0
; FloatMode: 240
; IeeeMode: 1
; LDSByteSize: 8448 bytes/workgroup (compile time only)
; SGPRBlocks: 0
; VGPRBlocks: 6
; NumSGPRsForWavesPerEU: 72
; NumVGPRsForWavesPerEU: 98
; NamedBarCnt: 0
; Occupancy: 9
; WaveLimiterHint : 0
; COMPUTE_PGM_RSRC2:SCRATCH_EN: 0
; COMPUTE_PGM_RSRC2:USER_SGPR: 4
; COMPUTE_PGM_RSRC2:TRAP_HANDLER: 0
; COMPUTE_PGM_RSRC2:TGID_X_EN: 1
; COMPUTE_PGM_RSRC2:TGID_Y_EN: 0
; COMPUTE_PGM_RSRC2:TGID_Z_EN: 1
; COMPUTE_PGM_RSRC2:TIDIG_COMP_CNT: 2
	.section	.text._ZL23rocblas_gemvt_sn_kernelILb0ELi256ELi4ElPK19rocblas_complex_numIfES1_S1_EviiT4_lPKT3_lilS7_lilPT5_i,"axG",@progbits,_ZL23rocblas_gemvt_sn_kernelILb0ELi256ELi4ElPK19rocblas_complex_numIfES1_S1_EviiT4_lPKT3_lilS7_lilPT5_i,comdat
	.globl	_ZL23rocblas_gemvt_sn_kernelILb0ELi256ELi4ElPK19rocblas_complex_numIfES1_S1_EviiT4_lPKT3_lilS7_lilPT5_i ; -- Begin function _ZL23rocblas_gemvt_sn_kernelILb0ELi256ELi4ElPK19rocblas_complex_numIfES1_S1_EviiT4_lPKT3_lilS7_lilPT5_i
	.p2align	8
	.type	_ZL23rocblas_gemvt_sn_kernelILb0ELi256ELi4ElPK19rocblas_complex_numIfES1_S1_EviiT4_lPKT3_lilS7_lilPT5_i,@function
_ZL23rocblas_gemvt_sn_kernelILb0ELi256ELi4ElPK19rocblas_complex_numIfES1_S1_EviiT4_lPKT3_lilS7_lilPT5_i: ; @_ZL23rocblas_gemvt_sn_kernelILb0ELi256ELi4ElPK19rocblas_complex_numIfES1_S1_EviiT4_lPKT3_lilS7_lilPT5_i
; %bb.0:
	s_load_b32 s33, s[2:3], 0x60
	s_bfe_u32 s4, ttmp6, 0x40014
	s_lshr_b32 s5, ttmp7, 16
	s_add_co_i32 s4, s4, 1
	s_bfe_u32 s7, ttmp6, 0x40008
	s_mul_i32 s6, s5, s4
	s_getreg_b32 s4, hwreg(HW_REG_IB_STS2, 6, 4)
	s_add_co_i32 s7, s7, s6
	s_cmp_eq_u32 s4, 0
	s_mov_b32 s25, 0
	s_cselect_b32 s10, s5, s7
	s_wait_kmcnt 0x0
	s_cmp_ge_u32 s10, s33
	s_cbranch_scc1 .LBB312_90
; %bb.1:
	s_clause 0x1
	s_load_b32 s26, s[2:3], 0x28
	s_load_b32 s6, s[2:3], 0x48
	s_load_b64 s[8:9], s[0:1], 0x4
	s_clause 0x4
	s_load_b128 s[12:15], s[2:3], 0x0
	s_load_b128 s[16:19], s[2:3], 0x18
	;; [unrolled: 1-line block ×3, first 2 shown]
	s_load_b64 s[28:29], s[2:3], 0x58
	s_load_b32 s30, s[2:3], 0x68
	v_and_b32_e32 v1, 0x3ff, v0
	v_bfe_u32 v2, v0, 10, 10
	v_bfe_u32 v3, v0, 20, 10
	v_mbcnt_lo_u32_b32 v48, -1, 0
	v_mov_b64_e32 v[14:15], 0
	s_wait_xcnt 0x0
	v_cmp_eq_u32_e64 s0, 0, v1
	v_cmp_gt_u32_e64 s5, 8, v1
	s_mov_b32 s31, s25
	v_lshl_or_b32 v49, v48, 2, 64
	v_dual_lshrrev_b32 v0, 2, v0 :: v_dual_bitop2_b32 v11, 31, v0 bitop3:0x40
	v_mov_b32_e32 v47, 0
	s_wait_kmcnt 0x0
	s_ashr_i32 s27, s26, 31
	s_ashr_i32 s7, s6, 31
	s_lshr_b32 s1, s8, 16
	s_or_b32 s2, s14, s15
	s_mul_i32 s1, s1, s9
	s_bitset0_b32 s2, 31
	v_mul_u32_u24_e32 v2, s9, v2
	s_cmp_lg_u32 s2, 0
	v_mul_lo_u32 v4, s1, v1
	s_cselect_b32 s60, -1, 0
	s_cmp_eq_u32 s2, 0
	v_lshlrev_b32_e32 v45, 3, v11
	s_cselect_b32 s61, -1, 0
	s_ashr_i32 s9, s13, 31
	s_cmp_gt_i32 s13, 0
	s_mov_b32 s8, s13
	s_cselect_b32 s1, -1, 0
	s_bfe_u32 s2, ttmp6, 0x4000c
	s_and_b32 s3, ttmp6, 15
	s_add_co_i32 s2, s2, 1
	s_and_b32 s62, s0, s1
	s_mul_i32 s2, ttmp9, s2
	v_add3_u32 v2, v4, v2, v3
	s_add_co_i32 s3, s3, s2
	s_cmp_eq_u32 s4, 0
	v_cmp_eq_u32_e64 s4, 0, v11
	s_cselect_b32 s24, ttmp9, s3
	s_ashr_i32 s2, s12, 31
	s_lshl_b32 s3, s24, 10
	v_lshl_add_u32 v44, v2, 5, 0x100
	s_lshr_b32 s2, s2, 30
	v_lshl_or_b32 v2, v1, 2, s3
	s_add_co_i32 s2, s12, s2
	s_lshr_b32 s1, s9, 30
	s_and_b32 s2, s2, -4
	s_add_co_i32 s1, s13, s1
	v_ashrrev_i32_e32 v3, 31, v2
	s_sub_co_i32 s64, s12, s2
	s_delay_alu instid0(SALU_CYCLE_1)
	v_dual_add_nc_u32 v4, 4, v2 :: v_dual_add_nc_u32 v5, s64, v2
	v_or_b32_e32 v8, 2, v2
	v_or_b32_e32 v6, 1, v2
	;; [unrolled: 1-line block ×3, first 2 shown]
	s_and_b32 s63, s1, -4
	v_cmp_ge_i32_e64 s1, s12, v4
	v_cmp_ge_i32_e64 s2, s12, v5
	v_mul_u64_e32 v[4:5], s[6:7], v[2:3]
	v_dual_ashrrev_i32 v9, 31, v8 :: v_dual_ashrrev_i32 v7, 31, v6
	v_dual_ashrrev_i32 v11, 31, v10 :: v_dual_bitop2_b32 v46, 56, v0 bitop3:0x40
	s_cmp_gt_i32 s63, 0
	s_delay_alu instid0(VALU_DEP_2) | instskip(NEXT) | instid1(VALU_DEP_3)
	v_mul_u64_e32 v[8:9], s[6:7], v[8:9]
	v_mul_u64_e32 v[6:7], s[6:7], v[6:7]
	s_cselect_b32 s65, -1, 0
	v_mul_u64_e32 v[10:11], s[6:7], v[10:11]
	s_cmp_gt_i32 s64, 0
	v_cmp_gt_u32_e64 s3, 32, v1
	s_cselect_b32 s12, -1, 0
	v_lshlrev_b64_e32 v[12:13], 3, v[2:3]
	s_and_b32 s66, s12, s2
	s_cmp_gt_u32 s13, 1
	s_mul_u64 s[34:35], s[8:9], s[30:31]
	s_cselect_b32 s11, -1, 0
	s_cmp_eq_u32 s30, 1
	s_mov_b32 s37, s14
	s_cselect_b32 s36, -1, 0
	s_and_b32 s67, s13, 0x7ffffffe
	s_and_b32 s68, s11, s36
	s_cmp_lg_u32 s13, s67
	s_mov_b32 s36, s15
	s_cselect_b32 s69, -1, 0
	s_lshl_b64 s[38:39], s[24:25], 3
	s_lshl_b64 s[42:43], s[8:9], 3
	s_add_nc_u64 s[40:41], s[28:29], s[38:39]
	s_lshl_b64 s[44:45], s[30:31], 3
	s_lshl_b64 s[46:47], s[6:7], 3
	s_mul_u64 s[48:49], s[26:27], 24
	v_lshlrev_b64_e32 v[0:1], 3, v[4:5]
	s_lshl_b64 s[50:51], s[26:27], 5
	s_lshl_b64 s[52:53], s[26:27], 4
	;; [unrolled: 1-line block ×5, first 2 shown]
	s_branch .LBB312_3
.LBB312_2:                              ;   in Loop: Header=BB312_3 Depth=1
	s_add_co_i32 s10, s10, 0x10000
	s_delay_alu instid0(SALU_CYCLE_1)
	s_cmp_lt_u32 s10, s33
	s_cbranch_scc0 .LBB312_90
.LBB312_3:                              ; =>This Loop Header: Depth=1
                                        ;     Child Loop BB312_11 Depth 2
                                        ;     Child Loop BB312_17 Depth 2
	;; [unrolled: 1-line block ×3, first 2 shown]
                                        ;       Child Loop BB312_53 Depth 3
                                        ;       Child Loop BB312_55 Depth 3
                                        ;     Child Loop BB312_71 Depth 2
                                        ;       Child Loop BB312_83 Depth 3
                                        ;       Child Loop BB312_85 Depth 3
	s_mov_b32 s11, s25
	s_and_not1_b32 vcc_lo, exec_lo, s61
	s_mov_b32 s6, -1
	s_cbranch_vccz .LBB312_13
; %bb.4:                                ;   in Loop: Header=BB312_3 Depth=1
	s_wait_dscnt 0x0
	v_mov_b64_e32 v[30:31], 0
	v_mov_b64_e32 v[28:29], 0
	s_and_not1_b32 vcc_lo, exec_lo, s6
	s_cbranch_vccz .LBB312_14
.LBB312_5:                              ;   in Loop: Header=BB312_3 Depth=1
	s_and_not1_b32 vcc_lo, exec_lo, s60
	s_cbranch_vccnz .LBB312_7
.LBB312_6:                              ;   in Loop: Header=BB312_3 Depth=1
	s_wait_xcnt 0x0
	s_lshl_b64 s[6:7], s[10:11], 3
	s_delay_alu instid0(SALU_CYCLE_1)
	s_add_nc_u64 s[6:7], s[20:21], s[6:7]
	global_load_b64 v[16:17], v47, s[6:7]
	s_wait_loadcnt 0x0
	v_add_nc_u64_e32 v[30:31], s[22:23], v[16:17]
.LBB312_7:                              ;   in Loop: Header=BB312_3 Depth=1
	s_wait_xcnt 0x0
	s_mul_u64 s[6:7], s[34:35], s[10:11]
	s_and_not1_b32 vcc_lo, exec_lo, s61
	s_lshl_b64 s[6:7], s[6:7], 3
	s_delay_alu instid0(SALU_CYCLE_1)
	s_add_nc_u64 s[56:57], s[28:29], s[6:7]
	s_mov_b32 s6, -1
	s_cbranch_vccnz .LBB312_19
; %bb.8:                                ;   in Loop: Header=BB312_3 Depth=1
	s_and_saveexec_b32 s70, s62
	s_cbranch_execz .LBB312_18
; %bb.9:                                ;   in Loop: Header=BB312_3 Depth=1
	s_and_not1_b32 vcc_lo, exec_lo, s68
	s_cbranch_vccnz .LBB312_15
; %bb.10:                               ;   in Loop: Header=BB312_3 Depth=1
	s_add_nc_u64 s[6:7], s[56:57], s[38:39]
	s_mov_b32 s8, 1
	s_mov_b32 s24, 0
	;; [unrolled: 1-line block ×3, first 2 shown]
.LBB312_11:                             ;   Parent Loop BB312_3 Depth=1
                                        ; =>  This Inner Loop Header: Depth=2
	s_mov_b32 s9, s25
	s_wait_xcnt 0x1
	s_lshl_b64 s[72:73], s[24:25], 3
	s_add_co_i32 s59, s59, -2
	s_add_co_i32 s24, s24, 2
	s_wait_xcnt 0x0
	s_lshl_b64 s[74:75], s[8:9], 3
	s_add_co_i32 s8, s8, 2
	s_mov_b32 s58, s67
	s_mov_b32 s71, s69
	s_add_nc_u64 s[72:73], s[6:7], s[72:73]
	s_cmp_lg_u32 s59, 0
	s_add_nc_u64 s[74:75], s[6:7], s[74:75]
	s_clause 0x1
	global_store_b64 v47, v[14:15], s[72:73]
	global_store_b64 v47, v[14:15], s[74:75]
	s_cbranch_scc1 .LBB312_11
; %bb.12:                               ;   in Loop: Header=BB312_3 Depth=1
	s_and_b32 vcc_lo, exec_lo, s71
	s_cbranch_vccnz .LBB312_16
	s_branch .LBB312_18
.LBB312_13:                             ;   in Loop: Header=BB312_3 Depth=1
	s_wait_dscnt 0x0
	v_mov_b64_e32 v[30:31], 0
	v_mov_b64_e32 v[28:29], 0
	s_cbranch_execnz .LBB312_5
.LBB312_14:                             ;   in Loop: Header=BB312_3 Depth=1
	s_lshl_b64 s[6:7], s[10:11], 3
	s_delay_alu instid0(SALU_CYCLE_1)
	s_add_nc_u64 s[6:7], s[16:17], s[6:7]
	global_load_b64 v[16:17], v47, s[6:7]
	s_wait_loadcnt 0x0
	v_add_nc_u64_e32 v[28:29], s[18:19], v[16:17]
	s_and_not1_b32 vcc_lo, exec_lo, s60
	s_cbranch_vccz .LBB312_6
	s_branch .LBB312_7
.LBB312_15:                             ;   in Loop: Header=BB312_3 Depth=1
	s_mov_b32 s58, 0
	s_cbranch_execz .LBB312_18
.LBB312_16:                             ;   in Loop: Header=BB312_3 Depth=1
	s_mov_b32 s59, s25
	s_mul_u64 s[6:7], s[42:43], s[10:11]
	s_lshl_b64 s[8:9], s[58:59], 3
	s_delay_alu instid0(SALU_CYCLE_1) | instskip(SKIP_2) | instid1(SALU_CYCLE_1)
	s_add_nc_u64 s[6:7], s[6:7], s[8:9]
	s_sub_co_i32 s8, s13, s58
	s_mul_u64 s[6:7], s[30:31], s[6:7]
	s_add_nc_u64 s[6:7], s[40:41], s[6:7]
.LBB312_17:                             ;   Parent Loop BB312_3 Depth=1
                                        ; =>  This Inner Loop Header: Depth=2
	s_add_co_i32 s8, s8, -1
	global_store_b64 v47, v[14:15], s[6:7]
	s_cmp_eq_u32 s8, 0
	s_wait_xcnt 0x0
	s_add_nc_u64 s[6:7], s[6:7], s[44:45]
	s_cbranch_scc0 .LBB312_17
.LBB312_18:                             ;   in Loop: Header=BB312_3 Depth=1
	s_wait_xcnt 0x0
	s_or_b32 exec_lo, exec_lo, s70
	s_mov_b32 s6, 0
.LBB312_19:                             ;   in Loop: Header=BB312_3 Depth=1
	s_delay_alu instid0(SALU_CYCLE_1)
	s_and_not1_b32 vcc_lo, exec_lo, s6
	s_cbranch_vccnz .LBB312_2
; %bb.20:                               ;   in Loop: Header=BB312_3 Depth=1
	v_add_nc_u64_e32 v[26:27], v[30:31], v[0:1]
	v_lshl_add_u64 v[16:17], v[2:3], 3, v[28:29]
	v_lshl_add_u64 v[18:19], v[4:5], 3, v[30:31]
	;; [unrolled: 1-line block ×5, first 2 shown]
	v_cmp_gt_u32_e64 s7, 24, v48
	v_cmp_gt_u32_e64 s6, 28, v48
	;; [unrolled: 1-line block ×3, first 2 shown]
	v_cmp_ne_u32_e64 s8, 31, v48
	s_and_not1_b32 vcc_lo, exec_lo, s65
	s_add_nc_u64 s[56:57], s[56:57], s[38:39]
	s_cbranch_vccnz .LBB312_67
; %bb.21:                               ;   in Loop: Header=BB312_3 Depth=1
	v_cndmask_b32_e64 v32, 0, 8, s7
	v_cndmask_b32_e64 v33, 0, 4, s6
	;; [unrolled: 1-line block ×3, first 2 shown]
	v_add_co_ci_u32_e64 v35, null, 0, v48, s8
	s_delay_alu instid0(VALU_DEP_4) | instskip(NEXT) | instid1(VALU_DEP_4)
	v_add_lshl_u32 v50, v32, v48, 2
	v_add_lshl_u32 v51, v33, v48, 2
	v_add_nc_u64_e32 v[30:31], v[30:31], v[0:1]
	v_mov_b64_e32 v[32:33], v[16:17]
	v_add_lshl_u32 v52, v34, v48, 2
	v_lshlrev_b32_e32 v53, 2, v35
	s_mov_b32 s24, 0
	s_branch .LBB312_23
.LBB312_22:                             ;   in Loop: Header=BB312_23 Depth=2
	s_wait_xcnt 0x0
	s_or_b32 exec_lo, exec_lo, s6
	v_add_nc_u64_e32 v[32:33], s[50:51], v[32:33]
	s_add_co_i32 s24, s24, 4
	s_delay_alu instid0(SALU_CYCLE_1)
	s_cmp_ge_i32 s24, s63
	s_cbranch_scc1 .LBB312_68
.LBB312_23:                             ;   Parent Loop BB312_3 Depth=1
                                        ; =>  This Loop Header: Depth=2
                                        ;       Child Loop BB312_53 Depth 3
                                        ;       Child Loop BB312_55 Depth 3
                                        ; implicit-def: $vgpr39
                                        ; implicit-def: $vgpr41
                                        ; implicit-def: $vgpr37
                                        ; implicit-def: $vgpr35
	s_and_saveexec_b32 s6, s1
	s_delay_alu instid0(SALU_CYCLE_1)
	s_xor_b32 s6, exec_lo, s6
	s_cbranch_execnz .LBB312_50
; %bb.24:                               ;   in Loop: Header=BB312_23 Depth=2
	s_and_not1_saveexec_b32 s6, s6
	s_cbranch_execnz .LBB312_51
.LBB312_25:                             ;   in Loop: Header=BB312_23 Depth=2
	s_or_b32 exec_lo, exec_lo, s6
	s_and_saveexec_b32 s6, s3
.LBB312_26:                             ;   in Loop: Header=BB312_23 Depth=2
	ds_store_b64 v45, v[14:15]
.LBB312_27:                             ;   in Loop: Header=BB312_23 Depth=2
	s_or_b32 exec_lo, exec_lo, s6
	ds_bpermute_b32 v42, v49, v38
	ds_bpermute_b32 v43, v49, v39
	s_wait_storecnt_dscnt 0x0
	s_barrier_signal -1
	s_barrier_wait -1
	v_pk_add_f32 v[38:39], v[38:39], v[42:43]
	ds_bpermute_b32 v42, v50, v38
	ds_bpermute_b32 v43, v50, v39
	s_wait_dscnt 0x0
	v_pk_add_f32 v[38:39], v[38:39], v[42:43]
	ds_bpermute_b32 v42, v51, v38
	ds_bpermute_b32 v43, v51, v39
	s_wait_dscnt 0x0
	v_pk_add_f32 v[38:39], v[38:39], v[42:43]
	ds_bpermute_b32 v42, v52, v38
	ds_bpermute_b32 v43, v52, v39
	s_wait_dscnt 0x0
	v_pk_add_f32 v[38:39], v[38:39], v[42:43]
	ds_bpermute_b32 v42, v53, v38
	ds_bpermute_b32 v43, v53, v39
	s_and_saveexec_b32 s6, s4
	s_cbranch_execz .LBB312_29
; %bb.28:                               ;   in Loop: Header=BB312_23 Depth=2
	s_wait_dscnt 0x0
	v_pk_add_f32 v[38:39], v[38:39], v[42:43]
	ds_store_b64 v46, v[38:39]
.LBB312_29:                             ;   in Loop: Header=BB312_23 Depth=2
	s_or_b32 exec_lo, exec_lo, s6
	v_mov_b64_e32 v[38:39], 0
	s_wait_dscnt 0x0
	s_barrier_signal -1
	s_barrier_wait -1
	s_and_saveexec_b32 s6, s5
	s_cbranch_execnz .LBB312_56
; %bb.30:                               ;   in Loop: Header=BB312_23 Depth=2
	s_or_b32 exec_lo, exec_lo, s6
	s_and_saveexec_b32 s6, s3
	s_cbranch_execnz .LBB312_57
.LBB312_31:                             ;   in Loop: Header=BB312_23 Depth=2
	s_or_b32 exec_lo, exec_lo, s6
	s_and_saveexec_b32 s6, s3
.LBB312_32:                             ;   in Loop: Header=BB312_23 Depth=2
	ds_store_b64 v45, v[14:15]
.LBB312_33:                             ;   in Loop: Header=BB312_23 Depth=2
	s_or_b32 exec_lo, exec_lo, s6
	ds_bpermute_b32 v42, v49, v40
	ds_bpermute_b32 v43, v49, v41
	s_wait_dscnt 0x0
	s_barrier_signal -1
	s_barrier_wait -1
	v_pk_add_f32 v[40:41], v[40:41], v[42:43]
	ds_bpermute_b32 v42, v50, v40
	ds_bpermute_b32 v43, v50, v41
	s_wait_dscnt 0x0
	v_pk_add_f32 v[40:41], v[40:41], v[42:43]
	ds_bpermute_b32 v42, v51, v40
	ds_bpermute_b32 v43, v51, v41
	s_wait_dscnt 0x0
	v_pk_add_f32 v[40:41], v[40:41], v[42:43]
	ds_bpermute_b32 v42, v52, v40
	ds_bpermute_b32 v43, v52, v41
	s_wait_dscnt 0x0
	v_pk_add_f32 v[40:41], v[40:41], v[42:43]
	ds_bpermute_b32 v42, v53, v40
	ds_bpermute_b32 v43, v53, v41
	s_and_saveexec_b32 s6, s4
	s_cbranch_execz .LBB312_35
; %bb.34:                               ;   in Loop: Header=BB312_23 Depth=2
	s_wait_dscnt 0x0
	v_pk_add_f32 v[40:41], v[40:41], v[42:43]
	ds_store_b64 v46, v[40:41]
.LBB312_35:                             ;   in Loop: Header=BB312_23 Depth=2
	s_or_b32 exec_lo, exec_lo, s6
	v_mov_b64_e32 v[40:41], 0
	s_wait_dscnt 0x0
	s_barrier_signal -1
	s_barrier_wait -1
	s_and_saveexec_b32 s6, s5
	s_cbranch_execnz .LBB312_58
; %bb.36:                               ;   in Loop: Header=BB312_23 Depth=2
	s_or_b32 exec_lo, exec_lo, s6
	s_and_saveexec_b32 s6, s3
	s_cbranch_execnz .LBB312_59
.LBB312_37:                             ;   in Loop: Header=BB312_23 Depth=2
	s_or_b32 exec_lo, exec_lo, s6
	s_and_saveexec_b32 s6, s3
.LBB312_38:                             ;   in Loop: Header=BB312_23 Depth=2
	ds_store_b64 v45, v[14:15]
.LBB312_39:                             ;   in Loop: Header=BB312_23 Depth=2
	s_or_b32 exec_lo, exec_lo, s6
	ds_bpermute_b32 v42, v49, v36
	ds_bpermute_b32 v43, v49, v37
	s_wait_dscnt 0x0
	s_barrier_signal -1
	s_barrier_wait -1
	v_pk_add_f32 v[36:37], v[36:37], v[42:43]
	ds_bpermute_b32 v42, v50, v36
	ds_bpermute_b32 v43, v50, v37
	s_wait_dscnt 0x0
	v_pk_add_f32 v[36:37], v[36:37], v[42:43]
	ds_bpermute_b32 v42, v51, v36
	ds_bpermute_b32 v43, v51, v37
	s_wait_dscnt 0x0
	;; [unrolled: 4-line block ×3, first 2 shown]
	v_pk_add_f32 v[36:37], v[36:37], v[42:43]
	ds_bpermute_b32 v42, v53, v36
	ds_bpermute_b32 v43, v53, v37
	s_and_saveexec_b32 s6, s4
	s_cbranch_execz .LBB312_41
; %bb.40:                               ;   in Loop: Header=BB312_23 Depth=2
	s_wait_dscnt 0x0
	v_pk_add_f32 v[36:37], v[36:37], v[42:43]
	ds_store_b64 v46, v[36:37]
.LBB312_41:                             ;   in Loop: Header=BB312_23 Depth=2
	s_or_b32 exec_lo, exec_lo, s6
	v_mov_b64_e32 v[36:37], 0
	s_wait_dscnt 0x0
	s_barrier_signal -1
	s_barrier_wait -1
	s_and_saveexec_b32 s6, s5
	s_cbranch_execnz .LBB312_60
; %bb.42:                               ;   in Loop: Header=BB312_23 Depth=2
	s_or_b32 exec_lo, exec_lo, s6
	s_and_saveexec_b32 s6, s3
	s_cbranch_execnz .LBB312_61
.LBB312_43:                             ;   in Loop: Header=BB312_23 Depth=2
	s_or_b32 exec_lo, exec_lo, s6
	s_and_saveexec_b32 s6, s3
.LBB312_44:                             ;   in Loop: Header=BB312_23 Depth=2
	ds_store_b64 v45, v[14:15]
.LBB312_45:                             ;   in Loop: Header=BB312_23 Depth=2
	s_or_b32 exec_lo, exec_lo, s6
	ds_bpermute_b32 v42, v49, v34
	ds_bpermute_b32 v43, v49, v35
	s_wait_dscnt 0x0
	s_barrier_signal -1
	s_barrier_wait -1
	v_pk_add_f32 v[34:35], v[34:35], v[42:43]
	ds_bpermute_b32 v42, v50, v34
	ds_bpermute_b32 v43, v50, v35
	s_wait_dscnt 0x0
	v_pk_add_f32 v[34:35], v[34:35], v[42:43]
	ds_bpermute_b32 v42, v51, v34
	ds_bpermute_b32 v43, v51, v35
	s_wait_dscnt 0x0
	;; [unrolled: 4-line block ×3, first 2 shown]
	v_pk_add_f32 v[34:35], v[34:35], v[42:43]
	ds_bpermute_b32 v42, v53, v34
	ds_bpermute_b32 v43, v53, v35
	s_and_saveexec_b32 s6, s4
	s_cbranch_execz .LBB312_47
; %bb.46:                               ;   in Loop: Header=BB312_23 Depth=2
	s_wait_dscnt 0x0
	v_pk_add_f32 v[34:35], v[34:35], v[42:43]
	ds_store_b64 v46, v[34:35]
.LBB312_47:                             ;   in Loop: Header=BB312_23 Depth=2
	s_or_b32 exec_lo, exec_lo, s6
	v_mov_b64_e32 v[34:35], 0
	s_wait_dscnt 0x0
	s_barrier_signal -1
	s_barrier_wait -1
	s_and_saveexec_b32 s6, s5
	s_cbranch_execnz .LBB312_62
; %bb.48:                               ;   in Loop: Header=BB312_23 Depth=2
	s_or_b32 exec_lo, exec_lo, s6
	s_and_saveexec_b32 s6, s3
	s_cbranch_execnz .LBB312_63
.LBB312_49:                             ;   in Loop: Header=BB312_23 Depth=2
	s_or_b32 exec_lo, exec_lo, s6
	s_and_saveexec_b32 s6, s0
	s_cbranch_execz .LBB312_22
	s_branch .LBB312_64
.LBB312_50:                             ;   in Loop: Header=BB312_23 Depth=2
	flat_load_b64 v[42:43], v[18:19]
	s_mul_u64 s[8:9], s[24:25], s[26:27]
	s_or_b32 s72, s24, 3
	s_mov_b32 s73, s25
	v_lshl_add_u64 v[62:63], s[8:9], 3, v[16:17]
	s_mul_u64 s[8:9], s[72:73], s[26:27]
	s_or_b32 s58, s24, 1
	v_lshl_add_u64 v[74:75], s[8:9], 3, v[16:17]
	s_mov_b32 s59, s25
	s_or_b32 s70, s24, 2
	s_mul_u64 s[58:59], s[58:59], s[26:27]
	s_mov_b32 s71, s25
	v_lshl_add_u64 v[66:67], s[58:59], 3, v[16:17]
	s_mul_u64 s[8:9], s[70:71], s[26:27]
	s_delay_alu instid0(SALU_CYCLE_1)
	v_lshl_add_u64 v[70:71], s[8:9], 3, v[16:17]
	s_wait_loadcnt_dscnt 0x0
	ds_store_b64 v44, v[42:43]
	flat_load_b64 v[78:79], v[20:21]
	s_wait_loadcnt_dscnt 0x0
	ds_store_b64 v44, v[78:79] offset:8
	flat_load_b64 v[34:35], v[22:23]
	s_wait_loadcnt_dscnt 0x0
	ds_store_b64 v44, v[34:35] offset:16
	;; [unrolled: 3-line block ×3, first 2 shown]
	s_clause 0x7
	flat_load_b128 v[34:37], v[62:63]
	flat_load_b128 v[54:57], v[66:67]
	flat_load_b128 v[38:41], v[74:75]
	flat_load_b128 v[58:61], v[70:71]
	flat_load_b128 v[62:65], v[62:63] offset:16
	flat_load_b128 v[66:69], v[66:67] offset:16
	;; [unrolled: 1-line block ×4, first 2 shown]
	s_wait_loadcnt_dscnt 0x707
	v_dual_mul_f32 v80, v43, v35 :: v_dual_mul_f32 v81, v42, v35
	s_wait_loadcnt_dscnt 0x505
	v_dual_mul_f32 v35, v43, v39 :: v_dual_mul_f32 v83, v42, v39
	v_pk_mul_f32 v[84:85], v[78:79], v[40:41] op_sel:[1,0]
	v_pk_mul_f32 v[86:87], v[78:79], v[36:37] op_sel:[1,0]
	s_delay_alu instid0(VALU_DEP_3) | instskip(NEXT) | instid1(VALU_DEP_4)
	v_dual_mul_f32 v90, v43, v55 :: v_dual_fma_f32 v82, v42, v38, -v35
	v_fmac_f32_e32 v83, v43, v38
	s_delay_alu instid0(VALU_DEP_4)
	v_pk_fma_f32 v[38:39], v[78:79], v[40:41], v[84:85] op_sel:[0,0,1] op_sel_hi:[1,1,0] neg_lo:[0,0,1] neg_hi:[0,0,1]
	v_pk_fma_f32 v[40:41], v[78:79], v[40:41], v[84:85] op_sel:[0,0,1] op_sel_hi:[0,1,0]
	v_mul_f32_e32 v85, v42, v55
	s_wait_loadcnt_dscnt 0x404
	v_dual_mul_f32 v39, v43, v59 :: v_dual_fma_f32 v80, v42, v34, -v80
	v_dual_fmac_f32 v81, v43, v34 :: v_dual_mul_f32 v55, v42, v59
	v_pk_fma_f32 v[88:89], v[78:79], v[36:37], v[86:87] op_sel:[0,0,1] op_sel_hi:[1,1,0] neg_lo:[0,0,1] neg_hi:[0,0,1]
	v_pk_fma_f32 v[86:87], v[78:79], v[36:37], v[86:87] op_sel:[0,0,1] op_sel_hi:[0,1,0]
	v_pk_mul_f32 v[34:35], v[78:79], v[56:57] op_sel:[1,0]
	v_pk_mul_f32 v[36:37], v[78:79], v[60:61] op_sel:[1,0]
	v_dual_fma_f32 v84, v42, v54, -v90 :: v_dual_fmac_f32 v85, v43, v54
	v_fma_f32 v54, v42, v58, -v39
	v_fmac_f32_e32 v55, v43, v58
	v_pk_fma_f32 v[42:43], v[78:79], v[56:57], v[34:35] op_sel:[0,0,1] op_sel_hi:[1,1,0] neg_lo:[0,0,1] neg_hi:[0,0,1]
	v_pk_fma_f32 v[56:57], v[78:79], v[56:57], v[34:35] op_sel:[0,0,1] op_sel_hi:[0,1,0]
	v_pk_fma_f32 v[58:59], v[78:79], v[60:61], v[36:37] op_sel:[0,0,1] op_sel_hi:[1,1,0] neg_lo:[0,0,1] neg_hi:[0,0,1]
	v_pk_fma_f32 v[60:61], v[78:79], v[60:61], v[36:37] op_sel:[0,0,1] op_sel_hi:[0,1,0]
	ds_load_b128 v[34:37], v44 offset:16
	s_wait_loadcnt_dscnt 0x304
	v_dual_mov_b32 v40, v65 :: v_dual_mov_b32 v39, v41
	s_wait_dscnt 0x0
	v_dual_mov_b32 v89, v87 :: v_dual_mov_b32 v78, v37
	v_mov_b32_e32 v79, v36
	v_pk_mul_f32 v[92:93], v[34:35], v[62:63] op_sel:[1,1] op_sel_hi:[0,1]
	s_wait_loadcnt 0x2
	v_pk_mul_f32 v[96:97], v[34:35], v[66:67] op_sel:[1,1] op_sel_hi:[0,1]
	s_wait_loadcnt 0x1
	v_pk_mul_f32 v[100:101], v[34:35], v[70:71] op_sel:[1,1] op_sel_hi:[0,1]
	v_pk_add_f32 v[54:55], v[54:55], 0 op_sel_hi:[1,0]
	v_pk_mul_f32 v[90:91], v[78:79], v[40:41] op_sel_hi:[1,0]
	v_mov_b32_e32 v40, v69
	v_pk_fma_f32 v[94:95], v[34:35], v[62:63], v[92:93] neg_lo:[0,0,1] neg_hi:[0,0,1]
	s_wait_xcnt 0x3
	v_pk_fma_f32 v[62:63], v[34:35], v[62:63], v[92:93] op_sel_hi:[1,0,1]
	v_pk_fma_f32 v[98:99], v[34:35], v[66:67], v[96:97] neg_lo:[0,0,1] neg_hi:[0,0,1]
	v_pk_fma_f32 v[92:93], v[36:37], v[64:65], v[90:91] neg_lo:[0,0,1] neg_hi:[0,0,1]
	v_pk_fma_f32 v[64:65], v[36:37], v[64:65], v[90:91] op_sel_hi:[1,0,1]
	v_pk_mul_f32 v[90:91], v[78:79], v[40:41] op_sel_hi:[1,0]
	v_mov_b32_e32 v40, v73
	s_wait_xcnt 0x2
	v_pk_fma_f32 v[66:67], v[34:35], v[66:67], v[96:97] op_sel_hi:[1,0,1]
	v_mov_b32_e32 v95, v63
	v_pk_fma_f32 v[102:103], v[34:35], v[70:71], v[100:101] neg_lo:[0,0,1] neg_hi:[0,0,1]
	v_pk_fma_f32 v[96:97], v[36:37], v[68:69], v[90:91] neg_lo:[0,0,1] neg_hi:[0,0,1]
	v_pk_fma_f32 v[68:69], v[36:37], v[68:69], v[90:91] op_sel_hi:[1,0,1]
	v_pk_mul_f32 v[90:91], v[78:79], v[40:41] op_sel_hi:[1,0]
	s_wait_loadcnt 0x0
	v_mov_b32_e32 v40, v77
	s_wait_xcnt 0x1
	v_pk_fma_f32 v[70:71], v[34:35], v[70:71], v[100:101] op_sel_hi:[1,0,1]
	v_dual_mov_b32 v43, v57 :: v_dual_mov_b32 v99, v67
	v_pk_fma_f32 v[100:101], v[36:37], v[72:73], v[90:91] neg_lo:[0,0,1] neg_hi:[0,0,1]
	v_pk_mul_f32 v[78:79], v[78:79], v[40:41] op_sel_hi:[1,0]
	v_pk_mul_f32 v[40:41], v[34:35], v[74:75] op_sel:[1,1] op_sel_hi:[0,1]
	v_pk_fma_f32 v[72:73], v[36:37], v[72:73], v[90:91] op_sel_hi:[1,0,1]
	v_dual_mov_b32 v59, v61 :: v_dual_mov_b32 v103, v71
	v_pk_add_f32 v[56:57], v[80:81], 0 op_sel_hi:[1,0]
	s_delay_alu instid0(VALU_DEP_4)
	v_pk_fma_f32 v[90:91], v[34:35], v[74:75], v[40:41] op_sel_hi:[1,0,1]
	v_pk_fma_f32 v[34:35], v[34:35], v[74:75], v[40:41] neg_lo:[0,0,1] neg_hi:[0,0,1]
	v_pk_add_f32 v[40:41], v[82:83], 0 op_sel_hi:[1,0]
	v_pk_add_f32 v[60:61], v[84:85], 0 op_sel_hi:[1,0]
	v_pk_fma_f32 v[62:63], v[36:37], v[76:77], v[78:79] neg_lo:[0,0,1] neg_hi:[0,0,1]
	v_mov_b32_e32 v35, v91
	v_pk_fma_f32 v[36:37], v[36:37], v[76:77], v[78:79] op_sel_hi:[1,0,1]
	v_pk_add_f32 v[38:39], v[40:41], v[38:39]
	v_pk_add_f32 v[40:41], v[56:57], v[88:89]
	;; [unrolled: 1-line block ×4, first 2 shown]
	v_dual_mov_b32 v93, v65 :: v_dual_mov_b32 v97, v69
	v_dual_mov_b32 v101, v73 :: v_dual_mov_b32 v63, v37
	v_pk_add_f32 v[36:37], v[40:41], v[94:95]
	v_pk_add_f32 v[40:41], v[42:43], v[98:99]
	;; [unrolled: 1-line block ×4, first 2 shown]
	s_delay_alu instid0(VALU_DEP_4) | instskip(NEXT) | instid1(VALU_DEP_4)
	v_pk_add_f32 v[38:39], v[36:37], v[92:93]
	v_pk_add_f32 v[40:41], v[40:41], v[96:97]
	s_delay_alu instid0(VALU_DEP_4) | instskip(NEXT) | instid1(VALU_DEP_4)
	v_pk_add_f32 v[36:37], v[42:43], v[100:101]
	v_pk_add_f32 v[34:35], v[34:35], v[62:63]
	s_wait_xcnt 0x0
	s_and_not1_saveexec_b32 s6, s6
	s_cbranch_execz .LBB312_25
.LBB312_51:                             ;   in Loop: Header=BB312_23 Depth=2
	v_dual_mov_b32 v39, 0 :: v_dual_mov_b32 v38, 0
	v_dual_mov_b32 v41, 0 :: v_dual_mov_b32 v40, 0
	;; [unrolled: 1-line block ×3, first 2 shown]
	s_wait_dscnt 0x0
	v_dual_mov_b32 v35, 0 :: v_dual_mov_b32 v34, 0
	s_and_saveexec_b32 s7, s2
	s_cbranch_execz .LBB312_66
; %bb.52:                               ;   in Loop: Header=BB312_23 Depth=2
	v_mov_b64_e32 v[34:35], v[30:31]
	v_mov_b32_e32 v36, v44
	s_and_not1_b32 vcc_lo, exec_lo, s12
	s_mov_b32 s8, s64
	s_cbranch_vccnz .LBB312_65
.LBB312_53:                             ;   Parent Loop BB312_3 Depth=1
                                        ;     Parent Loop BB312_23 Depth=2
                                        ; =>    This Inner Loop Header: Depth=3
	flat_load_b64 v[38:39], v[34:35]
	s_wait_xcnt 0x0
	v_add_nc_u64_e32 v[34:35], s[46:47], v[34:35]
	s_add_co_i32 s8, s8, -1
	s_delay_alu instid0(SALU_CYCLE_1)
	s_cmp_eq_u32 s8, 0
	s_wait_loadcnt_dscnt 0x0
	ds_store_b64 v36, v[38:39]
	v_add_nc_u32_e32 v36, 8, v36
	s_cbranch_scc0 .LBB312_53
; %bb.54:                               ;   in Loop: Header=BB312_23 Depth=2
	v_dual_mov_b32 v34, 0 :: v_dual_mov_b32 v54, v44
	v_mov_b64_e32 v[42:43], v[32:33]
	s_mov_b32 s8, s64
	s_delay_alu instid0(VALU_DEP_2)
	v_dual_mov_b32 v35, v34 :: v_dual_mov_b32 v36, v34
	v_dual_mov_b32 v37, v34 :: v_dual_mov_b32 v40, v34
	;; [unrolled: 1-line block ×3, first 2 shown]
	v_mov_b32_e32 v39, v34
.LBB312_55:                             ;   Parent Loop BB312_3 Depth=1
                                        ;     Parent Loop BB312_23 Depth=2
                                        ; =>    This Inner Loop Header: Depth=3
	v_add_nc_u64_e32 v[56:57], s[54:55], v[42:43]
	v_add_nc_u64_e32 v[58:59], s[52:53], v[42:43]
	;; [unrolled: 1-line block ×3, first 2 shown]
	s_add_co_i32 s8, s8, -1
	s_clause 0x3
	flat_load_b64 v[62:63], v[42:43]
	flat_load_b64 v[56:57], v[56:57]
	flat_load_b64 v[58:59], v[58:59]
	flat_load_b64 v[60:61], v[60:61]
	ds_load_b64 v[64:65], v54
	s_wait_xcnt 0x3
	v_add_nc_u64_e32 v[42:43], 8, v[42:43]
	s_cmp_lg_u32 s8, 0
	s_wait_loadcnt_dscnt 0x300
	v_pk_mul_f32 v[66:67], v[64:65], v[62:63] op_sel:[1,1] op_sel_hi:[0,1]
	s_wait_loadcnt 0x1
	v_pk_mul_f32 v[70:71], v[64:65], v[58:59] op_sel:[1,1] op_sel_hi:[0,1]
	s_wait_loadcnt 0x0
	v_pk_mul_f32 v[72:73], v[64:65], v[60:61] op_sel:[1,1] op_sel_hi:[0,1]
	v_pk_fma_f32 v[68:69], v[64:65], v[62:63], v[66:67] neg_lo:[0,0,1] neg_hi:[0,0,1]
	v_pk_fma_f32 v[62:63], v[64:65], v[62:63], v[66:67] op_sel_hi:[1,0,1]
	v_pk_mul_f32 v[66:67], v[64:65], v[56:57] op_sel:[1,1] op_sel_hi:[0,1]
	v_add_nc_u32_e32 v54, 8, v54
	v_pk_fma_f32 v[74:75], v[64:65], v[60:61], v[72:73] op_sel_hi:[1,0,1]
	s_wait_xcnt 0x0
	v_pk_fma_f32 v[60:61], v[64:65], v[60:61], v[72:73] neg_lo:[0,0,1] neg_hi:[0,0,1]
	v_mov_b32_e32 v69, v63
	v_pk_fma_f32 v[62:63], v[64:65], v[56:57], v[66:67] neg_lo:[0,0,1] neg_hi:[0,0,1]
	v_pk_fma_f32 v[56:57], v[64:65], v[56:57], v[66:67] op_sel_hi:[1,0,1]
	v_pk_fma_f32 v[66:67], v[64:65], v[58:59], v[70:71] op_sel_hi:[1,0,1]
	v_pk_fma_f32 v[58:59], v[64:65], v[58:59], v[70:71] neg_lo:[0,0,1] neg_hi:[0,0,1]
	v_mov_b32_e32 v61, v75
	v_pk_add_f32 v[38:39], v[38:39], v[68:69]
	s_delay_alu instid0(VALU_DEP_4) | instskip(NEXT) | instid1(VALU_DEP_3)
	v_dual_mov_b32 v63, v57 :: v_dual_mov_b32 v59, v67
	v_pk_add_f32 v[34:35], v[34:35], v[60:61]
	s_delay_alu instid0(VALU_DEP_2) | instskip(NEXT) | instid1(VALU_DEP_3)
	v_pk_add_f32 v[40:41], v[40:41], v[62:63]
	v_pk_add_f32 v[36:37], v[36:37], v[58:59]
	s_cbranch_scc1 .LBB312_55
	s_branch .LBB312_66
.LBB312_56:                             ;   in Loop: Header=BB312_23 Depth=2
	ds_load_b64 v[38:39], v45
	s_or_b32 exec_lo, exec_lo, s6
	s_and_saveexec_b32 s6, s3
	s_cbranch_execz .LBB312_31
.LBB312_57:                             ;   in Loop: Header=BB312_23 Depth=2
	s_wait_dscnt 0x0
	ds_bpermute_b32 v42, v51, v38
	ds_bpermute_b32 v43, v51, v39
	s_wait_dscnt 0x0
	v_pk_add_f32 v[38:39], v[38:39], v[42:43]
	ds_bpermute_b32 v42, v52, v38
	ds_bpermute_b32 v43, v52, v39
	s_wait_dscnt 0x0
	v_pk_add_f32 v[38:39], v[38:39], v[42:43]
	;; [unrolled: 4-line block ×3, first 2 shown]
	s_or_b32 exec_lo, exec_lo, s6
	s_and_saveexec_b32 s6, s3
	s_cbranch_execnz .LBB312_32
	s_branch .LBB312_33
.LBB312_58:                             ;   in Loop: Header=BB312_23 Depth=2
	ds_load_b64 v[40:41], v45
	s_or_b32 exec_lo, exec_lo, s6
	s_and_saveexec_b32 s6, s3
	s_cbranch_execz .LBB312_37
.LBB312_59:                             ;   in Loop: Header=BB312_23 Depth=2
	s_wait_dscnt 0x0
	ds_bpermute_b32 v42, v51, v40
	ds_bpermute_b32 v43, v51, v41
	s_wait_dscnt 0x0
	v_pk_add_f32 v[40:41], v[40:41], v[42:43]
	ds_bpermute_b32 v42, v52, v40
	ds_bpermute_b32 v43, v52, v41
	s_wait_dscnt 0x0
	v_pk_add_f32 v[40:41], v[40:41], v[42:43]
	;; [unrolled: 4-line block ×3, first 2 shown]
	s_or_b32 exec_lo, exec_lo, s6
	s_and_saveexec_b32 s6, s3
	s_cbranch_execnz .LBB312_38
	s_branch .LBB312_39
.LBB312_60:                             ;   in Loop: Header=BB312_23 Depth=2
	ds_load_b64 v[36:37], v45
	s_or_b32 exec_lo, exec_lo, s6
	s_and_saveexec_b32 s6, s3
	s_cbranch_execz .LBB312_43
.LBB312_61:                             ;   in Loop: Header=BB312_23 Depth=2
	s_wait_dscnt 0x0
	ds_bpermute_b32 v42, v51, v36
	ds_bpermute_b32 v43, v51, v37
	s_wait_dscnt 0x0
	v_pk_add_f32 v[36:37], v[36:37], v[42:43]
	ds_bpermute_b32 v42, v52, v36
	ds_bpermute_b32 v43, v52, v37
	s_wait_dscnt 0x0
	v_pk_add_f32 v[36:37], v[36:37], v[42:43]
	;; [unrolled: 4-line block ×3, first 2 shown]
	s_or_b32 exec_lo, exec_lo, s6
	s_and_saveexec_b32 s6, s3
	s_cbranch_execnz .LBB312_44
	s_branch .LBB312_45
.LBB312_62:                             ;   in Loop: Header=BB312_23 Depth=2
	ds_load_b64 v[34:35], v45
	s_or_b32 exec_lo, exec_lo, s6
	s_and_saveexec_b32 s6, s3
	s_cbranch_execz .LBB312_49
.LBB312_63:                             ;   in Loop: Header=BB312_23 Depth=2
	s_wait_dscnt 0x0
	ds_bpermute_b32 v42, v51, v34
	ds_bpermute_b32 v43, v51, v35
	s_wait_dscnt 0x0
	v_pk_add_f32 v[34:35], v[34:35], v[42:43]
	ds_bpermute_b32 v42, v52, v34
	ds_bpermute_b32 v43, v52, v35
	s_wait_dscnt 0x0
	v_pk_add_f32 v[34:35], v[34:35], v[42:43]
	;; [unrolled: 4-line block ×3, first 2 shown]
	s_or_b32 exec_lo, exec_lo, s6
	s_and_saveexec_b32 s6, s0
	s_cbranch_execz .LBB312_22
.LBB312_64:                             ;   in Loop: Header=BB312_23 Depth=2
	v_mov_b64_e32 v[42:43], s[36:37]
	v_mov_b64_e32 v[54:55], s[14:15]
	s_or_b32 s58, s24, 1
	s_mov_b32 s59, s25
	s_mul_u64 s[8:9], s[24:25], s[30:31]
	s_mul_u64 s[58:59], s[58:59], s[30:31]
	s_lshl_b64 s[8:9], s[8:9], 3
	v_pk_mul_f32 v[56:57], v[38:39], v[42:43] op_sel:[1,0]
	v_pk_mul_f32 v[58:59], v[40:41], v[42:43] op_sel:[1,0]
	s_lshl_b64 s[58:59], s[58:59], 3
	s_add_nc_u64 s[8:9], s[56:57], s[8:9]
	s_add_nc_u64 s[58:59], s[56:57], s[58:59]
	v_pk_fma_f32 v[60:61], v[38:39], v[54:55], v[56:57] op_sel_hi:[0,1,1]
	v_pk_fma_f32 v[62:63], v[40:41], v[54:55], v[58:59] op_sel_hi:[0,1,1]
	v_pk_fma_f32 v[38:39], v[38:39], v[54:55], v[56:57] neg_lo:[0,0,1] neg_hi:[0,0,1]
	v_pk_fma_f32 v[40:41], v[40:41], v[54:55], v[58:59] neg_lo:[0,0,1] neg_hi:[0,0,1]
	s_or_b32 s70, s24, 2
	s_delay_alu instid0(VALU_DEP_3)
	v_dual_mov_b32 v39, v61 :: v_dual_mov_b32 v41, v63
	s_mov_b32 s71, s25
	global_store_b64 v47, v[38:39], s[8:9]
	s_wait_xcnt 0x0
	v_pk_mul_f32 v[38:39], v[36:37], v[42:43] op_sel:[1,0]
	global_store_b64 v47, v[40:41], s[58:59]
	s_wait_dscnt 0x0
	s_wait_xcnt 0x0
	v_pk_mul_f32 v[40:41], v[34:35], v[42:43] op_sel:[1,0]
	s_or_b32 s58, s24, 3
	s_mov_b32 s59, s25
	v_pk_fma_f32 v[42:43], v[36:37], v[54:55], v[38:39] op_sel_hi:[0,1,1]
	v_pk_fma_f32 v[36:37], v[36:37], v[54:55], v[38:39] neg_lo:[0,0,1] neg_hi:[0,0,1]
	v_pk_fma_f32 v[38:39], v[34:35], v[54:55], v[40:41] op_sel_hi:[0,1,1]
	s_mul_u64 s[8:9], s[70:71], s[30:31]
	s_mul_u64 s[58:59], s[58:59], s[30:31]
	v_mov_b32_e32 v37, v43
	v_pk_fma_f32 v[34:35], v[34:35], v[54:55], v[40:41] neg_lo:[0,0,1] neg_hi:[0,0,1]
	s_lshl_b64 s[8:9], s[8:9], 3
	v_mov_b32_e32 v35, v39
	s_lshl_b64 s[58:59], s[58:59], 3
	s_add_nc_u64 s[8:9], s[56:57], s[8:9]
	s_add_nc_u64 s[58:59], s[56:57], s[58:59]
	s_clause 0x1
	global_store_b64 v47, v[36:37], s[8:9]
	global_store_b64 v47, v[34:35], s[58:59]
	s_branch .LBB312_22
.LBB312_65:                             ;   in Loop: Header=BB312_23 Depth=2
	v_mov_b32_e32 v39, 0
	s_delay_alu instid0(VALU_DEP_1)
	v_dual_mov_b32 v38, v39 :: v_dual_mov_b32 v41, v39
	v_dual_mov_b32 v40, v39 :: v_dual_mov_b32 v37, v39
	;; [unrolled: 1-line block ×3, first 2 shown]
	v_mov_b32_e32 v34, v39
.LBB312_66:                             ;   in Loop: Header=BB312_23 Depth=2
	s_or_b32 exec_lo, exec_lo, s7
	s_delay_alu instid0(SALU_CYCLE_1)
	s_or_b32 exec_lo, exec_lo, s6
	s_and_saveexec_b32 s6, s3
	s_cbranch_execnz .LBB312_26
	s_branch .LBB312_27
.LBB312_67:                             ;   in Loop: Header=BB312_3 Depth=1
	s_mov_b32 s24, 0
.LBB312_68:                             ;   in Loop: Header=BB312_3 Depth=1
	s_delay_alu instid0(SALU_CYCLE_1)
	s_cmp_ge_i32 s24, s13
	s_cbranch_scc1 .LBB312_2
; %bb.69:                               ;   in Loop: Header=BB312_3 Depth=1
	v_cmp_gt_u32_e32 vcc_lo, 24, v48
	v_add_nc_u64_e32 v[28:29], v[28:29], v[12:13]
	v_cndmask_b32_e64 v30, 0, 8, vcc_lo
	v_cmp_gt_u32_e32 vcc_lo, 28, v48
	s_delay_alu instid0(VALU_DEP_3) | instskip(SKIP_1) | instid1(VALU_DEP_3)
	v_mad_nc_u64_u32 v[28:29], s54, s24, v[28:29]
	s_wait_dscnt 0x0
	v_add_lshl_u32 v34, v30, v48, 2
	v_cndmask_b32_e64 v31, 0, 4, vcc_lo
	v_cmp_gt_u32_e32 vcc_lo, 30, v48
	s_delay_alu instid0(VALU_DEP_2) | instskip(SKIP_3) | instid1(VALU_DEP_3)
	v_add_lshl_u32 v35, v31, v48, 2
	v_cndmask_b32_e64 v32, 0, 2, vcc_lo
	v_cmp_ne_u32_e32 vcc_lo, 31, v48
	v_mad_u32 v29, s55, s24, v29
	v_add_lshl_u32 v36, v32, v48, 2
	v_add_co_ci_u32_e64 v33, null, 0, v48, vcc_lo
	s_delay_alu instid0(VALU_DEP_1)
	v_lshlrev_b32_e32 v37, 2, v33
	s_branch .LBB312_71
.LBB312_70:                             ;   in Loop: Header=BB312_71 Depth=2
	s_wait_xcnt 0x0
	s_or_b32 exec_lo, exec_lo, s6
	v_add_nc_u64_e32 v[28:29], s[54:55], v[28:29]
	s_add_co_i32 s24, s24, 1
	s_delay_alu instid0(SALU_CYCLE_1)
	s_cmp_ge_i32 s24, s13
	s_cbranch_scc1 .LBB312_2
.LBB312_71:                             ;   Parent Loop BB312_3 Depth=1
                                        ; =>  This Loop Header: Depth=2
                                        ;       Child Loop BB312_83 Depth 3
                                        ;       Child Loop BB312_85 Depth 3
                                        ; implicit-def: $vgpr31
	s_and_saveexec_b32 s6, s1
	s_delay_alu instid0(SALU_CYCLE_1)
	s_xor_b32 s6, exec_lo, s6
	s_cbranch_execnz .LBB312_80
; %bb.72:                               ;   in Loop: Header=BB312_71 Depth=2
	s_and_not1_saveexec_b32 s6, s6
	s_cbranch_execnz .LBB312_81
.LBB312_73:                             ;   in Loop: Header=BB312_71 Depth=2
	s_or_b32 exec_lo, exec_lo, s6
	s_and_saveexec_b32 s6, s3
.LBB312_74:                             ;   in Loop: Header=BB312_71 Depth=2
	ds_store_b64 v45, v[14:15]
.LBB312_75:                             ;   in Loop: Header=BB312_71 Depth=2
	s_or_b32 exec_lo, exec_lo, s6
	s_wait_dscnt 0x0
	ds_bpermute_b32 v32, v49, v30
	ds_bpermute_b32 v33, v49, v31
	s_wait_storecnt_dscnt 0x0
	s_barrier_signal -1
	s_barrier_wait -1
	v_pk_add_f32 v[30:31], v[30:31], v[32:33]
	ds_bpermute_b32 v32, v34, v30
	ds_bpermute_b32 v33, v34, v31
	s_wait_dscnt 0x0
	v_pk_add_f32 v[30:31], v[30:31], v[32:33]
	ds_bpermute_b32 v32, v35, v30
	ds_bpermute_b32 v33, v35, v31
	s_wait_dscnt 0x0
	;; [unrolled: 4-line block ×3, first 2 shown]
	v_pk_add_f32 v[30:31], v[30:31], v[32:33]
	ds_bpermute_b32 v32, v37, v30
	ds_bpermute_b32 v33, v37, v31
	s_and_saveexec_b32 s6, s4
	s_cbranch_execz .LBB312_77
; %bb.76:                               ;   in Loop: Header=BB312_71 Depth=2
	s_wait_dscnt 0x0
	v_pk_add_f32 v[30:31], v[30:31], v[32:33]
	ds_store_b64 v46, v[30:31]
.LBB312_77:                             ;   in Loop: Header=BB312_71 Depth=2
	s_or_b32 exec_lo, exec_lo, s6
	v_mov_b64_e32 v[30:31], 0
	s_wait_dscnt 0x0
	s_barrier_signal -1
	s_barrier_wait -1
	s_and_saveexec_b32 s6, s5
	s_cbranch_execnz .LBB312_87
; %bb.78:                               ;   in Loop: Header=BB312_71 Depth=2
	s_or_b32 exec_lo, exec_lo, s6
	s_and_saveexec_b32 s6, s3
	s_cbranch_execnz .LBB312_88
.LBB312_79:                             ;   in Loop: Header=BB312_71 Depth=2
	s_or_b32 exec_lo, exec_lo, s6
	s_and_saveexec_b32 s6, s0
	s_cbranch_execz .LBB312_70
	s_branch .LBB312_89
.LBB312_80:                             ;   in Loop: Header=BB312_71 Depth=2
	flat_load_b64 v[38:39], v[18:19]
	s_mul_u64 s[8:9], s[24:25], s[26:27]
	s_delay_alu instid0(SALU_CYCLE_1)
	v_lshl_add_u64 v[52:53], s[8:9], 3, v[16:17]
	s_wait_loadcnt_dscnt 0x0
	ds_store_b64 v44, v[38:39]
	flat_load_b64 v[40:41], v[20:21]
	s_wait_loadcnt_dscnt 0x0
	ds_store_b64 v44, v[40:41] offset:8
	flat_load_b64 v[42:43], v[22:23]
	s_wait_loadcnt_dscnt 0x0
	ds_store_b64 v44, v[42:43] offset:16
	;; [unrolled: 3-line block ×3, first 2 shown]
	s_clause 0x2
	flat_load_b64 v[54:55], v[52:53]
	flat_load_b128 v[30:33], v[52:53] offset:8
	flat_load_b64 v[52:53], v[52:53] offset:24
	s_wait_loadcnt_dscnt 0x202
	v_dual_mul_f32 v56, v39, v55 :: v_dual_mul_f32 v57, v38, v55
	s_wait_loadcnt_dscnt 0x101
	v_pk_mul_f32 v[58:59], v[40:41], v[30:31] op_sel:[1,1] op_sel_hi:[1,0]
	v_dual_mov_b32 v60, v33 :: v_dual_mov_b32 v61, v32
	s_delay_alu instid0(VALU_DEP_3) | instskip(NEXT) | instid1(VALU_DEP_3)
	v_dual_fma_f32 v56, v38, v54, -v56 :: v_dual_fmac_f32 v57, v39, v54
	v_pk_fma_f32 v[38:39], v[40:41], v[30:31], v[58:59] op_sel_hi:[0,1,1]
	v_pk_fma_f32 v[30:31], v[40:41], v[30:31], v[58:59] neg_lo:[0,0,1] neg_hi:[0,0,1]
	s_delay_alu instid0(VALU_DEP_4) | instskip(NEXT) | instid1(VALU_DEP_4)
	v_pk_mul_f32 v[54:55], v[42:43], v[60:61] op_sel:[1,0]
	v_pk_add_f32 v[40:41], v[56:57], 0 op_sel_hi:[1,0]
	s_delay_alu instid0(VALU_DEP_4) | instskip(SKIP_4) | instid1(VALU_DEP_2)
	v_mov_b32_e32 v31, v39
	s_wait_loadcnt_dscnt 0x0
	v_pk_mul_f32 v[56:57], v[50:51], v[52:53] op_sel:[1,1] op_sel_hi:[1,0]
	v_pk_fma_f32 v[38:39], v[42:43], v[32:33], v[54:55] op_sel_hi:[0,1,1]
	v_pk_fma_f32 v[32:33], v[42:43], v[32:33], v[54:55] neg_lo:[0,0,1] neg_hi:[0,0,1]
	v_mov_b32_e32 v33, v39
	v_pk_add_f32 v[30:31], v[40:41], v[30:31]
	v_pk_fma_f32 v[38:39], v[50:51], v[52:53], v[56:57] op_sel_hi:[0,1,1]
	v_pk_fma_f32 v[40:41], v[50:51], v[52:53], v[56:57] neg_lo:[0,0,1] neg_hi:[0,0,1]
	s_delay_alu instid0(VALU_DEP_3) | instskip(NEXT) | instid1(VALU_DEP_3)
	v_pk_add_f32 v[30:31], v[30:31], v[32:33]
	v_mov_b32_e32 v41, v39
	s_delay_alu instid0(VALU_DEP_1)
	v_pk_add_f32 v[30:31], v[30:31], v[40:41]
	s_wait_xcnt 0x0
	s_and_not1_saveexec_b32 s6, s6
	s_cbranch_execz .LBB312_73
.LBB312_81:                             ;   in Loop: Header=BB312_71 Depth=2
	s_wait_dscnt 0x0
	v_mov_b32_e32 v31, 0
	s_delay_alu instid0(VALU_DEP_1)
	v_mov_b32_e32 v30, v31
	s_and_saveexec_b32 s7, s66
	s_cbranch_execz .LBB312_86
; %bb.82:                               ;   in Loop: Header=BB312_71 Depth=2
	v_mov_b64_e32 v[30:31], v[26:27]
	v_mov_b32_e32 v32, v44
	s_mov_b32 s8, s64
.LBB312_83:                             ;   Parent Loop BB312_3 Depth=1
                                        ;     Parent Loop BB312_71 Depth=2
                                        ; =>    This Inner Loop Header: Depth=3
	flat_load_b64 v[38:39], v[30:31]
	s_wait_xcnt 0x0
	v_add_nc_u64_e32 v[30:31], s[46:47], v[30:31]
	s_add_co_i32 s8, s8, -1
	s_delay_alu instid0(SALU_CYCLE_1)
	s_cmp_eq_u32 s8, 0
	s_wait_loadcnt_dscnt 0x0
	ds_store_b64 v32, v[38:39]
	v_add_nc_u32_e32 v32, 8, v32
	s_cbranch_scc0 .LBB312_83
; %bb.84:                               ;   in Loop: Header=BB312_71 Depth=2
	v_dual_mov_b32 v30, 0 :: v_dual_mov_b32 v38, v44
	v_mov_b64_e32 v[32:33], v[28:29]
	s_mov_b32 s8, s64
	s_delay_alu instid0(VALU_DEP_2)
	v_mov_b32_e32 v31, v30
.LBB312_85:                             ;   Parent Loop BB312_3 Depth=1
                                        ;     Parent Loop BB312_71 Depth=2
                                        ; =>    This Inner Loop Header: Depth=3
	flat_load_b64 v[40:41], v[32:33]
	ds_load_b64 v[42:43], v38
	s_wait_xcnt 0x0
	v_add_nc_u64_e32 v[32:33], 8, v[32:33]
	s_add_co_i32 s8, s8, -1
	v_add_nc_u32_e32 v38, 8, v38
	s_cmp_lg_u32 s8, 0
	s_wait_loadcnt_dscnt 0x0
	v_pk_mul_f32 v[50:51], v[42:43], v[40:41] op_sel:[1,1] op_sel_hi:[0,1]
	s_delay_alu instid0(VALU_DEP_1) | instskip(SKIP_1) | instid1(VALU_DEP_2)
	v_pk_fma_f32 v[52:53], v[42:43], v[40:41], v[50:51] op_sel_hi:[1,0,1]
	v_pk_fma_f32 v[40:41], v[42:43], v[40:41], v[50:51] neg_lo:[0,0,1] neg_hi:[0,0,1]
	v_mov_b32_e32 v41, v53
	s_delay_alu instid0(VALU_DEP_1)
	v_pk_add_f32 v[30:31], v[30:31], v[40:41]
	s_cbranch_scc1 .LBB312_85
.LBB312_86:                             ;   in Loop: Header=BB312_71 Depth=2
	s_or_b32 exec_lo, exec_lo, s7
	s_delay_alu instid0(SALU_CYCLE_1)
	s_or_b32 exec_lo, exec_lo, s6
	s_and_saveexec_b32 s6, s3
	s_cbranch_execnz .LBB312_74
	s_branch .LBB312_75
.LBB312_87:                             ;   in Loop: Header=BB312_71 Depth=2
	ds_load_b64 v[30:31], v45
	s_or_b32 exec_lo, exec_lo, s6
	s_and_saveexec_b32 s6, s3
	s_cbranch_execz .LBB312_79
.LBB312_88:                             ;   in Loop: Header=BB312_71 Depth=2
	s_wait_dscnt 0x0
	ds_bpermute_b32 v32, v35, v30
	ds_bpermute_b32 v33, v35, v31
	s_wait_dscnt 0x0
	v_pk_add_f32 v[30:31], v[30:31], v[32:33]
	ds_bpermute_b32 v32, v36, v30
	ds_bpermute_b32 v33, v36, v31
	s_wait_dscnt 0x0
	v_pk_add_f32 v[30:31], v[30:31], v[32:33]
	;; [unrolled: 4-line block ×3, first 2 shown]
	s_or_b32 exec_lo, exec_lo, s6
	s_and_saveexec_b32 s6, s0
	s_cbranch_execz .LBB312_70
.LBB312_89:                             ;   in Loop: Header=BB312_71 Depth=2
	v_mov_b64_e32 v[32:33], s[36:37]
	v_mov_b64_e32 v[38:39], s[14:15]
	s_mul_u64 s[8:9], s[24:25], s[30:31]
	s_delay_alu instid0(SALU_CYCLE_1) | instskip(NEXT) | instid1(SALU_CYCLE_1)
	s_lshl_b64 s[8:9], s[8:9], 3
	s_add_nc_u64 s[8:9], s[56:57], s[8:9]
	s_wait_dscnt 0x0
	s_delay_alu instid0(VALU_DEP_2) | instskip(NEXT) | instid1(VALU_DEP_1)
	v_pk_mul_f32 v[32:33], v[30:31], v[32:33] op_sel:[1,0]
	v_pk_fma_f32 v[40:41], v[30:31], v[38:39], v[32:33] op_sel_hi:[0,1,1]
	v_pk_fma_f32 v[30:31], v[30:31], v[38:39], v[32:33] neg_lo:[0,0,1] neg_hi:[0,0,1]
	s_delay_alu instid0(VALU_DEP_2)
	v_mov_b32_e32 v31, v41
	global_store_b64 v47, v[30:31], s[8:9]
	s_branch .LBB312_70
.LBB312_90:
	s_sendmsg sendmsg(MSG_DEALLOC_VGPRS)
	s_endpgm
	.section	.rodata,"a",@progbits
	.p2align	6, 0x0
	.amdhsa_kernel _ZL23rocblas_gemvt_sn_kernelILb0ELi256ELi4ElPK19rocblas_complex_numIfES1_S1_EviiT4_lPKT3_lilS7_lilPT5_i
		.amdhsa_group_segment_fixed_size 8448
		.amdhsa_private_segment_fixed_size 0
		.amdhsa_kernarg_size 360
		.amdhsa_user_sgpr_count 4
		.amdhsa_user_sgpr_dispatch_ptr 1
		.amdhsa_user_sgpr_queue_ptr 0
		.amdhsa_user_sgpr_kernarg_segment_ptr 1
		.amdhsa_user_sgpr_dispatch_id 0
		.amdhsa_user_sgpr_kernarg_preload_length 0
		.amdhsa_user_sgpr_kernarg_preload_offset 0
		.amdhsa_user_sgpr_private_segment_size 0
		.amdhsa_wavefront_size32 1
		.amdhsa_uses_dynamic_stack 0
		.amdhsa_enable_private_segment 0
		.amdhsa_system_sgpr_workgroup_id_x 1
		.amdhsa_system_sgpr_workgroup_id_y 0
		.amdhsa_system_sgpr_workgroup_id_z 1
		.amdhsa_system_sgpr_workgroup_info 0
		.amdhsa_system_vgpr_workitem_id 2
		.amdhsa_next_free_vgpr 104
		.amdhsa_next_free_sgpr 76
		.amdhsa_named_barrier_count 0
		.amdhsa_reserve_vcc 1
		.amdhsa_float_round_mode_32 0
		.amdhsa_float_round_mode_16_64 0
		.amdhsa_float_denorm_mode_32 3
		.amdhsa_float_denorm_mode_16_64 3
		.amdhsa_fp16_overflow 0
		.amdhsa_memory_ordered 1
		.amdhsa_forward_progress 1
		.amdhsa_inst_pref_size 44
		.amdhsa_round_robin_scheduling 0
		.amdhsa_exception_fp_ieee_invalid_op 0
		.amdhsa_exception_fp_denorm_src 0
		.amdhsa_exception_fp_ieee_div_zero 0
		.amdhsa_exception_fp_ieee_overflow 0
		.amdhsa_exception_fp_ieee_underflow 0
		.amdhsa_exception_fp_ieee_inexact 0
		.amdhsa_exception_int_div_zero 0
	.end_amdhsa_kernel
	.section	.text._ZL23rocblas_gemvt_sn_kernelILb0ELi256ELi4ElPK19rocblas_complex_numIfES1_S1_EviiT4_lPKT3_lilS7_lilPT5_i,"axG",@progbits,_ZL23rocblas_gemvt_sn_kernelILb0ELi256ELi4ElPK19rocblas_complex_numIfES1_S1_EviiT4_lPKT3_lilS7_lilPT5_i,comdat
.Lfunc_end312:
	.size	_ZL23rocblas_gemvt_sn_kernelILb0ELi256ELi4ElPK19rocblas_complex_numIfES1_S1_EviiT4_lPKT3_lilS7_lilPT5_i, .Lfunc_end312-_ZL23rocblas_gemvt_sn_kernelILb0ELi256ELi4ElPK19rocblas_complex_numIfES1_S1_EviiT4_lPKT3_lilS7_lilPT5_i
                                        ; -- End function
	.set _ZL23rocblas_gemvt_sn_kernelILb0ELi256ELi4ElPK19rocblas_complex_numIfES1_S1_EviiT4_lPKT3_lilS7_lilPT5_i.num_vgpr, 104
	.set _ZL23rocblas_gemvt_sn_kernelILb0ELi256ELi4ElPK19rocblas_complex_numIfES1_S1_EviiT4_lPKT3_lilS7_lilPT5_i.num_agpr, 0
	.set _ZL23rocblas_gemvt_sn_kernelILb0ELi256ELi4ElPK19rocblas_complex_numIfES1_S1_EviiT4_lPKT3_lilS7_lilPT5_i.numbered_sgpr, 76
	.set _ZL23rocblas_gemvt_sn_kernelILb0ELi256ELi4ElPK19rocblas_complex_numIfES1_S1_EviiT4_lPKT3_lilS7_lilPT5_i.num_named_barrier, 0
	.set _ZL23rocblas_gemvt_sn_kernelILb0ELi256ELi4ElPK19rocblas_complex_numIfES1_S1_EviiT4_lPKT3_lilS7_lilPT5_i.private_seg_size, 0
	.set _ZL23rocblas_gemvt_sn_kernelILb0ELi256ELi4ElPK19rocblas_complex_numIfES1_S1_EviiT4_lPKT3_lilS7_lilPT5_i.uses_vcc, 1
	.set _ZL23rocblas_gemvt_sn_kernelILb0ELi256ELi4ElPK19rocblas_complex_numIfES1_S1_EviiT4_lPKT3_lilS7_lilPT5_i.uses_flat_scratch, 1
	.set _ZL23rocblas_gemvt_sn_kernelILb0ELi256ELi4ElPK19rocblas_complex_numIfES1_S1_EviiT4_lPKT3_lilS7_lilPT5_i.has_dyn_sized_stack, 0
	.set _ZL23rocblas_gemvt_sn_kernelILb0ELi256ELi4ElPK19rocblas_complex_numIfES1_S1_EviiT4_lPKT3_lilS7_lilPT5_i.has_recursion, 0
	.set _ZL23rocblas_gemvt_sn_kernelILb0ELi256ELi4ElPK19rocblas_complex_numIfES1_S1_EviiT4_lPKT3_lilS7_lilPT5_i.has_indirect_call, 0
	.section	.AMDGPU.csdata,"",@progbits
; Kernel info:
; codeLenInByte = 5596
; TotalNumSgprs: 78
; NumVgprs: 104
; ScratchSize: 0
; MemoryBound: 0
; FloatMode: 240
; IeeeMode: 1
; LDSByteSize: 8448 bytes/workgroup (compile time only)
; SGPRBlocks: 0
; VGPRBlocks: 6
; NumSGPRsForWavesPerEU: 78
; NumVGPRsForWavesPerEU: 104
; NamedBarCnt: 0
; Occupancy: 9
; WaveLimiterHint : 0
; COMPUTE_PGM_RSRC2:SCRATCH_EN: 0
; COMPUTE_PGM_RSRC2:USER_SGPR: 4
; COMPUTE_PGM_RSRC2:TRAP_HANDLER: 0
; COMPUTE_PGM_RSRC2:TGID_X_EN: 1
; COMPUTE_PGM_RSRC2:TGID_Y_EN: 0
; COMPUTE_PGM_RSRC2:TGID_Z_EN: 1
; COMPUTE_PGM_RSRC2:TIDIG_COMP_CNT: 2
	.section	.text._ZL23rocblas_gemvt_sn_reduceILi256ELi8E19rocblas_complex_numIfES1_KPS1_EviT2_lPT3_lilPT1_i,"axG",@progbits,_ZL23rocblas_gemvt_sn_reduceILi256ELi8E19rocblas_complex_numIfES1_KPS1_EviT2_lPT3_lilPT1_i,comdat
	.globl	_ZL23rocblas_gemvt_sn_reduceILi256ELi8E19rocblas_complex_numIfES1_KPS1_EviT2_lPT3_lilPT1_i ; -- Begin function _ZL23rocblas_gemvt_sn_reduceILi256ELi8E19rocblas_complex_numIfES1_KPS1_EviT2_lPT3_lilPT1_i
	.p2align	8
	.type	_ZL23rocblas_gemvt_sn_reduceILi256ELi8E19rocblas_complex_numIfES1_KPS1_EviT2_lPT3_lilPT1_i,@function
_ZL23rocblas_gemvt_sn_reduceILi256ELi8E19rocblas_complex_numIfES1_KPS1_EviT2_lPT3_lilPT1_i: ; @_ZL23rocblas_gemvt_sn_reduceILi256ELi8E19rocblas_complex_numIfES1_KPS1_EviT2_lPT3_lilPT1_i
; %bb.0:
	s_load_b32 s28, s[0:1], 0x40
	s_bfe_u32 s2, ttmp6, 0x40014
	s_lshr_b32 s3, ttmp7, 16
	s_add_co_i32 s2, s2, 1
	s_bfe_u32 s5, ttmp6, 0x40008
	s_mul_i32 s4, s3, s2
	s_getreg_b32 s2, hwreg(HW_REG_IB_STS2, 6, 4)
	s_add_co_i32 s5, s5, s4
	s_cmp_eq_u32 s2, 0
	s_mov_b32 s7, 0
	s_cselect_b32 s29, s3, s5
	s_wait_kmcnt 0x0
	s_cmp_ge_u32 s29, s28
	s_cbranch_scc1 .LBB313_21
; %bb.1:
	v_mbcnt_lo_u32_b32 v4, -1, 0
	s_clause 0x5
	s_load_b96 s[12:14], s[0:1], 0x0
	s_load_b32 s30, s[0:1], 0x4c
	s_load_b32 s3, s[0:1], 0x54
	;; [unrolled: 1-line block ×3, first 2 shown]
	s_load_b64 s[16:17], s[0:1], 0x38
	s_load_b128 s[8:11], s[0:1], 0x18
	s_wait_xcnt 0x0
	s_bfe_u32 s1, ttmp6, 0x40010
	s_and_b32 s0, ttmp7, 0xffff
	s_add_co_i32 s1, s1, 1
	v_cmp_gt_u32_e32 vcc_lo, 24, v4
	s_bfe_u32 s4, ttmp6, 0x40004
	s_mul_i32 s1, s0, s1
	v_dual_lshlrev_b32 v12, 3, v0 :: v_dual_bitop2_b32 v1, 31, v0 bitop3:0x40
	v_cndmask_b32_e64 v5, 0, 8, vcc_lo
	v_cmp_gt_u32_e32 vcc_lo, 28, v4
	s_add_co_i32 s4, s4, s1
	s_delay_alu instid0(VALU_DEP_3) | instskip(NEXT) | instid1(VALU_DEP_3)
	v_dual_mov_b32 v3, 0 :: v_dual_lshlrev_b32 v13, 3, v1
	v_add_lshl_u32 v15, v5, v4, 2
	v_cndmask_b32_e64 v5, 0, 4, vcc_lo
	v_cmp_gt_u32_e32 vcc_lo, 30, v4
	s_wait_kmcnt 0x0
	s_ashr_i32 s21, s12, 31
	s_ashr_i32 s25, s24, 31
	s_cmp_eq_u32 s2, 0
	v_lshl_or_b32 v14, v4, 2, 64
	v_cndmask_b32_e64 v6, 0, 2, vcc_lo
	v_cmp_ne_u32_e32 vcc_lo, 31, v4
	s_cselect_b32 s22, s0, s4
	s_lshr_b32 s0, s21, 29
	v_add_lshl_u32 v16, v5, v4, 2
	s_add_co_i32 s0, s12, s0
	v_add_co_ci_u32_e64 v7, null, 0, v4, vcc_lo
	v_add_lshl_u32 v17, v6, v4, 2
	v_lshrrev_b32_e32 v4, 2, v0
	s_and_b32 s31, s0, -8
	s_and_b32 s6, s3, 0xffff
	s_sub_co_i32 s1, s12, s31
	s_lshl_b32 s33, s6, 3
	v_xad_u32 v2, v0, -1, s12
	v_cmp_gt_u32_e64 s1, s1, v0
	v_cmp_gt_u32_e64 s2, 32, v0
	s_cmp_neq_f32 s13, 0
	v_lshlrev_b32_e32 v18, 2, v7
	v_cmp_eq_u32_e64 s3, 0, v1
	v_dual_mov_b32 v1, v3 :: v_dual_bitop2_b32 v19, 56, v4 bitop3:0x40
	v_cmp_gt_u32_e64 s4, 8, v0
	v_cmp_eq_u32_e64 s5, 0, v0
	v_lshlrev_b32_e32 v0, 6, v0
	s_mov_b32 s20, s12
	s_cselect_b32 s12, -1, 0
	s_cmp_neq_f32 s14, 0
	v_mov_b64_e32 v[4:5], 0
	v_add_nc_u64_e32 v[0:1], s[16:17], v[0:1]
	s_mov_b32 s23, s7
	v_cmp_gt_i32_e64 s0, s31, v12
	s_cselect_b32 s15, -1, 0
	s_mul_u64 s[26:27], s[24:25], s[22:23]
	s_mul_i32 s23, s29, s30
	s_mov_b32 s18, s13
	s_mov_b32 s19, s14
	s_or_b32 s34, s12, s15
	s_mov_b32 s12, s14
	s_lshl_b64 s[14:15], s[20:21], 3
	s_add_co_i32 s23, s22, s23
	s_lshl_b32 s35, s30, 16
	s_lshl_b32 s24, s6, 6
	s_mov_b32 s25, s7
	s_lshl_b64 s[10:11], s[10:11], 3
	s_lshl_b64 s[26:27], s[26:27], 3
	s_branch .LBB313_4
.LBB313_2:                              ;   in Loop: Header=BB313_4 Depth=1
	s_wait_dscnt 0x0
	flat_store_b64 v[6:7], v[8:9]
.LBB313_3:                              ;   in Loop: Header=BB313_4 Depth=1
	s_wait_xcnt 0x0
	s_or_b32 exec_lo, exec_lo, s6
	s_add_co_i32 s29, s29, 0x10000
	s_add_co_i32 s23, s23, s35
	s_cmp_lt_u32 s29, s28
	s_cbranch_scc0 .LBB313_21
.LBB313_4:                              ; =>This Loop Header: Depth=1
                                        ;     Child Loop BB313_14 Depth 2
	v_mov_b32_e32 v6, s29
	s_wait_dscnt 0x0
	v_mov_b64_e32 v[8:9], 0
	global_load_b64 v[6:7], v6, s[8:9] scale_offset
	s_wait_xcnt 0x0
	s_and_saveexec_b32 s6, s0
	s_cbranch_execnz .LBB313_13
; %bb.5:                                ;   in Loop: Header=BB313_4 Depth=1
	s_or_b32 exec_lo, exec_lo, s6
	s_and_saveexec_b32 s36, s1
	s_cbranch_execnz .LBB313_16
.LBB313_6:                              ;   in Loop: Header=BB313_4 Depth=1
	s_or_b32 exec_lo, exec_lo, s36
	s_and_saveexec_b32 s6, s2
.LBB313_7:                              ;   in Loop: Header=BB313_4 Depth=1
	ds_store_b64 v13, v[4:5]
.LBB313_8:                              ;   in Loop: Header=BB313_4 Depth=1
	s_or_b32 exec_lo, exec_lo, s6
	ds_bpermute_b32 v10, v14, v8
	ds_bpermute_b32 v11, v14, v9
	s_wait_loadcnt_dscnt 0x0
	s_barrier_signal -1
	s_barrier_wait -1
	v_pk_add_f32 v[8:9], v[8:9], v[10:11]
	ds_bpermute_b32 v10, v15, v8
	ds_bpermute_b32 v11, v15, v9
	s_wait_dscnt 0x0
	v_pk_add_f32 v[8:9], v[8:9], v[10:11]
	ds_bpermute_b32 v10, v16, v8
	ds_bpermute_b32 v11, v16, v9
	s_wait_dscnt 0x0
	;; [unrolled: 4-line block ×3, first 2 shown]
	v_pk_add_f32 v[8:9], v[8:9], v[10:11]
	ds_bpermute_b32 v10, v18, v8
	ds_bpermute_b32 v11, v18, v9
	s_and_saveexec_b32 s6, s3
	s_cbranch_execz .LBB313_10
; %bb.9:                                ;   in Loop: Header=BB313_4 Depth=1
	s_wait_dscnt 0x0
	v_pk_add_f32 v[8:9], v[8:9], v[10:11]
	ds_store_b64 v19, v[8:9]
.LBB313_10:                             ;   in Loop: Header=BB313_4 Depth=1
	s_or_b32 exec_lo, exec_lo, s6
	v_mov_b64_e32 v[8:9], 0
	s_wait_dscnt 0x0
	s_barrier_signal -1
	s_barrier_wait -1
	s_and_saveexec_b32 s6, s4
	s_cbranch_execnz .LBB313_17
; %bb.11:                               ;   in Loop: Header=BB313_4 Depth=1
	s_or_b32 exec_lo, exec_lo, s6
	s_and_saveexec_b32 s6, s2
	s_cbranch_execnz .LBB313_18
.LBB313_12:                             ;   in Loop: Header=BB313_4 Depth=1
	s_or_b32 exec_lo, exec_lo, s6
	s_and_saveexec_b32 s6, s5
	s_cbranch_execz .LBB313_3
	s_branch .LBB313_19
.LBB313_13:                             ;   in Loop: Header=BB313_4 Depth=1
	v_mad_nc_u64_u32 v[10:11], s14, s23, v[0:1]
	v_dual_mov_b32 v8, 0 :: v_dual_mov_b32 v20, v12
	s_mov_b32 s36, 0
	s_delay_alu instid0(VALU_DEP_1) | instskip(NEXT) | instid1(VALU_DEP_3)
	v_mov_b32_e32 v9, v8
	v_mad_u32 v11, s15, s23, v11
.LBB313_14:                             ;   Parent Loop BB313_4 Depth=1
                                        ; =>  This Inner Loop Header: Depth=2
	s_clause 0x3
	global_load_b128 v[22:25], v[10:11], off
	global_load_b128 v[26:29], v[10:11], off offset:16
	global_load_b128 v[30:33], v[10:11], off offset:32
	;; [unrolled: 1-line block ×3, first 2 shown]
	v_add_nc_u32_e32 v20, s33, v20
	s_wait_xcnt 0x0
	v_add_nc_u64_e32 v[10:11], s[24:25], v[10:11]
	s_delay_alu instid0(VALU_DEP_2) | instskip(SKIP_3) | instid1(VALU_DEP_1)
	v_cmp_le_i32_e32 vcc_lo, s31, v20
	s_or_b32 s36, vcc_lo, s36
	s_wait_loadcnt 0x3
	v_pk_add_f32 v[8:9], v[8:9], v[22:23]
	v_pk_add_f32 v[8:9], v[8:9], v[24:25]
	s_wait_loadcnt 0x2
	s_delay_alu instid0(VALU_DEP_1) | instskip(NEXT) | instid1(VALU_DEP_1)
	v_pk_add_f32 v[8:9], v[8:9], v[26:27]
	v_pk_add_f32 v[8:9], v[8:9], v[28:29]
	s_wait_loadcnt 0x1
	s_delay_alu instid0(VALU_DEP_1) | instskip(NEXT) | instid1(VALU_DEP_1)
	;; [unrolled: 4-line block ×3, first 2 shown]
	v_pk_add_f32 v[8:9], v[8:9], v[34:35]
	v_pk_add_f32 v[8:9], v[8:9], v[36:37]
	s_and_not1_b32 exec_lo, exec_lo, s36
	s_cbranch_execnz .LBB313_14
; %bb.15:                               ;   in Loop: Header=BB313_4 Depth=1
	s_or_b32 exec_lo, exec_lo, s36
	s_delay_alu instid0(SALU_CYCLE_1)
	s_or_b32 exec_lo, exec_lo, s6
	s_and_saveexec_b32 s36, s1
	s_cbranch_execz .LBB313_6
.LBB313_16:                             ;   in Loop: Header=BB313_4 Depth=1
	s_mul_i32 s6, s30, s29
	s_delay_alu instid0(SALU_CYCLE_1) | instskip(NEXT) | instid1(SALU_CYCLE_1)
	s_add_co_i32 s6, s6, s22
	s_mul_u64 s[38:39], s[6:7], s[20:21]
	s_delay_alu instid0(SALU_CYCLE_1) | instskip(NEXT) | instid1(SALU_CYCLE_1)
	s_lshl_b64 s[38:39], s[38:39], 3
	s_add_nc_u64 s[38:39], s[16:17], s[38:39]
	s_delay_alu instid0(SALU_CYCLE_1)
	v_lshl_add_u64 v[10:11], v[2:3], 3, s[38:39]
	global_load_b64 v[10:11], v[10:11], off
	s_wait_loadcnt 0x0
	v_pk_add_f32 v[8:9], v[8:9], v[10:11]
	s_wait_xcnt 0x0
	s_or_b32 exec_lo, exec_lo, s36
	s_and_saveexec_b32 s6, s2
	s_cbranch_execnz .LBB313_7
	s_branch .LBB313_8
.LBB313_17:                             ;   in Loop: Header=BB313_4 Depth=1
	ds_load_b64 v[8:9], v13
	s_or_b32 exec_lo, exec_lo, s6
	s_and_saveexec_b32 s6, s2
	s_cbranch_execz .LBB313_12
.LBB313_18:                             ;   in Loop: Header=BB313_4 Depth=1
	s_wait_dscnt 0x0
	ds_bpermute_b32 v10, v16, v8
	ds_bpermute_b32 v11, v16, v9
	s_wait_dscnt 0x0
	v_pk_add_f32 v[8:9], v[8:9], v[10:11]
	ds_bpermute_b32 v10, v17, v8
	ds_bpermute_b32 v11, v17, v9
	s_wait_dscnt 0x0
	v_pk_add_f32 v[8:9], v[8:9], v[10:11]
	;; [unrolled: 4-line block ×3, first 2 shown]
	s_or_b32 exec_lo, exec_lo, s6
	s_and_saveexec_b32 s6, s5
	s_cbranch_execz .LBB313_3
.LBB313_19:                             ;   in Loop: Header=BB313_4 Depth=1
	v_add_nc_u64_e32 v[6:7], s[10:11], v[6:7]
	s_and_not1_b32 vcc_lo, exec_lo, s34
	s_delay_alu instid0(VALU_DEP_1)
	v_add_nc_u64_e32 v[6:7], s[26:27], v[6:7]
	s_cbranch_vccnz .LBB313_2
; %bb.20:                               ;   in Loop: Header=BB313_4 Depth=1
	flat_load_b64 v[10:11], v[6:7]
	v_mov_b64_e32 v[20:21], s[12:13]
	v_mov_b64_e32 v[22:23], s[18:19]
	s_wait_loadcnt_dscnt 0x0
	s_delay_alu instid0(VALU_DEP_2) | instskip(NEXT) | instid1(VALU_DEP_1)
	v_pk_mul_f32 v[20:21], v[20:21], v[10:11] op_sel:[0,1]
	v_pk_fma_f32 v[24:25], v[22:23], v[10:11], v[20:21] op_sel_hi:[1,0,1]
	v_pk_fma_f32 v[10:11], v[22:23], v[10:11], v[20:21] neg_lo:[0,0,1] neg_hi:[0,0,1]
	s_delay_alu instid0(VALU_DEP_2) | instskip(NEXT) | instid1(VALU_DEP_1)
	v_mov_b32_e32 v11, v25
	v_pk_add_f32 v[8:9], v[8:9], v[10:11]
	s_branch .LBB313_2
.LBB313_21:
	s_endpgm
	.section	.rodata,"a",@progbits
	.p2align	6, 0x0
	.amdhsa_kernel _ZL23rocblas_gemvt_sn_reduceILi256ELi8E19rocblas_complex_numIfES1_KPS1_EviT2_lPT3_lilPT1_i
		.amdhsa_group_segment_fixed_size 256
		.amdhsa_private_segment_fixed_size 0
		.amdhsa_kernarg_size 328
		.amdhsa_user_sgpr_count 2
		.amdhsa_user_sgpr_dispatch_ptr 0
		.amdhsa_user_sgpr_queue_ptr 0
		.amdhsa_user_sgpr_kernarg_segment_ptr 1
		.amdhsa_user_sgpr_dispatch_id 0
		.amdhsa_user_sgpr_kernarg_preload_length 0
		.amdhsa_user_sgpr_kernarg_preload_offset 0
		.amdhsa_user_sgpr_private_segment_size 0
		.amdhsa_wavefront_size32 1
		.amdhsa_uses_dynamic_stack 0
		.amdhsa_enable_private_segment 0
		.amdhsa_system_sgpr_workgroup_id_x 1
		.amdhsa_system_sgpr_workgroup_id_y 1
		.amdhsa_system_sgpr_workgroup_id_z 1
		.amdhsa_system_sgpr_workgroup_info 0
		.amdhsa_system_vgpr_workitem_id 0
		.amdhsa_next_free_vgpr 38
		.amdhsa_next_free_sgpr 40
		.amdhsa_named_barrier_count 0
		.amdhsa_reserve_vcc 1
		.amdhsa_float_round_mode_32 0
		.amdhsa_float_round_mode_16_64 0
		.amdhsa_float_denorm_mode_32 3
		.amdhsa_float_denorm_mode_16_64 3
		.amdhsa_fp16_overflow 0
		.amdhsa_memory_ordered 1
		.amdhsa_forward_progress 1
		.amdhsa_inst_pref_size 11
		.amdhsa_round_robin_scheduling 0
		.amdhsa_exception_fp_ieee_invalid_op 0
		.amdhsa_exception_fp_denorm_src 0
		.amdhsa_exception_fp_ieee_div_zero 0
		.amdhsa_exception_fp_ieee_overflow 0
		.amdhsa_exception_fp_ieee_underflow 0
		.amdhsa_exception_fp_ieee_inexact 0
		.amdhsa_exception_int_div_zero 0
	.end_amdhsa_kernel
	.section	.text._ZL23rocblas_gemvt_sn_reduceILi256ELi8E19rocblas_complex_numIfES1_KPS1_EviT2_lPT3_lilPT1_i,"axG",@progbits,_ZL23rocblas_gemvt_sn_reduceILi256ELi8E19rocblas_complex_numIfES1_KPS1_EviT2_lPT3_lilPT1_i,comdat
.Lfunc_end313:
	.size	_ZL23rocblas_gemvt_sn_reduceILi256ELi8E19rocblas_complex_numIfES1_KPS1_EviT2_lPT3_lilPT1_i, .Lfunc_end313-_ZL23rocblas_gemvt_sn_reduceILi256ELi8E19rocblas_complex_numIfES1_KPS1_EviT2_lPT3_lilPT1_i
                                        ; -- End function
	.set _ZL23rocblas_gemvt_sn_reduceILi256ELi8E19rocblas_complex_numIfES1_KPS1_EviT2_lPT3_lilPT1_i.num_vgpr, 38
	.set _ZL23rocblas_gemvt_sn_reduceILi256ELi8E19rocblas_complex_numIfES1_KPS1_EviT2_lPT3_lilPT1_i.num_agpr, 0
	.set _ZL23rocblas_gemvt_sn_reduceILi256ELi8E19rocblas_complex_numIfES1_KPS1_EviT2_lPT3_lilPT1_i.numbered_sgpr, 40
	.set _ZL23rocblas_gemvt_sn_reduceILi256ELi8E19rocblas_complex_numIfES1_KPS1_EviT2_lPT3_lilPT1_i.num_named_barrier, 0
	.set _ZL23rocblas_gemvt_sn_reduceILi256ELi8E19rocblas_complex_numIfES1_KPS1_EviT2_lPT3_lilPT1_i.private_seg_size, 0
	.set _ZL23rocblas_gemvt_sn_reduceILi256ELi8E19rocblas_complex_numIfES1_KPS1_EviT2_lPT3_lilPT1_i.uses_vcc, 1
	.set _ZL23rocblas_gemvt_sn_reduceILi256ELi8E19rocblas_complex_numIfES1_KPS1_EviT2_lPT3_lilPT1_i.uses_flat_scratch, 0
	.set _ZL23rocblas_gemvt_sn_reduceILi256ELi8E19rocblas_complex_numIfES1_KPS1_EviT2_lPT3_lilPT1_i.has_dyn_sized_stack, 0
	.set _ZL23rocblas_gemvt_sn_reduceILi256ELi8E19rocblas_complex_numIfES1_KPS1_EviT2_lPT3_lilPT1_i.has_recursion, 0
	.set _ZL23rocblas_gemvt_sn_reduceILi256ELi8E19rocblas_complex_numIfES1_KPS1_EviT2_lPT3_lilPT1_i.has_indirect_call, 0
	.section	.AMDGPU.csdata,"",@progbits
; Kernel info:
; codeLenInByte = 1360
; TotalNumSgprs: 42
; NumVgprs: 38
; ScratchSize: 0
; MemoryBound: 0
; FloatMode: 240
; IeeeMode: 1
; LDSByteSize: 256 bytes/workgroup (compile time only)
; SGPRBlocks: 0
; VGPRBlocks: 2
; NumSGPRsForWavesPerEU: 42
; NumVGPRsForWavesPerEU: 38
; NamedBarCnt: 0
; Occupancy: 16
; WaveLimiterHint : 1
; COMPUTE_PGM_RSRC2:SCRATCH_EN: 0
; COMPUTE_PGM_RSRC2:USER_SGPR: 2
; COMPUTE_PGM_RSRC2:TRAP_HANDLER: 0
; COMPUTE_PGM_RSRC2:TGID_X_EN: 1
; COMPUTE_PGM_RSRC2:TGID_Y_EN: 1
; COMPUTE_PGM_RSRC2:TGID_Z_EN: 1
; COMPUTE_PGM_RSRC2:TIDIG_COMP_CNT: 0
	.section	.text._ZL32rocblas_gemvt_warp_reduce_kernelILb0ELi256EiPK19rocblas_complex_numIfES3_KPS1_EviiT3_lPKT2_lT1_lS9_lSA_lS6_lPT4_lSA_li,"axG",@progbits,_ZL32rocblas_gemvt_warp_reduce_kernelILb0ELi256EiPK19rocblas_complex_numIfES3_KPS1_EviiT3_lPKT2_lT1_lS9_lSA_lS6_lPT4_lSA_li,comdat
	.globl	_ZL32rocblas_gemvt_warp_reduce_kernelILb0ELi256EiPK19rocblas_complex_numIfES3_KPS1_EviiT3_lPKT2_lT1_lS9_lSA_lS6_lPT4_lSA_li ; -- Begin function _ZL32rocblas_gemvt_warp_reduce_kernelILb0ELi256EiPK19rocblas_complex_numIfES3_KPS1_EviiT3_lPKT2_lT1_lS9_lSA_lS6_lPT4_lSA_li
	.p2align	8
	.type	_ZL32rocblas_gemvt_warp_reduce_kernelILb0ELi256EiPK19rocblas_complex_numIfES3_KPS1_EviiT3_lPKT2_lT1_lS9_lSA_lS6_lPT4_lSA_li,@function
_ZL32rocblas_gemvt_warp_reduce_kernelILb0ELi256EiPK19rocblas_complex_numIfES3_KPS1_EviiT3_lPKT2_lT1_lS9_lSA_lS6_lPT4_lSA_li: ; @_ZL32rocblas_gemvt_warp_reduce_kernelILb0ELi256EiPK19rocblas_complex_numIfES3_KPS1_EviiT3_lPKT2_lT1_lS9_lSA_lS6_lPT4_lSA_li
; %bb.0:
	s_load_b32 s33, s[0:1], 0x88
	s_bfe_u32 s2, ttmp6, 0x40014
	s_lshr_b32 s3, ttmp7, 16
	s_add_co_i32 s2, s2, 1
	s_bfe_u32 s5, ttmp6, 0x40008
	s_mul_i32 s4, s3, s2
	s_getreg_b32 s2, hwreg(HW_REG_IB_STS2, 6, 4)
	s_add_co_i32 s5, s5, s4
	s_cmp_eq_u32 s2, 0
	s_mov_b32 s29, 0
	s_cselect_b32 s28, s3, s5
	s_wait_kmcnt 0x0
	s_cmp_ge_u32 s28, s33
	s_cbranch_scc1 .LBB314_34
; %bb.1:
	s_clause 0x6
	s_load_b32 s5, s[0:1], 0x0
	s_load_b256 s[8:15], s[0:1], 0x8
	s_load_b32 s4, s[0:1], 0x28
	s_load_b128 s[24:27], s[0:1], 0x38
	s_load_b32 s7, s[0:1], 0x48
	s_load_b256 s[16:23], s[0:1], 0x58
	s_load_b32 s6, s[0:1], 0x78
	s_wait_xcnt 0x0
	s_bfe_u32 s1, ttmp6, 0x4000c
	s_and_b32 s3, ttmp6, 15
	s_add_co_i32 s1, s1, 1
	v_dual_mov_b32 v3, 0 :: v_dual_bitop2_b32 v2, 31, v0 bitop3:0x40
	s_mul_i32 s30, ttmp9, s1
	v_lshrrev_b32_e32 v6, 2, v0
	s_add_co_i32 s3, s3, s30
	s_cmp_eq_u32 s2, 0
	v_lshlrev_b32_e32 v1, 3, v2
	s_cselect_b32 s31, ttmp9, s3
	v_and_b32_e32 v18, 56, v6
	v_mov_b64_e32 v[4:5], 0
	s_wait_kmcnt 0x0
	s_ashr_i32 s3, s5, 31
	v_cmp_gt_i32_e32 vcc_lo, s5, v0
	s_lshr_b32 s3, s3, 24
	v_cmp_eq_u32_e64 s0, 0, v0
	s_add_co_i32 s3, s5, s3
	v_mul_lo_u32 v19, v0, s7
	s_and_b32 s30, s3, 0xffffff00
	v_cmp_eq_u32_e64 s3, 0, v2
	v_dual_cndmask_b32 v2, 0, v0, vcc_lo :: v_dual_bitop2_b32 v7, s30, v0 bitop3:0x54
	s_mul_i32 s6, s6, s31
	v_cmp_gt_u32_e64 s1, 32, v0
	v_cmp_gt_u32_e64 s2, 8, v0
	s_delay_alu instid0(VALU_DEP_3)
	v_mul_lo_u32 v6, s7, v7
	s_mul_i32 s34, s4, s31
	v_lshlrev_b32_e32 v2, 3, v2
	v_cmp_gt_i32_e64 s4, s30, v0
	v_cmp_gt_i32_e64 s5, s5, v7
	v_mbcnt_lo_u32_b32 v20, -1, 0
	s_lshl_b32 s42, s7, 8
	s_ashr_i32 s7, s6, 31
	s_lshl_b64 s[14:15], s[14:15], 3
	s_ashr_i32 s35, s34, 31
	s_ashr_i32 s31, s30, 31
	v_ashrrev_i32_e32 v7, 31, v6
	s_lshl_b64 s[26:27], s[26:27], 3
	s_lshl_b64 s[22:23], s[22:23], 3
	;; [unrolled: 1-line block ×3, first 2 shown]
	s_branch .LBB314_5
.LBB314_2:                              ;   in Loop: Header=BB314_5 Depth=1
	s_delay_alu instid0(VALU_DEP_1)
	v_mov_b32_e32 v13, v11
	flat_store_b64 v3, v[12:13], s[6:7]
.LBB314_3:                              ;   in Loop: Header=BB314_5 Depth=1
	s_wait_xcnt 0x0
	s_or_b32 exec_lo, exec_lo, s43
.LBB314_4:                              ;   in Loop: Header=BB314_5 Depth=1
	s_add_co_i32 s28, s28, 0x10000
	s_delay_alu instid0(SALU_CYCLE_1)
	s_cmp_lt_u32 s28, s33
	s_cbranch_scc0 .LBB314_34
.LBB314_5:                              ; =>This Loop Header: Depth=1
                                        ;     Child Loop BB314_27 Depth 2
	s_mul_u64 s[6:7], s[10:11], s[28:29]
	s_delay_alu instid0(SALU_CYCLE_1) | instskip(NEXT) | instid1(SALU_CYCLE_1)
	s_lshl_b64 s[6:7], s[6:7], 3
	s_add_nc_u64 s[6:7], s[8:9], s[6:7]
	s_wait_dscnt 0x0
	global_load_b64 v[10:11], v3, s[6:7]
	s_wait_xcnt 0x0
	s_mul_u64 s[6:7], s[18:19], s[28:29]
	s_delay_alu instid0(SALU_CYCLE_1) | instskip(NEXT) | instid1(SALU_CYCLE_1)
	s_lshl_b64 s[6:7], s[6:7], 3
	s_add_nc_u64 s[6:7], s[16:17], s[6:7]
	global_load_b64 v[8:9], v3, s[6:7]
	s_wait_loadcnt 0x1
	v_readfirstlane_b32 s38, v10
	v_readfirstlane_b32 s39, v11
	s_cmp_eq_f32 s38, 0
	s_wait_loadcnt 0x0
	v_cmp_eq_f32_e32 vcc_lo, 1.0, v8
	s_wait_xcnt 0x0
	v_cmp_eq_f32_e64 s6, 0, v9
	s_cselect_b32 s7, -1, 0
	s_cmp_eq_f32 s39, 0
	s_cselect_b32 s40, -1, 0
	s_and_b32 s6, vcc_lo, s6
	s_and_b32 s7, s7, s40
	s_delay_alu instid0(SALU_CYCLE_1) | instskip(NEXT) | instid1(SALU_CYCLE_1)
	s_and_b32 s6, s7, s6
	s_and_b32 vcc_lo, exec_lo, s6
	s_cbranch_vccnz .LBB314_4
; %bb.6:                                ;   in Loop: Header=BB314_5 Depth=1
	s_or_b32 s6, s38, s39
	v_mov_b64_e32 v[10:11], 0
	s_bitset0_b32 s6, 31
	v_mov_b64_e32 v[12:13], 0
	s_cmp_lg_u32 s6, 0
	s_cselect_b32 s7, -1, 0
	s_cmp_eq_u32 s6, 0
	s_cselect_b32 s6, -1, 0
	s_delay_alu instid0(SALU_CYCLE_1)
	s_and_b32 vcc_lo, exec_lo, s6
	s_cbranch_vccnz .LBB314_8
; %bb.7:                                ;   in Loop: Header=BB314_5 Depth=1
	s_lshl_b64 s[40:41], s[28:29], 3
	s_delay_alu instid0(SALU_CYCLE_1)
	s_add_nc_u64 s[40:41], s[12:13], s[40:41]
	global_load_b64 v[12:13], v3, s[40:41]
	s_wait_loadcnt 0x0
	v_add_nc_u64_e32 v[12:13], s[14:15], v[12:13]
.LBB314_8:                              ;   in Loop: Header=BB314_5 Depth=1
	s_and_not1_b32 vcc_lo, exec_lo, s7
	s_cbranch_vccnz .LBB314_10
; %bb.9:                                ;   in Loop: Header=BB314_5 Depth=1
	s_wait_xcnt 0x0
	s_lshl_b64 s[40:41], s[28:29], 3
	s_delay_alu instid0(SALU_CYCLE_1)
	s_add_nc_u64 s[40:41], s[24:25], s[40:41]
	global_load_b64 v[10:11], v3, s[40:41]
	s_wait_loadcnt 0x0
	v_add_nc_u64_e32 v[10:11], s[26:27], v[10:11]
.LBB314_10:                             ;   in Loop: Header=BB314_5 Depth=1
	s_wait_xcnt 0x0
	s_lshl_b64 s[40:41], s[28:29], 3
	s_and_not1_b32 vcc_lo, exec_lo, s6
	s_add_nc_u64 s[40:41], s[20:21], s[40:41]
	s_mov_b32 s6, -1
	global_load_b64 v[14:15], v3, s[40:41]
	s_wait_loadcnt 0x0
	s_wait_xcnt 0x0
	v_readfirstlane_b32 s40, v14
	v_readfirstlane_b32 s41, v15
	s_add_nc_u64 s[40:41], s[40:41], s[22:23]
	s_cbranch_vccnz .LBB314_16
; %bb.11:                               ;   in Loop: Header=BB314_5 Depth=1
	s_and_saveexec_b32 s7, s0
	s_cbranch_execz .LBB314_15
; %bb.12:                               ;   in Loop: Header=BB314_5 Depth=1
	v_cmp_neq_f32_e32 vcc_lo, 0, v8
	v_cmp_neq_f32_e64 s6, 0, v9
	v_dual_mov_b32 v14, 0 :: v_dual_mov_b32 v15, 0
	s_or_b32 s6, vcc_lo, s6
	s_delay_alu instid0(SALU_CYCLE_1)
	s_and_not1_b32 vcc_lo, exec_lo, s6
	s_cbranch_vccnz .LBB314_14
; %bb.13:                               ;   in Loop: Header=BB314_5 Depth=1
	s_add_nc_u64 s[44:45], s[40:41], s[36:37]
	flat_load_b64 v[14:15], v3, s[44:45]
	s_wait_loadcnt_dscnt 0x0
	v_pk_mul_f32 v[16:17], v[8:9], v[14:15] op_sel:[1,1] op_sel_hi:[0,1]
	s_delay_alu instid0(VALU_DEP_1) | instskip(SKIP_1) | instid1(VALU_DEP_2)
	v_pk_fma_f32 v[22:23], v[8:9], v[14:15], v[16:17] op_sel_hi:[1,0,1]
	v_pk_fma_f32 v[14:15], v[8:9], v[14:15], v[16:17] neg_lo:[0,0,1] neg_hi:[0,0,1]
	v_mov_b32_e32 v15, v23
.LBB314_14:                             ;   in Loop: Header=BB314_5 Depth=1
	s_wait_xcnt 0x0
	s_add_nc_u64 s[44:45], s[40:41], s[36:37]
	flat_store_b64 v3, v[14:15], s[44:45]
.LBB314_15:                             ;   in Loop: Header=BB314_5 Depth=1
	s_wait_xcnt 0x0
	s_or_b32 exec_lo, exec_lo, s7
	s_mov_b32 s6, 0
.LBB314_16:                             ;   in Loop: Header=BB314_5 Depth=1
	s_delay_alu instid0(SALU_CYCLE_1)
	s_and_not1_b32 vcc_lo, exec_lo, s6
	s_cbranch_vccnz .LBB314_4
; %bb.17:                               ;   in Loop: Header=BB314_5 Depth=1
	v_add_nc_u64_e32 v[14:15], v[12:13], v[2:3]
	v_mov_b64_e32 v[12:13], 0
	s_delay_alu instid0(VALU_DEP_2)
	v_lshl_add_u64 v[14:15], s[34:35], 3, v[14:15]
	s_and_saveexec_b32 s6, s4
	s_cbranch_execnz .LBB314_26
; %bb.18:                               ;   in Loop: Header=BB314_5 Depth=1
	s_or_b32 exec_lo, exec_lo, s6
	s_and_saveexec_b32 s6, s5
	s_cbranch_execnz .LBB314_29
.LBB314_19:                             ;   in Loop: Header=BB314_5 Depth=1
	s_or_b32 exec_lo, exec_lo, s6
	s_and_saveexec_b32 s6, s1
.LBB314_20:                             ;   in Loop: Header=BB314_5 Depth=1
	ds_store_b64 v1, v[4:5]
.LBB314_21:                             ;   in Loop: Header=BB314_5 Depth=1
	s_or_b32 exec_lo, exec_lo, s6
	v_lshl_or_b32 v11, v20, 2, 64
	v_cmp_gt_u32_e32 vcc_lo, 24, v20
	s_wait_storecnt_dscnt 0x0
	s_barrier_signal -1
	s_barrier_wait -1
	ds_bpermute_b32 v10, v11, v12
	ds_bpermute_b32 v11, v11, v13
	v_cndmask_b32_e64 v14, 0, 8, vcc_lo
	v_cmp_gt_u32_e32 vcc_lo, 28, v20
	s_wait_dscnt 0x0
	s_delay_alu instid0(VALU_DEP_2)
	v_add_lshl_u32 v14, v14, v20, 2
	v_pk_add_f32 v[10:11], v[12:13], v[10:11]
	ds_bpermute_b32 v12, v14, v10
	ds_bpermute_b32 v13, v14, v11
	v_cndmask_b32_e64 v14, 0, 4, vcc_lo
	v_cmp_gt_u32_e32 vcc_lo, 30, v20
	s_delay_alu instid0(VALU_DEP_2) | instskip(SKIP_2) | instid1(VALU_DEP_2)
	v_add_lshl_u32 v14, v14, v20, 2
	v_cndmask_b32_e64 v15, 0, 2, vcc_lo
	v_cmp_ne_u32_e32 vcc_lo, 31, v20
	v_add_lshl_u32 v15, v15, v20, 2
	v_add_co_ci_u32_e64 v16, null, 0, v20, vcc_lo
	s_delay_alu instid0(VALU_DEP_1)
	v_lshlrev_b32_e32 v16, 2, v16
	s_wait_dscnt 0x0
	v_pk_add_f32 v[10:11], v[10:11], v[12:13]
	ds_bpermute_b32 v12, v14, v10
	ds_bpermute_b32 v13, v14, v11
	s_wait_dscnt 0x0
	v_pk_add_f32 v[10:11], v[10:11], v[12:13]
	ds_bpermute_b32 v12, v15, v10
	ds_bpermute_b32 v13, v15, v11
	;; [unrolled: 4-line block ×3, first 2 shown]
	s_and_saveexec_b32 s6, s3
	s_cbranch_execz .LBB314_23
; %bb.22:                               ;   in Loop: Header=BB314_5 Depth=1
	s_wait_dscnt 0x0
	v_pk_add_f32 v[10:11], v[10:11], v[12:13]
	ds_store_b64 v18, v[10:11]
.LBB314_23:                             ;   in Loop: Header=BB314_5 Depth=1
	s_or_b32 exec_lo, exec_lo, s6
	v_mov_b64_e32 v[10:11], 0
	s_wait_dscnt 0x0
	s_barrier_signal -1
	s_barrier_wait -1
	s_and_saveexec_b32 s6, s2
	s_cbranch_execnz .LBB314_30
; %bb.24:                               ;   in Loop: Header=BB314_5 Depth=1
	s_or_b32 exec_lo, exec_lo, s6
	s_and_saveexec_b32 s6, s1
	s_cbranch_execnz .LBB314_31
.LBB314_25:                             ;   in Loop: Header=BB314_5 Depth=1
	s_or_b32 exec_lo, exec_lo, s6
	s_and_saveexec_b32 s43, s0
	s_cbranch_execz .LBB314_3
	s_branch .LBB314_32
.LBB314_26:                             ;   in Loop: Header=BB314_5 Depth=1
	v_dual_mov_b32 v12, 0 :: v_dual_mov_b32 v21, v19
	s_delay_alu instid0(VALU_DEP_2) | instskip(SKIP_2) | instid1(VALU_DEP_3)
	v_mov_b64_e32 v[16:17], v[14:15]
	v_mov_b32_e32 v22, v0
	s_mov_b32 s7, 0
	v_mov_b32_e32 v13, v12
.LBB314_27:                             ;   Parent Loop BB314_5 Depth=1
                                        ; =>  This Inner Loop Header: Depth=2
	v_readfirstlane_b32 s44, v10
	v_readfirstlane_b32 s45, v11
	flat_load_b64 v[24:25], v[16:17]
	flat_load_b64 v[26:27], v21, s[44:45] scale_offset
	s_wait_xcnt 0x1
	v_add_nc_u64_e32 v[16:17], 0x800, v[16:17]
	s_wait_xcnt 0x0
	v_add_nc_u32_e32 v21, s42, v21
	s_wait_loadcnt_dscnt 0x0
	v_pk_mul_f32 v[28:29], v[26:27], v[24:25] op_sel:[1,1] op_sel_hi:[0,1]
	s_delay_alu instid0(VALU_DEP_1) | instskip(SKIP_2) | instid1(VALU_DEP_3)
	v_pk_fma_f32 v[30:31], v[26:27], v[24:25], v[28:29] op_sel_hi:[1,0,1]
	v_add_nc_u32_e32 v22, 0x100, v22
	v_pk_fma_f32 v[24:25], v[26:27], v[24:25], v[28:29] neg_lo:[0,0,1] neg_hi:[0,0,1]
	v_mov_b32_e32 v25, v31
	s_delay_alu instid0(VALU_DEP_3) | instskip(NEXT) | instid1(VALU_DEP_2)
	v_cmp_le_i32_e32 vcc_lo, s30, v22
	v_pk_add_f32 v[12:13], v[12:13], v[24:25]
	s_or_b32 s7, vcc_lo, s7
	s_delay_alu instid0(SALU_CYCLE_1)
	s_and_not1_b32 exec_lo, exec_lo, s7
	s_cbranch_execnz .LBB314_27
; %bb.28:                               ;   in Loop: Header=BB314_5 Depth=1
	s_or_b32 exec_lo, exec_lo, s7
	s_delay_alu instid0(SALU_CYCLE_1)
	s_or_b32 exec_lo, exec_lo, s6
	s_and_saveexec_b32 s6, s5
	s_cbranch_execz .LBB314_19
.LBB314_29:                             ;   in Loop: Header=BB314_5 Depth=1
	v_lshl_add_u64 v[14:15], s[30:31], 3, v[14:15]
	v_lshl_add_u64 v[10:11], v[6:7], 3, v[10:11]
	flat_load_b64 v[16:17], v[14:15]
	flat_load_b64 v[22:23], v[10:11]
	s_wait_loadcnt_dscnt 0x0
	v_pk_mul_f32 v[10:11], v[22:23], v[16:17] op_sel:[1,1] op_sel_hi:[0,1]
	s_delay_alu instid0(VALU_DEP_1) | instskip(SKIP_1) | instid1(VALU_DEP_2)
	v_pk_fma_f32 v[14:15], v[22:23], v[16:17], v[10:11] op_sel_hi:[1,0,1]
	v_pk_fma_f32 v[10:11], v[22:23], v[16:17], v[10:11] neg_lo:[0,0,1] neg_hi:[0,0,1]
	v_mov_b32_e32 v11, v15
	s_delay_alu instid0(VALU_DEP_1)
	v_pk_add_f32 v[12:13], v[12:13], v[10:11]
	s_or_b32 exec_lo, exec_lo, s6
	s_and_saveexec_b32 s6, s1
	s_cbranch_execnz .LBB314_20
	s_branch .LBB314_21
.LBB314_30:                             ;   in Loop: Header=BB314_5 Depth=1
	ds_load_b64 v[10:11], v1
	s_or_b32 exec_lo, exec_lo, s6
	s_and_saveexec_b32 s6, s1
	s_cbranch_execz .LBB314_25
.LBB314_31:                             ;   in Loop: Header=BB314_5 Depth=1
	s_wait_dscnt 0x0
	ds_bpermute_b32 v12, v14, v10
	ds_bpermute_b32 v13, v14, v11
	s_wait_dscnt 0x0
	v_pk_add_f32 v[10:11], v[10:11], v[12:13]
	ds_bpermute_b32 v12, v15, v10
	ds_bpermute_b32 v13, v15, v11
	s_wait_dscnt 0x0
	v_pk_add_f32 v[10:11], v[10:11], v[12:13]
	;; [unrolled: 4-line block ×3, first 2 shown]
	s_or_b32 exec_lo, exec_lo, s6
	s_and_saveexec_b32 s43, s0
	s_cbranch_execz .LBB314_3
.LBB314_32:                             ;   in Loop: Header=BB314_5 Depth=1
	v_mov_b64_e32 v[14:15], s[38:39]
	v_cmp_neq_f32_e32 vcc_lo, 0, v8
	v_cmp_neq_f32_e64 s6, 0, v9
	s_or_b32 s6, vcc_lo, s6
	s_wait_dscnt 0x0
	v_pk_mul_f32 v[16:17], v[10:11], v[14:15] op_sel:[1,1] op_sel_hi:[1,0]
	s_and_not1_b32 vcc_lo, exec_lo, s6
	s_add_nc_u64 s[6:7], s[40:41], s[36:37]
	s_delay_alu instid0(VALU_DEP_1)
	v_pk_fma_f32 v[12:13], v[10:11], v[14:15], v[16:17] op_sel_hi:[0,1,1] neg_lo:[0,0,1] neg_hi:[0,0,1]
	v_pk_fma_f32 v[10:11], v[10:11], v[14:15], v[16:17] op_sel_hi:[0,1,1]
	s_cbranch_vccnz .LBB314_2
; %bb.33:                               ;   in Loop: Header=BB314_5 Depth=1
	flat_load_b64 v[14:15], v3, s[6:7]
	s_wait_loadcnt_dscnt 0x0
	v_pk_mul_f32 v[16:17], v[8:9], v[14:15] op_sel:[1,1] op_sel_hi:[0,1]
	s_delay_alu instid0(VALU_DEP_1) | instskip(SKIP_1) | instid1(VALU_DEP_2)
	v_pk_fma_f32 v[22:23], v[8:9], v[14:15], v[16:17] op_sel_hi:[1,0,1]
	v_pk_fma_f32 v[8:9], v[8:9], v[14:15], v[16:17] neg_lo:[0,0,1] neg_hi:[0,0,1]
	v_dual_mov_b32 v13, v11 :: v_dual_mov_b32 v9, v23
	s_delay_alu instid0(VALU_DEP_1) | instskip(NEXT) | instid1(VALU_DEP_1)
	v_pk_add_f32 v[12:13], v[12:13], v[8:9]
	v_mov_b32_e32 v11, v13
	s_branch .LBB314_2
.LBB314_34:
	s_endpgm
	.section	.rodata,"a",@progbits
	.p2align	6, 0x0
	.amdhsa_kernel _ZL32rocblas_gemvt_warp_reduce_kernelILb0ELi256EiPK19rocblas_complex_numIfES3_KPS1_EviiT3_lPKT2_lT1_lS9_lSA_lS6_lPT4_lSA_li
		.amdhsa_group_segment_fixed_size 256
		.amdhsa_private_segment_fixed_size 0
		.amdhsa_kernarg_size 140
		.amdhsa_user_sgpr_count 2
		.amdhsa_user_sgpr_dispatch_ptr 0
		.amdhsa_user_sgpr_queue_ptr 0
		.amdhsa_user_sgpr_kernarg_segment_ptr 1
		.amdhsa_user_sgpr_dispatch_id 0
		.amdhsa_user_sgpr_kernarg_preload_length 0
		.amdhsa_user_sgpr_kernarg_preload_offset 0
		.amdhsa_user_sgpr_private_segment_size 0
		.amdhsa_wavefront_size32 1
		.amdhsa_uses_dynamic_stack 0
		.amdhsa_enable_private_segment 0
		.amdhsa_system_sgpr_workgroup_id_x 1
		.amdhsa_system_sgpr_workgroup_id_y 0
		.amdhsa_system_sgpr_workgroup_id_z 1
		.amdhsa_system_sgpr_workgroup_info 0
		.amdhsa_system_vgpr_workitem_id 0
		.amdhsa_next_free_vgpr 32
		.amdhsa_next_free_sgpr 46
		.amdhsa_named_barrier_count 0
		.amdhsa_reserve_vcc 1
		.amdhsa_float_round_mode_32 0
		.amdhsa_float_round_mode_16_64 0
		.amdhsa_float_denorm_mode_32 3
		.amdhsa_float_denorm_mode_16_64 3
		.amdhsa_fp16_overflow 0
		.amdhsa_memory_ordered 1
		.amdhsa_forward_progress 1
		.amdhsa_inst_pref_size 14
		.amdhsa_round_robin_scheduling 0
		.amdhsa_exception_fp_ieee_invalid_op 0
		.amdhsa_exception_fp_denorm_src 0
		.amdhsa_exception_fp_ieee_div_zero 0
		.amdhsa_exception_fp_ieee_overflow 0
		.amdhsa_exception_fp_ieee_underflow 0
		.amdhsa_exception_fp_ieee_inexact 0
		.amdhsa_exception_int_div_zero 0
	.end_amdhsa_kernel
	.section	.text._ZL32rocblas_gemvt_warp_reduce_kernelILb0ELi256EiPK19rocblas_complex_numIfES3_KPS1_EviiT3_lPKT2_lT1_lS9_lSA_lS6_lPT4_lSA_li,"axG",@progbits,_ZL32rocblas_gemvt_warp_reduce_kernelILb0ELi256EiPK19rocblas_complex_numIfES3_KPS1_EviiT3_lPKT2_lT1_lS9_lSA_lS6_lPT4_lSA_li,comdat
.Lfunc_end314:
	.size	_ZL32rocblas_gemvt_warp_reduce_kernelILb0ELi256EiPK19rocblas_complex_numIfES3_KPS1_EviiT3_lPKT2_lT1_lS9_lSA_lS6_lPT4_lSA_li, .Lfunc_end314-_ZL32rocblas_gemvt_warp_reduce_kernelILb0ELi256EiPK19rocblas_complex_numIfES3_KPS1_EviiT3_lPKT2_lT1_lS9_lSA_lS6_lPT4_lSA_li
                                        ; -- End function
	.set _ZL32rocblas_gemvt_warp_reduce_kernelILb0ELi256EiPK19rocblas_complex_numIfES3_KPS1_EviiT3_lPKT2_lT1_lS9_lSA_lS6_lPT4_lSA_li.num_vgpr, 32
	.set _ZL32rocblas_gemvt_warp_reduce_kernelILb0ELi256EiPK19rocblas_complex_numIfES3_KPS1_EviiT3_lPKT2_lT1_lS9_lSA_lS6_lPT4_lSA_li.num_agpr, 0
	.set _ZL32rocblas_gemvt_warp_reduce_kernelILb0ELi256EiPK19rocblas_complex_numIfES3_KPS1_EviiT3_lPKT2_lT1_lS9_lSA_lS6_lPT4_lSA_li.numbered_sgpr, 46
	.set _ZL32rocblas_gemvt_warp_reduce_kernelILb0ELi256EiPK19rocblas_complex_numIfES3_KPS1_EviiT3_lPKT2_lT1_lS9_lSA_lS6_lPT4_lSA_li.num_named_barrier, 0
	.set _ZL32rocblas_gemvt_warp_reduce_kernelILb0ELi256EiPK19rocblas_complex_numIfES3_KPS1_EviiT3_lPKT2_lT1_lS9_lSA_lS6_lPT4_lSA_li.private_seg_size, 0
	.set _ZL32rocblas_gemvt_warp_reduce_kernelILb0ELi256EiPK19rocblas_complex_numIfES3_KPS1_EviiT3_lPKT2_lT1_lS9_lSA_lS6_lPT4_lSA_li.uses_vcc, 1
	.set _ZL32rocblas_gemvt_warp_reduce_kernelILb0ELi256EiPK19rocblas_complex_numIfES3_KPS1_EviiT3_lPKT2_lT1_lS9_lSA_lS6_lPT4_lSA_li.uses_flat_scratch, 0
	.set _ZL32rocblas_gemvt_warp_reduce_kernelILb0ELi256EiPK19rocblas_complex_numIfES3_KPS1_EviiT3_lPKT2_lT1_lS9_lSA_lS6_lPT4_lSA_li.has_dyn_sized_stack, 0
	.set _ZL32rocblas_gemvt_warp_reduce_kernelILb0ELi256EiPK19rocblas_complex_numIfES3_KPS1_EviiT3_lPKT2_lT1_lS9_lSA_lS6_lPT4_lSA_li.has_recursion, 0
	.set _ZL32rocblas_gemvt_warp_reduce_kernelILb0ELi256EiPK19rocblas_complex_numIfES3_KPS1_EviiT3_lPKT2_lT1_lS9_lSA_lS6_lPT4_lSA_li.has_indirect_call, 0
	.section	.AMDGPU.csdata,"",@progbits
; Kernel info:
; codeLenInByte = 1784
; TotalNumSgprs: 48
; NumVgprs: 32
; ScratchSize: 0
; MemoryBound: 0
; FloatMode: 240
; IeeeMode: 1
; LDSByteSize: 256 bytes/workgroup (compile time only)
; SGPRBlocks: 0
; VGPRBlocks: 1
; NumSGPRsForWavesPerEU: 48
; NumVGPRsForWavesPerEU: 32
; NamedBarCnt: 0
; Occupancy: 16
; WaveLimiterHint : 1
; COMPUTE_PGM_RSRC2:SCRATCH_EN: 0
; COMPUTE_PGM_RSRC2:USER_SGPR: 2
; COMPUTE_PGM_RSRC2:TRAP_HANDLER: 0
; COMPUTE_PGM_RSRC2:TGID_X_EN: 1
; COMPUTE_PGM_RSRC2:TGID_Y_EN: 0
; COMPUTE_PGM_RSRC2:TGID_Z_EN: 1
; COMPUTE_PGM_RSRC2:TIDIG_COMP_CNT: 0
	.section	.text._ZL32rocblas_gemvt_warp_reduce_kernelILb0ELi256ElPK19rocblas_complex_numIfES3_KPS1_EviiT3_lPKT2_lT1_lS9_lSA_lS6_lPT4_lSA_li,"axG",@progbits,_ZL32rocblas_gemvt_warp_reduce_kernelILb0ELi256ElPK19rocblas_complex_numIfES3_KPS1_EviiT3_lPKT2_lT1_lS9_lSA_lS6_lPT4_lSA_li,comdat
	.globl	_ZL32rocblas_gemvt_warp_reduce_kernelILb0ELi256ElPK19rocblas_complex_numIfES3_KPS1_EviiT3_lPKT2_lT1_lS9_lSA_lS6_lPT4_lSA_li ; -- Begin function _ZL32rocblas_gemvt_warp_reduce_kernelILb0ELi256ElPK19rocblas_complex_numIfES3_KPS1_EviiT3_lPKT2_lT1_lS9_lSA_lS6_lPT4_lSA_li
	.p2align	8
	.type	_ZL32rocblas_gemvt_warp_reduce_kernelILb0ELi256ElPK19rocblas_complex_numIfES3_KPS1_EviiT3_lPKT2_lT1_lS9_lSA_lS6_lPT4_lSA_li,@function
_ZL32rocblas_gemvt_warp_reduce_kernelILb0ELi256ElPK19rocblas_complex_numIfES3_KPS1_EviiT3_lPKT2_lT1_lS9_lSA_lS6_lPT4_lSA_li: ; @_ZL32rocblas_gemvt_warp_reduce_kernelILb0ELi256ElPK19rocblas_complex_numIfES3_KPS1_EviiT3_lPKT2_lT1_lS9_lSA_lS6_lPT4_lSA_li
; %bb.0:
	s_load_b32 s33, s[0:1], 0x88
	s_bfe_u32 s2, ttmp6, 0x40014
	s_lshr_b32 s3, ttmp7, 16
	s_add_co_i32 s2, s2, 1
	s_bfe_u32 s5, ttmp6, 0x40008
	s_mul_i32 s4, s3, s2
	s_getreg_b32 s2, hwreg(HW_REG_IB_STS2, 6, 4)
	s_add_co_i32 s5, s5, s4
	s_cmp_eq_u32 s2, 0
	s_mov_b32 s29, 0
	s_cselect_b32 s28, s3, s5
	s_wait_kmcnt 0x0
	s_cmp_ge_u32 s28, s33
	s_cbranch_scc1 .LBB315_34
; %bb.1:
	s_clause 0x1
	s_load_b32 s31, s[0:1], 0x0
	s_load_b64 s[6:7], s[0:1], 0x48
	s_bfe_u32 s3, ttmp6, 0x4000c
	s_and_b32 s4, ttmp6, 15
	s_add_co_i32 s3, s3, 1
	s_clause 0x2
	s_load_b256 s[8:15], s[0:1], 0x8
	s_load_b128 s[24:27], s[0:1], 0x38
	s_load_b256 s[16:23], s[0:1], 0x58
	s_mul_i32 s3, ttmp9, s3
	v_mbcnt_lo_u32_b32 v23, -1, 0
	s_add_co_i32 s4, s4, s3
	s_cmp_eq_u32 s2, 0
	s_load_b64 s[34:35], s[0:1], 0x28
	s_cselect_b32 s2, ttmp9, s4
	s_load_b64 s[4:5], s[0:1], 0x78
	s_wait_xcnt 0x0
	v_cmp_eq_u32_e64 s0, 0, v0
	s_wait_kmcnt 0x0
	s_ashr_i32 s3, s31, 31
	v_cmp_gt_i32_e32 vcc_lo, s31, v0
	s_lshr_b32 s3, s3, 24
	s_lshl_b64 s[36:37], s[6:7], 11
	s_add_co_i32 s3, s31, s3
	s_lshl_b64 s[14:15], s[14:15], 3
	s_and_b32 s30, s3, 0xffffff00
	s_delay_alu instid0(SALU_CYCLE_1) | instskip(SKIP_3) | instid1(VALU_DEP_2)
	v_dual_mov_b32 v3, 0 :: v_dual_bitop2_b32 v6, s30, v0 bitop3:0x54
	s_ashr_i32 s3, s2, 31
	v_cndmask_b32_e32 v2, 0, v0, vcc_lo
	s_mul_u64 s[34:35], s[34:35], s[2:3]
	v_dual_mov_b32 v1, v3 :: v_dual_ashrrev_i32 v7, 31, v6
	s_mul_u64 s[38:39], s[4:5], s[2:3]
	v_cmp_gt_i32_e64 s2, s31, v6
	v_cmp_gt_i32_e64 s1, s30, v0
	s_delay_alu instid0(VALU_DEP_3) | instskip(SKIP_4) | instid1(VALU_DEP_3)
	v_mul_u64_e32 v[8:9], s[6:7], v[0:1]
	v_mul_u64_e32 v[4:5], s[6:7], v[6:7]
	v_dual_lshrrev_b32 v6, 2, v0 :: v_dual_bitop2_b32 v7, 31, v0 bitop3:0x40
	v_cmp_gt_u32_e64 s3, 32, v0
	v_cmp_gt_u32_e64 s5, 8, v0
	v_dual_lshlrev_b32 v2, 3, v2 :: v_dual_lshlrev_b32 v1, 3, v7
	v_cmp_eq_u32_e64 s4, 0, v7
	v_and_b32_e32 v22, 56, v6
	s_ashr_i32 s31, s30, 31
	s_lshl_b64 s[26:27], s[26:27], 3
	s_lshl_b64 s[22:23], s[22:23], 3
	;; [unrolled: 1-line block ×3, first 2 shown]
	v_lshlrev_b64_e32 v[6:7], 3, v[8:9]
	v_mov_b64_e32 v[8:9], 0
	s_branch .LBB315_5
.LBB315_2:                              ;   in Loop: Header=BB315_5 Depth=1
	s_delay_alu instid0(VALU_DEP_1)
	v_mov_b32_e32 v15, v13
	flat_store_b64 v3, v[14:15], s[6:7]
.LBB315_3:                              ;   in Loop: Header=BB315_5 Depth=1
	s_wait_xcnt 0x0
	s_or_b32 exec_lo, exec_lo, s44
.LBB315_4:                              ;   in Loop: Header=BB315_5 Depth=1
	s_add_co_i32 s28, s28, 0x10000
	s_delay_alu instid0(SALU_CYCLE_1)
	s_cmp_lt_u32 s28, s33
	s_cbranch_scc0 .LBB315_34
.LBB315_5:                              ; =>This Loop Header: Depth=1
                                        ;     Child Loop BB315_27 Depth 2
	s_mul_u64 s[6:7], s[10:11], s[28:29]
	s_delay_alu instid0(SALU_CYCLE_1) | instskip(NEXT) | instid1(SALU_CYCLE_1)
	s_lshl_b64 s[6:7], s[6:7], 3
	s_add_nc_u64 s[6:7], s[8:9], s[6:7]
	s_wait_dscnt 0x0
	global_load_b64 v[12:13], v3, s[6:7]
	s_wait_xcnt 0x0
	s_mul_u64 s[6:7], s[18:19], s[28:29]
	s_delay_alu instid0(SALU_CYCLE_1) | instskip(NEXT) | instid1(SALU_CYCLE_1)
	s_lshl_b64 s[6:7], s[6:7], 3
	s_add_nc_u64 s[6:7], s[16:17], s[6:7]
	global_load_b64 v[10:11], v3, s[6:7]
	s_wait_loadcnt 0x1
	v_readfirstlane_b32 s40, v12
	v_readfirstlane_b32 s41, v13
	s_cmp_eq_f32 s40, 0
	s_wait_loadcnt 0x0
	v_cmp_eq_f32_e32 vcc_lo, 1.0, v10
	s_wait_xcnt 0x0
	v_cmp_eq_f32_e64 s6, 0, v11
	s_cselect_b32 s7, -1, 0
	s_cmp_eq_f32 s41, 0
	s_cselect_b32 s42, -1, 0
	s_and_b32 s6, vcc_lo, s6
	s_and_b32 s7, s7, s42
	s_delay_alu instid0(SALU_CYCLE_1) | instskip(NEXT) | instid1(SALU_CYCLE_1)
	s_and_b32 s6, s7, s6
	s_and_b32 vcc_lo, exec_lo, s6
	s_cbranch_vccnz .LBB315_4
; %bb.6:                                ;   in Loop: Header=BB315_5 Depth=1
	s_or_b32 s6, s40, s41
	v_mov_b64_e32 v[12:13], 0
	s_bitset0_b32 s6, 31
	v_mov_b64_e32 v[14:15], 0
	s_cmp_lg_u32 s6, 0
	s_cselect_b32 s7, -1, 0
	s_cmp_eq_u32 s6, 0
	s_cselect_b32 s6, -1, 0
	s_delay_alu instid0(SALU_CYCLE_1)
	s_and_b32 vcc_lo, exec_lo, s6
	s_cbranch_vccnz .LBB315_8
; %bb.7:                                ;   in Loop: Header=BB315_5 Depth=1
	s_lshl_b64 s[42:43], s[28:29], 3
	s_delay_alu instid0(SALU_CYCLE_1)
	s_add_nc_u64 s[42:43], s[12:13], s[42:43]
	global_load_b64 v[14:15], v3, s[42:43]
	s_wait_loadcnt 0x0
	v_add_nc_u64_e32 v[14:15], s[14:15], v[14:15]
.LBB315_8:                              ;   in Loop: Header=BB315_5 Depth=1
	s_and_not1_b32 vcc_lo, exec_lo, s7
	s_cbranch_vccnz .LBB315_10
; %bb.9:                                ;   in Loop: Header=BB315_5 Depth=1
	s_wait_xcnt 0x0
	s_lshl_b64 s[42:43], s[28:29], 3
	s_delay_alu instid0(SALU_CYCLE_1)
	s_add_nc_u64 s[42:43], s[24:25], s[42:43]
	global_load_b64 v[12:13], v3, s[42:43]
	s_wait_loadcnt 0x0
	v_add_nc_u64_e32 v[12:13], s[26:27], v[12:13]
.LBB315_10:                             ;   in Loop: Header=BB315_5 Depth=1
	s_wait_xcnt 0x0
	s_lshl_b64 s[42:43], s[28:29], 3
	s_and_not1_b32 vcc_lo, exec_lo, s6
	s_add_nc_u64 s[42:43], s[20:21], s[42:43]
	s_mov_b32 s6, -1
	global_load_b64 v[16:17], v3, s[42:43]
	s_wait_loadcnt 0x0
	s_wait_xcnt 0x0
	v_readfirstlane_b32 s42, v16
	v_readfirstlane_b32 s43, v17
	s_add_nc_u64 s[42:43], s[42:43], s[22:23]
	s_cbranch_vccnz .LBB315_16
; %bb.11:                               ;   in Loop: Header=BB315_5 Depth=1
	s_and_saveexec_b32 s44, s0
	s_cbranch_execz .LBB315_15
; %bb.12:                               ;   in Loop: Header=BB315_5 Depth=1
	v_cmp_neq_f32_e32 vcc_lo, 0, v10
	v_cmp_neq_f32_e64 s6, 0, v11
	v_dual_mov_b32 v16, 0 :: v_dual_mov_b32 v17, 0
	s_or_b32 s6, vcc_lo, s6
	s_delay_alu instid0(SALU_CYCLE_1)
	s_and_not1_b32 vcc_lo, exec_lo, s6
	s_add_nc_u64 s[6:7], s[42:43], s[38:39]
	s_cbranch_vccnz .LBB315_14
; %bb.13:                               ;   in Loop: Header=BB315_5 Depth=1
	flat_load_b64 v[16:17], v3, s[6:7]
	s_wait_loadcnt_dscnt 0x0
	v_pk_mul_f32 v[18:19], v[10:11], v[16:17] op_sel:[1,1] op_sel_hi:[0,1]
	s_delay_alu instid0(VALU_DEP_1) | instskip(SKIP_1) | instid1(VALU_DEP_2)
	v_pk_fma_f32 v[20:21], v[10:11], v[16:17], v[18:19] op_sel_hi:[1,0,1]
	v_pk_fma_f32 v[16:17], v[10:11], v[16:17], v[18:19] neg_lo:[0,0,1] neg_hi:[0,0,1]
	v_mov_b32_e32 v17, v21
.LBB315_14:                             ;   in Loop: Header=BB315_5 Depth=1
	flat_store_b64 v3, v[16:17], s[6:7]
.LBB315_15:                             ;   in Loop: Header=BB315_5 Depth=1
	s_wait_xcnt 0x0
	s_or_b32 exec_lo, exec_lo, s44
	s_mov_b32 s6, 0
.LBB315_16:                             ;   in Loop: Header=BB315_5 Depth=1
	s_delay_alu instid0(SALU_CYCLE_1)
	s_and_not1_b32 vcc_lo, exec_lo, s6
	s_cbranch_vccnz .LBB315_4
; %bb.17:                               ;   in Loop: Header=BB315_5 Depth=1
	v_add_nc_u64_e32 v[16:17], v[14:15], v[2:3]
	v_mov_b64_e32 v[14:15], 0
	s_delay_alu instid0(VALU_DEP_2)
	v_lshl_add_u64 v[16:17], s[34:35], 3, v[16:17]
	s_and_saveexec_b32 s6, s1
	s_cbranch_execnz .LBB315_26
; %bb.18:                               ;   in Loop: Header=BB315_5 Depth=1
	s_or_b32 exec_lo, exec_lo, s6
	s_and_saveexec_b32 s6, s2
	s_cbranch_execnz .LBB315_29
.LBB315_19:                             ;   in Loop: Header=BB315_5 Depth=1
	s_or_b32 exec_lo, exec_lo, s6
	s_and_saveexec_b32 s6, s3
.LBB315_20:                             ;   in Loop: Header=BB315_5 Depth=1
	ds_store_b64 v1, v[8:9]
.LBB315_21:                             ;   in Loop: Header=BB315_5 Depth=1
	s_or_b32 exec_lo, exec_lo, s6
	v_lshl_or_b32 v13, v23, 2, 64
	v_cmp_gt_u32_e32 vcc_lo, 24, v23
	s_wait_storecnt_dscnt 0x0
	s_barrier_signal -1
	s_barrier_wait -1
	ds_bpermute_b32 v12, v13, v14
	ds_bpermute_b32 v13, v13, v15
	v_cndmask_b32_e64 v16, 0, 8, vcc_lo
	v_cmp_gt_u32_e32 vcc_lo, 28, v23
	s_wait_dscnt 0x0
	s_delay_alu instid0(VALU_DEP_2)
	v_add_lshl_u32 v16, v16, v23, 2
	v_pk_add_f32 v[12:13], v[14:15], v[12:13]
	ds_bpermute_b32 v14, v16, v12
	ds_bpermute_b32 v15, v16, v13
	v_cndmask_b32_e64 v16, 0, 4, vcc_lo
	v_cmp_gt_u32_e32 vcc_lo, 30, v23
	s_delay_alu instid0(VALU_DEP_2) | instskip(SKIP_2) | instid1(VALU_DEP_2)
	v_add_lshl_u32 v16, v16, v23, 2
	v_cndmask_b32_e64 v17, 0, 2, vcc_lo
	v_cmp_ne_u32_e32 vcc_lo, 31, v23
	v_add_lshl_u32 v17, v17, v23, 2
	v_add_co_ci_u32_e64 v18, null, 0, v23, vcc_lo
	s_delay_alu instid0(VALU_DEP_1)
	v_lshlrev_b32_e32 v18, 2, v18
	s_wait_dscnt 0x0
	v_pk_add_f32 v[12:13], v[12:13], v[14:15]
	ds_bpermute_b32 v14, v16, v12
	ds_bpermute_b32 v15, v16, v13
	s_wait_dscnt 0x0
	v_pk_add_f32 v[12:13], v[12:13], v[14:15]
	ds_bpermute_b32 v14, v17, v12
	ds_bpermute_b32 v15, v17, v13
	;; [unrolled: 4-line block ×3, first 2 shown]
	s_and_saveexec_b32 s6, s4
	s_cbranch_execz .LBB315_23
; %bb.22:                               ;   in Loop: Header=BB315_5 Depth=1
	s_wait_dscnt 0x0
	v_pk_add_f32 v[12:13], v[12:13], v[14:15]
	ds_store_b64 v22, v[12:13]
.LBB315_23:                             ;   in Loop: Header=BB315_5 Depth=1
	s_or_b32 exec_lo, exec_lo, s6
	v_mov_b64_e32 v[12:13], 0
	s_wait_dscnt 0x0
	s_barrier_signal -1
	s_barrier_wait -1
	s_and_saveexec_b32 s6, s5
	s_cbranch_execnz .LBB315_30
; %bb.24:                               ;   in Loop: Header=BB315_5 Depth=1
	s_or_b32 exec_lo, exec_lo, s6
	s_and_saveexec_b32 s6, s3
	s_cbranch_execnz .LBB315_31
.LBB315_25:                             ;   in Loop: Header=BB315_5 Depth=1
	s_or_b32 exec_lo, exec_lo, s6
	s_and_saveexec_b32 s44, s0
	s_cbranch_execz .LBB315_3
	s_branch .LBB315_32
.LBB315_26:                             ;   in Loop: Header=BB315_5 Depth=1
	v_dual_mov_b32 v14, 0 :: v_dual_mov_b32 v24, v0
	v_add_nc_u64_e32 v[18:19], v[12:13], v[6:7]
	v_mov_b64_e32 v[20:21], v[16:17]
	s_mov_b32 s7, 0
	s_delay_alu instid0(VALU_DEP_3)
	v_mov_b32_e32 v15, v14
.LBB315_27:                             ;   Parent Loop BB315_5 Depth=1
                                        ; =>  This Inner Loop Header: Depth=2
	flat_load_b64 v[26:27], v[20:21]
	flat_load_b64 v[28:29], v[18:19]
	s_wait_xcnt 0x1
	v_add_nc_u64_e32 v[20:21], 0x800, v[20:21]
	s_wait_xcnt 0x0
	v_add_nc_u64_e32 v[18:19], s[36:37], v[18:19]
	s_wait_loadcnt_dscnt 0x0
	v_pk_mul_f32 v[30:31], v[28:29], v[26:27] op_sel:[1,1] op_sel_hi:[0,1]
	s_delay_alu instid0(VALU_DEP_1) | instskip(SKIP_2) | instid1(VALU_DEP_3)
	v_pk_fma_f32 v[32:33], v[28:29], v[26:27], v[30:31] op_sel_hi:[1,0,1]
	v_add_nc_u32_e32 v24, 0x100, v24
	v_pk_fma_f32 v[26:27], v[28:29], v[26:27], v[30:31] neg_lo:[0,0,1] neg_hi:[0,0,1]
	v_mov_b32_e32 v27, v33
	s_delay_alu instid0(VALU_DEP_3) | instskip(NEXT) | instid1(VALU_DEP_2)
	v_cmp_le_i32_e32 vcc_lo, s30, v24
	v_pk_add_f32 v[14:15], v[14:15], v[26:27]
	s_or_b32 s7, vcc_lo, s7
	s_delay_alu instid0(SALU_CYCLE_1)
	s_and_not1_b32 exec_lo, exec_lo, s7
	s_cbranch_execnz .LBB315_27
; %bb.28:                               ;   in Loop: Header=BB315_5 Depth=1
	s_or_b32 exec_lo, exec_lo, s7
	s_delay_alu instid0(SALU_CYCLE_1)
	s_or_b32 exec_lo, exec_lo, s6
	s_and_saveexec_b32 s6, s2
	s_cbranch_execz .LBB315_19
.LBB315_29:                             ;   in Loop: Header=BB315_5 Depth=1
	v_lshl_add_u64 v[16:17], s[30:31], 3, v[16:17]
	v_lshl_add_u64 v[12:13], v[4:5], 3, v[12:13]
	flat_load_b64 v[18:19], v[16:17]
	flat_load_b64 v[20:21], v[12:13]
	s_wait_loadcnt_dscnt 0x0
	v_pk_mul_f32 v[12:13], v[20:21], v[18:19] op_sel:[1,1] op_sel_hi:[0,1]
	s_delay_alu instid0(VALU_DEP_1) | instskip(SKIP_1) | instid1(VALU_DEP_2)
	v_pk_fma_f32 v[16:17], v[20:21], v[18:19], v[12:13] op_sel_hi:[1,0,1]
	v_pk_fma_f32 v[12:13], v[20:21], v[18:19], v[12:13] neg_lo:[0,0,1] neg_hi:[0,0,1]
	v_mov_b32_e32 v13, v17
	s_delay_alu instid0(VALU_DEP_1)
	v_pk_add_f32 v[14:15], v[14:15], v[12:13]
	s_or_b32 exec_lo, exec_lo, s6
	s_and_saveexec_b32 s6, s3
	s_cbranch_execnz .LBB315_20
	s_branch .LBB315_21
.LBB315_30:                             ;   in Loop: Header=BB315_5 Depth=1
	ds_load_b64 v[12:13], v1
	s_or_b32 exec_lo, exec_lo, s6
	s_and_saveexec_b32 s6, s3
	s_cbranch_execz .LBB315_25
.LBB315_31:                             ;   in Loop: Header=BB315_5 Depth=1
	s_wait_dscnt 0x0
	ds_bpermute_b32 v14, v16, v12
	ds_bpermute_b32 v15, v16, v13
	s_wait_dscnt 0x0
	v_pk_add_f32 v[12:13], v[12:13], v[14:15]
	ds_bpermute_b32 v14, v17, v12
	ds_bpermute_b32 v15, v17, v13
	s_wait_dscnt 0x0
	v_pk_add_f32 v[12:13], v[12:13], v[14:15]
	;; [unrolled: 4-line block ×3, first 2 shown]
	s_or_b32 exec_lo, exec_lo, s6
	s_and_saveexec_b32 s44, s0
	s_cbranch_execz .LBB315_3
.LBB315_32:                             ;   in Loop: Header=BB315_5 Depth=1
	v_mov_b64_e32 v[16:17], s[40:41]
	v_cmp_neq_f32_e32 vcc_lo, 0, v10
	v_cmp_neq_f32_e64 s6, 0, v11
	s_or_b32 s6, vcc_lo, s6
	s_wait_dscnt 0x0
	v_pk_mul_f32 v[18:19], v[12:13], v[16:17] op_sel:[1,1] op_sel_hi:[1,0]
	s_and_not1_b32 vcc_lo, exec_lo, s6
	s_add_nc_u64 s[6:7], s[42:43], s[38:39]
	s_delay_alu instid0(VALU_DEP_1)
	v_pk_fma_f32 v[14:15], v[12:13], v[16:17], v[18:19] op_sel_hi:[0,1,1] neg_lo:[0,0,1] neg_hi:[0,0,1]
	v_pk_fma_f32 v[12:13], v[12:13], v[16:17], v[18:19] op_sel_hi:[0,1,1]
	s_cbranch_vccnz .LBB315_2
; %bb.33:                               ;   in Loop: Header=BB315_5 Depth=1
	flat_load_b64 v[16:17], v3, s[6:7]
	s_wait_loadcnt_dscnt 0x0
	v_pk_mul_f32 v[18:19], v[10:11], v[16:17] op_sel:[1,1] op_sel_hi:[0,1]
	s_delay_alu instid0(VALU_DEP_1) | instskip(SKIP_1) | instid1(VALU_DEP_2)
	v_pk_fma_f32 v[20:21], v[10:11], v[16:17], v[18:19] op_sel_hi:[1,0,1]
	v_pk_fma_f32 v[10:11], v[10:11], v[16:17], v[18:19] neg_lo:[0,0,1] neg_hi:[0,0,1]
	v_dual_mov_b32 v15, v13 :: v_dual_mov_b32 v11, v21
	s_delay_alu instid0(VALU_DEP_1) | instskip(NEXT) | instid1(VALU_DEP_1)
	v_pk_add_f32 v[14:15], v[14:15], v[10:11]
	v_mov_b32_e32 v13, v15
	s_branch .LBB315_2
.LBB315_34:
	s_endpgm
	.section	.rodata,"a",@progbits
	.p2align	6, 0x0
	.amdhsa_kernel _ZL32rocblas_gemvt_warp_reduce_kernelILb0ELi256ElPK19rocblas_complex_numIfES3_KPS1_EviiT3_lPKT2_lT1_lS9_lSA_lS6_lPT4_lSA_li
		.amdhsa_group_segment_fixed_size 256
		.amdhsa_private_segment_fixed_size 0
		.amdhsa_kernarg_size 140
		.amdhsa_user_sgpr_count 2
		.amdhsa_user_sgpr_dispatch_ptr 0
		.amdhsa_user_sgpr_queue_ptr 0
		.amdhsa_user_sgpr_kernarg_segment_ptr 1
		.amdhsa_user_sgpr_dispatch_id 0
		.amdhsa_user_sgpr_kernarg_preload_length 0
		.amdhsa_user_sgpr_kernarg_preload_offset 0
		.amdhsa_user_sgpr_private_segment_size 0
		.amdhsa_wavefront_size32 1
		.amdhsa_uses_dynamic_stack 0
		.amdhsa_enable_private_segment 0
		.amdhsa_system_sgpr_workgroup_id_x 1
		.amdhsa_system_sgpr_workgroup_id_y 0
		.amdhsa_system_sgpr_workgroup_id_z 1
		.amdhsa_system_sgpr_workgroup_info 0
		.amdhsa_system_vgpr_workitem_id 0
		.amdhsa_next_free_vgpr 34
		.amdhsa_next_free_sgpr 45
		.amdhsa_named_barrier_count 0
		.amdhsa_reserve_vcc 1
		.amdhsa_float_round_mode_32 0
		.amdhsa_float_round_mode_16_64 0
		.amdhsa_float_denorm_mode_32 3
		.amdhsa_float_denorm_mode_16_64 3
		.amdhsa_fp16_overflow 0
		.amdhsa_memory_ordered 1
		.amdhsa_forward_progress 1
		.amdhsa_inst_pref_size 14
		.amdhsa_round_robin_scheduling 0
		.amdhsa_exception_fp_ieee_invalid_op 0
		.amdhsa_exception_fp_denorm_src 0
		.amdhsa_exception_fp_ieee_div_zero 0
		.amdhsa_exception_fp_ieee_overflow 0
		.amdhsa_exception_fp_ieee_underflow 0
		.amdhsa_exception_fp_ieee_inexact 0
		.amdhsa_exception_int_div_zero 0
	.end_amdhsa_kernel
	.section	.text._ZL32rocblas_gemvt_warp_reduce_kernelILb0ELi256ElPK19rocblas_complex_numIfES3_KPS1_EviiT3_lPKT2_lT1_lS9_lSA_lS6_lPT4_lSA_li,"axG",@progbits,_ZL32rocblas_gemvt_warp_reduce_kernelILb0ELi256ElPK19rocblas_complex_numIfES3_KPS1_EviiT3_lPKT2_lT1_lS9_lSA_lS6_lPT4_lSA_li,comdat
.Lfunc_end315:
	.size	_ZL32rocblas_gemvt_warp_reduce_kernelILb0ELi256ElPK19rocblas_complex_numIfES3_KPS1_EviiT3_lPKT2_lT1_lS9_lSA_lS6_lPT4_lSA_li, .Lfunc_end315-_ZL32rocblas_gemvt_warp_reduce_kernelILb0ELi256ElPK19rocblas_complex_numIfES3_KPS1_EviiT3_lPKT2_lT1_lS9_lSA_lS6_lPT4_lSA_li
                                        ; -- End function
	.set _ZL32rocblas_gemvt_warp_reduce_kernelILb0ELi256ElPK19rocblas_complex_numIfES3_KPS1_EviiT3_lPKT2_lT1_lS9_lSA_lS6_lPT4_lSA_li.num_vgpr, 34
	.set _ZL32rocblas_gemvt_warp_reduce_kernelILb0ELi256ElPK19rocblas_complex_numIfES3_KPS1_EviiT3_lPKT2_lT1_lS9_lSA_lS6_lPT4_lSA_li.num_agpr, 0
	.set _ZL32rocblas_gemvt_warp_reduce_kernelILb0ELi256ElPK19rocblas_complex_numIfES3_KPS1_EviiT3_lPKT2_lT1_lS9_lSA_lS6_lPT4_lSA_li.numbered_sgpr, 45
	.set _ZL32rocblas_gemvt_warp_reduce_kernelILb0ELi256ElPK19rocblas_complex_numIfES3_KPS1_EviiT3_lPKT2_lT1_lS9_lSA_lS6_lPT4_lSA_li.num_named_barrier, 0
	.set _ZL32rocblas_gemvt_warp_reduce_kernelILb0ELi256ElPK19rocblas_complex_numIfES3_KPS1_EviiT3_lPKT2_lT1_lS9_lSA_lS6_lPT4_lSA_li.private_seg_size, 0
	.set _ZL32rocblas_gemvt_warp_reduce_kernelILb0ELi256ElPK19rocblas_complex_numIfES3_KPS1_EviiT3_lPKT2_lT1_lS9_lSA_lS6_lPT4_lSA_li.uses_vcc, 1
	.set _ZL32rocblas_gemvt_warp_reduce_kernelILb0ELi256ElPK19rocblas_complex_numIfES3_KPS1_EviiT3_lPKT2_lT1_lS9_lSA_lS6_lPT4_lSA_li.uses_flat_scratch, 0
	.set _ZL32rocblas_gemvt_warp_reduce_kernelILb0ELi256ElPK19rocblas_complex_numIfES3_KPS1_EviiT3_lPKT2_lT1_lS9_lSA_lS6_lPT4_lSA_li.has_dyn_sized_stack, 0
	.set _ZL32rocblas_gemvt_warp_reduce_kernelILb0ELi256ElPK19rocblas_complex_numIfES3_KPS1_EviiT3_lPKT2_lT1_lS9_lSA_lS6_lPT4_lSA_li.has_recursion, 0
	.set _ZL32rocblas_gemvt_warp_reduce_kernelILb0ELi256ElPK19rocblas_complex_numIfES3_KPS1_EviiT3_lPKT2_lT1_lS9_lSA_lS6_lPT4_lSA_li.has_indirect_call, 0
	.section	.AMDGPU.csdata,"",@progbits
; Kernel info:
; codeLenInByte = 1784
; TotalNumSgprs: 47
; NumVgprs: 34
; ScratchSize: 0
; MemoryBound: 0
; FloatMode: 240
; IeeeMode: 1
; LDSByteSize: 256 bytes/workgroup (compile time only)
; SGPRBlocks: 0
; VGPRBlocks: 2
; NumSGPRsForWavesPerEU: 47
; NumVGPRsForWavesPerEU: 34
; NamedBarCnt: 0
; Occupancy: 16
; WaveLimiterHint : 1
; COMPUTE_PGM_RSRC2:SCRATCH_EN: 0
; COMPUTE_PGM_RSRC2:USER_SGPR: 2
; COMPUTE_PGM_RSRC2:TRAP_HANDLER: 0
; COMPUTE_PGM_RSRC2:TGID_X_EN: 1
; COMPUTE_PGM_RSRC2:TGID_Y_EN: 0
; COMPUTE_PGM_RSRC2:TGID_Z_EN: 1
; COMPUTE_PGM_RSRC2:TIDIG_COMP_CNT: 0
	.section	.text._ZL32rocblas_gemvt_warp_reduce_kernelILb0ELi256EiPK19rocblas_complex_numIfES1_KPS1_EviiT3_lPKT2_lT1_lS9_lSA_lS6_lPT4_lSA_li,"axG",@progbits,_ZL32rocblas_gemvt_warp_reduce_kernelILb0ELi256EiPK19rocblas_complex_numIfES1_KPS1_EviiT3_lPKT2_lT1_lS9_lSA_lS6_lPT4_lSA_li,comdat
	.globl	_ZL32rocblas_gemvt_warp_reduce_kernelILb0ELi256EiPK19rocblas_complex_numIfES1_KPS1_EviiT3_lPKT2_lT1_lS9_lSA_lS6_lPT4_lSA_li ; -- Begin function _ZL32rocblas_gemvt_warp_reduce_kernelILb0ELi256EiPK19rocblas_complex_numIfES1_KPS1_EviiT3_lPKT2_lT1_lS9_lSA_lS6_lPT4_lSA_li
	.p2align	8
	.type	_ZL32rocblas_gemvt_warp_reduce_kernelILb0ELi256EiPK19rocblas_complex_numIfES1_KPS1_EviiT3_lPKT2_lT1_lS9_lSA_lS6_lPT4_lSA_li,@function
_ZL32rocblas_gemvt_warp_reduce_kernelILb0ELi256EiPK19rocblas_complex_numIfES1_KPS1_EviiT3_lPKT2_lT1_lS9_lSA_lS6_lPT4_lSA_li: ; @_ZL32rocblas_gemvt_warp_reduce_kernelILb0ELi256EiPK19rocblas_complex_numIfES1_KPS1_EviiT3_lPKT2_lT1_lS9_lSA_lS6_lPT4_lSA_li
; %bb.0:
	s_load_b32 s33, s[0:1], 0x88
	s_bfe_u32 s2, ttmp6, 0x40014
	s_lshr_b32 s3, ttmp7, 16
	s_add_co_i32 s2, s2, 1
	s_bfe_u32 s5, ttmp6, 0x40008
	s_mul_i32 s2, s3, s2
	s_getreg_b32 s4, hwreg(HW_REG_IB_STS2, 6, 4)
	s_add_co_i32 s5, s5, s2
	s_cmp_eq_u32 s4, 0
	s_mov_b32 s7, 0
	s_cselect_b32 s6, s3, s5
	s_wait_kmcnt 0x0
	s_cmp_ge_u32 s6, s33
	s_cbranch_scc1 .LBB316_36
; %bb.1:
	s_clause 0x7
	s_load_b64 s[20:21], s[0:1], 0x8
	s_load_b64 s[22:23], s[0:1], 0x58
	s_load_b32 s5, s[0:1], 0x0
	s_load_b128 s[8:11], s[0:1], 0x68
	s_load_b128 s[12:15], s[0:1], 0x18
	s_load_b32 s29, s[0:1], 0x28
	s_load_b128 s[16:19], s[0:1], 0x38
	s_load_b32 s30, s[0:1], 0x48
	v_dual_mov_b32 v3, 0 :: v_dual_bitop2_b32 v2, 31, v0 bitop3:0x40
	v_lshrrev_b32_e32 v6, 2, v0
	s_load_b32 s31, s[0:1], 0x78
	v_mov_b64_e32 v[4:5], 0
	s_wait_xcnt 0x0
	v_cmp_eq_u32_e64 s0, 0, v0
	v_lshlrev_b32_e32 v1, 3, v2
	v_cmp_gt_u32_e64 s1, 32, v0
	v_mbcnt_lo_u32_b32 v18, -1, 0
	s_wait_kmcnt 0x0
	s_cmp_neq_f32 s20, 0
	v_cmp_gt_i32_e32 vcc_lo, s5, v0
	v_and_b32_e32 v16, 56, v6
	v_mul_lo_u32 v17, v0, s30
	s_cselect_b32 s2, -1, 0
	s_cmp_neq_f32 s21, 0
	s_mov_b32 s25, s22
	s_cselect_b32 s3, -1, 0
	s_delay_alu instid0(SALU_CYCLE_1)
	s_or_b32 s34, s2, s3
	s_cmp_neq_f32 s22, 1.0
	v_cmp_gt_u32_e64 s2, 8, v0
	s_cselect_b32 s35, -1, 0
	s_cmp_neq_f32 s23, 0
	s_cselect_b32 s36, -1, 0
	s_or_b32 s3, s20, s21
	s_delay_alu instid0(SALU_CYCLE_1)
	s_and_b32 s24, s3, 0x7fffffff
	v_cmp_eq_u32_e64 s3, 0, v2
	s_cmp_lg_u32 s24, 0
	v_cndmask_b32_e32 v2, 0, v0, vcc_lo
	s_cselect_b32 s38, -1, 0
	s_cmp_eq_u32 s24, 0
	s_mov_b32 s24, s23
	s_cselect_b32 s39, -1, 0
	s_cmp_neq_f32 s22, 0
	s_cselect_b32 s26, -1, 0
	s_bfe_u32 s27, ttmp6, 0x4000c
	s_and_b32 s28, ttmp6, 15
	s_add_co_i32 s27, s27, 1
	s_or_b32 s40, s26, s36
	s_mul_i32 s27, ttmp9, s27
	s_mov_b32 s26, s21
	s_add_co_i32 s28, s28, s27
	s_cmp_eq_u32 s4, 0
	s_mov_b32 s27, s20
	s_cselect_b32 s4, ttmp9, s28
	s_ashr_i32 s28, s5, 31
	s_or_b32 s35, s34, s35
	s_lshr_b32 s28, s28, 24
	s_mul_i32 s34, s31, s4
	s_add_co_i32 s28, s5, s28
	s_lshl_b32 s41, s30, 8
	s_and_b32 s28, s28, 0xffffff00
	s_delay_alu instid0(SALU_CYCLE_1)
	v_dual_lshlrev_b32 v2, 3, v2 :: v_dual_bitop2_b32 v7, s28, v0 bitop3:0x54
	s_or_b32 s42, s35, s36
	s_ashr_i32 s35, s34, 31
	s_lshl_b64 s[14:15], s[14:15], 3
	s_lshl_b64 s[18:19], s[18:19], 3
	v_mul_lo_u32 v6, s30, v7
	s_mul_i32 s30, s29, s4
	v_cmp_gt_i32_e64 s4, s28, v0
	v_cmp_gt_i32_e64 s5, s5, v7
	s_ashr_i32 s31, s30, 31
	s_ashr_i32 s29, s28, 31
	s_lshl_b64 s[10:11], s[10:11], 3
	s_lshl_b64 s[34:35], s[34:35], 3
	v_ashrrev_i32_e32 v7, 31, v6
	s_branch .LBB316_5
.LBB316_2:                              ;   in Loop: Header=BB316_5 Depth=1
	s_delay_alu instid0(VALU_DEP_1)
	v_mov_b32_e32 v11, v9
	flat_store_b64 v3, v[10:11], s[36:37]
.LBB316_3:                              ;   in Loop: Header=BB316_5 Depth=1
	s_wait_xcnt 0x0
	s_or_b32 exec_lo, exec_lo, s43
.LBB316_4:                              ;   in Loop: Header=BB316_5 Depth=1
	s_add_co_i32 s6, s6, 0x10000
	s_delay_alu instid0(SALU_CYCLE_1)
	s_cmp_lt_u32 s6, s33
	s_cbranch_scc0 .LBB316_36
.LBB316_5:                              ; =>This Loop Header: Depth=1
                                        ;     Child Loop BB316_29 Depth 2
	s_and_not1_b32 vcc_lo, exec_lo, s42
	s_cbranch_vccnz .LBB316_4
; %bb.6:                                ;   in Loop: Header=BB316_5 Depth=1
	s_and_not1_b32 vcc_lo, exec_lo, s39
	s_cbranch_vccnz .LBB316_8
; %bb.7:                                ;   in Loop: Header=BB316_5 Depth=1
	s_wait_dscnt 0x0
	v_mov_b64_e32 v[8:9], 0
	v_mov_b64_e32 v[10:11], 0
	s_cbranch_execz .LBB316_9
	s_branch .LBB316_10
.LBB316_8:                              ;   in Loop: Header=BB316_5 Depth=1
	s_wait_dscnt 0x0
	v_mov_b64_e32 v[8:9], 0
	v_mov_b64_e32 v[10:11], 0
.LBB316_9:                              ;   in Loop: Header=BB316_5 Depth=1
	s_lshl_b64 s[36:37], s[6:7], 3
	s_delay_alu instid0(SALU_CYCLE_1)
	s_add_nc_u64 s[36:37], s[12:13], s[36:37]
	global_load_b64 v[10:11], v3, s[36:37]
	s_wait_loadcnt 0x0
	v_add_nc_u64_e32 v[10:11], s[14:15], v[10:11]
.LBB316_10:                             ;   in Loop: Header=BB316_5 Depth=1
	s_and_not1_b32 vcc_lo, exec_lo, s38
	s_cbranch_vccnz .LBB316_12
; %bb.11:                               ;   in Loop: Header=BB316_5 Depth=1
	s_wait_xcnt 0x0
	s_lshl_b64 s[36:37], s[6:7], 3
	s_delay_alu instid0(SALU_CYCLE_1)
	s_add_nc_u64 s[36:37], s[16:17], s[36:37]
	global_load_b64 v[8:9], v3, s[36:37]
	s_wait_loadcnt 0x0
	v_add_nc_u64_e32 v[8:9], s[18:19], v[8:9]
.LBB316_12:                             ;   in Loop: Header=BB316_5 Depth=1
	s_wait_xcnt 0x0
	s_lshl_b64 s[36:37], s[6:7], 3
	s_and_not1_b32 vcc_lo, exec_lo, s39
	s_add_nc_u64 s[36:37], s[8:9], s[36:37]
	s_mov_b32 s43, -1
	global_load_b64 v[12:13], v3, s[36:37]
	s_wait_loadcnt 0x0
	s_wait_xcnt 0x0
	v_readfirstlane_b32 s36, v12
	v_readfirstlane_b32 s37, v13
	s_add_nc_u64 s[36:37], s[36:37], s[10:11]
	s_cbranch_vccnz .LBB316_18
; %bb.13:                               ;   in Loop: Header=BB316_5 Depth=1
	s_and_saveexec_b32 s43, s0
	s_cbranch_execz .LBB316_17
; %bb.14:                               ;   in Loop: Header=BB316_5 Depth=1
	v_dual_mov_b32 v12, 0 :: v_dual_mov_b32 v13, 0
	s_and_not1_b32 vcc_lo, exec_lo, s40
	s_cbranch_vccnz .LBB316_16
; %bb.15:                               ;   in Loop: Header=BB316_5 Depth=1
	s_add_nc_u64 s[44:45], s[36:37], s[34:35]
	v_mov_b64_e32 v[14:15], s[24:25]
	flat_load_b64 v[12:13], v3, s[44:45]
	v_mov_b64_e32 v[20:21], s[22:23]
	s_wait_loadcnt_dscnt 0x0
	v_pk_mul_f32 v[14:15], v[14:15], v[12:13] op_sel:[0,1]
	s_delay_alu instid0(VALU_DEP_1) | instskip(SKIP_1) | instid1(VALU_DEP_2)
	v_pk_fma_f32 v[22:23], v[20:21], v[12:13], v[14:15] op_sel_hi:[1,0,1]
	v_pk_fma_f32 v[12:13], v[20:21], v[12:13], v[14:15] neg_lo:[0,0,1] neg_hi:[0,0,1]
	v_mov_b32_e32 v13, v23
.LBB316_16:                             ;   in Loop: Header=BB316_5 Depth=1
	s_wait_xcnt 0x0
	s_add_nc_u64 s[44:45], s[36:37], s[34:35]
	flat_store_b64 v3, v[12:13], s[44:45]
.LBB316_17:                             ;   in Loop: Header=BB316_5 Depth=1
	s_wait_xcnt 0x0
	s_or_b32 exec_lo, exec_lo, s43
	s_mov_b32 s43, 0
.LBB316_18:                             ;   in Loop: Header=BB316_5 Depth=1
	s_delay_alu instid0(SALU_CYCLE_1)
	s_and_not1_b32 vcc_lo, exec_lo, s43
	s_cbranch_vccnz .LBB316_4
; %bb.19:                               ;   in Loop: Header=BB316_5 Depth=1
	v_add_nc_u64_e32 v[12:13], v[10:11], v[2:3]
	v_mov_b64_e32 v[10:11], 0
	s_delay_alu instid0(VALU_DEP_2)
	v_lshl_add_u64 v[12:13], s[30:31], 3, v[12:13]
	s_and_saveexec_b32 s43, s4
	s_cbranch_execnz .LBB316_28
; %bb.20:                               ;   in Loop: Header=BB316_5 Depth=1
	s_or_b32 exec_lo, exec_lo, s43
	s_and_saveexec_b32 s43, s5
	s_cbranch_execnz .LBB316_31
.LBB316_21:                             ;   in Loop: Header=BB316_5 Depth=1
	s_or_b32 exec_lo, exec_lo, s43
	s_and_saveexec_b32 s43, s1
.LBB316_22:                             ;   in Loop: Header=BB316_5 Depth=1
	ds_store_b64 v1, v[4:5]
.LBB316_23:                             ;   in Loop: Header=BB316_5 Depth=1
	s_or_b32 exec_lo, exec_lo, s43
	v_lshl_or_b32 v9, v18, 2, 64
	v_cmp_gt_u32_e32 vcc_lo, 24, v18
	s_wait_storecnt_dscnt 0x0
	s_barrier_signal -1
	s_barrier_wait -1
	ds_bpermute_b32 v8, v9, v10
	ds_bpermute_b32 v9, v9, v11
	v_cndmask_b32_e64 v12, 0, 8, vcc_lo
	v_cmp_gt_u32_e32 vcc_lo, 28, v18
	s_wait_dscnt 0x0
	s_delay_alu instid0(VALU_DEP_2)
	v_add_lshl_u32 v12, v12, v18, 2
	v_pk_add_f32 v[8:9], v[10:11], v[8:9]
	ds_bpermute_b32 v10, v12, v8
	ds_bpermute_b32 v11, v12, v9
	v_cndmask_b32_e64 v12, 0, 4, vcc_lo
	v_cmp_gt_u32_e32 vcc_lo, 30, v18
	s_delay_alu instid0(VALU_DEP_2) | instskip(SKIP_2) | instid1(VALU_DEP_2)
	v_add_lshl_u32 v12, v12, v18, 2
	v_cndmask_b32_e64 v13, 0, 2, vcc_lo
	v_cmp_ne_u32_e32 vcc_lo, 31, v18
	v_add_lshl_u32 v13, v13, v18, 2
	v_add_co_ci_u32_e64 v14, null, 0, v18, vcc_lo
	s_delay_alu instid0(VALU_DEP_1)
	v_lshlrev_b32_e32 v14, 2, v14
	s_wait_dscnt 0x0
	v_pk_add_f32 v[8:9], v[8:9], v[10:11]
	ds_bpermute_b32 v10, v12, v8
	ds_bpermute_b32 v11, v12, v9
	s_wait_dscnt 0x0
	v_pk_add_f32 v[8:9], v[8:9], v[10:11]
	ds_bpermute_b32 v10, v13, v8
	ds_bpermute_b32 v11, v13, v9
	;; [unrolled: 4-line block ×3, first 2 shown]
	s_and_saveexec_b32 s43, s3
	s_cbranch_execz .LBB316_25
; %bb.24:                               ;   in Loop: Header=BB316_5 Depth=1
	s_wait_dscnt 0x0
	v_pk_add_f32 v[8:9], v[8:9], v[10:11]
	ds_store_b64 v16, v[8:9]
.LBB316_25:                             ;   in Loop: Header=BB316_5 Depth=1
	s_or_b32 exec_lo, exec_lo, s43
	v_mov_b64_e32 v[8:9], 0
	s_wait_dscnt 0x0
	s_barrier_signal -1
	s_barrier_wait -1
	s_and_saveexec_b32 s43, s2
	s_cbranch_execnz .LBB316_32
; %bb.26:                               ;   in Loop: Header=BB316_5 Depth=1
	s_or_b32 exec_lo, exec_lo, s43
	s_and_saveexec_b32 s43, s1
	s_cbranch_execnz .LBB316_33
.LBB316_27:                             ;   in Loop: Header=BB316_5 Depth=1
	s_or_b32 exec_lo, exec_lo, s43
	s_and_saveexec_b32 s43, s0
	s_cbranch_execz .LBB316_3
	s_branch .LBB316_34
.LBB316_28:                             ;   in Loop: Header=BB316_5 Depth=1
	v_dual_mov_b32 v10, 0 :: v_dual_mov_b32 v19, v17
	s_delay_alu instid0(VALU_DEP_2) | instskip(SKIP_2) | instid1(VALU_DEP_3)
	v_mov_b64_e32 v[14:15], v[12:13]
	v_mov_b32_e32 v20, v0
	s_mov_b32 s44, 0
	v_mov_b32_e32 v11, v10
.LBB316_29:                             ;   Parent Loop BB316_5 Depth=1
                                        ; =>  This Inner Loop Header: Depth=2
	v_readfirstlane_b32 s46, v8
	v_readfirstlane_b32 s47, v9
	flat_load_b64 v[22:23], v[14:15]
	flat_load_b64 v[24:25], v19, s[46:47] scale_offset
	s_wait_xcnt 0x1
	v_add_nc_u64_e32 v[14:15], 0x800, v[14:15]
	s_wait_xcnt 0x0
	v_add_nc_u32_e32 v19, s41, v19
	s_wait_loadcnt_dscnt 0x0
	v_pk_mul_f32 v[26:27], v[24:25], v[22:23] op_sel:[1,1] op_sel_hi:[0,1]
	s_delay_alu instid0(VALU_DEP_1) | instskip(SKIP_2) | instid1(VALU_DEP_3)
	v_pk_fma_f32 v[28:29], v[24:25], v[22:23], v[26:27] op_sel_hi:[1,0,1]
	v_add_nc_u32_e32 v20, 0x100, v20
	v_pk_fma_f32 v[22:23], v[24:25], v[22:23], v[26:27] neg_lo:[0,0,1] neg_hi:[0,0,1]
	v_mov_b32_e32 v23, v29
	s_delay_alu instid0(VALU_DEP_3) | instskip(NEXT) | instid1(VALU_DEP_2)
	v_cmp_le_i32_e32 vcc_lo, s28, v20
	v_pk_add_f32 v[10:11], v[10:11], v[22:23]
	s_or_b32 s44, vcc_lo, s44
	s_delay_alu instid0(SALU_CYCLE_1)
	s_and_not1_b32 exec_lo, exec_lo, s44
	s_cbranch_execnz .LBB316_29
; %bb.30:                               ;   in Loop: Header=BB316_5 Depth=1
	s_or_b32 exec_lo, exec_lo, s44
	s_delay_alu instid0(SALU_CYCLE_1)
	s_or_b32 exec_lo, exec_lo, s43
	s_and_saveexec_b32 s43, s5
	s_cbranch_execz .LBB316_21
.LBB316_31:                             ;   in Loop: Header=BB316_5 Depth=1
	v_lshl_add_u64 v[12:13], s[28:29], 3, v[12:13]
	v_lshl_add_u64 v[8:9], v[6:7], 3, v[8:9]
	flat_load_b64 v[14:15], v[12:13]
	flat_load_b64 v[20:21], v[8:9]
	s_wait_loadcnt_dscnt 0x0
	v_pk_mul_f32 v[8:9], v[20:21], v[14:15] op_sel:[1,1] op_sel_hi:[0,1]
	s_delay_alu instid0(VALU_DEP_1) | instskip(SKIP_1) | instid1(VALU_DEP_2)
	v_pk_fma_f32 v[12:13], v[20:21], v[14:15], v[8:9] op_sel_hi:[1,0,1]
	v_pk_fma_f32 v[8:9], v[20:21], v[14:15], v[8:9] neg_lo:[0,0,1] neg_hi:[0,0,1]
	v_mov_b32_e32 v9, v13
	s_delay_alu instid0(VALU_DEP_1)
	v_pk_add_f32 v[10:11], v[10:11], v[8:9]
	s_or_b32 exec_lo, exec_lo, s43
	s_and_saveexec_b32 s43, s1
	s_cbranch_execnz .LBB316_22
	s_branch .LBB316_23
.LBB316_32:                             ;   in Loop: Header=BB316_5 Depth=1
	ds_load_b64 v[8:9], v1
	s_or_b32 exec_lo, exec_lo, s43
	s_and_saveexec_b32 s43, s1
	s_cbranch_execz .LBB316_27
.LBB316_33:                             ;   in Loop: Header=BB316_5 Depth=1
	s_wait_dscnt 0x0
	ds_bpermute_b32 v10, v12, v8
	ds_bpermute_b32 v11, v12, v9
	s_wait_dscnt 0x0
	v_pk_add_f32 v[8:9], v[8:9], v[10:11]
	ds_bpermute_b32 v10, v13, v8
	ds_bpermute_b32 v11, v13, v9
	s_wait_dscnt 0x0
	v_pk_add_f32 v[8:9], v[8:9], v[10:11]
	;; [unrolled: 4-line block ×3, first 2 shown]
	s_or_b32 exec_lo, exec_lo, s43
	s_and_saveexec_b32 s43, s0
	s_cbranch_execz .LBB316_3
.LBB316_34:                             ;   in Loop: Header=BB316_5 Depth=1
	v_mov_b64_e32 v[10:11], s[26:27]
	v_mov_b64_e32 v[12:13], s[20:21]
	s_and_not1_b32 vcc_lo, exec_lo, s40
	s_add_nc_u64 s[36:37], s[36:37], s[34:35]
	s_wait_dscnt 0x0
	s_delay_alu instid0(VALU_DEP_2) | instskip(NEXT) | instid1(VALU_DEP_1)
	v_pk_mul_f32 v[14:15], v[8:9], v[10:11] op_sel:[1,0]
	v_pk_fma_f32 v[10:11], v[8:9], v[12:13], v[14:15] op_sel_hi:[0,1,1] neg_lo:[0,0,1] neg_hi:[0,0,1]
	v_pk_fma_f32 v[8:9], v[8:9], v[12:13], v[14:15] op_sel_hi:[0,1,1]
	s_cbranch_vccnz .LBB316_2
; %bb.35:                               ;   in Loop: Header=BB316_5 Depth=1
	flat_load_b64 v[12:13], v3, s[36:37]
	v_mov_b64_e32 v[14:15], s[24:25]
	v_mov_b64_e32 v[20:21], s[22:23]
	s_wait_loadcnt_dscnt 0x0
	s_delay_alu instid0(VALU_DEP_2) | instskip(NEXT) | instid1(VALU_DEP_1)
	v_pk_mul_f32 v[14:15], v[14:15], v[12:13] op_sel:[0,1]
	v_pk_fma_f32 v[22:23], v[20:21], v[12:13], v[14:15] op_sel_hi:[1,0,1]
	v_mov_b32_e32 v11, v9
	v_pk_fma_f32 v[8:9], v[20:21], v[12:13], v[14:15] neg_lo:[0,0,1] neg_hi:[0,0,1]
	s_delay_alu instid0(VALU_DEP_3) | instskip(NEXT) | instid1(VALU_DEP_1)
	v_mov_b32_e32 v9, v23
	v_pk_add_f32 v[10:11], v[10:11], v[8:9]
	s_delay_alu instid0(VALU_DEP_1)
	v_mov_b32_e32 v9, v11
	s_branch .LBB316_2
.LBB316_36:
	s_endpgm
	.section	.rodata,"a",@progbits
	.p2align	6, 0x0
	.amdhsa_kernel _ZL32rocblas_gemvt_warp_reduce_kernelILb0ELi256EiPK19rocblas_complex_numIfES1_KPS1_EviiT3_lPKT2_lT1_lS9_lSA_lS6_lPT4_lSA_li
		.amdhsa_group_segment_fixed_size 256
		.amdhsa_private_segment_fixed_size 0
		.amdhsa_kernarg_size 140
		.amdhsa_user_sgpr_count 2
		.amdhsa_user_sgpr_dispatch_ptr 0
		.amdhsa_user_sgpr_queue_ptr 0
		.amdhsa_user_sgpr_kernarg_segment_ptr 1
		.amdhsa_user_sgpr_dispatch_id 0
		.amdhsa_user_sgpr_kernarg_preload_length 0
		.amdhsa_user_sgpr_kernarg_preload_offset 0
		.amdhsa_user_sgpr_private_segment_size 0
		.amdhsa_wavefront_size32 1
		.amdhsa_uses_dynamic_stack 0
		.amdhsa_enable_private_segment 0
		.amdhsa_system_sgpr_workgroup_id_x 1
		.amdhsa_system_sgpr_workgroup_id_y 0
		.amdhsa_system_sgpr_workgroup_id_z 1
		.amdhsa_system_sgpr_workgroup_info 0
		.amdhsa_system_vgpr_workitem_id 0
		.amdhsa_next_free_vgpr 30
		.amdhsa_next_free_sgpr 48
		.amdhsa_named_barrier_count 0
		.amdhsa_reserve_vcc 1
		.amdhsa_float_round_mode_32 0
		.amdhsa_float_round_mode_16_64 0
		.amdhsa_float_denorm_mode_32 3
		.amdhsa_float_denorm_mode_16_64 3
		.amdhsa_fp16_overflow 0
		.amdhsa_memory_ordered 1
		.amdhsa_forward_progress 1
		.amdhsa_inst_pref_size 14
		.amdhsa_round_robin_scheduling 0
		.amdhsa_exception_fp_ieee_invalid_op 0
		.amdhsa_exception_fp_denorm_src 0
		.amdhsa_exception_fp_ieee_div_zero 0
		.amdhsa_exception_fp_ieee_overflow 0
		.amdhsa_exception_fp_ieee_underflow 0
		.amdhsa_exception_fp_ieee_inexact 0
		.amdhsa_exception_int_div_zero 0
	.end_amdhsa_kernel
	.section	.text._ZL32rocblas_gemvt_warp_reduce_kernelILb0ELi256EiPK19rocblas_complex_numIfES1_KPS1_EviiT3_lPKT2_lT1_lS9_lSA_lS6_lPT4_lSA_li,"axG",@progbits,_ZL32rocblas_gemvt_warp_reduce_kernelILb0ELi256EiPK19rocblas_complex_numIfES1_KPS1_EviiT3_lPKT2_lT1_lS9_lSA_lS6_lPT4_lSA_li,comdat
.Lfunc_end316:
	.size	_ZL32rocblas_gemvt_warp_reduce_kernelILb0ELi256EiPK19rocblas_complex_numIfES1_KPS1_EviiT3_lPKT2_lT1_lS9_lSA_lS6_lPT4_lSA_li, .Lfunc_end316-_ZL32rocblas_gemvt_warp_reduce_kernelILb0ELi256EiPK19rocblas_complex_numIfES1_KPS1_EviiT3_lPKT2_lT1_lS9_lSA_lS6_lPT4_lSA_li
                                        ; -- End function
	.set _ZL32rocblas_gemvt_warp_reduce_kernelILb0ELi256EiPK19rocblas_complex_numIfES1_KPS1_EviiT3_lPKT2_lT1_lS9_lSA_lS6_lPT4_lSA_li.num_vgpr, 30
	.set _ZL32rocblas_gemvt_warp_reduce_kernelILb0ELi256EiPK19rocblas_complex_numIfES1_KPS1_EviiT3_lPKT2_lT1_lS9_lSA_lS6_lPT4_lSA_li.num_agpr, 0
	.set _ZL32rocblas_gemvt_warp_reduce_kernelILb0ELi256EiPK19rocblas_complex_numIfES1_KPS1_EviiT3_lPKT2_lT1_lS9_lSA_lS6_lPT4_lSA_li.numbered_sgpr, 48
	.set _ZL32rocblas_gemvt_warp_reduce_kernelILb0ELi256EiPK19rocblas_complex_numIfES1_KPS1_EviiT3_lPKT2_lT1_lS9_lSA_lS6_lPT4_lSA_li.num_named_barrier, 0
	.set _ZL32rocblas_gemvt_warp_reduce_kernelILb0ELi256EiPK19rocblas_complex_numIfES1_KPS1_EviiT3_lPKT2_lT1_lS9_lSA_lS6_lPT4_lSA_li.private_seg_size, 0
	.set _ZL32rocblas_gemvt_warp_reduce_kernelILb0ELi256EiPK19rocblas_complex_numIfES1_KPS1_EviiT3_lPKT2_lT1_lS9_lSA_lS6_lPT4_lSA_li.uses_vcc, 1
	.set _ZL32rocblas_gemvt_warp_reduce_kernelILb0ELi256EiPK19rocblas_complex_numIfES1_KPS1_EviiT3_lPKT2_lT1_lS9_lSA_lS6_lPT4_lSA_li.uses_flat_scratch, 0
	.set _ZL32rocblas_gemvt_warp_reduce_kernelILb0ELi256EiPK19rocblas_complex_numIfES1_KPS1_EviiT3_lPKT2_lT1_lS9_lSA_lS6_lPT4_lSA_li.has_dyn_sized_stack, 0
	.set _ZL32rocblas_gemvt_warp_reduce_kernelILb0ELi256EiPK19rocblas_complex_numIfES1_KPS1_EviiT3_lPKT2_lT1_lS9_lSA_lS6_lPT4_lSA_li.has_recursion, 0
	.set _ZL32rocblas_gemvt_warp_reduce_kernelILb0ELi256EiPK19rocblas_complex_numIfES1_KPS1_EviiT3_lPKT2_lT1_lS9_lSA_lS6_lPT4_lSA_li.has_indirect_call, 0
	.section	.AMDGPU.csdata,"",@progbits
; Kernel info:
; codeLenInByte = 1760
; TotalNumSgprs: 50
; NumVgprs: 30
; ScratchSize: 0
; MemoryBound: 0
; FloatMode: 240
; IeeeMode: 1
; LDSByteSize: 256 bytes/workgroup (compile time only)
; SGPRBlocks: 0
; VGPRBlocks: 1
; NumSGPRsForWavesPerEU: 50
; NumVGPRsForWavesPerEU: 30
; NamedBarCnt: 0
; Occupancy: 16
; WaveLimiterHint : 1
; COMPUTE_PGM_RSRC2:SCRATCH_EN: 0
; COMPUTE_PGM_RSRC2:USER_SGPR: 2
; COMPUTE_PGM_RSRC2:TRAP_HANDLER: 0
; COMPUTE_PGM_RSRC2:TGID_X_EN: 1
; COMPUTE_PGM_RSRC2:TGID_Y_EN: 0
; COMPUTE_PGM_RSRC2:TGID_Z_EN: 1
; COMPUTE_PGM_RSRC2:TIDIG_COMP_CNT: 0
	.section	.text._ZL32rocblas_gemvt_warp_reduce_kernelILb0ELi256ElPK19rocblas_complex_numIfES1_KPS1_EviiT3_lPKT2_lT1_lS9_lSA_lS6_lPT4_lSA_li,"axG",@progbits,_ZL32rocblas_gemvt_warp_reduce_kernelILb0ELi256ElPK19rocblas_complex_numIfES1_KPS1_EviiT3_lPKT2_lT1_lS9_lSA_lS6_lPT4_lSA_li,comdat
	.globl	_ZL32rocblas_gemvt_warp_reduce_kernelILb0ELi256ElPK19rocblas_complex_numIfES1_KPS1_EviiT3_lPKT2_lT1_lS9_lSA_lS6_lPT4_lSA_li ; -- Begin function _ZL32rocblas_gemvt_warp_reduce_kernelILb0ELi256ElPK19rocblas_complex_numIfES1_KPS1_EviiT3_lPKT2_lT1_lS9_lSA_lS6_lPT4_lSA_li
	.p2align	8
	.type	_ZL32rocblas_gemvt_warp_reduce_kernelILb0ELi256ElPK19rocblas_complex_numIfES1_KPS1_EviiT3_lPKT2_lT1_lS9_lSA_lS6_lPT4_lSA_li,@function
_ZL32rocblas_gemvt_warp_reduce_kernelILb0ELi256ElPK19rocblas_complex_numIfES1_KPS1_EviiT3_lPKT2_lT1_lS9_lSA_lS6_lPT4_lSA_li: ; @_ZL32rocblas_gemvt_warp_reduce_kernelILb0ELi256ElPK19rocblas_complex_numIfES1_KPS1_EviiT3_lPKT2_lT1_lS9_lSA_lS6_lPT4_lSA_li
; %bb.0:
	s_load_b32 s33, s[0:1], 0x88
	s_bfe_u32 s2, ttmp6, 0x40014
	s_lshr_b32 s3, ttmp7, 16
	s_add_co_i32 s2, s2, 1
	s_bfe_u32 s5, ttmp6, 0x40008
	s_mul_i32 s4, s3, s2
	s_getreg_b32 s2, hwreg(HW_REG_IB_STS2, 6, 4)
	s_add_co_i32 s5, s5, s4
	s_cmp_eq_u32 s2, 0
	s_mov_b32 s7, 0
	s_cselect_b32 s6, s3, s5
	s_wait_kmcnt 0x0
	s_cmp_ge_u32 s6, s33
	s_cbranch_scc1 .LBB317_36
; %bb.1:
	s_clause 0x3
	s_load_b64 s[20:21], s[0:1], 0x8
	s_load_b64 s[22:23], s[0:1], 0x58
	s_load_b32 s25, s[0:1], 0x0
	s_load_b64 s[34:35], s[0:1], 0x48
	v_mbcnt_lo_u32_b32 v21, -1, 0
	s_wait_kmcnt 0x0
	s_cmp_neq_f32 s20, 0
	s_mov_b32 s30, s21
	v_cmp_gt_i32_e32 vcc_lo, s25, v0
	s_mov_b32 s31, s20
	s_cselect_b32 s3, -1, 0
	s_cmp_neq_f32 s21, 0
	v_cndmask_b32_e32 v2, 0, v0, vcc_lo
	s_cselect_b32 s4, -1, 0
	s_delay_alu instid0(SALU_CYCLE_1)
	s_or_b32 s28, s3, s4
	s_cmp_neq_f32 s22, 1.0
	s_clause 0x1
	s_load_b64 s[4:5], s[0:1], 0x28
	s_load_b64 s[26:27], s[0:1], 0x78
	s_cselect_b32 s29, -1, 0
	s_cmp_neq_f32 s23, 0
	s_cselect_b32 s38, -1, 0
	s_or_b32 s3, s20, s21
	s_delay_alu instid0(SALU_CYCLE_1) | instskip(NEXT) | instid1(SALU_CYCLE_1)
	s_bitset0_b32 s3, 31
	s_cmp_lg_u32 s3, 0
	s_cselect_b32 s42, -1, 0
	s_cmp_eq_u32 s3, 0
	s_cselect_b32 s43, -1, 0
	s_cmp_neq_f32 s22, 0
	s_cselect_b32 s3, -1, 0
	s_bfe_u32 s8, ttmp6, 0x4000c
	s_and_b32 s9, ttmp6, 15
	s_add_co_i32 s8, s8, 1
	s_or_b32 s44, s3, s38
	s_mul_i32 s8, ttmp9, s8
	s_delay_alu instid0(SALU_CYCLE_1)
	s_add_co_i32 s9, s9, s8
	s_cmp_eq_u32 s2, 0
	s_cselect_b32 s2, ttmp9, s9
	s_ashr_i32 s3, s25, 31
	s_clause 0x2
	s_load_b128 s[8:11], s[0:1], 0x18
	s_load_b128 s[12:15], s[0:1], 0x38
	;; [unrolled: 1-line block ×3, first 2 shown]
	s_lshr_b32 s3, s3, 24
	s_wait_xcnt 0x0
	v_cmp_eq_u32_e64 s0, 0, v0
	s_add_co_i32 s3, s25, s3
	s_or_b32 s39, s28, s29
	s_and_b32 s24, s3, 0xffffff00
	s_delay_alu instid0(SALU_CYCLE_1)
	v_dual_mov_b32 v3, 0 :: v_dual_bitop2_b32 v8, s24, v0 bitop3:0x54
	s_ashr_i32 s3, s2, 31
	v_cmp_gt_i32_e64 s1, s24, v0
	s_wait_kmcnt 0x0
	s_mul_u64 s[36:37], s[26:27], s[2:3]
	v_dual_mov_b32 v1, v3 :: v_dual_ashrrev_i32 v9, 31, v8
	s_mul_u64 s[26:27], s[4:5], s[2:3]
	v_cmp_gt_i32_e64 s2, s25, v8
	v_cmp_gt_u32_e64 s3, 32, v0
	s_delay_alu instid0(VALU_DEP_3)
	v_mul_u64_e32 v[6:7], s[34:35], v[0:1]
	v_mul_u64_e32 v[4:5], s[34:35], v[8:9]
	v_dual_lshrrev_b32 v8, 2, v0 :: v_dual_bitop2_b32 v9, 31, v0 bitop3:0x40
	v_cmp_gt_u32_e64 s5, 8, v0
	v_lshlrev_b32_e32 v2, 3, v2
	s_ashr_i32 s25, s24, 31
	v_lshlrev_b32_e32 v1, 3, v9
	v_cmp_eq_u32_e64 s4, 0, v9
	v_and_b32_e32 v20, 56, v8
	v_mov_b64_e32 v[8:9], 0
	s_mov_b32 s28, s23
	s_mov_b32 s29, s22
	s_lshl_b64 s[34:35], s[34:35], 11
	s_or_b32 s45, s39, s38
	s_lshl_b64 s[10:11], s[10:11], 3
	s_lshl_b64 s[14:15], s[14:15], 3
	;; [unrolled: 1-line block ×4, first 2 shown]
	v_lshlrev_b64_e32 v[6:7], 3, v[6:7]
	s_branch .LBB317_5
.LBB317_2:                              ;   in Loop: Header=BB317_5 Depth=1
	s_delay_alu instid0(VALU_DEP_1)
	v_mov_b32_e32 v13, v11
	flat_store_b64 v3, v[12:13], s[38:39]
.LBB317_3:                              ;   in Loop: Header=BB317_5 Depth=1
	s_wait_xcnt 0x0
	s_or_b32 exec_lo, exec_lo, s40
.LBB317_4:                              ;   in Loop: Header=BB317_5 Depth=1
	s_add_co_i32 s6, s6, 0x10000
	s_delay_alu instid0(SALU_CYCLE_1)
	s_cmp_lt_u32 s6, s33
	s_cbranch_scc0 .LBB317_36
.LBB317_5:                              ; =>This Loop Header: Depth=1
                                        ;     Child Loop BB317_29 Depth 2
	s_and_not1_b32 vcc_lo, exec_lo, s45
	s_cbranch_vccnz .LBB317_4
; %bb.6:                                ;   in Loop: Header=BB317_5 Depth=1
	s_and_not1_b32 vcc_lo, exec_lo, s43
	s_cbranch_vccnz .LBB317_8
; %bb.7:                                ;   in Loop: Header=BB317_5 Depth=1
	s_wait_dscnt 0x0
	v_mov_b64_e32 v[10:11], 0
	v_mov_b64_e32 v[12:13], 0
	s_cbranch_execz .LBB317_9
	s_branch .LBB317_10
.LBB317_8:                              ;   in Loop: Header=BB317_5 Depth=1
	s_wait_dscnt 0x0
	v_mov_b64_e32 v[10:11], 0
	v_mov_b64_e32 v[12:13], 0
.LBB317_9:                              ;   in Loop: Header=BB317_5 Depth=1
	s_lshl_b64 s[38:39], s[6:7], 3
	s_delay_alu instid0(SALU_CYCLE_1)
	s_add_nc_u64 s[38:39], s[8:9], s[38:39]
	global_load_b64 v[12:13], v3, s[38:39]
	s_wait_loadcnt 0x0
	v_add_nc_u64_e32 v[12:13], s[10:11], v[12:13]
.LBB317_10:                             ;   in Loop: Header=BB317_5 Depth=1
	s_and_not1_b32 vcc_lo, exec_lo, s42
	s_cbranch_vccnz .LBB317_12
; %bb.11:                               ;   in Loop: Header=BB317_5 Depth=1
	s_wait_xcnt 0x0
	s_lshl_b64 s[38:39], s[6:7], 3
	s_delay_alu instid0(SALU_CYCLE_1)
	s_add_nc_u64 s[38:39], s[12:13], s[38:39]
	global_load_b64 v[10:11], v3, s[38:39]
	s_wait_loadcnt 0x0
	v_add_nc_u64_e32 v[10:11], s[14:15], v[10:11]
.LBB317_12:                             ;   in Loop: Header=BB317_5 Depth=1
	s_wait_xcnt 0x0
	s_lshl_b64 s[38:39], s[6:7], 3
	s_and_not1_b32 vcc_lo, exec_lo, s43
	s_add_nc_u64 s[38:39], s[16:17], s[38:39]
	s_mov_b32 s40, -1
	global_load_b64 v[14:15], v3, s[38:39]
	s_wait_loadcnt 0x0
	s_wait_xcnt 0x0
	v_readfirstlane_b32 s38, v14
	v_readfirstlane_b32 s39, v15
	s_add_nc_u64 s[38:39], s[38:39], s[18:19]
	s_cbranch_vccnz .LBB317_18
; %bb.13:                               ;   in Loop: Header=BB317_5 Depth=1
	s_and_saveexec_b32 s46, s0
	s_cbranch_execz .LBB317_17
; %bb.14:                               ;   in Loop: Header=BB317_5 Depth=1
	v_dual_mov_b32 v14, 0 :: v_dual_mov_b32 v15, 0
	s_and_not1_b32 vcc_lo, exec_lo, s44
	s_add_nc_u64 s[40:41], s[38:39], s[36:37]
	s_cbranch_vccnz .LBB317_16
; %bb.15:                               ;   in Loop: Header=BB317_5 Depth=1
	flat_load_b64 v[14:15], v3, s[40:41]
	v_mov_b64_e32 v[16:17], s[28:29]
	v_mov_b64_e32 v[18:19], s[22:23]
	s_wait_loadcnt_dscnt 0x0
	s_delay_alu instid0(VALU_DEP_2) | instskip(NEXT) | instid1(VALU_DEP_1)
	v_pk_mul_f32 v[16:17], v[16:17], v[14:15] op_sel:[0,1]
	v_pk_fma_f32 v[22:23], v[18:19], v[14:15], v[16:17] op_sel_hi:[1,0,1]
	v_pk_fma_f32 v[14:15], v[18:19], v[14:15], v[16:17] neg_lo:[0,0,1] neg_hi:[0,0,1]
	s_delay_alu instid0(VALU_DEP_2)
	v_mov_b32_e32 v15, v23
.LBB317_16:                             ;   in Loop: Header=BB317_5 Depth=1
	flat_store_b64 v3, v[14:15], s[40:41]
.LBB317_17:                             ;   in Loop: Header=BB317_5 Depth=1
	s_wait_xcnt 0x0
	s_or_b32 exec_lo, exec_lo, s46
	s_mov_b32 s40, 0
.LBB317_18:                             ;   in Loop: Header=BB317_5 Depth=1
	s_delay_alu instid0(SALU_CYCLE_1)
	s_and_not1_b32 vcc_lo, exec_lo, s40
	s_cbranch_vccnz .LBB317_4
; %bb.19:                               ;   in Loop: Header=BB317_5 Depth=1
	v_add_nc_u64_e32 v[14:15], v[12:13], v[2:3]
	v_mov_b64_e32 v[12:13], 0
	s_delay_alu instid0(VALU_DEP_2)
	v_lshl_add_u64 v[14:15], s[26:27], 3, v[14:15]
	s_and_saveexec_b32 s40, s1
	s_cbranch_execnz .LBB317_28
; %bb.20:                               ;   in Loop: Header=BB317_5 Depth=1
	s_or_b32 exec_lo, exec_lo, s40
	s_and_saveexec_b32 s40, s2
	s_cbranch_execnz .LBB317_31
.LBB317_21:                             ;   in Loop: Header=BB317_5 Depth=1
	s_or_b32 exec_lo, exec_lo, s40
	s_and_saveexec_b32 s40, s3
.LBB317_22:                             ;   in Loop: Header=BB317_5 Depth=1
	ds_store_b64 v1, v[8:9]
.LBB317_23:                             ;   in Loop: Header=BB317_5 Depth=1
	s_or_b32 exec_lo, exec_lo, s40
	v_lshl_or_b32 v11, v21, 2, 64
	v_cmp_gt_u32_e32 vcc_lo, 24, v21
	s_wait_storecnt_dscnt 0x0
	s_barrier_signal -1
	s_barrier_wait -1
	ds_bpermute_b32 v10, v11, v12
	ds_bpermute_b32 v11, v11, v13
	v_cndmask_b32_e64 v14, 0, 8, vcc_lo
	v_cmp_gt_u32_e32 vcc_lo, 28, v21
	s_wait_dscnt 0x0
	s_delay_alu instid0(VALU_DEP_2)
	v_add_lshl_u32 v14, v14, v21, 2
	v_pk_add_f32 v[10:11], v[12:13], v[10:11]
	ds_bpermute_b32 v12, v14, v10
	ds_bpermute_b32 v13, v14, v11
	v_cndmask_b32_e64 v14, 0, 4, vcc_lo
	v_cmp_gt_u32_e32 vcc_lo, 30, v21
	s_delay_alu instid0(VALU_DEP_2) | instskip(SKIP_2) | instid1(VALU_DEP_2)
	v_add_lshl_u32 v14, v14, v21, 2
	v_cndmask_b32_e64 v15, 0, 2, vcc_lo
	v_cmp_ne_u32_e32 vcc_lo, 31, v21
	v_add_lshl_u32 v15, v15, v21, 2
	v_add_co_ci_u32_e64 v16, null, 0, v21, vcc_lo
	s_delay_alu instid0(VALU_DEP_1)
	v_lshlrev_b32_e32 v16, 2, v16
	s_wait_dscnt 0x0
	v_pk_add_f32 v[10:11], v[10:11], v[12:13]
	ds_bpermute_b32 v12, v14, v10
	ds_bpermute_b32 v13, v14, v11
	s_wait_dscnt 0x0
	v_pk_add_f32 v[10:11], v[10:11], v[12:13]
	ds_bpermute_b32 v12, v15, v10
	ds_bpermute_b32 v13, v15, v11
	;; [unrolled: 4-line block ×3, first 2 shown]
	s_and_saveexec_b32 s40, s4
	s_cbranch_execz .LBB317_25
; %bb.24:                               ;   in Loop: Header=BB317_5 Depth=1
	s_wait_dscnt 0x0
	v_pk_add_f32 v[10:11], v[10:11], v[12:13]
	ds_store_b64 v20, v[10:11]
.LBB317_25:                             ;   in Loop: Header=BB317_5 Depth=1
	s_or_b32 exec_lo, exec_lo, s40
	v_mov_b64_e32 v[10:11], 0
	s_wait_dscnt 0x0
	s_barrier_signal -1
	s_barrier_wait -1
	s_and_saveexec_b32 s40, s5
	s_cbranch_execnz .LBB317_32
; %bb.26:                               ;   in Loop: Header=BB317_5 Depth=1
	s_or_b32 exec_lo, exec_lo, s40
	s_and_saveexec_b32 s40, s3
	s_cbranch_execnz .LBB317_33
.LBB317_27:                             ;   in Loop: Header=BB317_5 Depth=1
	s_or_b32 exec_lo, exec_lo, s40
	s_and_saveexec_b32 s40, s0
	s_cbranch_execz .LBB317_3
	s_branch .LBB317_34
.LBB317_28:                             ;   in Loop: Header=BB317_5 Depth=1
	v_dual_mov_b32 v12, 0 :: v_dual_mov_b32 v22, v0
	v_add_nc_u64_e32 v[16:17], v[10:11], v[6:7]
	v_mov_b64_e32 v[18:19], v[14:15]
	s_mov_b32 s41, 0
	s_delay_alu instid0(VALU_DEP_3)
	v_mov_b32_e32 v13, v12
.LBB317_29:                             ;   Parent Loop BB317_5 Depth=1
                                        ; =>  This Inner Loop Header: Depth=2
	flat_load_b64 v[24:25], v[18:19]
	flat_load_b64 v[26:27], v[16:17]
	s_wait_xcnt 0x1
	v_add_nc_u64_e32 v[18:19], 0x800, v[18:19]
	s_wait_xcnt 0x0
	v_add_nc_u64_e32 v[16:17], s[34:35], v[16:17]
	s_wait_loadcnt_dscnt 0x0
	v_pk_mul_f32 v[28:29], v[26:27], v[24:25] op_sel:[1,1] op_sel_hi:[0,1]
	s_delay_alu instid0(VALU_DEP_1) | instskip(SKIP_2) | instid1(VALU_DEP_3)
	v_pk_fma_f32 v[30:31], v[26:27], v[24:25], v[28:29] op_sel_hi:[1,0,1]
	v_add_nc_u32_e32 v22, 0x100, v22
	v_pk_fma_f32 v[24:25], v[26:27], v[24:25], v[28:29] neg_lo:[0,0,1] neg_hi:[0,0,1]
	v_mov_b32_e32 v25, v31
	s_delay_alu instid0(VALU_DEP_3) | instskip(NEXT) | instid1(VALU_DEP_2)
	v_cmp_le_i32_e32 vcc_lo, s24, v22
	v_pk_add_f32 v[12:13], v[12:13], v[24:25]
	s_or_b32 s41, vcc_lo, s41
	s_delay_alu instid0(SALU_CYCLE_1)
	s_and_not1_b32 exec_lo, exec_lo, s41
	s_cbranch_execnz .LBB317_29
; %bb.30:                               ;   in Loop: Header=BB317_5 Depth=1
	s_or_b32 exec_lo, exec_lo, s41
	s_delay_alu instid0(SALU_CYCLE_1)
	s_or_b32 exec_lo, exec_lo, s40
	s_and_saveexec_b32 s40, s2
	s_cbranch_execz .LBB317_21
.LBB317_31:                             ;   in Loop: Header=BB317_5 Depth=1
	v_lshl_add_u64 v[14:15], s[24:25], 3, v[14:15]
	v_lshl_add_u64 v[10:11], v[4:5], 3, v[10:11]
	flat_load_b64 v[16:17], v[14:15]
	flat_load_b64 v[18:19], v[10:11]
	s_wait_loadcnt_dscnt 0x0
	v_pk_mul_f32 v[10:11], v[18:19], v[16:17] op_sel:[1,1] op_sel_hi:[0,1]
	s_delay_alu instid0(VALU_DEP_1) | instskip(SKIP_1) | instid1(VALU_DEP_2)
	v_pk_fma_f32 v[14:15], v[18:19], v[16:17], v[10:11] op_sel_hi:[1,0,1]
	v_pk_fma_f32 v[10:11], v[18:19], v[16:17], v[10:11] neg_lo:[0,0,1] neg_hi:[0,0,1]
	v_mov_b32_e32 v11, v15
	s_delay_alu instid0(VALU_DEP_1)
	v_pk_add_f32 v[12:13], v[12:13], v[10:11]
	s_or_b32 exec_lo, exec_lo, s40
	s_and_saveexec_b32 s40, s3
	s_cbranch_execnz .LBB317_22
	s_branch .LBB317_23
.LBB317_32:                             ;   in Loop: Header=BB317_5 Depth=1
	ds_load_b64 v[10:11], v1
	s_or_b32 exec_lo, exec_lo, s40
	s_and_saveexec_b32 s40, s3
	s_cbranch_execz .LBB317_27
.LBB317_33:                             ;   in Loop: Header=BB317_5 Depth=1
	s_wait_dscnt 0x0
	ds_bpermute_b32 v12, v14, v10
	ds_bpermute_b32 v13, v14, v11
	s_wait_dscnt 0x0
	v_pk_add_f32 v[10:11], v[10:11], v[12:13]
	ds_bpermute_b32 v12, v15, v10
	ds_bpermute_b32 v13, v15, v11
	s_wait_dscnt 0x0
	v_pk_add_f32 v[10:11], v[10:11], v[12:13]
	;; [unrolled: 4-line block ×3, first 2 shown]
	s_or_b32 exec_lo, exec_lo, s40
	s_and_saveexec_b32 s40, s0
	s_cbranch_execz .LBB317_3
.LBB317_34:                             ;   in Loop: Header=BB317_5 Depth=1
	v_mov_b64_e32 v[12:13], s[30:31]
	v_mov_b64_e32 v[14:15], s[20:21]
	s_and_not1_b32 vcc_lo, exec_lo, s44
	s_add_nc_u64 s[38:39], s[38:39], s[36:37]
	s_wait_dscnt 0x0
	s_delay_alu instid0(VALU_DEP_2) | instskip(NEXT) | instid1(VALU_DEP_1)
	v_pk_mul_f32 v[16:17], v[10:11], v[12:13] op_sel:[1,0]
	v_pk_fma_f32 v[12:13], v[10:11], v[14:15], v[16:17] op_sel_hi:[0,1,1] neg_lo:[0,0,1] neg_hi:[0,0,1]
	v_pk_fma_f32 v[10:11], v[10:11], v[14:15], v[16:17] op_sel_hi:[0,1,1]
	s_cbranch_vccnz .LBB317_2
; %bb.35:                               ;   in Loop: Header=BB317_5 Depth=1
	flat_load_b64 v[14:15], v3, s[38:39]
	v_mov_b64_e32 v[16:17], s[28:29]
	v_mov_b64_e32 v[18:19], s[22:23]
	s_wait_loadcnt_dscnt 0x0
	s_delay_alu instid0(VALU_DEP_2) | instskip(NEXT) | instid1(VALU_DEP_1)
	v_pk_mul_f32 v[16:17], v[16:17], v[14:15] op_sel:[0,1]
	v_pk_fma_f32 v[22:23], v[18:19], v[14:15], v[16:17] op_sel_hi:[1,0,1]
	v_mov_b32_e32 v13, v11
	v_pk_fma_f32 v[10:11], v[18:19], v[14:15], v[16:17] neg_lo:[0,0,1] neg_hi:[0,0,1]
	s_delay_alu instid0(VALU_DEP_3) | instskip(NEXT) | instid1(VALU_DEP_1)
	v_mov_b32_e32 v11, v23
	v_pk_add_f32 v[12:13], v[12:13], v[10:11]
	s_delay_alu instid0(VALU_DEP_1)
	v_mov_b32_e32 v11, v13
	s_branch .LBB317_2
.LBB317_36:
	s_endpgm
	.section	.rodata,"a",@progbits
	.p2align	6, 0x0
	.amdhsa_kernel _ZL32rocblas_gemvt_warp_reduce_kernelILb0ELi256ElPK19rocblas_complex_numIfES1_KPS1_EviiT3_lPKT2_lT1_lS9_lSA_lS6_lPT4_lSA_li
		.amdhsa_group_segment_fixed_size 256
		.amdhsa_private_segment_fixed_size 0
		.amdhsa_kernarg_size 140
		.amdhsa_user_sgpr_count 2
		.amdhsa_user_sgpr_dispatch_ptr 0
		.amdhsa_user_sgpr_queue_ptr 0
		.amdhsa_user_sgpr_kernarg_segment_ptr 1
		.amdhsa_user_sgpr_dispatch_id 0
		.amdhsa_user_sgpr_kernarg_preload_length 0
		.amdhsa_user_sgpr_kernarg_preload_offset 0
		.amdhsa_user_sgpr_private_segment_size 0
		.amdhsa_wavefront_size32 1
		.amdhsa_uses_dynamic_stack 0
		.amdhsa_enable_private_segment 0
		.amdhsa_system_sgpr_workgroup_id_x 1
		.amdhsa_system_sgpr_workgroup_id_y 0
		.amdhsa_system_sgpr_workgroup_id_z 1
		.amdhsa_system_sgpr_workgroup_info 0
		.amdhsa_system_vgpr_workitem_id 0
		.amdhsa_next_free_vgpr 32
		.amdhsa_next_free_sgpr 47
		.amdhsa_named_barrier_count 0
		.amdhsa_reserve_vcc 1
		.amdhsa_float_round_mode_32 0
		.amdhsa_float_round_mode_16_64 0
		.amdhsa_float_denorm_mode_32 3
		.amdhsa_float_denorm_mode_16_64 3
		.amdhsa_fp16_overflow 0
		.amdhsa_memory_ordered 1
		.amdhsa_forward_progress 1
		.amdhsa_inst_pref_size 14
		.amdhsa_round_robin_scheduling 0
		.amdhsa_exception_fp_ieee_invalid_op 0
		.amdhsa_exception_fp_denorm_src 0
		.amdhsa_exception_fp_ieee_div_zero 0
		.amdhsa_exception_fp_ieee_overflow 0
		.amdhsa_exception_fp_ieee_underflow 0
		.amdhsa_exception_fp_ieee_inexact 0
		.amdhsa_exception_int_div_zero 0
	.end_amdhsa_kernel
	.section	.text._ZL32rocblas_gemvt_warp_reduce_kernelILb0ELi256ElPK19rocblas_complex_numIfES1_KPS1_EviiT3_lPKT2_lT1_lS9_lSA_lS6_lPT4_lSA_li,"axG",@progbits,_ZL32rocblas_gemvt_warp_reduce_kernelILb0ELi256ElPK19rocblas_complex_numIfES1_KPS1_EviiT3_lPKT2_lT1_lS9_lSA_lS6_lPT4_lSA_li,comdat
.Lfunc_end317:
	.size	_ZL32rocblas_gemvt_warp_reduce_kernelILb0ELi256ElPK19rocblas_complex_numIfES1_KPS1_EviiT3_lPKT2_lT1_lS9_lSA_lS6_lPT4_lSA_li, .Lfunc_end317-_ZL32rocblas_gemvt_warp_reduce_kernelILb0ELi256ElPK19rocblas_complex_numIfES1_KPS1_EviiT3_lPKT2_lT1_lS9_lSA_lS6_lPT4_lSA_li
                                        ; -- End function
	.set _ZL32rocblas_gemvt_warp_reduce_kernelILb0ELi256ElPK19rocblas_complex_numIfES1_KPS1_EviiT3_lPKT2_lT1_lS9_lSA_lS6_lPT4_lSA_li.num_vgpr, 32
	.set _ZL32rocblas_gemvt_warp_reduce_kernelILb0ELi256ElPK19rocblas_complex_numIfES1_KPS1_EviiT3_lPKT2_lT1_lS9_lSA_lS6_lPT4_lSA_li.num_agpr, 0
	.set _ZL32rocblas_gemvt_warp_reduce_kernelILb0ELi256ElPK19rocblas_complex_numIfES1_KPS1_EviiT3_lPKT2_lT1_lS9_lSA_lS6_lPT4_lSA_li.numbered_sgpr, 47
	.set _ZL32rocblas_gemvt_warp_reduce_kernelILb0ELi256ElPK19rocblas_complex_numIfES1_KPS1_EviiT3_lPKT2_lT1_lS9_lSA_lS6_lPT4_lSA_li.num_named_barrier, 0
	.set _ZL32rocblas_gemvt_warp_reduce_kernelILb0ELi256ElPK19rocblas_complex_numIfES1_KPS1_EviiT3_lPKT2_lT1_lS9_lSA_lS6_lPT4_lSA_li.private_seg_size, 0
	.set _ZL32rocblas_gemvt_warp_reduce_kernelILb0ELi256ElPK19rocblas_complex_numIfES1_KPS1_EviiT3_lPKT2_lT1_lS9_lSA_lS6_lPT4_lSA_li.uses_vcc, 1
	.set _ZL32rocblas_gemvt_warp_reduce_kernelILb0ELi256ElPK19rocblas_complex_numIfES1_KPS1_EviiT3_lPKT2_lT1_lS9_lSA_lS6_lPT4_lSA_li.uses_flat_scratch, 0
	.set _ZL32rocblas_gemvt_warp_reduce_kernelILb0ELi256ElPK19rocblas_complex_numIfES1_KPS1_EviiT3_lPKT2_lT1_lS9_lSA_lS6_lPT4_lSA_li.has_dyn_sized_stack, 0
	.set _ZL32rocblas_gemvt_warp_reduce_kernelILb0ELi256ElPK19rocblas_complex_numIfES1_KPS1_EviiT3_lPKT2_lT1_lS9_lSA_lS6_lPT4_lSA_li.has_recursion, 0
	.set _ZL32rocblas_gemvt_warp_reduce_kernelILb0ELi256ElPK19rocblas_complex_numIfES1_KPS1_EviiT3_lPKT2_lT1_lS9_lSA_lS6_lPT4_lSA_li.has_indirect_call, 0
	.section	.AMDGPU.csdata,"",@progbits
; Kernel info:
; codeLenInByte = 1768
; TotalNumSgprs: 49
; NumVgprs: 32
; ScratchSize: 0
; MemoryBound: 0
; FloatMode: 240
; IeeeMode: 1
; LDSByteSize: 256 bytes/workgroup (compile time only)
; SGPRBlocks: 0
; VGPRBlocks: 1
; NumSGPRsForWavesPerEU: 49
; NumVGPRsForWavesPerEU: 32
; NamedBarCnt: 0
; Occupancy: 16
; WaveLimiterHint : 1
; COMPUTE_PGM_RSRC2:SCRATCH_EN: 0
; COMPUTE_PGM_RSRC2:USER_SGPR: 2
; COMPUTE_PGM_RSRC2:TRAP_HANDLER: 0
; COMPUTE_PGM_RSRC2:TGID_X_EN: 1
; COMPUTE_PGM_RSRC2:TGID_Y_EN: 0
; COMPUTE_PGM_RSRC2:TGID_Z_EN: 1
; COMPUTE_PGM_RSRC2:TIDIG_COMP_CNT: 0
	.section	.text._ZL20rocblas_gemvt_kernelILb0ELi256EPK19rocblas_complex_numIfES3_KPS1_EviiT2_lPKT1_lilS9_lilS6_lPT3_lili,"axG",@progbits,_ZL20rocblas_gemvt_kernelILb0ELi256EPK19rocblas_complex_numIfES3_KPS1_EviiT2_lPKT1_lilS9_lilS6_lPT3_lili,comdat
	.globl	_ZL20rocblas_gemvt_kernelILb0ELi256EPK19rocblas_complex_numIfES3_KPS1_EviiT2_lPKT1_lilS9_lilS6_lPT3_lili ; -- Begin function _ZL20rocblas_gemvt_kernelILb0ELi256EPK19rocblas_complex_numIfES3_KPS1_EviiT2_lPKT1_lilS9_lilS6_lPT3_lili
	.p2align	8
	.type	_ZL20rocblas_gemvt_kernelILb0ELi256EPK19rocblas_complex_numIfES3_KPS1_EviiT2_lPKT1_lilS9_lilS6_lPT3_lili,@function
_ZL20rocblas_gemvt_kernelILb0ELi256EPK19rocblas_complex_numIfES3_KPS1_EviiT2_lPKT1_lilS9_lilS6_lPT3_lili: ; @_ZL20rocblas_gemvt_kernelILb0ELi256EPK19rocblas_complex_numIfES3_KPS1_EviiT2_lPKT1_lilS9_lilS6_lPT3_lili
; %bb.0:
	s_load_b32 s33, s[0:1], 0x88
	s_bfe_u32 s2, ttmp6, 0x40014
	s_lshr_b32 s3, ttmp7, 16
	s_add_co_i32 s2, s2, 1
	s_bfe_u32 s5, ttmp6, 0x40008
	s_mul_i32 s4, s3, s2
	s_getreg_b32 s2, hwreg(HW_REG_IB_STS2, 6, 4)
	s_add_co_i32 s5, s5, s4
	s_cmp_eq_u32 s2, 0
	s_mov_b32 s11, 0
	s_cselect_b32 s10, s3, s5
	s_wait_kmcnt 0x0
	s_cmp_ge_u32 s10, s33
	s_cbranch_scc1 .LBB318_42
; %bb.1:
	s_clause 0x3
	s_load_b32 s4, s[0:1], 0x28
	s_load_b32 s38, s[0:1], 0x48
	;; [unrolled: 1-line block ×4, first 2 shown]
	s_bfe_u32 s3, ttmp6, 0x4000c
	s_and_b32 s5, ttmp6, 15
	s_add_co_i32 s3, s3, 1
	s_load_b128 s[28:31], s[0:1], 0x38
	s_mul_i32 s3, ttmp9, s3
	s_clause 0x1
	s_load_b256 s[12:19], s[0:1], 0x8
	s_load_b256 s[20:27], s[0:1], 0x58
	s_add_co_i32 s3, s5, s3
	s_wait_xcnt 0x0
	v_cmp_eq_u32_e64 s0, 0, v0
	v_lshlrev_b32_e32 v18, 3, v0
	s_wait_kmcnt 0x0
	s_ashr_i32 s5, s4, 31
	s_ashr_i32 s39, s38, 31
	;; [unrolled: 1-line block ×3, first 2 shown]
	s_cmp_eq_u32 s2, 0
	v_cmp_gt_i32_e32 vcc_lo, s8, v0
	s_cselect_b32 s2, ttmp9, s3
	s_ashr_i32 s3, s8, 31
	s_delay_alu instid0(SALU_CYCLE_1) | instskip(SKIP_2) | instid1(SALU_CYCLE_1)
	s_lshr_b32 s3, s3, 24
	v_cndmask_b32_e32 v8, 0, v0, vcc_lo
	s_add_co_i32 s3, s8, s3
	s_and_b32 s34, s3, 0xffffff00
	s_delay_alu instid0(SALU_CYCLE_1) | instskip(SKIP_3) | instid1(VALU_DEP_1)
	v_dual_mov_b32 v1, 0 :: v_dual_bitop2_b32 v4, s34, v0 bitop3:0x54
	s_ashr_i32 s3, s2, 31
	s_cmp_gt_i32 s8, 0xff
	s_mul_u64 s[40:41], s[6:7], s[2:3]
	v_mul_u64_e32 v[6:7], s[38:39], v[0:1]
	v_ashrrev_i32_e32 v5, 31, v4
	v_cmp_gt_i32_e64 s1, s8, v4
	s_mul_u64 s[36:37], s[4:5], s[2:3]
	v_cmp_gt_u32_e64 s2, 0x80, v0
	v_cmp_gt_u32_e64 s3, 64, v0
	v_mul_u64_e32 v[2:3], s[38:39], v[4:5]
	v_cmp_gt_u32_e64 s4, 32, v0
	v_cmp_gt_u32_e64 s5, 16, v0
	;; [unrolled: 1-line block ×5, first 2 shown]
	v_lshlrev_b32_e32 v0, 3, v8
	s_cselect_b32 s46, -1, 0
	s_ashr_i32 s35, s34, 31
	s_lshl_b64 s[38:39], s[38:39], 11
	s_lshl_b64 s[18:19], s[18:19], 3
	s_lshl_b64 s[30:31], s[30:31], 3
	s_lshl_b64 s[26:27], s[26:27], 3
	s_lshl_b64 s[40:41], s[40:41], 3
	v_lshlrev_b64_e32 v[4:5], 3, v[6:7]
	s_branch .LBB318_5
.LBB318_2:                              ;   in Loop: Header=BB318_5 Depth=1
	s_delay_alu instid0(VALU_DEP_1)
	v_mov_b32_e32 v9, v11
	flat_store_b64 v1, v[8:9], s[42:43]
.LBB318_3:                              ;   in Loop: Header=BB318_5 Depth=1
	s_wait_xcnt 0x0
	s_or_b32 exec_lo, exec_lo, s47
.LBB318_4:                              ;   in Loop: Header=BB318_5 Depth=1
	s_add_co_i32 s10, s10, 0x10000
	s_delay_alu instid0(SALU_CYCLE_1)
	s_cmp_lt_u32 s10, s33
	s_cbranch_scc0 .LBB318_42
.LBB318_5:                              ; =>This Loop Header: Depth=1
                                        ;     Child Loop BB318_19 Depth 2
	s_mul_u64 s[42:43], s[14:15], s[10:11]
	s_delay_alu instid0(SALU_CYCLE_1) | instskip(NEXT) | instid1(SALU_CYCLE_1)
	s_lshl_b64 s[42:43], s[42:43], 3
	s_add_nc_u64 s[42:43], s[12:13], s[42:43]
	global_load_b64 v[8:9], v1, s[42:43]
	s_wait_xcnt 0x0
	s_mul_u64 s[42:43], s[22:23], s[10:11]
	s_delay_alu instid0(SALU_CYCLE_1) | instskip(NEXT) | instid1(SALU_CYCLE_1)
	s_lshl_b64 s[42:43], s[42:43], 3
	s_add_nc_u64 s[42:43], s[20:21], s[42:43]
	global_load_b64 v[6:7], v1, s[42:43]
	s_wait_loadcnt 0x1
	s_wait_xcnt 0x0
	v_readfirstlane_b32 s43, v9
	v_readfirstlane_b32 s42, v8
	s_cmp_eq_f32 s43, 0
	s_wait_loadcnt 0x0
	v_cmp_eq_f32_e32 vcc_lo, 1.0, v6
	v_cmp_eq_f32_e64 s9, 0, v7
	s_cselect_b32 s44, -1, 0
	s_cmp_eq_f32 s42, 0
	s_cselect_b32 s45, -1, 0
	s_and_b32 s9, vcc_lo, s9
	s_and_b32 s44, s45, s44
	s_delay_alu instid0(SALU_CYCLE_1) | instskip(NEXT) | instid1(SALU_CYCLE_1)
	s_and_b32 s9, s44, s9
	s_and_b32 vcc_lo, exec_lo, s9
	s_cbranch_vccnz .LBB318_4
; %bb.6:                                ;   in Loop: Header=BB318_5 Depth=1
	s_or_b32 s9, s42, s43
	v_mov_b64_e32 v[8:9], 0
	s_bitset0_b32 s9, 31
	v_mov_b64_e32 v[10:11], 0
	s_cmp_lg_u32 s9, 0
	s_cselect_b32 s44, -1, 0
	s_cmp_eq_u32 s9, 0
	s_cselect_b32 s9, -1, 0
	s_delay_alu instid0(SALU_CYCLE_1)
	s_and_b32 vcc_lo, exec_lo, s9
	s_cbranch_vccnz .LBB318_8
; %bb.7:                                ;   in Loop: Header=BB318_5 Depth=1
	s_lshl_b64 s[48:49], s[10:11], 3
	s_delay_alu instid0(SALU_CYCLE_1)
	s_add_nc_u64 s[48:49], s[16:17], s[48:49]
	global_load_b64 v[10:11], v1, s[48:49]
	s_wait_loadcnt 0x0
	v_add_nc_u64_e32 v[10:11], s[18:19], v[10:11]
.LBB318_8:                              ;   in Loop: Header=BB318_5 Depth=1
	s_and_not1_b32 vcc_lo, exec_lo, s44
	s_cbranch_vccnz .LBB318_10
; %bb.9:                                ;   in Loop: Header=BB318_5 Depth=1
	s_lshl_b64 s[44:45], s[10:11], 3
	s_delay_alu instid0(SALU_CYCLE_1)
	s_add_nc_u64 s[44:45], s[28:29], s[44:45]
	global_load_b64 v[8:9], v1, s[44:45]
	s_wait_loadcnt 0x0
	v_add_nc_u64_e32 v[8:9], s[30:31], v[8:9]
.LBB318_10:                             ;   in Loop: Header=BB318_5 Depth=1
	s_wait_xcnt 0x0
	s_lshl_b64 s[44:45], s[10:11], 3
	s_and_not1_b32 vcc_lo, exec_lo, s9
	s_add_nc_u64 s[44:45], s[24:25], s[44:45]
	s_mov_b32 s9, -1
	global_load_b64 v[12:13], v1, s[44:45]
	s_wait_loadcnt 0x0
	s_wait_xcnt 0x0
	v_readfirstlane_b32 s44, v12
	v_readfirstlane_b32 s45, v13
	s_add_nc_u64 s[44:45], s[44:45], s[26:27]
	s_cbranch_vccnz .LBB318_16
; %bb.11:                               ;   in Loop: Header=BB318_5 Depth=1
	s_and_saveexec_b32 s47, s0
	s_cbranch_execz .LBB318_15
; %bb.12:                               ;   in Loop: Header=BB318_5 Depth=1
	v_cmp_neq_f32_e32 vcc_lo, 0, v6
	v_cmp_neq_f32_e64 s9, 0, v7
	v_dual_mov_b32 v12, 0 :: v_dual_mov_b32 v13, 0
	s_or_b32 s9, vcc_lo, s9
	s_delay_alu instid0(SALU_CYCLE_1)
	s_and_not1_b32 vcc_lo, exec_lo, s9
	s_cbranch_vccnz .LBB318_14
; %bb.13:                               ;   in Loop: Header=BB318_5 Depth=1
	s_add_nc_u64 s[48:49], s[44:45], s[40:41]
	flat_load_b64 v[12:13], v1, s[48:49]
	s_wait_loadcnt_dscnt 0x0
	v_pk_mul_f32 v[14:15], v[6:7], v[12:13] op_sel:[1,1] op_sel_hi:[0,1]
	s_delay_alu instid0(VALU_DEP_1) | instskip(SKIP_1) | instid1(VALU_DEP_2)
	v_pk_fma_f32 v[16:17], v[6:7], v[12:13], v[14:15] op_sel_hi:[1,0,1]
	v_pk_fma_f32 v[12:13], v[6:7], v[12:13], v[14:15] neg_lo:[0,0,1] neg_hi:[0,0,1]
	v_mov_b32_e32 v13, v17
.LBB318_14:                             ;   in Loop: Header=BB318_5 Depth=1
	s_wait_xcnt 0x0
	s_add_nc_u64 s[48:49], s[44:45], s[40:41]
	flat_store_b64 v1, v[12:13], s[48:49]
.LBB318_15:                             ;   in Loop: Header=BB318_5 Depth=1
	s_wait_xcnt 0x0
	s_or_b32 exec_lo, exec_lo, s47
	s_mov_b32 s9, 0
.LBB318_16:                             ;   in Loop: Header=BB318_5 Depth=1
	s_delay_alu instid0(SALU_CYCLE_1)
	s_and_not1_b32 vcc_lo, exec_lo, s9
	s_cbranch_vccnz .LBB318_4
; %bb.17:                               ;   in Loop: Header=BB318_5 Depth=1
	v_add_nc_u64_e32 v[10:11], v[10:11], v[0:1]
	s_and_not1_b32 vcc_lo, exec_lo, s46
	s_delay_alu instid0(VALU_DEP_1)
	v_lshl_add_u64 v[12:13], s[36:37], 3, v[10:11]
	s_cbranch_vccnz .LBB318_41
; %bb.18:                               ;   in Loop: Header=BB318_5 Depth=1
	v_mov_b32_e32 v10, 0
	v_add_nc_u64_e32 v[14:15], v[8:9], v[4:5]
	s_delay_alu instid0(VALU_DEP_3) | instskip(SKIP_1) | instid1(VALU_DEP_3)
	v_mov_b64_e32 v[16:17], v[12:13]
	s_mov_b32 s9, 0
	v_mov_b32_e32 v11, v10
.LBB318_19:                             ;   Parent Loop BB318_5 Depth=1
                                        ; =>  This Inner Loop Header: Depth=2
	flat_load_b64 v[20:21], v[16:17]
	flat_load_b64 v[22:23], v[14:15]
	s_wait_xcnt 0x0
	v_add_nc_u64_e32 v[14:15], s[38:39], v[14:15]
	v_add_nc_u64_e32 v[16:17], 0x800, v[16:17]
	s_addk_co_i32 s9, 0x100
	s_delay_alu instid0(SALU_CYCLE_1) | instskip(SKIP_2) | instid1(VALU_DEP_1)
	s_cmp_ge_i32 s9, s34
	s_wait_loadcnt_dscnt 0x0
	v_pk_mul_f32 v[24:25], v[22:23], v[20:21] op_sel:[1,1] op_sel_hi:[0,1]
	v_pk_fma_f32 v[26:27], v[22:23], v[20:21], v[24:25] op_sel_hi:[1,0,1]
	v_pk_fma_f32 v[20:21], v[22:23], v[20:21], v[24:25] neg_lo:[0,0,1] neg_hi:[0,0,1]
	s_delay_alu instid0(VALU_DEP_2) | instskip(NEXT) | instid1(VALU_DEP_1)
	v_mov_b32_e32 v21, v27
	v_pk_add_f32 v[10:11], v[10:11], v[20:21]
	s_cbranch_scc0 .LBB318_19
; %bb.20:                               ;   in Loop: Header=BB318_5 Depth=1
	s_and_saveexec_b32 s9, s1
	s_cbranch_execz .LBB318_22
.LBB318_21:                             ;   in Loop: Header=BB318_5 Depth=1
	v_lshl_add_u64 v[12:13], s[34:35], 3, v[12:13]
	v_lshl_add_u64 v[8:9], v[2:3], 3, v[8:9]
	flat_load_b64 v[14:15], v[12:13]
	flat_load_b64 v[16:17], v[8:9]
	s_wait_loadcnt_dscnt 0x0
	v_pk_mul_f32 v[8:9], v[16:17], v[14:15] op_sel:[1,1] op_sel_hi:[0,1]
	s_delay_alu instid0(VALU_DEP_1) | instskip(SKIP_1) | instid1(VALU_DEP_2)
	v_pk_fma_f32 v[12:13], v[16:17], v[14:15], v[8:9] op_sel_hi:[1,0,1]
	v_pk_fma_f32 v[8:9], v[16:17], v[14:15], v[8:9] neg_lo:[0,0,1] neg_hi:[0,0,1]
	v_mov_b32_e32 v9, v13
	s_delay_alu instid0(VALU_DEP_1)
	v_pk_add_f32 v[10:11], v[10:11], v[8:9]
.LBB318_22:                             ;   in Loop: Header=BB318_5 Depth=1
	s_or_b32 exec_lo, exec_lo, s9
	ds_store_b64 v18, v[10:11]
	s_wait_storecnt_dscnt 0x0
	s_barrier_signal -1
	s_barrier_wait -1
	s_and_saveexec_b32 s9, s2
	s_cbranch_execz .LBB318_24
; %bb.23:                               ;   in Loop: Header=BB318_5 Depth=1
	ds_load_2addr_stride64_b64 v[8:11], v18 offset1:2
	s_wait_dscnt 0x0
	v_pk_add_f32 v[8:9], v[10:11], v[8:9]
	ds_store_b64 v18, v[8:9]
.LBB318_24:                             ;   in Loop: Header=BB318_5 Depth=1
	s_or_b32 exec_lo, exec_lo, s9
	s_wait_dscnt 0x0
	s_barrier_signal -1
	s_barrier_wait -1
	s_and_saveexec_b32 s9, s3
	s_cbranch_execz .LBB318_26
; %bb.25:                               ;   in Loop: Header=BB318_5 Depth=1
	ds_load_2addr_stride64_b64 v[8:11], v18 offset1:1
	s_wait_dscnt 0x0
	v_pk_add_f32 v[8:9], v[10:11], v[8:9]
	ds_store_b64 v18, v[8:9]
.LBB318_26:                             ;   in Loop: Header=BB318_5 Depth=1
	s_or_b32 exec_lo, exec_lo, s9
	s_wait_dscnt 0x0
	s_barrier_signal -1
	s_barrier_wait -1
	s_and_saveexec_b32 s9, s4
	s_cbranch_execz .LBB318_28
; %bb.27:                               ;   in Loop: Header=BB318_5 Depth=1
	ds_load_2addr_b64 v[8:11], v18 offset1:32
	s_wait_dscnt 0x0
	v_pk_add_f32 v[8:9], v[10:11], v[8:9]
	ds_store_b64 v18, v[8:9]
.LBB318_28:                             ;   in Loop: Header=BB318_5 Depth=1
	s_or_b32 exec_lo, exec_lo, s9
	s_wait_dscnt 0x0
	s_barrier_signal -1
	s_barrier_wait -1
	s_and_saveexec_b32 s9, s5
	s_cbranch_execz .LBB318_30
; %bb.29:                               ;   in Loop: Header=BB318_5 Depth=1
	ds_load_2addr_b64 v[8:11], v18 offset1:16
	s_wait_dscnt 0x0
	v_pk_add_f32 v[8:9], v[10:11], v[8:9]
	ds_store_b64 v18, v[8:9]
.LBB318_30:                             ;   in Loop: Header=BB318_5 Depth=1
	s_or_b32 exec_lo, exec_lo, s9
	s_wait_dscnt 0x0
	s_barrier_signal -1
	s_barrier_wait -1
	s_and_saveexec_b32 s9, s6
	s_cbranch_execz .LBB318_32
; %bb.31:                               ;   in Loop: Header=BB318_5 Depth=1
	ds_load_2addr_b64 v[8:11], v18 offset1:8
	s_wait_dscnt 0x0
	v_pk_add_f32 v[8:9], v[10:11], v[8:9]
	ds_store_b64 v18, v[8:9]
.LBB318_32:                             ;   in Loop: Header=BB318_5 Depth=1
	s_or_b32 exec_lo, exec_lo, s9
	s_wait_dscnt 0x0
	s_barrier_signal -1
	s_barrier_wait -1
	s_and_saveexec_b32 s9, s7
	s_cbranch_execz .LBB318_34
; %bb.33:                               ;   in Loop: Header=BB318_5 Depth=1
	ds_load_2addr_b64 v[8:11], v18 offset1:4
	s_wait_dscnt 0x0
	v_pk_add_f32 v[8:9], v[10:11], v[8:9]
	ds_store_b64 v18, v[8:9]
.LBB318_34:                             ;   in Loop: Header=BB318_5 Depth=1
	s_or_b32 exec_lo, exec_lo, s9
	s_wait_dscnt 0x0
	s_barrier_signal -1
	s_barrier_wait -1
	s_and_saveexec_b32 s9, s8
	s_cbranch_execz .LBB318_36
; %bb.35:                               ;   in Loop: Header=BB318_5 Depth=1
	ds_load_2addr_b64 v[8:11], v18 offset1:2
	s_wait_dscnt 0x0
	v_pk_add_f32 v[8:9], v[10:11], v[8:9]
	ds_store_b64 v18, v[8:9]
.LBB318_36:                             ;   in Loop: Header=BB318_5 Depth=1
	s_or_b32 exec_lo, exec_lo, s9
	s_wait_dscnt 0x0
	s_barrier_signal -1
	s_barrier_wait -1
	s_and_saveexec_b32 s9, s0
	s_cbranch_execz .LBB318_38
; %bb.37:                               ;   in Loop: Header=BB318_5 Depth=1
	ds_load_b128 v[8:11], v1
	s_wait_dscnt 0x0
	v_pk_add_f32 v[8:9], v[10:11], v[8:9]
	ds_store_b64 v1, v[8:9]
.LBB318_38:                             ;   in Loop: Header=BB318_5 Depth=1
	s_or_b32 exec_lo, exec_lo, s9
	s_wait_dscnt 0x0
	s_barrier_signal -1
	s_barrier_wait -1
	s_and_saveexec_b32 s47, s0
	s_cbranch_execz .LBB318_3
; %bb.39:                               ;   in Loop: Header=BB318_5 Depth=1
	ds_load_b64 v[10:11], v1
	v_mov_b64_e32 v[8:9], s[42:43]
	v_cmp_neq_f32_e32 vcc_lo, 0, v6
	v_cmp_neq_f32_e64 s9, 0, v7
	s_or_b32 s9, vcc_lo, s9
	s_delay_alu instid0(SALU_CYCLE_1) | instskip(SKIP_2) | instid1(VALU_DEP_1)
	s_and_not1_b32 vcc_lo, exec_lo, s9
	s_wait_dscnt 0x0
	v_pk_mul_f32 v[12:13], v[10:11], v[8:9] op_sel:[1,1] op_sel_hi:[0,1]
	v_pk_fma_f32 v[8:9], v[10:11], s[42:43], v[12:13] op_sel_hi:[1,0,1] neg_lo:[0,0,1] neg_hi:[0,0,1]
	v_pk_fma_f32 v[10:11], v[10:11], s[42:43], v[12:13] op_sel_hi:[1,0,1]
	s_add_nc_u64 s[42:43], s[44:45], s[40:41]
	s_cbranch_vccnz .LBB318_2
; %bb.40:                               ;   in Loop: Header=BB318_5 Depth=1
	flat_load_b64 v[12:13], v1, s[42:43]
	s_wait_loadcnt_dscnt 0x0
	v_pk_mul_f32 v[14:15], v[6:7], v[12:13] op_sel:[1,1] op_sel_hi:[0,1]
	s_delay_alu instid0(VALU_DEP_1) | instskip(SKIP_1) | instid1(VALU_DEP_2)
	v_pk_fma_f32 v[16:17], v[6:7], v[12:13], v[14:15] op_sel_hi:[1,0,1]
	v_pk_fma_f32 v[6:7], v[6:7], v[12:13], v[14:15] neg_lo:[0,0,1] neg_hi:[0,0,1]
	v_dual_mov_b32 v9, v11 :: v_dual_mov_b32 v7, v17
	s_delay_alu instid0(VALU_DEP_1) | instskip(NEXT) | instid1(VALU_DEP_1)
	v_pk_add_f32 v[8:9], v[8:9], v[6:7]
	v_mov_b32_e32 v11, v9
	s_branch .LBB318_2
.LBB318_41:                             ;   in Loop: Header=BB318_5 Depth=1
	v_mov_b64_e32 v[10:11], 0
	s_and_saveexec_b32 s9, s1
	s_cbranch_execnz .LBB318_21
	s_branch .LBB318_22
.LBB318_42:
	s_endpgm
	.section	.rodata,"a",@progbits
	.p2align	6, 0x0
	.amdhsa_kernel _ZL20rocblas_gemvt_kernelILb0ELi256EPK19rocblas_complex_numIfES3_KPS1_EviiT2_lPKT1_lilS9_lilS6_lPT3_lili
		.amdhsa_group_segment_fixed_size 2048
		.amdhsa_private_segment_fixed_size 0
		.amdhsa_kernarg_size 140
		.amdhsa_user_sgpr_count 2
		.amdhsa_user_sgpr_dispatch_ptr 0
		.amdhsa_user_sgpr_queue_ptr 0
		.amdhsa_user_sgpr_kernarg_segment_ptr 1
		.amdhsa_user_sgpr_dispatch_id 0
		.amdhsa_user_sgpr_kernarg_preload_length 0
		.amdhsa_user_sgpr_kernarg_preload_offset 0
		.amdhsa_user_sgpr_private_segment_size 0
		.amdhsa_wavefront_size32 1
		.amdhsa_uses_dynamic_stack 0
		.amdhsa_enable_private_segment 0
		.amdhsa_system_sgpr_workgroup_id_x 1
		.amdhsa_system_sgpr_workgroup_id_y 0
		.amdhsa_system_sgpr_workgroup_id_z 1
		.amdhsa_system_sgpr_workgroup_info 0
		.amdhsa_system_vgpr_workitem_id 0
		.amdhsa_next_free_vgpr 28
		.amdhsa_next_free_sgpr 50
		.amdhsa_named_barrier_count 0
		.amdhsa_reserve_vcc 1
		.amdhsa_float_round_mode_32 0
		.amdhsa_float_round_mode_16_64 0
		.amdhsa_float_denorm_mode_32 3
		.amdhsa_float_denorm_mode_16_64 3
		.amdhsa_fp16_overflow 0
		.amdhsa_memory_ordered 1
		.amdhsa_forward_progress 1
		.amdhsa_inst_pref_size 14
		.amdhsa_round_robin_scheduling 0
		.amdhsa_exception_fp_ieee_invalid_op 0
		.amdhsa_exception_fp_denorm_src 0
		.amdhsa_exception_fp_ieee_div_zero 0
		.amdhsa_exception_fp_ieee_overflow 0
		.amdhsa_exception_fp_ieee_underflow 0
		.amdhsa_exception_fp_ieee_inexact 0
		.amdhsa_exception_int_div_zero 0
	.end_amdhsa_kernel
	.section	.text._ZL20rocblas_gemvt_kernelILb0ELi256EPK19rocblas_complex_numIfES3_KPS1_EviiT2_lPKT1_lilS9_lilS6_lPT3_lili,"axG",@progbits,_ZL20rocblas_gemvt_kernelILb0ELi256EPK19rocblas_complex_numIfES3_KPS1_EviiT2_lPKT1_lilS9_lilS6_lPT3_lili,comdat
.Lfunc_end318:
	.size	_ZL20rocblas_gemvt_kernelILb0ELi256EPK19rocblas_complex_numIfES3_KPS1_EviiT2_lPKT1_lilS9_lilS6_lPT3_lili, .Lfunc_end318-_ZL20rocblas_gemvt_kernelILb0ELi256EPK19rocblas_complex_numIfES3_KPS1_EviiT2_lPKT1_lilS9_lilS6_lPT3_lili
                                        ; -- End function
	.set _ZL20rocblas_gemvt_kernelILb0ELi256EPK19rocblas_complex_numIfES3_KPS1_EviiT2_lPKT1_lilS9_lilS6_lPT3_lili.num_vgpr, 28
	.set _ZL20rocblas_gemvt_kernelILb0ELi256EPK19rocblas_complex_numIfES3_KPS1_EviiT2_lPKT1_lilS9_lilS6_lPT3_lili.num_agpr, 0
	.set _ZL20rocblas_gemvt_kernelILb0ELi256EPK19rocblas_complex_numIfES3_KPS1_EviiT2_lPKT1_lilS9_lilS6_lPT3_lili.numbered_sgpr, 50
	.set _ZL20rocblas_gemvt_kernelILb0ELi256EPK19rocblas_complex_numIfES3_KPS1_EviiT2_lPKT1_lilS9_lilS6_lPT3_lili.num_named_barrier, 0
	.set _ZL20rocblas_gemvt_kernelILb0ELi256EPK19rocblas_complex_numIfES3_KPS1_EviiT2_lPKT1_lilS9_lilS6_lPT3_lili.private_seg_size, 0
	.set _ZL20rocblas_gemvt_kernelILb0ELi256EPK19rocblas_complex_numIfES3_KPS1_EviiT2_lPKT1_lilS9_lilS6_lPT3_lili.uses_vcc, 1
	.set _ZL20rocblas_gemvt_kernelILb0ELi256EPK19rocblas_complex_numIfES3_KPS1_EviiT2_lPKT1_lilS9_lilS6_lPT3_lili.uses_flat_scratch, 0
	.set _ZL20rocblas_gemvt_kernelILb0ELi256EPK19rocblas_complex_numIfES3_KPS1_EviiT2_lPKT1_lilS9_lilS6_lPT3_lili.has_dyn_sized_stack, 0
	.set _ZL20rocblas_gemvt_kernelILb0ELi256EPK19rocblas_complex_numIfES3_KPS1_EviiT2_lPKT1_lilS9_lilS6_lPT3_lili.has_recursion, 0
	.set _ZL20rocblas_gemvt_kernelILb0ELi256EPK19rocblas_complex_numIfES3_KPS1_EviiT2_lPKT1_lilS9_lilS6_lPT3_lili.has_indirect_call, 0
	.section	.AMDGPU.csdata,"",@progbits
; Kernel info:
; codeLenInByte = 1736
; TotalNumSgprs: 52
; NumVgprs: 28
; ScratchSize: 0
; MemoryBound: 0
; FloatMode: 240
; IeeeMode: 1
; LDSByteSize: 2048 bytes/workgroup (compile time only)
; SGPRBlocks: 0
; VGPRBlocks: 1
; NumSGPRsForWavesPerEU: 52
; NumVGPRsForWavesPerEU: 28
; NamedBarCnt: 0
; Occupancy: 16
; WaveLimiterHint : 1
; COMPUTE_PGM_RSRC2:SCRATCH_EN: 0
; COMPUTE_PGM_RSRC2:USER_SGPR: 2
; COMPUTE_PGM_RSRC2:TRAP_HANDLER: 0
; COMPUTE_PGM_RSRC2:TGID_X_EN: 1
; COMPUTE_PGM_RSRC2:TGID_Y_EN: 0
; COMPUTE_PGM_RSRC2:TGID_Z_EN: 1
; COMPUTE_PGM_RSRC2:TIDIG_COMP_CNT: 0
	.section	.text._ZL20rocblas_gemvt_kernelILb0ELi256EPK19rocblas_complex_numIfES1_KPS1_EviiT2_lPKT1_lilS9_lilS6_lPT3_lili,"axG",@progbits,_ZL20rocblas_gemvt_kernelILb0ELi256EPK19rocblas_complex_numIfES1_KPS1_EviiT2_lPKT1_lilS9_lilS6_lPT3_lili,comdat
	.globl	_ZL20rocblas_gemvt_kernelILb0ELi256EPK19rocblas_complex_numIfES1_KPS1_EviiT2_lPKT1_lilS9_lilS6_lPT3_lili ; -- Begin function _ZL20rocblas_gemvt_kernelILb0ELi256EPK19rocblas_complex_numIfES1_KPS1_EviiT2_lPKT1_lilS9_lilS6_lPT3_lili
	.p2align	8
	.type	_ZL20rocblas_gemvt_kernelILb0ELi256EPK19rocblas_complex_numIfES1_KPS1_EviiT2_lPKT1_lilS9_lilS6_lPT3_lili,@function
_ZL20rocblas_gemvt_kernelILb0ELi256EPK19rocblas_complex_numIfES1_KPS1_EviiT2_lPKT1_lilS9_lilS6_lPT3_lili: ; @_ZL20rocblas_gemvt_kernelILb0ELi256EPK19rocblas_complex_numIfES1_KPS1_EviiT2_lPKT1_lilS9_lilS6_lPT3_lili
; %bb.0:
	s_load_b32 s9, s[0:1], 0x88
	s_bfe_u32 s2, ttmp6, 0x40014
	s_lshr_b32 s3, ttmp7, 16
	s_add_co_i32 s2, s2, 1
	s_bfe_u32 s5, ttmp6, 0x40008
	s_mul_i32 s2, s3, s2
	s_getreg_b32 s4, hwreg(HW_REG_IB_STS2, 6, 4)
	s_add_co_i32 s5, s5, s2
	s_cmp_eq_u32 s4, 0
	s_mov_b32 s11, 0
	s_cselect_b32 s10, s3, s5
	s_wait_kmcnt 0x0
	s_cmp_ge_u32 s10, s9
	s_cbranch_scc1 .LBB319_44
; %bb.1:
	s_clause 0x6
	s_load_b32 s2, s[0:1], 0x28
	s_load_b32 s38, s[0:1], 0x48
	s_load_b32 s6, s[0:1], 0x78
	s_load_b64 s[24:25], s[0:1], 0x8
	s_load_b64 s[26:27], s[0:1], 0x58
	s_load_b128 s[16:19], s[0:1], 0x38
	s_load_b128 s[20:23], s[0:1], 0x68
	v_lshlrev_b32_e32 v16, 3, v0
	s_wait_kmcnt 0x0
	s_ashr_i32 s3, s2, 31
	s_ashr_i32 s39, s38, 31
	;; [unrolled: 1-line block ×3, first 2 shown]
	s_cmp_neq_f32 s25, 0
	s_mov_b32 s36, s27
	s_mov_b32 s37, s26
	s_cselect_b32 s5, -1, 0
	s_cmp_neq_f32 s24, 0
	s_cselect_b32 s8, -1, 0
	s_delay_alu instid0(SALU_CYCLE_1)
	s_or_b32 s34, s8, s5
	s_cmp_neq_f32 s26, 1.0
	s_load_b32 s8, s[0:1], 0x0
	s_cselect_b32 s35, -1, 0
	s_cmp_neq_f32 s27, 0
	s_cselect_b32 s42, -1, 0
	s_or_b32 s5, s24, s25
	s_delay_alu instid0(SALU_CYCLE_1) | instskip(NEXT) | instid1(SALU_CYCLE_1)
	s_bitset0_b32 s5, 31
	s_cmp_lg_u32 s5, 0
	s_cselect_b32 s33, -1, 0
	s_cmp_eq_u32 s5, 0
	s_cselect_b32 s46, -1, 0
	s_cmp_neq_f32 s26, 0
	s_cselect_b32 s5, -1, 0
	s_bfe_u32 s12, ttmp6, 0x4000c
	s_and_b32 s13, ttmp6, 15
	s_add_co_i32 s12, s12, 1
	s_or_b32 s47, s5, s42
	s_mul_i32 s12, ttmp9, s12
	s_delay_alu instid0(SALU_CYCLE_1)
	s_add_co_i32 s13, s13, s12
	s_cmp_eq_u32 s4, 0
	s_cselect_b32 s4, ttmp9, s13
	s_load_b128 s[12:15], s[0:1], 0x18
	s_wait_kmcnt 0x0
	s_ashr_i32 s5, s8, 31
	v_cmp_gt_i32_e32 vcc_lo, s8, v0
	s_lshr_b32 s5, s5, 24
	v_cmp_eq_u32_e64 s0, 0, v0
	s_add_co_i32 s5, s8, s5
	s_delay_alu instid0(SALU_CYCLE_1) | instskip(NEXT) | instid1(SALU_CYCLE_1)
	s_and_b32 s28, s5, 0xffffff00
	v_dual_mov_b32 v1, 0 :: v_dual_bitop2_b32 v6, s28, v0 bitop3:0x54
	v_cndmask_b32_e32 v8, 0, v0, vcc_lo
	s_ashr_i32 s5, s4, 31
	s_cmp_gt_i32 s8, 0xff
	s_delay_alu instid0(VALU_DEP_2)
	v_mul_u64_e32 v[4:5], s[38:39], v[0:1]
	v_ashrrev_i32_e32 v7, 31, v6
	s_mul_u64 s[40:41], s[6:7], s[4:5]
	s_mul_u64 s[30:31], s[2:3], s[4:5]
	v_cmp_gt_i32_e64 s1, s8, v6
	v_cmp_gt_u32_e64 s2, 0x80, v0
	v_mul_u64_e32 v[2:3], s[38:39], v[6:7]
	v_cmp_gt_u32_e64 s3, 64, v0
	v_cmp_gt_u32_e64 s4, 32, v0
	;; [unrolled: 1-line block ×6, first 2 shown]
	v_lshlrev_b32_e32 v0, 3, v8
	s_cselect_b32 s48, -1, 0
	s_or_b32 s43, s34, s35
	s_ashr_i32 s29, s28, 31
	s_mov_b32 s34, s24
	s_mov_b32 s35, s24
	;; [unrolled: 1-line block ×3, first 2 shown]
	s_lshl_b64 s[38:39], s[38:39], 11
	s_or_b32 s49, s43, s42
	s_lshl_b64 s[14:15], s[14:15], 3
	s_lshl_b64 s[18:19], s[18:19], 3
	;; [unrolled: 1-line block ×4, first 2 shown]
	v_lshlrev_b64_e32 v[4:5], 3, v[4:5]
	s_branch .LBB319_5
.LBB319_2:                              ;   in Loop: Header=BB319_5 Depth=1
	s_delay_alu instid0(VALU_DEP_1)
	v_mov_b32_e32 v7, v9
	flat_store_b64 v1, v[6:7], s[42:43]
.LBB319_3:                              ;   in Loop: Header=BB319_5 Depth=1
	s_wait_xcnt 0x0
	s_or_b32 exec_lo, exec_lo, s44
.LBB319_4:                              ;   in Loop: Header=BB319_5 Depth=1
	s_add_co_i32 s10, s10, 0x10000
	s_delay_alu instid0(SALU_CYCLE_1)
	s_cmp_lt_u32 s10, s9
	s_cbranch_scc0 .LBB319_44
.LBB319_5:                              ; =>This Loop Header: Depth=1
                                        ;     Child Loop BB319_21 Depth 2
	s_and_not1_b32 vcc_lo, exec_lo, s49
	s_cbranch_vccnz .LBB319_4
; %bb.6:                                ;   in Loop: Header=BB319_5 Depth=1
	s_and_not1_b32 vcc_lo, exec_lo, s46
	s_cbranch_vccnz .LBB319_8
; %bb.7:                                ;   in Loop: Header=BB319_5 Depth=1
	v_mov_b64_e32 v[6:7], 0
	v_mov_b64_e32 v[8:9], 0
	s_cbranch_execz .LBB319_9
	s_branch .LBB319_10
.LBB319_8:                              ;   in Loop: Header=BB319_5 Depth=1
	v_mov_b64_e32 v[6:7], 0
	v_mov_b64_e32 v[8:9], 0
.LBB319_9:                              ;   in Loop: Header=BB319_5 Depth=1
	s_lshl_b64 s[42:43], s[10:11], 3
	s_delay_alu instid0(SALU_CYCLE_1)
	s_add_nc_u64 s[42:43], s[12:13], s[42:43]
	global_load_b64 v[8:9], v1, s[42:43]
	s_wait_loadcnt 0x0
	v_add_nc_u64_e32 v[8:9], s[14:15], v[8:9]
.LBB319_10:                             ;   in Loop: Header=BB319_5 Depth=1
	s_and_not1_b32 vcc_lo, exec_lo, s33
	s_cbranch_vccnz .LBB319_12
; %bb.11:                               ;   in Loop: Header=BB319_5 Depth=1
	s_wait_xcnt 0x0
	s_lshl_b64 s[42:43], s[10:11], 3
	s_delay_alu instid0(SALU_CYCLE_1)
	s_add_nc_u64 s[42:43], s[16:17], s[42:43]
	global_load_b64 v[6:7], v1, s[42:43]
	s_wait_loadcnt 0x0
	v_add_nc_u64_e32 v[6:7], s[18:19], v[6:7]
.LBB319_12:                             ;   in Loop: Header=BB319_5 Depth=1
	s_wait_xcnt 0x0
	s_lshl_b64 s[42:43], s[10:11], 3
	s_and_not1_b32 vcc_lo, exec_lo, s46
	s_add_nc_u64 s[42:43], s[20:21], s[42:43]
	s_mov_b32 s44, -1
	global_load_b64 v[10:11], v1, s[42:43]
	s_wait_loadcnt 0x0
	s_wait_xcnt 0x0
	v_readfirstlane_b32 s42, v10
	v_readfirstlane_b32 s43, v11
	s_add_nc_u64 s[42:43], s[42:43], s[22:23]
	s_cbranch_vccnz .LBB319_18
; %bb.13:                               ;   in Loop: Header=BB319_5 Depth=1
	s_and_saveexec_b32 s50, s0
	s_cbranch_execz .LBB319_17
; %bb.14:                               ;   in Loop: Header=BB319_5 Depth=1
	v_dual_mov_b32 v10, 0 :: v_dual_mov_b32 v11, 0
	s_and_not1_b32 vcc_lo, exec_lo, s47
	s_add_nc_u64 s[44:45], s[42:43], s[40:41]
	s_cbranch_vccnz .LBB319_16
; %bb.15:                               ;   in Loop: Header=BB319_5 Depth=1
	flat_load_b64 v[10:11], v1, s[44:45]
	v_mov_b64_e32 v[12:13], s[36:37]
	v_mov_b64_e32 v[14:15], s[26:27]
	s_wait_loadcnt_dscnt 0x0
	s_delay_alu instid0(VALU_DEP_2) | instskip(NEXT) | instid1(VALU_DEP_1)
	v_pk_mul_f32 v[12:13], v[12:13], v[10:11] op_sel:[0,1]
	v_pk_fma_f32 v[18:19], v[14:15], v[10:11], v[12:13] op_sel_hi:[1,0,1]
	v_pk_fma_f32 v[10:11], v[14:15], v[10:11], v[12:13] neg_lo:[0,0,1] neg_hi:[0,0,1]
	s_delay_alu instid0(VALU_DEP_2)
	v_mov_b32_e32 v11, v19
.LBB319_16:                             ;   in Loop: Header=BB319_5 Depth=1
	flat_store_b64 v1, v[10:11], s[44:45]
.LBB319_17:                             ;   in Loop: Header=BB319_5 Depth=1
	s_wait_xcnt 0x0
	s_or_b32 exec_lo, exec_lo, s50
	s_mov_b32 s44, 0
.LBB319_18:                             ;   in Loop: Header=BB319_5 Depth=1
	s_delay_alu instid0(SALU_CYCLE_1)
	s_and_not1_b32 vcc_lo, exec_lo, s44
	s_cbranch_vccnz .LBB319_4
; %bb.19:                               ;   in Loop: Header=BB319_5 Depth=1
	v_add_nc_u64_e32 v[8:9], v[8:9], v[0:1]
	s_and_not1_b32 vcc_lo, exec_lo, s48
	s_delay_alu instid0(VALU_DEP_1)
	v_lshl_add_u64 v[10:11], s[30:31], 3, v[8:9]
	s_cbranch_vccnz .LBB319_43
; %bb.20:                               ;   in Loop: Header=BB319_5 Depth=1
	v_mov_b32_e32 v8, 0
	v_add_nc_u64_e32 v[12:13], v[6:7], v[4:5]
	s_delay_alu instid0(VALU_DEP_3) | instskip(SKIP_1) | instid1(VALU_DEP_3)
	v_mov_b64_e32 v[14:15], v[10:11]
	s_mov_b32 s44, 0
	v_mov_b32_e32 v9, v8
.LBB319_21:                             ;   Parent Loop BB319_5 Depth=1
                                        ; =>  This Inner Loop Header: Depth=2
	flat_load_b64 v[18:19], v[14:15]
	flat_load_b64 v[20:21], v[12:13]
	s_wait_xcnt 0x0
	v_add_nc_u64_e32 v[12:13], s[38:39], v[12:13]
	v_add_nc_u64_e32 v[14:15], 0x800, v[14:15]
	s_addk_co_i32 s44, 0x100
	s_delay_alu instid0(SALU_CYCLE_1) | instskip(SKIP_2) | instid1(VALU_DEP_1)
	s_cmp_ge_i32 s44, s28
	s_wait_loadcnt_dscnt 0x0
	v_pk_mul_f32 v[22:23], v[20:21], v[18:19] op_sel:[1,1] op_sel_hi:[0,1]
	v_pk_fma_f32 v[24:25], v[20:21], v[18:19], v[22:23] op_sel_hi:[1,0,1]
	v_pk_fma_f32 v[18:19], v[20:21], v[18:19], v[22:23] neg_lo:[0,0,1] neg_hi:[0,0,1]
	s_delay_alu instid0(VALU_DEP_2) | instskip(NEXT) | instid1(VALU_DEP_1)
	v_mov_b32_e32 v19, v25
	v_pk_add_f32 v[8:9], v[8:9], v[18:19]
	s_cbranch_scc0 .LBB319_21
; %bb.22:                               ;   in Loop: Header=BB319_5 Depth=1
	s_and_saveexec_b32 s44, s1
	s_cbranch_execz .LBB319_24
.LBB319_23:                             ;   in Loop: Header=BB319_5 Depth=1
	v_lshl_add_u64 v[10:11], s[28:29], 3, v[10:11]
	v_lshl_add_u64 v[6:7], v[2:3], 3, v[6:7]
	flat_load_b64 v[12:13], v[10:11]
	flat_load_b64 v[14:15], v[6:7]
	s_wait_loadcnt_dscnt 0x0
	v_pk_mul_f32 v[6:7], v[14:15], v[12:13] op_sel:[1,1] op_sel_hi:[0,1]
	s_delay_alu instid0(VALU_DEP_1) | instskip(SKIP_1) | instid1(VALU_DEP_2)
	v_pk_fma_f32 v[10:11], v[14:15], v[12:13], v[6:7] op_sel_hi:[1,0,1]
	v_pk_fma_f32 v[6:7], v[14:15], v[12:13], v[6:7] neg_lo:[0,0,1] neg_hi:[0,0,1]
	v_mov_b32_e32 v7, v11
	s_delay_alu instid0(VALU_DEP_1)
	v_pk_add_f32 v[8:9], v[8:9], v[6:7]
.LBB319_24:                             ;   in Loop: Header=BB319_5 Depth=1
	s_or_b32 exec_lo, exec_lo, s44
	ds_store_b64 v16, v[8:9]
	s_wait_storecnt_dscnt 0x0
	s_barrier_signal -1
	s_barrier_wait -1
	s_and_saveexec_b32 s44, s2
	s_cbranch_execz .LBB319_26
; %bb.25:                               ;   in Loop: Header=BB319_5 Depth=1
	ds_load_2addr_stride64_b64 v[6:9], v16 offset1:2
	s_wait_dscnt 0x0
	v_pk_add_f32 v[6:7], v[8:9], v[6:7]
	ds_store_b64 v16, v[6:7]
.LBB319_26:                             ;   in Loop: Header=BB319_5 Depth=1
	s_or_b32 exec_lo, exec_lo, s44
	s_wait_dscnt 0x0
	s_barrier_signal -1
	s_barrier_wait -1
	s_and_saveexec_b32 s44, s3
	s_cbranch_execz .LBB319_28
; %bb.27:                               ;   in Loop: Header=BB319_5 Depth=1
	ds_load_2addr_stride64_b64 v[6:9], v16 offset1:1
	s_wait_dscnt 0x0
	v_pk_add_f32 v[6:7], v[8:9], v[6:7]
	ds_store_b64 v16, v[6:7]
.LBB319_28:                             ;   in Loop: Header=BB319_5 Depth=1
	s_or_b32 exec_lo, exec_lo, s44
	s_wait_dscnt 0x0
	s_barrier_signal -1
	s_barrier_wait -1
	s_and_saveexec_b32 s44, s4
	s_cbranch_execz .LBB319_30
; %bb.29:                               ;   in Loop: Header=BB319_5 Depth=1
	ds_load_2addr_b64 v[6:9], v16 offset1:32
	s_wait_dscnt 0x0
	v_pk_add_f32 v[6:7], v[8:9], v[6:7]
	ds_store_b64 v16, v[6:7]
.LBB319_30:                             ;   in Loop: Header=BB319_5 Depth=1
	s_or_b32 exec_lo, exec_lo, s44
	s_wait_dscnt 0x0
	s_barrier_signal -1
	s_barrier_wait -1
	s_and_saveexec_b32 s44, s5
	s_cbranch_execz .LBB319_32
; %bb.31:                               ;   in Loop: Header=BB319_5 Depth=1
	ds_load_2addr_b64 v[6:9], v16 offset1:16
	s_wait_dscnt 0x0
	v_pk_add_f32 v[6:7], v[8:9], v[6:7]
	ds_store_b64 v16, v[6:7]
.LBB319_32:                             ;   in Loop: Header=BB319_5 Depth=1
	;; [unrolled: 12-line block ×5, first 2 shown]
	s_or_b32 exec_lo, exec_lo, s44
	s_wait_dscnt 0x0
	s_barrier_signal -1
	s_barrier_wait -1
	s_and_saveexec_b32 s44, s0
	s_cbranch_execz .LBB319_40
; %bb.39:                               ;   in Loop: Header=BB319_5 Depth=1
	ds_load_b128 v[6:9], v1
	s_wait_dscnt 0x0
	v_pk_add_f32 v[6:7], v[8:9], v[6:7]
	ds_store_b64 v1, v[6:7]
.LBB319_40:                             ;   in Loop: Header=BB319_5 Depth=1
	s_or_b32 exec_lo, exec_lo, s44
	s_wait_dscnt 0x0
	s_barrier_signal -1
	s_barrier_wait -1
	s_and_saveexec_b32 s44, s0
	s_cbranch_execz .LBB319_3
; %bb.41:                               ;   in Loop: Header=BB319_5 Depth=1
	ds_load_b64 v[8:9], v1
	v_mov_b64_e32 v[6:7], s[24:25]
	v_mov_b64_e32 v[10:11], s[34:35]
	s_and_not1_b32 vcc_lo, exec_lo, s47
	s_add_nc_u64 s[42:43], s[42:43], s[40:41]
	s_wait_dscnt 0x0
	s_delay_alu instid0(VALU_DEP_2) | instskip(NEXT) | instid1(VALU_DEP_1)
	v_pk_mul_f32 v[12:13], v[8:9], v[6:7] op_sel:[1,0] op_sel_hi:[0,1]
	v_pk_fma_f32 v[6:7], v[8:9], v[10:11], v[12:13] neg_lo:[0,0,1] neg_hi:[0,0,1]
	v_pk_fma_f32 v[8:9], v[8:9], v[10:11], v[12:13]
	s_cbranch_vccnz .LBB319_2
; %bb.42:                               ;   in Loop: Header=BB319_5 Depth=1
	flat_load_b64 v[10:11], v1, s[42:43]
	v_mov_b64_e32 v[12:13], s[36:37]
	v_mov_b64_e32 v[14:15], s[26:27]
	s_wait_loadcnt_dscnt 0x0
	s_delay_alu instid0(VALU_DEP_2) | instskip(NEXT) | instid1(VALU_DEP_1)
	v_pk_mul_f32 v[12:13], v[12:13], v[10:11] op_sel:[0,1]
	v_pk_fma_f32 v[18:19], v[14:15], v[10:11], v[12:13] op_sel_hi:[1,0,1]
	v_mov_b32_e32 v7, v9
	v_pk_fma_f32 v[8:9], v[14:15], v[10:11], v[12:13] neg_lo:[0,0,1] neg_hi:[0,0,1]
	s_delay_alu instid0(VALU_DEP_3) | instskip(NEXT) | instid1(VALU_DEP_1)
	v_mov_b32_e32 v9, v19
	v_pk_add_f32 v[6:7], v[6:7], v[8:9]
	s_delay_alu instid0(VALU_DEP_1)
	v_mov_b32_e32 v9, v7
	s_branch .LBB319_2
.LBB319_43:                             ;   in Loop: Header=BB319_5 Depth=1
	v_mov_b64_e32 v[8:9], 0
	s_and_saveexec_b32 s44, s1
	s_cbranch_execnz .LBB319_23
	s_branch .LBB319_24
.LBB319_44:
	s_endpgm
	.section	.rodata,"a",@progbits
	.p2align	6, 0x0
	.amdhsa_kernel _ZL20rocblas_gemvt_kernelILb0ELi256EPK19rocblas_complex_numIfES1_KPS1_EviiT2_lPKT1_lilS9_lilS6_lPT3_lili
		.amdhsa_group_segment_fixed_size 2048
		.amdhsa_private_segment_fixed_size 0
		.amdhsa_kernarg_size 140
		.amdhsa_user_sgpr_count 2
		.amdhsa_user_sgpr_dispatch_ptr 0
		.amdhsa_user_sgpr_queue_ptr 0
		.amdhsa_user_sgpr_kernarg_segment_ptr 1
		.amdhsa_user_sgpr_dispatch_id 0
		.amdhsa_user_sgpr_kernarg_preload_length 0
		.amdhsa_user_sgpr_kernarg_preload_offset 0
		.amdhsa_user_sgpr_private_segment_size 0
		.amdhsa_wavefront_size32 1
		.amdhsa_uses_dynamic_stack 0
		.amdhsa_enable_private_segment 0
		.amdhsa_system_sgpr_workgroup_id_x 1
		.amdhsa_system_sgpr_workgroup_id_y 0
		.amdhsa_system_sgpr_workgroup_id_z 1
		.amdhsa_system_sgpr_workgroup_info 0
		.amdhsa_system_vgpr_workitem_id 0
		.amdhsa_next_free_vgpr 26
		.amdhsa_next_free_sgpr 51
		.amdhsa_named_barrier_count 0
		.amdhsa_reserve_vcc 1
		.amdhsa_float_round_mode_32 0
		.amdhsa_float_round_mode_16_64 0
		.amdhsa_float_denorm_mode_32 3
		.amdhsa_float_denorm_mode_16_64 3
		.amdhsa_fp16_overflow 0
		.amdhsa_memory_ordered 1
		.amdhsa_forward_progress 1
		.amdhsa_inst_pref_size 14
		.amdhsa_round_robin_scheduling 0
		.amdhsa_exception_fp_ieee_invalid_op 0
		.amdhsa_exception_fp_denorm_src 0
		.amdhsa_exception_fp_ieee_div_zero 0
		.amdhsa_exception_fp_ieee_overflow 0
		.amdhsa_exception_fp_ieee_underflow 0
		.amdhsa_exception_fp_ieee_inexact 0
		.amdhsa_exception_int_div_zero 0
	.end_amdhsa_kernel
	.section	.text._ZL20rocblas_gemvt_kernelILb0ELi256EPK19rocblas_complex_numIfES1_KPS1_EviiT2_lPKT1_lilS9_lilS6_lPT3_lili,"axG",@progbits,_ZL20rocblas_gemvt_kernelILb0ELi256EPK19rocblas_complex_numIfES1_KPS1_EviiT2_lPKT1_lilS9_lilS6_lPT3_lili,comdat
.Lfunc_end319:
	.size	_ZL20rocblas_gemvt_kernelILb0ELi256EPK19rocblas_complex_numIfES1_KPS1_EviiT2_lPKT1_lilS9_lilS6_lPT3_lili, .Lfunc_end319-_ZL20rocblas_gemvt_kernelILb0ELi256EPK19rocblas_complex_numIfES1_KPS1_EviiT2_lPKT1_lilS9_lilS6_lPT3_lili
                                        ; -- End function
	.set _ZL20rocblas_gemvt_kernelILb0ELi256EPK19rocblas_complex_numIfES1_KPS1_EviiT2_lPKT1_lilS9_lilS6_lPT3_lili.num_vgpr, 26
	.set _ZL20rocblas_gemvt_kernelILb0ELi256EPK19rocblas_complex_numIfES1_KPS1_EviiT2_lPKT1_lilS9_lilS6_lPT3_lili.num_agpr, 0
	.set _ZL20rocblas_gemvt_kernelILb0ELi256EPK19rocblas_complex_numIfES1_KPS1_EviiT2_lPKT1_lilS9_lilS6_lPT3_lili.numbered_sgpr, 51
	.set _ZL20rocblas_gemvt_kernelILb0ELi256EPK19rocblas_complex_numIfES1_KPS1_EviiT2_lPKT1_lilS9_lilS6_lPT3_lili.num_named_barrier, 0
	.set _ZL20rocblas_gemvt_kernelILb0ELi256EPK19rocblas_complex_numIfES1_KPS1_EviiT2_lPKT1_lilS9_lilS6_lPT3_lili.private_seg_size, 0
	.set _ZL20rocblas_gemvt_kernelILb0ELi256EPK19rocblas_complex_numIfES1_KPS1_EviiT2_lPKT1_lilS9_lilS6_lPT3_lili.uses_vcc, 1
	.set _ZL20rocblas_gemvt_kernelILb0ELi256EPK19rocblas_complex_numIfES1_KPS1_EviiT2_lPKT1_lilS9_lilS6_lPT3_lili.uses_flat_scratch, 0
	.set _ZL20rocblas_gemvt_kernelILb0ELi256EPK19rocblas_complex_numIfES1_KPS1_EviiT2_lPKT1_lilS9_lilS6_lPT3_lili.has_dyn_sized_stack, 0
	.set _ZL20rocblas_gemvt_kernelILb0ELi256EPK19rocblas_complex_numIfES1_KPS1_EviiT2_lPKT1_lilS9_lilS6_lPT3_lili.has_recursion, 0
	.set _ZL20rocblas_gemvt_kernelILb0ELi256EPK19rocblas_complex_numIfES1_KPS1_EviiT2_lPKT1_lilS9_lilS6_lPT3_lili.has_indirect_call, 0
	.section	.AMDGPU.csdata,"",@progbits
; Kernel info:
; codeLenInByte = 1708
; TotalNumSgprs: 53
; NumVgprs: 26
; ScratchSize: 0
; MemoryBound: 0
; FloatMode: 240
; IeeeMode: 1
; LDSByteSize: 2048 bytes/workgroup (compile time only)
; SGPRBlocks: 0
; VGPRBlocks: 1
; NumSGPRsForWavesPerEU: 53
; NumVGPRsForWavesPerEU: 26
; NamedBarCnt: 0
; Occupancy: 16
; WaveLimiterHint : 1
; COMPUTE_PGM_RSRC2:SCRATCH_EN: 0
; COMPUTE_PGM_RSRC2:USER_SGPR: 2
; COMPUTE_PGM_RSRC2:TRAP_HANDLER: 0
; COMPUTE_PGM_RSRC2:TGID_X_EN: 1
; COMPUTE_PGM_RSRC2:TGID_Y_EN: 0
; COMPUTE_PGM_RSRC2:TGID_Z_EN: 1
; COMPUTE_PGM_RSRC2:TIDIG_COMP_CNT: 0
	.section	.text._ZL32rocblas_gemvt_warp_reduce_kernelILb0ELi1024EiPK19rocblas_complex_numIfES3_KPS1_EviiT3_lPKT2_lT1_lS9_lSA_lS6_lPT4_lSA_li,"axG",@progbits,_ZL32rocblas_gemvt_warp_reduce_kernelILb0ELi1024EiPK19rocblas_complex_numIfES3_KPS1_EviiT3_lPKT2_lT1_lS9_lSA_lS6_lPT4_lSA_li,comdat
	.globl	_ZL32rocblas_gemvt_warp_reduce_kernelILb0ELi1024EiPK19rocblas_complex_numIfES3_KPS1_EviiT3_lPKT2_lT1_lS9_lSA_lS6_lPT4_lSA_li ; -- Begin function _ZL32rocblas_gemvt_warp_reduce_kernelILb0ELi1024EiPK19rocblas_complex_numIfES3_KPS1_EviiT3_lPKT2_lT1_lS9_lSA_lS6_lPT4_lSA_li
	.p2align	8
	.type	_ZL32rocblas_gemvt_warp_reduce_kernelILb0ELi1024EiPK19rocblas_complex_numIfES3_KPS1_EviiT3_lPKT2_lT1_lS9_lSA_lS6_lPT4_lSA_li,@function
_ZL32rocblas_gemvt_warp_reduce_kernelILb0ELi1024EiPK19rocblas_complex_numIfES3_KPS1_EviiT3_lPKT2_lT1_lS9_lSA_lS6_lPT4_lSA_li: ; @_ZL32rocblas_gemvt_warp_reduce_kernelILb0ELi1024EiPK19rocblas_complex_numIfES3_KPS1_EviiT3_lPKT2_lT1_lS9_lSA_lS6_lPT4_lSA_li
; %bb.0:
	s_load_b32 s33, s[0:1], 0x88
	s_bfe_u32 s2, ttmp6, 0x40014
	s_lshr_b32 s3, ttmp7, 16
	s_add_co_i32 s2, s2, 1
	s_bfe_u32 s5, ttmp6, 0x40008
	s_mul_i32 s4, s3, s2
	s_getreg_b32 s2, hwreg(HW_REG_IB_STS2, 6, 4)
	s_add_co_i32 s5, s5, s4
	s_cmp_eq_u32 s2, 0
	s_mov_b32 s7, 0
	s_cselect_b32 s6, s3, s5
	s_wait_kmcnt 0x0
	s_cmp_ge_u32 s6, s33
	s_cbranch_scc1 .LBB320_34
; %bb.1:
	s_clause 0x6
	s_load_b32 s4, s[0:1], 0x0
	s_load_b256 s[8:15], s[0:1], 0x8
	s_load_b32 s3, s[0:1], 0x28
	s_load_b128 s[24:27], s[0:1], 0x38
	s_load_b32 s5, s[0:1], 0x48
	s_load_b256 s[16:23], s[0:1], 0x58
	s_load_b32 s29, s[0:1], 0x78
	s_wait_xcnt 0x0
	s_bfe_u32 s1, ttmp6, 0x4000c
	s_and_b32 s28, ttmp6, 15
	s_add_co_i32 s1, s1, 1
	v_dual_mov_b32 v3, 0 :: v_dual_bitop2_b32 v2, 31, v0 bitop3:0x40
	s_mul_i32 s1, ttmp9, s1
	v_lshrrev_b32_e32 v6, 2, v0
	s_add_co_i32 s28, s28, s1
	s_cmp_eq_u32 s2, 0
	v_lshlrev_b32_e32 v1, 3, v2
	s_cselect_b32 s30, ttmp9, s28
	v_and_b32_e32 v18, 0xf8, v6
	v_mov_b64_e32 v[4:5], 0
	s_wait_kmcnt 0x0
	s_ashr_i32 s2, s4, 31
	v_cmp_gt_i32_e32 vcc_lo, s4, v0
	s_lshr_b32 s2, s2, 22
	v_cmp_eq_u32_e64 s0, 0, v0
	s_add_co_i32 s2, s4, s2
	v_mul_lo_u32 v19, v0, s5
	s_and_b32 s28, s2, 0xfffffc00
	v_cmp_eq_u32_e64 s2, 0, v2
	v_dual_cndmask_b32 v2, 0, v0, vcc_lo :: v_dual_bitop2_b32 v7, s28, v0 bitop3:0x54
	s_mul_i32 s34, s29, s30
	v_cmp_gt_u32_e64 s1, 32, v0
	s_mul_i32 s30, s3, s30
	v_mul_lo_u32 v6, s5, v7
	v_lshlrev_b32_e32 v2, 3, v2
	v_cmp_gt_i32_e64 s3, s28, v0
	v_cmp_gt_i32_e64 s4, s4, v7
	v_mbcnt_lo_u32_b32 v20, -1, 0
	s_ashr_i32 s35, s34, 31
	s_lshl_b32 s40, s5, 10
	s_lshl_b64 s[14:15], s[14:15], 3
	s_ashr_i32 s31, s30, 31
	s_ashr_i32 s29, s28, 31
	s_lshl_b64 s[26:27], s[26:27], 3
	v_ashrrev_i32_e32 v7, 31, v6
	s_lshl_b64 s[22:23], s[22:23], 3
	s_lshl_b64 s[34:35], s[34:35], 3
	s_branch .LBB320_5
.LBB320_2:                              ;   in Loop: Header=BB320_5 Depth=1
	s_delay_alu instid0(VALU_DEP_1)
	v_mov_b32_e32 v13, v11
	flat_store_b64 v3, v[12:13], s[36:37]
.LBB320_3:                              ;   in Loop: Header=BB320_5 Depth=1
	s_wait_xcnt 0x0
	s_or_b32 exec_lo, exec_lo, s41
.LBB320_4:                              ;   in Loop: Header=BB320_5 Depth=1
	s_add_co_i32 s6, s6, 0x10000
	s_delay_alu instid0(SALU_CYCLE_1)
	s_cmp_lt_u32 s6, s33
	s_cbranch_scc0 .LBB320_34
.LBB320_5:                              ; =>This Loop Header: Depth=1
                                        ;     Child Loop BB320_27 Depth 2
	s_mul_u64 s[36:37], s[10:11], s[6:7]
	s_delay_alu instid0(SALU_CYCLE_1) | instskip(NEXT) | instid1(SALU_CYCLE_1)
	s_lshl_b64 s[36:37], s[36:37], 3
	s_add_nc_u64 s[36:37], s[8:9], s[36:37]
	s_wait_dscnt 0x0
	global_load_b64 v[10:11], v3, s[36:37]
	s_wait_xcnt 0x0
	s_mul_u64 s[36:37], s[18:19], s[6:7]
	s_delay_alu instid0(SALU_CYCLE_1) | instskip(NEXT) | instid1(SALU_CYCLE_1)
	s_lshl_b64 s[36:37], s[36:37], 3
	s_add_nc_u64 s[36:37], s[16:17], s[36:37]
	global_load_b64 v[8:9], v3, s[36:37]
	s_wait_loadcnt 0x1
	s_wait_xcnt 0x0
	v_readfirstlane_b32 s36, v10
	v_readfirstlane_b32 s37, v11
	s_cmp_eq_f32 s36, 0
	s_wait_loadcnt 0x0
	v_cmp_eq_f32_e32 vcc_lo, 1.0, v8
	v_cmp_eq_f32_e64 s5, 0, v9
	s_cselect_b32 s38, -1, 0
	s_cmp_eq_f32 s37, 0
	s_cselect_b32 s39, -1, 0
	s_and_b32 s5, vcc_lo, s5
	s_and_b32 s38, s38, s39
	s_delay_alu instid0(SALU_CYCLE_1) | instskip(NEXT) | instid1(SALU_CYCLE_1)
	s_and_b32 s5, s38, s5
	s_and_b32 vcc_lo, exec_lo, s5
	s_cbranch_vccnz .LBB320_4
; %bb.6:                                ;   in Loop: Header=BB320_5 Depth=1
	s_or_b32 s5, s36, s37
	v_mov_b64_e32 v[10:11], 0
	s_bitset0_b32 s5, 31
	v_mov_b64_e32 v[12:13], 0
	s_cmp_lg_u32 s5, 0
	s_cselect_b32 s38, -1, 0
	s_cmp_eq_u32 s5, 0
	s_cselect_b32 s5, -1, 0
	s_delay_alu instid0(SALU_CYCLE_1)
	s_and_b32 vcc_lo, exec_lo, s5
	s_cbranch_vccnz .LBB320_8
; %bb.7:                                ;   in Loop: Header=BB320_5 Depth=1
	s_lshl_b64 s[42:43], s[6:7], 3
	s_delay_alu instid0(SALU_CYCLE_1)
	s_add_nc_u64 s[42:43], s[12:13], s[42:43]
	global_load_b64 v[12:13], v3, s[42:43]
	s_wait_loadcnt 0x0
	v_add_nc_u64_e32 v[12:13], s[14:15], v[12:13]
.LBB320_8:                              ;   in Loop: Header=BB320_5 Depth=1
	s_and_not1_b32 vcc_lo, exec_lo, s38
	s_cbranch_vccnz .LBB320_10
; %bb.9:                                ;   in Loop: Header=BB320_5 Depth=1
	s_lshl_b64 s[38:39], s[6:7], 3
	s_delay_alu instid0(SALU_CYCLE_1)
	s_add_nc_u64 s[38:39], s[24:25], s[38:39]
	global_load_b64 v[10:11], v3, s[38:39]
	s_wait_loadcnt 0x0
	v_add_nc_u64_e32 v[10:11], s[26:27], v[10:11]
.LBB320_10:                             ;   in Loop: Header=BB320_5 Depth=1
	s_wait_xcnt 0x0
	s_lshl_b64 s[38:39], s[6:7], 3
	s_and_not1_b32 vcc_lo, exec_lo, s5
	s_add_nc_u64 s[38:39], s[20:21], s[38:39]
	s_mov_b32 s5, -1
	global_load_b64 v[14:15], v3, s[38:39]
	s_wait_loadcnt 0x0
	s_wait_xcnt 0x0
	v_readfirstlane_b32 s38, v14
	v_readfirstlane_b32 s39, v15
	s_add_nc_u64 s[38:39], s[38:39], s[22:23]
	s_cbranch_vccnz .LBB320_16
; %bb.11:                               ;   in Loop: Header=BB320_5 Depth=1
	s_and_saveexec_b32 s41, s0
	s_cbranch_execz .LBB320_15
; %bb.12:                               ;   in Loop: Header=BB320_5 Depth=1
	v_cmp_neq_f32_e32 vcc_lo, 0, v8
	v_cmp_neq_f32_e64 s5, 0, v9
	v_dual_mov_b32 v14, 0 :: v_dual_mov_b32 v15, 0
	s_or_b32 s5, vcc_lo, s5
	s_delay_alu instid0(SALU_CYCLE_1)
	s_and_not1_b32 vcc_lo, exec_lo, s5
	s_cbranch_vccnz .LBB320_14
; %bb.13:                               ;   in Loop: Header=BB320_5 Depth=1
	s_add_nc_u64 s[42:43], s[38:39], s[34:35]
	flat_load_b64 v[14:15], v3, s[42:43]
	s_wait_loadcnt_dscnt 0x0
	v_pk_mul_f32 v[16:17], v[8:9], v[14:15] op_sel:[1,1] op_sel_hi:[0,1]
	s_delay_alu instid0(VALU_DEP_1) | instskip(SKIP_1) | instid1(VALU_DEP_2)
	v_pk_fma_f32 v[22:23], v[8:9], v[14:15], v[16:17] op_sel_hi:[1,0,1]
	v_pk_fma_f32 v[14:15], v[8:9], v[14:15], v[16:17] neg_lo:[0,0,1] neg_hi:[0,0,1]
	v_mov_b32_e32 v15, v23
.LBB320_14:                             ;   in Loop: Header=BB320_5 Depth=1
	s_wait_xcnt 0x0
	s_add_nc_u64 s[42:43], s[38:39], s[34:35]
	flat_store_b64 v3, v[14:15], s[42:43]
.LBB320_15:                             ;   in Loop: Header=BB320_5 Depth=1
	s_wait_xcnt 0x0
	s_or_b32 exec_lo, exec_lo, s41
	s_mov_b32 s5, 0
.LBB320_16:                             ;   in Loop: Header=BB320_5 Depth=1
	s_delay_alu instid0(SALU_CYCLE_1)
	s_and_not1_b32 vcc_lo, exec_lo, s5
	s_cbranch_vccnz .LBB320_4
; %bb.17:                               ;   in Loop: Header=BB320_5 Depth=1
	v_add_nc_u64_e32 v[14:15], v[12:13], v[2:3]
	v_mov_b64_e32 v[12:13], 0
	s_delay_alu instid0(VALU_DEP_2)
	v_lshl_add_u64 v[14:15], s[30:31], 3, v[14:15]
	s_and_saveexec_b32 s5, s3
	s_cbranch_execnz .LBB320_26
; %bb.18:                               ;   in Loop: Header=BB320_5 Depth=1
	s_or_b32 exec_lo, exec_lo, s5
	s_and_saveexec_b32 s5, s4
	s_cbranch_execnz .LBB320_29
.LBB320_19:                             ;   in Loop: Header=BB320_5 Depth=1
	s_or_b32 exec_lo, exec_lo, s5
	s_and_saveexec_b32 s5, s1
.LBB320_20:                             ;   in Loop: Header=BB320_5 Depth=1
	ds_store_b64 v1, v[4:5]
.LBB320_21:                             ;   in Loop: Header=BB320_5 Depth=1
	s_or_b32 exec_lo, exec_lo, s5
	v_lshl_or_b32 v14, v20, 2, 64
	v_cmp_gt_u32_e32 vcc_lo, 24, v20
	s_wait_storecnt_dscnt 0x0
	s_barrier_signal -1
	s_barrier_wait -1
	ds_bpermute_b32 v10, v14, v12
	ds_bpermute_b32 v11, v14, v13
	v_cndmask_b32_e64 v15, 0, 8, vcc_lo
	v_cmp_gt_u32_e32 vcc_lo, 28, v20
	s_wait_dscnt 0x0
	s_delay_alu instid0(VALU_DEP_2) | instskip(SKIP_2) | instid1(VALU_DEP_2)
	v_add_lshl_u32 v15, v15, v20, 2
	v_cndmask_b32_e64 v16, 0, 4, vcc_lo
	v_cmp_gt_u32_e32 vcc_lo, 30, v20
	v_add_lshl_u32 v16, v16, v20, 2
	v_cndmask_b32_e64 v17, 0, 2, vcc_lo
	v_cmp_ne_u32_e32 vcc_lo, 31, v20
	s_delay_alu instid0(VALU_DEP_2) | instskip(SKIP_2) | instid1(VALU_DEP_2)
	v_add_lshl_u32 v17, v17, v20, 2
	v_add_co_ci_u32_e64 v21, null, 0, v20, vcc_lo
	v_pk_add_f32 v[10:11], v[12:13], v[10:11]
	v_lshlrev_b32_e32 v21, 2, v21
	ds_bpermute_b32 v12, v15, v10
	ds_bpermute_b32 v13, v15, v11
	s_wait_dscnt 0x0
	v_pk_add_f32 v[10:11], v[10:11], v[12:13]
	ds_bpermute_b32 v12, v16, v10
	ds_bpermute_b32 v13, v16, v11
	s_wait_dscnt 0x0
	v_pk_add_f32 v[10:11], v[10:11], v[12:13]
	;; [unrolled: 4-line block ×3, first 2 shown]
	ds_bpermute_b32 v12, v21, v10
	ds_bpermute_b32 v13, v21, v11
	s_and_saveexec_b32 s5, s2
	s_cbranch_execz .LBB320_23
; %bb.22:                               ;   in Loop: Header=BB320_5 Depth=1
	s_wait_dscnt 0x0
	v_pk_add_f32 v[10:11], v[10:11], v[12:13]
	ds_store_b64 v18, v[10:11]
.LBB320_23:                             ;   in Loop: Header=BB320_5 Depth=1
	s_or_b32 exec_lo, exec_lo, s5
	v_mov_b64_e32 v[10:11], 0
	s_wait_dscnt 0x0
	s_barrier_signal -1
	s_barrier_wait -1
	s_and_saveexec_b32 s5, s1
	s_cbranch_execnz .LBB320_30
; %bb.24:                               ;   in Loop: Header=BB320_5 Depth=1
	s_or_b32 exec_lo, exec_lo, s5
	s_and_saveexec_b32 s5, s1
	s_cbranch_execnz .LBB320_31
.LBB320_25:                             ;   in Loop: Header=BB320_5 Depth=1
	s_or_b32 exec_lo, exec_lo, s5
	s_and_saveexec_b32 s41, s0
	s_cbranch_execz .LBB320_3
	s_branch .LBB320_32
.LBB320_26:                             ;   in Loop: Header=BB320_5 Depth=1
	v_dual_mov_b32 v12, 0 :: v_dual_mov_b32 v21, v0
	s_delay_alu instid0(VALU_DEP_2) | instskip(SKIP_2) | instid1(VALU_DEP_3)
	v_mov_b64_e32 v[16:17], v[14:15]
	v_mov_b32_e32 v22, v19
	s_mov_b32 s41, 0
	v_mov_b32_e32 v13, v12
.LBB320_27:                             ;   Parent Loop BB320_5 Depth=1
                                        ; =>  This Inner Loop Header: Depth=2
	v_readfirstlane_b32 s42, v10
	v_readfirstlane_b32 s43, v11
	v_add_nc_u32_e32 v21, 0x400, v21
	flat_load_b64 v[24:25], v[16:17]
	flat_load_b64 v[26:27], v22, s[42:43] scale_offset
	s_wait_xcnt 0x1
	v_add_nc_u64_e32 v[16:17], 0x2000, v[16:17]
	v_cmp_le_i32_e32 vcc_lo, s28, v21
	s_wait_xcnt 0x0
	v_add_nc_u32_e32 v22, s40, v22
	s_or_b32 s41, vcc_lo, s41
	s_wait_loadcnt_dscnt 0x0
	v_pk_mul_f32 v[28:29], v[26:27], v[24:25] op_sel:[1,1] op_sel_hi:[0,1]
	s_delay_alu instid0(VALU_DEP_1) | instskip(SKIP_1) | instid1(VALU_DEP_2)
	v_pk_fma_f32 v[30:31], v[26:27], v[24:25], v[28:29] op_sel_hi:[1,0,1]
	v_pk_fma_f32 v[24:25], v[26:27], v[24:25], v[28:29] neg_lo:[0,0,1] neg_hi:[0,0,1]
	v_mov_b32_e32 v25, v31
	s_delay_alu instid0(VALU_DEP_1)
	v_pk_add_f32 v[12:13], v[12:13], v[24:25]
	s_and_not1_b32 exec_lo, exec_lo, s41
	s_cbranch_execnz .LBB320_27
; %bb.28:                               ;   in Loop: Header=BB320_5 Depth=1
	s_or_b32 exec_lo, exec_lo, s41
	s_delay_alu instid0(SALU_CYCLE_1)
	s_or_b32 exec_lo, exec_lo, s5
	s_and_saveexec_b32 s5, s4
	s_cbranch_execz .LBB320_19
.LBB320_29:                             ;   in Loop: Header=BB320_5 Depth=1
	v_lshl_add_u64 v[14:15], s[28:29], 3, v[14:15]
	v_lshl_add_u64 v[10:11], v[6:7], 3, v[10:11]
	flat_load_b64 v[16:17], v[14:15]
	flat_load_b64 v[22:23], v[10:11]
	s_wait_loadcnt_dscnt 0x0
	v_pk_mul_f32 v[10:11], v[22:23], v[16:17] op_sel:[1,1] op_sel_hi:[0,1]
	s_delay_alu instid0(VALU_DEP_1) | instskip(SKIP_1) | instid1(VALU_DEP_2)
	v_pk_fma_f32 v[14:15], v[22:23], v[16:17], v[10:11] op_sel_hi:[1,0,1]
	v_pk_fma_f32 v[10:11], v[22:23], v[16:17], v[10:11] neg_lo:[0,0,1] neg_hi:[0,0,1]
	v_mov_b32_e32 v11, v15
	s_delay_alu instid0(VALU_DEP_1)
	v_pk_add_f32 v[12:13], v[12:13], v[10:11]
	s_or_b32 exec_lo, exec_lo, s5
	s_and_saveexec_b32 s5, s1
	s_cbranch_execnz .LBB320_20
	s_branch .LBB320_21
.LBB320_30:                             ;   in Loop: Header=BB320_5 Depth=1
	ds_load_b64 v[10:11], v1
	s_or_b32 exec_lo, exec_lo, s5
	s_and_saveexec_b32 s5, s1
	s_cbranch_execz .LBB320_25
.LBB320_31:                             ;   in Loop: Header=BB320_5 Depth=1
	s_wait_dscnt 0x0
	ds_bpermute_b32 v12, v14, v10
	ds_bpermute_b32 v13, v14, v11
	s_wait_dscnt 0x0
	v_pk_add_f32 v[10:11], v[10:11], v[12:13]
	ds_bpermute_b32 v12, v15, v10
	ds_bpermute_b32 v13, v15, v11
	s_wait_dscnt 0x0
	v_pk_add_f32 v[10:11], v[10:11], v[12:13]
	;; [unrolled: 4-line block ×5, first 2 shown]
	s_or_b32 exec_lo, exec_lo, s5
	s_and_saveexec_b32 s41, s0
	s_cbranch_execz .LBB320_3
.LBB320_32:                             ;   in Loop: Header=BB320_5 Depth=1
	v_mov_b64_e32 v[14:15], s[36:37]
	v_cmp_neq_f32_e32 vcc_lo, 0, v8
	v_cmp_neq_f32_e64 s5, 0, v9
	s_add_nc_u64 s[36:37], s[38:39], s[34:35]
	s_or_b32 s5, vcc_lo, s5
	s_wait_dscnt 0x0
	v_pk_mul_f32 v[16:17], v[10:11], v[14:15] op_sel:[1,1] op_sel_hi:[1,0]
	s_and_not1_b32 vcc_lo, exec_lo, s5
	s_delay_alu instid0(VALU_DEP_1)
	v_pk_fma_f32 v[12:13], v[10:11], v[14:15], v[16:17] op_sel_hi:[0,1,1] neg_lo:[0,0,1] neg_hi:[0,0,1]
	v_pk_fma_f32 v[10:11], v[10:11], v[14:15], v[16:17] op_sel_hi:[0,1,1]
	s_cbranch_vccnz .LBB320_2
; %bb.33:                               ;   in Loop: Header=BB320_5 Depth=1
	flat_load_b64 v[14:15], v3, s[36:37]
	s_wait_loadcnt_dscnt 0x0
	v_pk_mul_f32 v[16:17], v[8:9], v[14:15] op_sel:[1,1] op_sel_hi:[0,1]
	s_delay_alu instid0(VALU_DEP_1) | instskip(SKIP_1) | instid1(VALU_DEP_2)
	v_pk_fma_f32 v[22:23], v[8:9], v[14:15], v[16:17] op_sel_hi:[1,0,1]
	v_pk_fma_f32 v[8:9], v[8:9], v[14:15], v[16:17] neg_lo:[0,0,1] neg_hi:[0,0,1]
	v_dual_mov_b32 v13, v11 :: v_dual_mov_b32 v9, v23
	s_delay_alu instid0(VALU_DEP_1) | instskip(NEXT) | instid1(VALU_DEP_1)
	v_pk_add_f32 v[12:13], v[12:13], v[8:9]
	v_mov_b32_e32 v11, v13
	s_branch .LBB320_2
.LBB320_34:
	s_endpgm
	.section	.rodata,"a",@progbits
	.p2align	6, 0x0
	.amdhsa_kernel _ZL32rocblas_gemvt_warp_reduce_kernelILb0ELi1024EiPK19rocblas_complex_numIfES3_KPS1_EviiT3_lPKT2_lT1_lS9_lSA_lS6_lPT4_lSA_li
		.amdhsa_group_segment_fixed_size 256
		.amdhsa_private_segment_fixed_size 0
		.amdhsa_kernarg_size 140
		.amdhsa_user_sgpr_count 2
		.amdhsa_user_sgpr_dispatch_ptr 0
		.amdhsa_user_sgpr_queue_ptr 0
		.amdhsa_user_sgpr_kernarg_segment_ptr 1
		.amdhsa_user_sgpr_dispatch_id 0
		.amdhsa_user_sgpr_kernarg_preload_length 0
		.amdhsa_user_sgpr_kernarg_preload_offset 0
		.amdhsa_user_sgpr_private_segment_size 0
		.amdhsa_wavefront_size32 1
		.amdhsa_uses_dynamic_stack 0
		.amdhsa_enable_private_segment 0
		.amdhsa_system_sgpr_workgroup_id_x 1
		.amdhsa_system_sgpr_workgroup_id_y 0
		.amdhsa_system_sgpr_workgroup_id_z 1
		.amdhsa_system_sgpr_workgroup_info 0
		.amdhsa_system_vgpr_workitem_id 0
		.amdhsa_next_free_vgpr 32
		.amdhsa_next_free_sgpr 44
		.amdhsa_named_barrier_count 0
		.amdhsa_reserve_vcc 1
		.amdhsa_float_round_mode_32 0
		.amdhsa_float_round_mode_16_64 0
		.amdhsa_float_denorm_mode_32 3
		.amdhsa_float_denorm_mode_16_64 3
		.amdhsa_fp16_overflow 0
		.amdhsa_memory_ordered 1
		.amdhsa_forward_progress 1
		.amdhsa_inst_pref_size 15
		.amdhsa_round_robin_scheduling 0
		.amdhsa_exception_fp_ieee_invalid_op 0
		.amdhsa_exception_fp_denorm_src 0
		.amdhsa_exception_fp_ieee_div_zero 0
		.amdhsa_exception_fp_ieee_overflow 0
		.amdhsa_exception_fp_ieee_underflow 0
		.amdhsa_exception_fp_ieee_inexact 0
		.amdhsa_exception_int_div_zero 0
	.end_amdhsa_kernel
	.section	.text._ZL32rocblas_gemvt_warp_reduce_kernelILb0ELi1024EiPK19rocblas_complex_numIfES3_KPS1_EviiT3_lPKT2_lT1_lS9_lSA_lS6_lPT4_lSA_li,"axG",@progbits,_ZL32rocblas_gemvt_warp_reduce_kernelILb0ELi1024EiPK19rocblas_complex_numIfES3_KPS1_EviiT3_lPKT2_lT1_lS9_lSA_lS6_lPT4_lSA_li,comdat
.Lfunc_end320:
	.size	_ZL32rocblas_gemvt_warp_reduce_kernelILb0ELi1024EiPK19rocblas_complex_numIfES3_KPS1_EviiT3_lPKT2_lT1_lS9_lSA_lS6_lPT4_lSA_li, .Lfunc_end320-_ZL32rocblas_gemvt_warp_reduce_kernelILb0ELi1024EiPK19rocblas_complex_numIfES3_KPS1_EviiT3_lPKT2_lT1_lS9_lSA_lS6_lPT4_lSA_li
                                        ; -- End function
	.set _ZL32rocblas_gemvt_warp_reduce_kernelILb0ELi1024EiPK19rocblas_complex_numIfES3_KPS1_EviiT3_lPKT2_lT1_lS9_lSA_lS6_lPT4_lSA_li.num_vgpr, 32
	.set _ZL32rocblas_gemvt_warp_reduce_kernelILb0ELi1024EiPK19rocblas_complex_numIfES3_KPS1_EviiT3_lPKT2_lT1_lS9_lSA_lS6_lPT4_lSA_li.num_agpr, 0
	.set _ZL32rocblas_gemvt_warp_reduce_kernelILb0ELi1024EiPK19rocblas_complex_numIfES3_KPS1_EviiT3_lPKT2_lT1_lS9_lSA_lS6_lPT4_lSA_li.numbered_sgpr, 44
	.set _ZL32rocblas_gemvt_warp_reduce_kernelILb0ELi1024EiPK19rocblas_complex_numIfES3_KPS1_EviiT3_lPKT2_lT1_lS9_lSA_lS6_lPT4_lSA_li.num_named_barrier, 0
	.set _ZL32rocblas_gemvt_warp_reduce_kernelILb0ELi1024EiPK19rocblas_complex_numIfES3_KPS1_EviiT3_lPKT2_lT1_lS9_lSA_lS6_lPT4_lSA_li.private_seg_size, 0
	.set _ZL32rocblas_gemvt_warp_reduce_kernelILb0ELi1024EiPK19rocblas_complex_numIfES3_KPS1_EviiT3_lPKT2_lT1_lS9_lSA_lS6_lPT4_lSA_li.uses_vcc, 1
	.set _ZL32rocblas_gemvt_warp_reduce_kernelILb0ELi1024EiPK19rocblas_complex_numIfES3_KPS1_EviiT3_lPKT2_lT1_lS9_lSA_lS6_lPT4_lSA_li.uses_flat_scratch, 0
	.set _ZL32rocblas_gemvt_warp_reduce_kernelILb0ELi1024EiPK19rocblas_complex_numIfES3_KPS1_EviiT3_lPKT2_lT1_lS9_lSA_lS6_lPT4_lSA_li.has_dyn_sized_stack, 0
	.set _ZL32rocblas_gemvt_warp_reduce_kernelILb0ELi1024EiPK19rocblas_complex_numIfES3_KPS1_EviiT3_lPKT2_lT1_lS9_lSA_lS6_lPT4_lSA_li.has_recursion, 0
	.set _ZL32rocblas_gemvt_warp_reduce_kernelILb0ELi1024EiPK19rocblas_complex_numIfES3_KPS1_EviiT3_lPKT2_lT1_lS9_lSA_lS6_lPT4_lSA_li.has_indirect_call, 0
	.section	.AMDGPU.csdata,"",@progbits
; Kernel info:
; codeLenInByte = 1820
; TotalNumSgprs: 46
; NumVgprs: 32
; ScratchSize: 0
; MemoryBound: 0
; FloatMode: 240
; IeeeMode: 1
; LDSByteSize: 256 bytes/workgroup (compile time only)
; SGPRBlocks: 0
; VGPRBlocks: 1
; NumSGPRsForWavesPerEU: 46
; NumVGPRsForWavesPerEU: 32
; NamedBarCnt: 0
; Occupancy: 16
; WaveLimiterHint : 1
; COMPUTE_PGM_RSRC2:SCRATCH_EN: 0
; COMPUTE_PGM_RSRC2:USER_SGPR: 2
; COMPUTE_PGM_RSRC2:TRAP_HANDLER: 0
; COMPUTE_PGM_RSRC2:TGID_X_EN: 1
; COMPUTE_PGM_RSRC2:TGID_Y_EN: 0
; COMPUTE_PGM_RSRC2:TGID_Z_EN: 1
; COMPUTE_PGM_RSRC2:TIDIG_COMP_CNT: 0
	.section	.text._ZL32rocblas_gemvt_warp_reduce_kernelILb0ELi1024ElPK19rocblas_complex_numIfES3_KPS1_EviiT3_lPKT2_lT1_lS9_lSA_lS6_lPT4_lSA_li,"axG",@progbits,_ZL32rocblas_gemvt_warp_reduce_kernelILb0ELi1024ElPK19rocblas_complex_numIfES3_KPS1_EviiT3_lPKT2_lT1_lS9_lSA_lS6_lPT4_lSA_li,comdat
	.globl	_ZL32rocblas_gemvt_warp_reduce_kernelILb0ELi1024ElPK19rocblas_complex_numIfES3_KPS1_EviiT3_lPKT2_lT1_lS9_lSA_lS6_lPT4_lSA_li ; -- Begin function _ZL32rocblas_gemvt_warp_reduce_kernelILb0ELi1024ElPK19rocblas_complex_numIfES3_KPS1_EviiT3_lPKT2_lT1_lS9_lSA_lS6_lPT4_lSA_li
	.p2align	8
	.type	_ZL32rocblas_gemvt_warp_reduce_kernelILb0ELi1024ElPK19rocblas_complex_numIfES3_KPS1_EviiT3_lPKT2_lT1_lS9_lSA_lS6_lPT4_lSA_li,@function
_ZL32rocblas_gemvt_warp_reduce_kernelILb0ELi1024ElPK19rocblas_complex_numIfES3_KPS1_EviiT3_lPKT2_lT1_lS9_lSA_lS6_lPT4_lSA_li: ; @_ZL32rocblas_gemvt_warp_reduce_kernelILb0ELi1024ElPK19rocblas_complex_numIfES3_KPS1_EviiT3_lPKT2_lT1_lS9_lSA_lS6_lPT4_lSA_li
; %bb.0:
	s_load_b32 s33, s[0:1], 0x88
	s_bfe_u32 s2, ttmp6, 0x40014
	s_lshr_b32 s3, ttmp7, 16
	s_add_co_i32 s2, s2, 1
	s_bfe_u32 s5, ttmp6, 0x40008
	s_mul_i32 s4, s3, s2
	s_getreg_b32 s2, hwreg(HW_REG_IB_STS2, 6, 4)
	s_add_co_i32 s5, s5, s4
	s_cmp_eq_u32 s2, 0
	s_mov_b32 s7, 0
	s_cselect_b32 s6, s3, s5
	s_wait_kmcnt 0x0
	s_cmp_ge_u32 s6, s33
	s_cbranch_scc1 .LBB321_34
; %bb.1:
	s_clause 0x1
	s_load_b32 s29, s[0:1], 0x0
	s_load_b64 s[34:35], s[0:1], 0x48
	s_bfe_u32 s3, ttmp6, 0x4000c
	s_and_b32 s4, ttmp6, 15
	s_add_co_i32 s3, s3, 1
	s_clause 0x2
	s_load_b256 s[8:15], s[0:1], 0x8
	s_load_b128 s[24:27], s[0:1], 0x38
	s_load_b256 s[16:23], s[0:1], 0x58
	s_mul_i32 s3, ttmp9, s3
	v_mbcnt_lo_u32_b32 v23, -1, 0
	s_add_co_i32 s4, s4, s3
	s_cmp_eq_u32 s2, 0
	s_load_b64 s[30:31], s[0:1], 0x28
	s_cselect_b32 s2, ttmp9, s4
	s_load_b64 s[4:5], s[0:1], 0x78
	s_wait_xcnt 0x0
	v_cmp_eq_u32_e64 s0, 0, v0
	s_wait_kmcnt 0x0
	s_ashr_i32 s3, s29, 31
	v_cmp_gt_i32_e32 vcc_lo, s29, v0
	s_lshr_b32 s3, s3, 22
	s_lshl_b64 s[14:15], s[14:15], 3
	s_add_co_i32 s3, s29, s3
	s_lshl_b64 s[26:27], s[26:27], 3
	s_and_b32 s28, s3, 0xfffffc00
	s_delay_alu instid0(SALU_CYCLE_1) | instskip(SKIP_3) | instid1(VALU_DEP_2)
	v_dual_mov_b32 v3, 0 :: v_dual_bitop2_b32 v6, s28, v0 bitop3:0x54
	s_ashr_i32 s3, s2, 31
	v_cndmask_b32_e32 v2, 0, v0, vcc_lo
	s_mul_u64 s[30:31], s[30:31], s[2:3]
	v_dual_mov_b32 v1, v3 :: v_dual_ashrrev_i32 v7, 31, v6
	s_mul_u64 s[36:37], s[4:5], s[2:3]
	v_cmp_gt_i32_e64 s2, s29, v6
	v_cmp_gt_i32_e64 s1, s28, v0
	s_delay_alu instid0(VALU_DEP_3)
	v_mul_u64_e32 v[8:9], s[34:35], v[0:1]
	v_mul_u64_e32 v[4:5], s[34:35], v[6:7]
	v_dual_lshrrev_b32 v6, 2, v0 :: v_dual_bitop2_b32 v7, 31, v0 bitop3:0x40
	v_cmp_gt_u32_e64 s3, 32, v0
	v_lshlrev_b32_e32 v2, 3, v2
	s_ashr_i32 s29, s28, 31
	v_lshlrev_b32_e32 v1, 3, v7
	v_cmp_eq_u32_e64 s4, 0, v7
	v_and_b32_e32 v22, 0xf8, v6
	s_lshl_b64 s[34:35], s[34:35], 13
	s_lshl_b64 s[22:23], s[22:23], 3
	;; [unrolled: 1-line block ×3, first 2 shown]
	v_lshlrev_b64_e32 v[6:7], 3, v[8:9]
	v_mov_b64_e32 v[8:9], 0
	s_branch .LBB321_5
.LBB321_2:                              ;   in Loop: Header=BB321_5 Depth=1
	s_delay_alu instid0(VALU_DEP_1)
	v_mov_b32_e32 v15, v13
	flat_store_b64 v3, v[14:15], s[38:39]
.LBB321_3:                              ;   in Loop: Header=BB321_5 Depth=1
	s_wait_xcnt 0x0
	s_or_b32 exec_lo, exec_lo, s42
.LBB321_4:                              ;   in Loop: Header=BB321_5 Depth=1
	s_add_co_i32 s6, s6, 0x10000
	s_delay_alu instid0(SALU_CYCLE_1)
	s_cmp_lt_u32 s6, s33
	s_cbranch_scc0 .LBB321_34
.LBB321_5:                              ; =>This Loop Header: Depth=1
                                        ;     Child Loop BB321_27 Depth 2
	s_mul_u64 s[38:39], s[10:11], s[6:7]
	s_delay_alu instid0(SALU_CYCLE_1) | instskip(NEXT) | instid1(SALU_CYCLE_1)
	s_lshl_b64 s[38:39], s[38:39], 3
	s_add_nc_u64 s[38:39], s[8:9], s[38:39]
	s_wait_dscnt 0x0
	global_load_b64 v[12:13], v3, s[38:39]
	s_wait_xcnt 0x0
	s_mul_u64 s[38:39], s[18:19], s[6:7]
	s_delay_alu instid0(SALU_CYCLE_1) | instskip(NEXT) | instid1(SALU_CYCLE_1)
	s_lshl_b64 s[38:39], s[38:39], 3
	s_add_nc_u64 s[38:39], s[16:17], s[38:39]
	global_load_b64 v[10:11], v3, s[38:39]
	s_wait_loadcnt 0x1
	s_wait_xcnt 0x0
	v_readfirstlane_b32 s38, v12
	v_readfirstlane_b32 s39, v13
	s_cmp_eq_f32 s38, 0
	s_wait_loadcnt 0x0
	v_cmp_eq_f32_e32 vcc_lo, 1.0, v10
	v_cmp_eq_f32_e64 s5, 0, v11
	s_cselect_b32 s40, -1, 0
	s_cmp_eq_f32 s39, 0
	s_cselect_b32 s41, -1, 0
	s_and_b32 s5, vcc_lo, s5
	s_and_b32 s40, s40, s41
	s_delay_alu instid0(SALU_CYCLE_1) | instskip(NEXT) | instid1(SALU_CYCLE_1)
	s_and_b32 s5, s40, s5
	s_and_b32 vcc_lo, exec_lo, s5
	s_cbranch_vccnz .LBB321_4
; %bb.6:                                ;   in Loop: Header=BB321_5 Depth=1
	s_or_b32 s5, s38, s39
	v_mov_b64_e32 v[12:13], 0
	s_bitset0_b32 s5, 31
	v_mov_b64_e32 v[14:15], 0
	s_cmp_lg_u32 s5, 0
	s_cselect_b32 s40, -1, 0
	s_cmp_eq_u32 s5, 0
	s_cselect_b32 s5, -1, 0
	s_delay_alu instid0(SALU_CYCLE_1)
	s_and_b32 vcc_lo, exec_lo, s5
	s_cbranch_vccnz .LBB321_8
; %bb.7:                                ;   in Loop: Header=BB321_5 Depth=1
	s_lshl_b64 s[42:43], s[6:7], 3
	s_delay_alu instid0(SALU_CYCLE_1)
	s_add_nc_u64 s[42:43], s[12:13], s[42:43]
	global_load_b64 v[14:15], v3, s[42:43]
	s_wait_loadcnt 0x0
	v_add_nc_u64_e32 v[14:15], s[14:15], v[14:15]
.LBB321_8:                              ;   in Loop: Header=BB321_5 Depth=1
	s_and_not1_b32 vcc_lo, exec_lo, s40
	s_cbranch_vccnz .LBB321_10
; %bb.9:                                ;   in Loop: Header=BB321_5 Depth=1
	s_lshl_b64 s[40:41], s[6:7], 3
	s_delay_alu instid0(SALU_CYCLE_1)
	s_add_nc_u64 s[40:41], s[24:25], s[40:41]
	global_load_b64 v[12:13], v3, s[40:41]
	s_wait_loadcnt 0x0
	v_add_nc_u64_e32 v[12:13], s[26:27], v[12:13]
.LBB321_10:                             ;   in Loop: Header=BB321_5 Depth=1
	s_wait_xcnt 0x0
	s_lshl_b64 s[40:41], s[6:7], 3
	s_and_not1_b32 vcc_lo, exec_lo, s5
	s_add_nc_u64 s[40:41], s[20:21], s[40:41]
	s_mov_b32 s5, -1
	global_load_b64 v[16:17], v3, s[40:41]
	s_wait_loadcnt 0x0
	s_wait_xcnt 0x0
	v_readfirstlane_b32 s40, v16
	v_readfirstlane_b32 s41, v17
	s_add_nc_u64 s[40:41], s[40:41], s[22:23]
	s_cbranch_vccnz .LBB321_16
; %bb.11:                               ;   in Loop: Header=BB321_5 Depth=1
	s_and_saveexec_b32 s44, s0
	s_cbranch_execz .LBB321_15
; %bb.12:                               ;   in Loop: Header=BB321_5 Depth=1
	v_cmp_neq_f32_e32 vcc_lo, 0, v10
	v_cmp_neq_f32_e64 s5, 0, v11
	v_dual_mov_b32 v16, 0 :: v_dual_mov_b32 v17, 0
	s_add_nc_u64 s[42:43], s[40:41], s[36:37]
	s_or_b32 s5, vcc_lo, s5
	s_delay_alu instid0(SALU_CYCLE_1)
	s_and_not1_b32 vcc_lo, exec_lo, s5
	s_cbranch_vccnz .LBB321_14
; %bb.13:                               ;   in Loop: Header=BB321_5 Depth=1
	flat_load_b64 v[16:17], v3, s[42:43]
	s_wait_loadcnt_dscnt 0x0
	v_pk_mul_f32 v[18:19], v[10:11], v[16:17] op_sel:[1,1] op_sel_hi:[0,1]
	s_delay_alu instid0(VALU_DEP_1) | instskip(SKIP_1) | instid1(VALU_DEP_2)
	v_pk_fma_f32 v[20:21], v[10:11], v[16:17], v[18:19] op_sel_hi:[1,0,1]
	v_pk_fma_f32 v[16:17], v[10:11], v[16:17], v[18:19] neg_lo:[0,0,1] neg_hi:[0,0,1]
	v_mov_b32_e32 v17, v21
.LBB321_14:                             ;   in Loop: Header=BB321_5 Depth=1
	flat_store_b64 v3, v[16:17], s[42:43]
.LBB321_15:                             ;   in Loop: Header=BB321_5 Depth=1
	s_wait_xcnt 0x0
	s_or_b32 exec_lo, exec_lo, s44
	s_mov_b32 s5, 0
.LBB321_16:                             ;   in Loop: Header=BB321_5 Depth=1
	s_delay_alu instid0(SALU_CYCLE_1)
	s_and_not1_b32 vcc_lo, exec_lo, s5
	s_cbranch_vccnz .LBB321_4
; %bb.17:                               ;   in Loop: Header=BB321_5 Depth=1
	v_add_nc_u64_e32 v[16:17], v[14:15], v[2:3]
	v_mov_b64_e32 v[14:15], 0
	s_delay_alu instid0(VALU_DEP_2)
	v_lshl_add_u64 v[16:17], s[30:31], 3, v[16:17]
	s_and_saveexec_b32 s5, s1
	s_cbranch_execnz .LBB321_26
; %bb.18:                               ;   in Loop: Header=BB321_5 Depth=1
	s_or_b32 exec_lo, exec_lo, s5
	s_and_saveexec_b32 s5, s2
	s_cbranch_execnz .LBB321_29
.LBB321_19:                             ;   in Loop: Header=BB321_5 Depth=1
	s_or_b32 exec_lo, exec_lo, s5
	s_and_saveexec_b32 s5, s3
.LBB321_20:                             ;   in Loop: Header=BB321_5 Depth=1
	ds_store_b64 v1, v[8:9]
.LBB321_21:                             ;   in Loop: Header=BB321_5 Depth=1
	s_or_b32 exec_lo, exec_lo, s5
	v_lshl_or_b32 v16, v23, 2, 64
	v_cmp_gt_u32_e32 vcc_lo, 24, v23
	s_wait_storecnt_dscnt 0x0
	s_barrier_signal -1
	s_barrier_wait -1
	ds_bpermute_b32 v12, v16, v14
	ds_bpermute_b32 v13, v16, v15
	v_cndmask_b32_e64 v17, 0, 8, vcc_lo
	v_cmp_gt_u32_e32 vcc_lo, 28, v23
	s_wait_dscnt 0x0
	s_delay_alu instid0(VALU_DEP_2) | instskip(SKIP_2) | instid1(VALU_DEP_2)
	v_add_lshl_u32 v17, v17, v23, 2
	v_cndmask_b32_e64 v18, 0, 4, vcc_lo
	v_cmp_gt_u32_e32 vcc_lo, 30, v23
	v_add_lshl_u32 v18, v18, v23, 2
	v_cndmask_b32_e64 v19, 0, 2, vcc_lo
	v_cmp_ne_u32_e32 vcc_lo, 31, v23
	s_delay_alu instid0(VALU_DEP_2) | instskip(SKIP_2) | instid1(VALU_DEP_2)
	v_add_lshl_u32 v19, v19, v23, 2
	v_add_co_ci_u32_e64 v20, null, 0, v23, vcc_lo
	v_pk_add_f32 v[12:13], v[14:15], v[12:13]
	v_lshlrev_b32_e32 v20, 2, v20
	ds_bpermute_b32 v14, v17, v12
	ds_bpermute_b32 v15, v17, v13
	s_wait_dscnt 0x0
	v_pk_add_f32 v[12:13], v[12:13], v[14:15]
	ds_bpermute_b32 v14, v18, v12
	ds_bpermute_b32 v15, v18, v13
	s_wait_dscnt 0x0
	v_pk_add_f32 v[12:13], v[12:13], v[14:15]
	;; [unrolled: 4-line block ×3, first 2 shown]
	ds_bpermute_b32 v14, v20, v12
	ds_bpermute_b32 v15, v20, v13
	s_and_saveexec_b32 s5, s4
	s_cbranch_execz .LBB321_23
; %bb.22:                               ;   in Loop: Header=BB321_5 Depth=1
	s_wait_dscnt 0x0
	v_pk_add_f32 v[12:13], v[12:13], v[14:15]
	ds_store_b64 v22, v[12:13]
.LBB321_23:                             ;   in Loop: Header=BB321_5 Depth=1
	s_or_b32 exec_lo, exec_lo, s5
	v_mov_b64_e32 v[12:13], 0
	s_wait_dscnt 0x0
	s_barrier_signal -1
	s_barrier_wait -1
	s_and_saveexec_b32 s5, s3
	s_cbranch_execnz .LBB321_30
; %bb.24:                               ;   in Loop: Header=BB321_5 Depth=1
	s_or_b32 exec_lo, exec_lo, s5
	s_and_saveexec_b32 s5, s3
	s_cbranch_execnz .LBB321_31
.LBB321_25:                             ;   in Loop: Header=BB321_5 Depth=1
	s_or_b32 exec_lo, exec_lo, s5
	s_and_saveexec_b32 s42, s0
	s_cbranch_execz .LBB321_3
	s_branch .LBB321_32
.LBB321_26:                             ;   in Loop: Header=BB321_5 Depth=1
	v_dual_mov_b32 v14, 0 :: v_dual_mov_b32 v24, v0
	v_add_nc_u64_e32 v[18:19], v[12:13], v[6:7]
	v_mov_b64_e32 v[20:21], v[16:17]
	s_mov_b32 s42, 0
	s_delay_alu instid0(VALU_DEP_3)
	v_mov_b32_e32 v15, v14
.LBB321_27:                             ;   Parent Loop BB321_5 Depth=1
                                        ; =>  This Inner Loop Header: Depth=2
	flat_load_b64 v[26:27], v[20:21]
	flat_load_b64 v[28:29], v[18:19]
	s_wait_xcnt 0x1
	v_add_nc_u64_e32 v[20:21], 0x2000, v[20:21]
	s_wait_xcnt 0x0
	v_add_nc_u64_e32 v[18:19], s[34:35], v[18:19]
	s_wait_loadcnt_dscnt 0x0
	v_pk_mul_f32 v[30:31], v[28:29], v[26:27] op_sel:[1,1] op_sel_hi:[0,1]
	s_delay_alu instid0(VALU_DEP_1) | instskip(SKIP_2) | instid1(VALU_DEP_3)
	v_pk_fma_f32 v[32:33], v[28:29], v[26:27], v[30:31] op_sel_hi:[1,0,1]
	v_add_nc_u32_e32 v24, 0x400, v24
	v_pk_fma_f32 v[26:27], v[28:29], v[26:27], v[30:31] neg_lo:[0,0,1] neg_hi:[0,0,1]
	v_mov_b32_e32 v27, v33
	s_delay_alu instid0(VALU_DEP_3) | instskip(NEXT) | instid1(VALU_DEP_2)
	v_cmp_le_i32_e32 vcc_lo, s28, v24
	v_pk_add_f32 v[14:15], v[14:15], v[26:27]
	s_or_b32 s42, vcc_lo, s42
	s_delay_alu instid0(SALU_CYCLE_1)
	s_and_not1_b32 exec_lo, exec_lo, s42
	s_cbranch_execnz .LBB321_27
; %bb.28:                               ;   in Loop: Header=BB321_5 Depth=1
	s_or_b32 exec_lo, exec_lo, s42
	s_delay_alu instid0(SALU_CYCLE_1)
	s_or_b32 exec_lo, exec_lo, s5
	s_and_saveexec_b32 s5, s2
	s_cbranch_execz .LBB321_19
.LBB321_29:                             ;   in Loop: Header=BB321_5 Depth=1
	v_lshl_add_u64 v[16:17], s[28:29], 3, v[16:17]
	v_lshl_add_u64 v[12:13], v[4:5], 3, v[12:13]
	flat_load_b64 v[18:19], v[16:17]
	flat_load_b64 v[20:21], v[12:13]
	s_wait_loadcnt_dscnt 0x0
	v_pk_mul_f32 v[12:13], v[20:21], v[18:19] op_sel:[1,1] op_sel_hi:[0,1]
	s_delay_alu instid0(VALU_DEP_1) | instskip(SKIP_1) | instid1(VALU_DEP_2)
	v_pk_fma_f32 v[16:17], v[20:21], v[18:19], v[12:13] op_sel_hi:[1,0,1]
	v_pk_fma_f32 v[12:13], v[20:21], v[18:19], v[12:13] neg_lo:[0,0,1] neg_hi:[0,0,1]
	v_mov_b32_e32 v13, v17
	s_delay_alu instid0(VALU_DEP_1)
	v_pk_add_f32 v[14:15], v[14:15], v[12:13]
	s_or_b32 exec_lo, exec_lo, s5
	s_and_saveexec_b32 s5, s3
	s_cbranch_execnz .LBB321_20
	s_branch .LBB321_21
.LBB321_30:                             ;   in Loop: Header=BB321_5 Depth=1
	ds_load_b64 v[12:13], v1
	s_or_b32 exec_lo, exec_lo, s5
	s_and_saveexec_b32 s5, s3
	s_cbranch_execz .LBB321_25
.LBB321_31:                             ;   in Loop: Header=BB321_5 Depth=1
	s_wait_dscnt 0x0
	ds_bpermute_b32 v14, v16, v12
	ds_bpermute_b32 v15, v16, v13
	s_wait_dscnt 0x0
	v_pk_add_f32 v[12:13], v[12:13], v[14:15]
	ds_bpermute_b32 v14, v17, v12
	ds_bpermute_b32 v15, v17, v13
	s_wait_dscnt 0x0
	v_pk_add_f32 v[12:13], v[12:13], v[14:15]
	ds_bpermute_b32 v14, v18, v12
	ds_bpermute_b32 v15, v18, v13
	s_wait_dscnt 0x0
	v_pk_add_f32 v[12:13], v[12:13], v[14:15]
	ds_bpermute_b32 v14, v19, v12
	ds_bpermute_b32 v15, v19, v13
	s_wait_dscnt 0x0
	v_pk_add_f32 v[12:13], v[12:13], v[14:15]
	ds_bpermute_b32 v14, v20, v12
	ds_bpermute_b32 v15, v20, v13
	s_wait_dscnt 0x0
	v_pk_add_f32 v[12:13], v[12:13], v[14:15]
	s_or_b32 exec_lo, exec_lo, s5
	s_and_saveexec_b32 s42, s0
	s_cbranch_execz .LBB321_3
.LBB321_32:                             ;   in Loop: Header=BB321_5 Depth=1
	v_mov_b64_e32 v[16:17], s[38:39]
	v_cmp_neq_f32_e32 vcc_lo, 0, v10
	v_cmp_neq_f32_e64 s5, 0, v11
	s_add_nc_u64 s[38:39], s[40:41], s[36:37]
	s_or_b32 s5, vcc_lo, s5
	s_wait_dscnt 0x0
	v_pk_mul_f32 v[18:19], v[12:13], v[16:17] op_sel:[1,1] op_sel_hi:[1,0]
	s_and_not1_b32 vcc_lo, exec_lo, s5
	s_delay_alu instid0(VALU_DEP_1)
	v_pk_fma_f32 v[14:15], v[12:13], v[16:17], v[18:19] op_sel_hi:[0,1,1] neg_lo:[0,0,1] neg_hi:[0,0,1]
	v_pk_fma_f32 v[12:13], v[12:13], v[16:17], v[18:19] op_sel_hi:[0,1,1]
	s_cbranch_vccnz .LBB321_2
; %bb.33:                               ;   in Loop: Header=BB321_5 Depth=1
	flat_load_b64 v[16:17], v3, s[38:39]
	s_wait_loadcnt_dscnt 0x0
	v_pk_mul_f32 v[18:19], v[10:11], v[16:17] op_sel:[1,1] op_sel_hi:[0,1]
	s_delay_alu instid0(VALU_DEP_1) | instskip(SKIP_1) | instid1(VALU_DEP_2)
	v_pk_fma_f32 v[20:21], v[10:11], v[16:17], v[18:19] op_sel_hi:[1,0,1]
	v_pk_fma_f32 v[10:11], v[10:11], v[16:17], v[18:19] neg_lo:[0,0,1] neg_hi:[0,0,1]
	v_dual_mov_b32 v15, v13 :: v_dual_mov_b32 v11, v21
	s_delay_alu instid0(VALU_DEP_1) | instskip(NEXT) | instid1(VALU_DEP_1)
	v_pk_add_f32 v[14:15], v[14:15], v[10:11]
	v_mov_b32_e32 v13, v15
	s_branch .LBB321_2
.LBB321_34:
	s_endpgm
	.section	.rodata,"a",@progbits
	.p2align	6, 0x0
	.amdhsa_kernel _ZL32rocblas_gemvt_warp_reduce_kernelILb0ELi1024ElPK19rocblas_complex_numIfES3_KPS1_EviiT3_lPKT2_lT1_lS9_lSA_lS6_lPT4_lSA_li
		.amdhsa_group_segment_fixed_size 256
		.amdhsa_private_segment_fixed_size 0
		.amdhsa_kernarg_size 140
		.amdhsa_user_sgpr_count 2
		.amdhsa_user_sgpr_dispatch_ptr 0
		.amdhsa_user_sgpr_queue_ptr 0
		.amdhsa_user_sgpr_kernarg_segment_ptr 1
		.amdhsa_user_sgpr_dispatch_id 0
		.amdhsa_user_sgpr_kernarg_preload_length 0
		.amdhsa_user_sgpr_kernarg_preload_offset 0
		.amdhsa_user_sgpr_private_segment_size 0
		.amdhsa_wavefront_size32 1
		.amdhsa_uses_dynamic_stack 0
		.amdhsa_enable_private_segment 0
		.amdhsa_system_sgpr_workgroup_id_x 1
		.amdhsa_system_sgpr_workgroup_id_y 0
		.amdhsa_system_sgpr_workgroup_id_z 1
		.amdhsa_system_sgpr_workgroup_info 0
		.amdhsa_system_vgpr_workitem_id 0
		.amdhsa_next_free_vgpr 34
		.amdhsa_next_free_sgpr 45
		.amdhsa_named_barrier_count 0
		.amdhsa_reserve_vcc 1
		.amdhsa_float_round_mode_32 0
		.amdhsa_float_round_mode_16_64 0
		.amdhsa_float_denorm_mode_32 3
		.amdhsa_float_denorm_mode_16_64 3
		.amdhsa_fp16_overflow 0
		.amdhsa_memory_ordered 1
		.amdhsa_forward_progress 1
		.amdhsa_inst_pref_size 15
		.amdhsa_round_robin_scheduling 0
		.amdhsa_exception_fp_ieee_invalid_op 0
		.amdhsa_exception_fp_denorm_src 0
		.amdhsa_exception_fp_ieee_div_zero 0
		.amdhsa_exception_fp_ieee_overflow 0
		.amdhsa_exception_fp_ieee_underflow 0
		.amdhsa_exception_fp_ieee_inexact 0
		.amdhsa_exception_int_div_zero 0
	.end_amdhsa_kernel
	.section	.text._ZL32rocblas_gemvt_warp_reduce_kernelILb0ELi1024ElPK19rocblas_complex_numIfES3_KPS1_EviiT3_lPKT2_lT1_lS9_lSA_lS6_lPT4_lSA_li,"axG",@progbits,_ZL32rocblas_gemvt_warp_reduce_kernelILb0ELi1024ElPK19rocblas_complex_numIfES3_KPS1_EviiT3_lPKT2_lT1_lS9_lSA_lS6_lPT4_lSA_li,comdat
.Lfunc_end321:
	.size	_ZL32rocblas_gemvt_warp_reduce_kernelILb0ELi1024ElPK19rocblas_complex_numIfES3_KPS1_EviiT3_lPKT2_lT1_lS9_lSA_lS6_lPT4_lSA_li, .Lfunc_end321-_ZL32rocblas_gemvt_warp_reduce_kernelILb0ELi1024ElPK19rocblas_complex_numIfES3_KPS1_EviiT3_lPKT2_lT1_lS9_lSA_lS6_lPT4_lSA_li
                                        ; -- End function
	.set _ZL32rocblas_gemvt_warp_reduce_kernelILb0ELi1024ElPK19rocblas_complex_numIfES3_KPS1_EviiT3_lPKT2_lT1_lS9_lSA_lS6_lPT4_lSA_li.num_vgpr, 34
	.set _ZL32rocblas_gemvt_warp_reduce_kernelILb0ELi1024ElPK19rocblas_complex_numIfES3_KPS1_EviiT3_lPKT2_lT1_lS9_lSA_lS6_lPT4_lSA_li.num_agpr, 0
	.set _ZL32rocblas_gemvt_warp_reduce_kernelILb0ELi1024ElPK19rocblas_complex_numIfES3_KPS1_EviiT3_lPKT2_lT1_lS9_lSA_lS6_lPT4_lSA_li.numbered_sgpr, 45
	.set _ZL32rocblas_gemvt_warp_reduce_kernelILb0ELi1024ElPK19rocblas_complex_numIfES3_KPS1_EviiT3_lPKT2_lT1_lS9_lSA_lS6_lPT4_lSA_li.num_named_barrier, 0
	.set _ZL32rocblas_gemvt_warp_reduce_kernelILb0ELi1024ElPK19rocblas_complex_numIfES3_KPS1_EviiT3_lPKT2_lT1_lS9_lSA_lS6_lPT4_lSA_li.private_seg_size, 0
	.set _ZL32rocblas_gemvt_warp_reduce_kernelILb0ELi1024ElPK19rocblas_complex_numIfES3_KPS1_EviiT3_lPKT2_lT1_lS9_lSA_lS6_lPT4_lSA_li.uses_vcc, 1
	.set _ZL32rocblas_gemvt_warp_reduce_kernelILb0ELi1024ElPK19rocblas_complex_numIfES3_KPS1_EviiT3_lPKT2_lT1_lS9_lSA_lS6_lPT4_lSA_li.uses_flat_scratch, 0
	.set _ZL32rocblas_gemvt_warp_reduce_kernelILb0ELi1024ElPK19rocblas_complex_numIfES3_KPS1_EviiT3_lPKT2_lT1_lS9_lSA_lS6_lPT4_lSA_li.has_dyn_sized_stack, 0
	.set _ZL32rocblas_gemvt_warp_reduce_kernelILb0ELi1024ElPK19rocblas_complex_numIfES3_KPS1_EviiT3_lPKT2_lT1_lS9_lSA_lS6_lPT4_lSA_li.has_recursion, 0
	.set _ZL32rocblas_gemvt_warp_reduce_kernelILb0ELi1024ElPK19rocblas_complex_numIfES3_KPS1_EviiT3_lPKT2_lT1_lS9_lSA_lS6_lPT4_lSA_li.has_indirect_call, 0
	.section	.AMDGPU.csdata,"",@progbits
; Kernel info:
; codeLenInByte = 1824
; TotalNumSgprs: 47
; NumVgprs: 34
; ScratchSize: 0
; MemoryBound: 0
; FloatMode: 240
; IeeeMode: 1
; LDSByteSize: 256 bytes/workgroup (compile time only)
; SGPRBlocks: 0
; VGPRBlocks: 2
; NumSGPRsForWavesPerEU: 47
; NumVGPRsForWavesPerEU: 34
; NamedBarCnt: 0
; Occupancy: 16
; WaveLimiterHint : 1
; COMPUTE_PGM_RSRC2:SCRATCH_EN: 0
; COMPUTE_PGM_RSRC2:USER_SGPR: 2
; COMPUTE_PGM_RSRC2:TRAP_HANDLER: 0
; COMPUTE_PGM_RSRC2:TGID_X_EN: 1
; COMPUTE_PGM_RSRC2:TGID_Y_EN: 0
; COMPUTE_PGM_RSRC2:TGID_Z_EN: 1
; COMPUTE_PGM_RSRC2:TIDIG_COMP_CNT: 0
	.section	.text._ZL32rocblas_gemvt_warp_reduce_kernelILb0ELi1024EiPK19rocblas_complex_numIfES1_KPS1_EviiT3_lPKT2_lT1_lS9_lSA_lS6_lPT4_lSA_li,"axG",@progbits,_ZL32rocblas_gemvt_warp_reduce_kernelILb0ELi1024EiPK19rocblas_complex_numIfES1_KPS1_EviiT3_lPKT2_lT1_lS9_lSA_lS6_lPT4_lSA_li,comdat
	.globl	_ZL32rocblas_gemvt_warp_reduce_kernelILb0ELi1024EiPK19rocblas_complex_numIfES1_KPS1_EviiT3_lPKT2_lT1_lS9_lSA_lS6_lPT4_lSA_li ; -- Begin function _ZL32rocblas_gemvt_warp_reduce_kernelILb0ELi1024EiPK19rocblas_complex_numIfES1_KPS1_EviiT3_lPKT2_lT1_lS9_lSA_lS6_lPT4_lSA_li
	.p2align	8
	.type	_ZL32rocblas_gemvt_warp_reduce_kernelILb0ELi1024EiPK19rocblas_complex_numIfES1_KPS1_EviiT3_lPKT2_lT1_lS9_lSA_lS6_lPT4_lSA_li,@function
_ZL32rocblas_gemvt_warp_reduce_kernelILb0ELi1024EiPK19rocblas_complex_numIfES1_KPS1_EviiT3_lPKT2_lT1_lS9_lSA_lS6_lPT4_lSA_li: ; @_ZL32rocblas_gemvt_warp_reduce_kernelILb0ELi1024EiPK19rocblas_complex_numIfES1_KPS1_EviiT3_lPKT2_lT1_lS9_lSA_lS6_lPT4_lSA_li
; %bb.0:
	s_load_b32 s5, s[0:1], 0x88
	s_bfe_u32 s2, ttmp6, 0x40014
	s_lshr_b32 s4, ttmp7, 16
	s_add_co_i32 s2, s2, 1
	s_bfe_u32 s6, ttmp6, 0x40008
	s_mul_i32 s2, s4, s2
	s_getreg_b32 s3, hwreg(HW_REG_IB_STS2, 6, 4)
	s_add_co_i32 s6, s6, s2
	s_cmp_eq_u32 s3, 0
	s_mov_b32 s7, 0
	s_cselect_b32 s6, s4, s6
	s_wait_kmcnt 0x0
	s_cmp_ge_u32 s6, s5
	s_cbranch_scc1 .LBB322_36
; %bb.1:
	s_clause 0x8
	s_load_b64 s[20:21], s[0:1], 0x8
	s_load_b64 s[22:23], s[0:1], 0x58
	s_load_b32 s4, s[0:1], 0x0
	s_load_b32 s34, s[0:1], 0x78
	s_load_b128 s[8:11], s[0:1], 0x68
	s_load_b128 s[12:15], s[0:1], 0x18
	s_load_b32 s29, s[0:1], 0x28
	s_load_b128 s[16:19], s[0:1], 0x38
	s_load_b32 s30, s[0:1], 0x48
	v_dual_mov_b32 v3, 0 :: v_dual_bitop2_b32 v2, 31, v0 bitop3:0x40
	v_lshrrev_b32_e32 v6, 2, v0
	v_mov_b64_e32 v[4:5], 0
	s_wait_xcnt 0x0
	v_cmp_eq_u32_e64 s0, 0, v0
	v_cmp_gt_u32_e64 s1, 32, v0
	v_lshlrev_b32_e32 v1, 3, v2
	v_and_b32_e32 v16, 0xf8, v6
	v_mbcnt_lo_u32_b32 v18, -1, 0
	s_wait_kmcnt 0x0
	s_cmp_neq_f32 s20, 0
	s_mov_b32 s25, s22
	v_cmp_gt_i32_e32 vcc_lo, s4, v0
	s_cselect_b32 s2, -1, 0
	s_cmp_neq_f32 s21, 0
	v_mul_lo_u32 v17, v0, s30
	s_cselect_b32 s24, -1, 0
	s_delay_alu instid0(SALU_CYCLE_1)
	s_or_b32 s31, s2, s24
	s_cmp_neq_f32 s22, 1.0
	s_cselect_b32 s35, -1, 0
	s_cmp_neq_f32 s23, 0
	s_cselect_b32 s36, -1, 0
	s_or_b32 s2, s20, s21
	s_delay_alu instid0(SALU_CYCLE_1)
	s_and_b32 s24, s2, 0x7fffffff
	v_cmp_eq_u32_e64 s2, 0, v2
	s_cmp_lg_u32 s24, 0
	s_cselect_b32 s33, -1, 0
	s_cmp_eq_u32 s24, 0
	s_mov_b32 s24, s23
	s_cselect_b32 s38, -1, 0
	s_cmp_neq_f32 s22, 0
	s_cselect_b32 s26, -1, 0
	s_bfe_u32 s27, ttmp6, 0x4000c
	s_and_b32 s28, ttmp6, 15
	s_add_co_i32 s27, s27, 1
	s_or_b32 s39, s26, s36
	s_mul_i32 s27, ttmp9, s27
	s_mov_b32 s26, s21
	s_add_co_i32 s28, s28, s27
	s_cmp_eq_u32 s3, 0
	s_mov_b32 s27, s20
	s_cselect_b32 s3, ttmp9, s28
	s_ashr_i32 s28, s4, 31
	s_mul_i32 s34, s34, s3
	s_lshr_b32 s28, s28, 22
	s_lshl_b32 s40, s30, 10
	s_add_co_i32 s28, s4, s28
	s_or_b32 s31, s31, s35
	s_and_b32 s28, s28, 0xfffffc00
	s_delay_alu instid0(SALU_CYCLE_1) | instskip(SKIP_3) | instid1(VALU_DEP_1)
	v_dual_cndmask_b32 v2, 0, v0, vcc_lo :: v_dual_bitop2_b32 v7, s28, v0 bitop3:0x54
	s_ashr_i32 s35, s34, 31
	s_lshl_b64 s[14:15], s[14:15], 3
	s_or_b32 s41, s31, s36
	v_lshlrev_b32_e32 v2, 3, v2
	v_mul_lo_u32 v6, s30, v7
	s_mul_i32 s30, s29, s3
	v_cmp_gt_i32_e64 s3, s28, v0
	v_cmp_gt_i32_e64 s4, s4, v7
	s_ashr_i32 s31, s30, 31
	s_ashr_i32 s29, s28, 31
	s_lshl_b64 s[18:19], s[18:19], 3
	s_lshl_b64 s[10:11], s[10:11], 3
	;; [unrolled: 1-line block ×3, first 2 shown]
	v_ashrrev_i32_e32 v7, 31, v6
	s_branch .LBB322_5
.LBB322_2:                              ;   in Loop: Header=BB322_5 Depth=1
	s_delay_alu instid0(VALU_DEP_1)
	v_mov_b32_e32 v11, v9
	flat_store_b64 v3, v[10:11], s[36:37]
.LBB322_3:                              ;   in Loop: Header=BB322_5 Depth=1
	s_wait_xcnt 0x0
	s_or_b32 exec_lo, exec_lo, s42
.LBB322_4:                              ;   in Loop: Header=BB322_5 Depth=1
	s_add_co_i32 s6, s6, 0x10000
	s_delay_alu instid0(SALU_CYCLE_1)
	s_cmp_lt_u32 s6, s5
	s_cbranch_scc0 .LBB322_36
.LBB322_5:                              ; =>This Loop Header: Depth=1
                                        ;     Child Loop BB322_29 Depth 2
	s_and_not1_b32 vcc_lo, exec_lo, s41
	s_cbranch_vccnz .LBB322_4
; %bb.6:                                ;   in Loop: Header=BB322_5 Depth=1
	s_and_not1_b32 vcc_lo, exec_lo, s38
	s_cbranch_vccnz .LBB322_8
; %bb.7:                                ;   in Loop: Header=BB322_5 Depth=1
	s_wait_dscnt 0x0
	v_mov_b64_e32 v[8:9], 0
	v_mov_b64_e32 v[10:11], 0
	s_cbranch_execz .LBB322_9
	s_branch .LBB322_10
.LBB322_8:                              ;   in Loop: Header=BB322_5 Depth=1
	s_wait_dscnt 0x0
	v_mov_b64_e32 v[8:9], 0
	v_mov_b64_e32 v[10:11], 0
.LBB322_9:                              ;   in Loop: Header=BB322_5 Depth=1
	s_lshl_b64 s[36:37], s[6:7], 3
	s_delay_alu instid0(SALU_CYCLE_1)
	s_add_nc_u64 s[36:37], s[12:13], s[36:37]
	global_load_b64 v[10:11], v3, s[36:37]
	s_wait_loadcnt 0x0
	v_add_nc_u64_e32 v[10:11], s[14:15], v[10:11]
.LBB322_10:                             ;   in Loop: Header=BB322_5 Depth=1
	s_and_not1_b32 vcc_lo, exec_lo, s33
	s_cbranch_vccnz .LBB322_12
; %bb.11:                               ;   in Loop: Header=BB322_5 Depth=1
	s_wait_xcnt 0x0
	s_lshl_b64 s[36:37], s[6:7], 3
	s_delay_alu instid0(SALU_CYCLE_1)
	s_add_nc_u64 s[36:37], s[16:17], s[36:37]
	global_load_b64 v[8:9], v3, s[36:37]
	s_wait_loadcnt 0x0
	v_add_nc_u64_e32 v[8:9], s[18:19], v[8:9]
.LBB322_12:                             ;   in Loop: Header=BB322_5 Depth=1
	s_wait_xcnt 0x0
	s_lshl_b64 s[36:37], s[6:7], 3
	s_and_not1_b32 vcc_lo, exec_lo, s38
	s_add_nc_u64 s[36:37], s[8:9], s[36:37]
	s_mov_b32 s42, -1
	global_load_b64 v[12:13], v3, s[36:37]
	s_wait_loadcnt 0x0
	s_wait_xcnt 0x0
	v_readfirstlane_b32 s36, v12
	v_readfirstlane_b32 s37, v13
	s_add_nc_u64 s[36:37], s[36:37], s[10:11]
	s_cbranch_vccnz .LBB322_18
; %bb.13:                               ;   in Loop: Header=BB322_5 Depth=1
	s_and_saveexec_b32 s42, s0
	s_cbranch_execz .LBB322_17
; %bb.14:                               ;   in Loop: Header=BB322_5 Depth=1
	v_dual_mov_b32 v12, 0 :: v_dual_mov_b32 v13, 0
	s_and_not1_b32 vcc_lo, exec_lo, s39
	s_cbranch_vccnz .LBB322_16
; %bb.15:                               ;   in Loop: Header=BB322_5 Depth=1
	s_add_nc_u64 s[44:45], s[36:37], s[34:35]
	v_mov_b64_e32 v[14:15], s[24:25]
	flat_load_b64 v[12:13], v3, s[44:45]
	v_mov_b64_e32 v[20:21], s[22:23]
	s_wait_loadcnt_dscnt 0x0
	v_pk_mul_f32 v[14:15], v[14:15], v[12:13] op_sel:[0,1]
	s_delay_alu instid0(VALU_DEP_1) | instskip(SKIP_1) | instid1(VALU_DEP_2)
	v_pk_fma_f32 v[22:23], v[20:21], v[12:13], v[14:15] op_sel_hi:[1,0,1]
	v_pk_fma_f32 v[12:13], v[20:21], v[12:13], v[14:15] neg_lo:[0,0,1] neg_hi:[0,0,1]
	v_mov_b32_e32 v13, v23
.LBB322_16:                             ;   in Loop: Header=BB322_5 Depth=1
	s_wait_xcnt 0x0
	s_add_nc_u64 s[44:45], s[36:37], s[34:35]
	flat_store_b64 v3, v[12:13], s[44:45]
.LBB322_17:                             ;   in Loop: Header=BB322_5 Depth=1
	s_wait_xcnt 0x0
	s_or_b32 exec_lo, exec_lo, s42
	s_mov_b32 s42, 0
.LBB322_18:                             ;   in Loop: Header=BB322_5 Depth=1
	s_delay_alu instid0(SALU_CYCLE_1)
	s_and_not1_b32 vcc_lo, exec_lo, s42
	s_cbranch_vccnz .LBB322_4
; %bb.19:                               ;   in Loop: Header=BB322_5 Depth=1
	v_add_nc_u64_e32 v[12:13], v[10:11], v[2:3]
	v_mov_b64_e32 v[10:11], 0
	s_delay_alu instid0(VALU_DEP_2)
	v_lshl_add_u64 v[12:13], s[30:31], 3, v[12:13]
	s_and_saveexec_b32 s42, s3
	s_cbranch_execnz .LBB322_28
; %bb.20:                               ;   in Loop: Header=BB322_5 Depth=1
	s_or_b32 exec_lo, exec_lo, s42
	s_and_saveexec_b32 s42, s4
	s_cbranch_execnz .LBB322_31
.LBB322_21:                             ;   in Loop: Header=BB322_5 Depth=1
	s_or_b32 exec_lo, exec_lo, s42
	s_and_saveexec_b32 s42, s1
.LBB322_22:                             ;   in Loop: Header=BB322_5 Depth=1
	ds_store_b64 v1, v[4:5]
.LBB322_23:                             ;   in Loop: Header=BB322_5 Depth=1
	s_or_b32 exec_lo, exec_lo, s42
	v_lshl_or_b32 v12, v18, 2, 64
	v_cmp_gt_u32_e32 vcc_lo, 24, v18
	s_wait_storecnt_dscnt 0x0
	s_barrier_signal -1
	s_barrier_wait -1
	ds_bpermute_b32 v8, v12, v10
	ds_bpermute_b32 v9, v12, v11
	v_cndmask_b32_e64 v13, 0, 8, vcc_lo
	v_cmp_gt_u32_e32 vcc_lo, 28, v18
	s_wait_dscnt 0x0
	s_delay_alu instid0(VALU_DEP_2) | instskip(SKIP_2) | instid1(VALU_DEP_2)
	v_add_lshl_u32 v13, v13, v18, 2
	v_cndmask_b32_e64 v14, 0, 4, vcc_lo
	v_cmp_gt_u32_e32 vcc_lo, 30, v18
	v_add_lshl_u32 v14, v14, v18, 2
	v_cndmask_b32_e64 v15, 0, 2, vcc_lo
	v_cmp_ne_u32_e32 vcc_lo, 31, v18
	s_delay_alu instid0(VALU_DEP_2) | instskip(SKIP_2) | instid1(VALU_DEP_2)
	v_add_lshl_u32 v15, v15, v18, 2
	v_add_co_ci_u32_e64 v19, null, 0, v18, vcc_lo
	v_pk_add_f32 v[8:9], v[10:11], v[8:9]
	v_lshlrev_b32_e32 v19, 2, v19
	ds_bpermute_b32 v10, v13, v8
	ds_bpermute_b32 v11, v13, v9
	s_wait_dscnt 0x0
	v_pk_add_f32 v[8:9], v[8:9], v[10:11]
	ds_bpermute_b32 v10, v14, v8
	ds_bpermute_b32 v11, v14, v9
	s_wait_dscnt 0x0
	v_pk_add_f32 v[8:9], v[8:9], v[10:11]
	;; [unrolled: 4-line block ×3, first 2 shown]
	ds_bpermute_b32 v10, v19, v8
	ds_bpermute_b32 v11, v19, v9
	s_and_saveexec_b32 s42, s2
	s_cbranch_execz .LBB322_25
; %bb.24:                               ;   in Loop: Header=BB322_5 Depth=1
	s_wait_dscnt 0x0
	v_pk_add_f32 v[8:9], v[8:9], v[10:11]
	ds_store_b64 v16, v[8:9]
.LBB322_25:                             ;   in Loop: Header=BB322_5 Depth=1
	s_or_b32 exec_lo, exec_lo, s42
	v_mov_b64_e32 v[8:9], 0
	s_wait_dscnt 0x0
	s_barrier_signal -1
	s_barrier_wait -1
	s_and_saveexec_b32 s42, s1
	s_cbranch_execnz .LBB322_32
; %bb.26:                               ;   in Loop: Header=BB322_5 Depth=1
	s_or_b32 exec_lo, exec_lo, s42
	s_and_saveexec_b32 s42, s1
	s_cbranch_execnz .LBB322_33
.LBB322_27:                             ;   in Loop: Header=BB322_5 Depth=1
	s_or_b32 exec_lo, exec_lo, s42
	s_and_saveexec_b32 s42, s0
	s_cbranch_execz .LBB322_3
	s_branch .LBB322_34
.LBB322_28:                             ;   in Loop: Header=BB322_5 Depth=1
	v_dual_mov_b32 v10, 0 :: v_dual_mov_b32 v19, v0
	s_delay_alu instid0(VALU_DEP_2) | instskip(SKIP_2) | instid1(VALU_DEP_3)
	v_mov_b64_e32 v[14:15], v[12:13]
	v_mov_b32_e32 v20, v17
	s_mov_b32 s43, 0
	v_mov_b32_e32 v11, v10
.LBB322_29:                             ;   Parent Loop BB322_5 Depth=1
                                        ; =>  This Inner Loop Header: Depth=2
	v_readfirstlane_b32 s44, v8
	v_readfirstlane_b32 s45, v9
	v_add_nc_u32_e32 v19, 0x400, v19
	flat_load_b64 v[22:23], v[14:15]
	flat_load_b64 v[24:25], v20, s[44:45] scale_offset
	s_wait_xcnt 0x1
	v_add_nc_u64_e32 v[14:15], 0x2000, v[14:15]
	v_cmp_le_i32_e32 vcc_lo, s28, v19
	s_wait_xcnt 0x0
	v_add_nc_u32_e32 v20, s40, v20
	s_or_b32 s43, vcc_lo, s43
	s_wait_loadcnt_dscnt 0x0
	v_pk_mul_f32 v[26:27], v[24:25], v[22:23] op_sel:[1,1] op_sel_hi:[0,1]
	s_delay_alu instid0(VALU_DEP_1) | instskip(SKIP_1) | instid1(VALU_DEP_2)
	v_pk_fma_f32 v[28:29], v[24:25], v[22:23], v[26:27] op_sel_hi:[1,0,1]
	v_pk_fma_f32 v[22:23], v[24:25], v[22:23], v[26:27] neg_lo:[0,0,1] neg_hi:[0,0,1]
	v_mov_b32_e32 v23, v29
	s_delay_alu instid0(VALU_DEP_1)
	v_pk_add_f32 v[10:11], v[10:11], v[22:23]
	s_and_not1_b32 exec_lo, exec_lo, s43
	s_cbranch_execnz .LBB322_29
; %bb.30:                               ;   in Loop: Header=BB322_5 Depth=1
	s_or_b32 exec_lo, exec_lo, s43
	s_delay_alu instid0(SALU_CYCLE_1)
	s_or_b32 exec_lo, exec_lo, s42
	s_and_saveexec_b32 s42, s4
	s_cbranch_execz .LBB322_21
.LBB322_31:                             ;   in Loop: Header=BB322_5 Depth=1
	v_lshl_add_u64 v[12:13], s[28:29], 3, v[12:13]
	v_lshl_add_u64 v[8:9], v[6:7], 3, v[8:9]
	flat_load_b64 v[14:15], v[12:13]
	flat_load_b64 v[20:21], v[8:9]
	s_wait_loadcnt_dscnt 0x0
	v_pk_mul_f32 v[8:9], v[20:21], v[14:15] op_sel:[1,1] op_sel_hi:[0,1]
	s_delay_alu instid0(VALU_DEP_1) | instskip(SKIP_1) | instid1(VALU_DEP_2)
	v_pk_fma_f32 v[12:13], v[20:21], v[14:15], v[8:9] op_sel_hi:[1,0,1]
	v_pk_fma_f32 v[8:9], v[20:21], v[14:15], v[8:9] neg_lo:[0,0,1] neg_hi:[0,0,1]
	v_mov_b32_e32 v9, v13
	s_delay_alu instid0(VALU_DEP_1)
	v_pk_add_f32 v[10:11], v[10:11], v[8:9]
	s_or_b32 exec_lo, exec_lo, s42
	s_and_saveexec_b32 s42, s1
	s_cbranch_execnz .LBB322_22
	s_branch .LBB322_23
.LBB322_32:                             ;   in Loop: Header=BB322_5 Depth=1
	ds_load_b64 v[8:9], v1
	s_or_b32 exec_lo, exec_lo, s42
	s_and_saveexec_b32 s42, s1
	s_cbranch_execz .LBB322_27
.LBB322_33:                             ;   in Loop: Header=BB322_5 Depth=1
	s_wait_dscnt 0x0
	ds_bpermute_b32 v10, v12, v8
	ds_bpermute_b32 v11, v12, v9
	s_wait_dscnt 0x0
	v_pk_add_f32 v[8:9], v[8:9], v[10:11]
	ds_bpermute_b32 v10, v13, v8
	ds_bpermute_b32 v11, v13, v9
	s_wait_dscnt 0x0
	v_pk_add_f32 v[8:9], v[8:9], v[10:11]
	;; [unrolled: 4-line block ×5, first 2 shown]
	s_or_b32 exec_lo, exec_lo, s42
	s_and_saveexec_b32 s42, s0
	s_cbranch_execz .LBB322_3
.LBB322_34:                             ;   in Loop: Header=BB322_5 Depth=1
	v_mov_b64_e32 v[10:11], s[26:27]
	v_mov_b64_e32 v[12:13], s[20:21]
	s_and_not1_b32 vcc_lo, exec_lo, s39
	s_add_nc_u64 s[36:37], s[36:37], s[34:35]
	s_wait_dscnt 0x0
	s_delay_alu instid0(VALU_DEP_2) | instskip(NEXT) | instid1(VALU_DEP_1)
	v_pk_mul_f32 v[14:15], v[8:9], v[10:11] op_sel:[1,0]
	v_pk_fma_f32 v[10:11], v[8:9], v[12:13], v[14:15] op_sel_hi:[0,1,1] neg_lo:[0,0,1] neg_hi:[0,0,1]
	v_pk_fma_f32 v[8:9], v[8:9], v[12:13], v[14:15] op_sel_hi:[0,1,1]
	s_cbranch_vccnz .LBB322_2
; %bb.35:                               ;   in Loop: Header=BB322_5 Depth=1
	flat_load_b64 v[12:13], v3, s[36:37]
	v_mov_b64_e32 v[14:15], s[24:25]
	v_mov_b64_e32 v[20:21], s[22:23]
	s_wait_loadcnt_dscnt 0x0
	s_delay_alu instid0(VALU_DEP_2) | instskip(NEXT) | instid1(VALU_DEP_1)
	v_pk_mul_f32 v[14:15], v[14:15], v[12:13] op_sel:[0,1]
	v_pk_fma_f32 v[22:23], v[20:21], v[12:13], v[14:15] op_sel_hi:[1,0,1]
	v_mov_b32_e32 v11, v9
	v_pk_fma_f32 v[8:9], v[20:21], v[12:13], v[14:15] neg_lo:[0,0,1] neg_hi:[0,0,1]
	s_delay_alu instid0(VALU_DEP_3) | instskip(NEXT) | instid1(VALU_DEP_1)
	v_mov_b32_e32 v9, v23
	v_pk_add_f32 v[10:11], v[10:11], v[8:9]
	s_delay_alu instid0(VALU_DEP_1)
	v_mov_b32_e32 v9, v11
	s_branch .LBB322_2
.LBB322_36:
	s_endpgm
	.section	.rodata,"a",@progbits
	.p2align	6, 0x0
	.amdhsa_kernel _ZL32rocblas_gemvt_warp_reduce_kernelILb0ELi1024EiPK19rocblas_complex_numIfES1_KPS1_EviiT3_lPKT2_lT1_lS9_lSA_lS6_lPT4_lSA_li
		.amdhsa_group_segment_fixed_size 256
		.amdhsa_private_segment_fixed_size 0
		.amdhsa_kernarg_size 140
		.amdhsa_user_sgpr_count 2
		.amdhsa_user_sgpr_dispatch_ptr 0
		.amdhsa_user_sgpr_queue_ptr 0
		.amdhsa_user_sgpr_kernarg_segment_ptr 1
		.amdhsa_user_sgpr_dispatch_id 0
		.amdhsa_user_sgpr_kernarg_preload_length 0
		.amdhsa_user_sgpr_kernarg_preload_offset 0
		.amdhsa_user_sgpr_private_segment_size 0
		.amdhsa_wavefront_size32 1
		.amdhsa_uses_dynamic_stack 0
		.amdhsa_enable_private_segment 0
		.amdhsa_system_sgpr_workgroup_id_x 1
		.amdhsa_system_sgpr_workgroup_id_y 0
		.amdhsa_system_sgpr_workgroup_id_z 1
		.amdhsa_system_sgpr_workgroup_info 0
		.amdhsa_system_vgpr_workitem_id 0
		.amdhsa_next_free_vgpr 30
		.amdhsa_next_free_sgpr 46
		.amdhsa_named_barrier_count 0
		.amdhsa_reserve_vcc 1
		.amdhsa_float_round_mode_32 0
		.amdhsa_float_round_mode_16_64 0
		.amdhsa_float_denorm_mode_32 3
		.amdhsa_float_denorm_mode_16_64 3
		.amdhsa_fp16_overflow 0
		.amdhsa_memory_ordered 1
		.amdhsa_forward_progress 1
		.amdhsa_inst_pref_size 15
		.amdhsa_round_robin_scheduling 0
		.amdhsa_exception_fp_ieee_invalid_op 0
		.amdhsa_exception_fp_denorm_src 0
		.amdhsa_exception_fp_ieee_div_zero 0
		.amdhsa_exception_fp_ieee_overflow 0
		.amdhsa_exception_fp_ieee_underflow 0
		.amdhsa_exception_fp_ieee_inexact 0
		.amdhsa_exception_int_div_zero 0
	.end_amdhsa_kernel
	.section	.text._ZL32rocblas_gemvt_warp_reduce_kernelILb0ELi1024EiPK19rocblas_complex_numIfES1_KPS1_EviiT3_lPKT2_lT1_lS9_lSA_lS6_lPT4_lSA_li,"axG",@progbits,_ZL32rocblas_gemvt_warp_reduce_kernelILb0ELi1024EiPK19rocblas_complex_numIfES1_KPS1_EviiT3_lPKT2_lT1_lS9_lSA_lS6_lPT4_lSA_li,comdat
.Lfunc_end322:
	.size	_ZL32rocblas_gemvt_warp_reduce_kernelILb0ELi1024EiPK19rocblas_complex_numIfES1_KPS1_EviiT3_lPKT2_lT1_lS9_lSA_lS6_lPT4_lSA_li, .Lfunc_end322-_ZL32rocblas_gemvt_warp_reduce_kernelILb0ELi1024EiPK19rocblas_complex_numIfES1_KPS1_EviiT3_lPKT2_lT1_lS9_lSA_lS6_lPT4_lSA_li
                                        ; -- End function
	.set _ZL32rocblas_gemvt_warp_reduce_kernelILb0ELi1024EiPK19rocblas_complex_numIfES1_KPS1_EviiT3_lPKT2_lT1_lS9_lSA_lS6_lPT4_lSA_li.num_vgpr, 30
	.set _ZL32rocblas_gemvt_warp_reduce_kernelILb0ELi1024EiPK19rocblas_complex_numIfES1_KPS1_EviiT3_lPKT2_lT1_lS9_lSA_lS6_lPT4_lSA_li.num_agpr, 0
	.set _ZL32rocblas_gemvt_warp_reduce_kernelILb0ELi1024EiPK19rocblas_complex_numIfES1_KPS1_EviiT3_lPKT2_lT1_lS9_lSA_lS6_lPT4_lSA_li.numbered_sgpr, 46
	.set _ZL32rocblas_gemvt_warp_reduce_kernelILb0ELi1024EiPK19rocblas_complex_numIfES1_KPS1_EviiT3_lPKT2_lT1_lS9_lSA_lS6_lPT4_lSA_li.num_named_barrier, 0
	.set _ZL32rocblas_gemvt_warp_reduce_kernelILb0ELi1024EiPK19rocblas_complex_numIfES1_KPS1_EviiT3_lPKT2_lT1_lS9_lSA_lS6_lPT4_lSA_li.private_seg_size, 0
	.set _ZL32rocblas_gemvt_warp_reduce_kernelILb0ELi1024EiPK19rocblas_complex_numIfES1_KPS1_EviiT3_lPKT2_lT1_lS9_lSA_lS6_lPT4_lSA_li.uses_vcc, 1
	.set _ZL32rocblas_gemvt_warp_reduce_kernelILb0ELi1024EiPK19rocblas_complex_numIfES1_KPS1_EviiT3_lPKT2_lT1_lS9_lSA_lS6_lPT4_lSA_li.uses_flat_scratch, 0
	.set _ZL32rocblas_gemvt_warp_reduce_kernelILb0ELi1024EiPK19rocblas_complex_numIfES1_KPS1_EviiT3_lPKT2_lT1_lS9_lSA_lS6_lPT4_lSA_li.has_dyn_sized_stack, 0
	.set _ZL32rocblas_gemvt_warp_reduce_kernelILb0ELi1024EiPK19rocblas_complex_numIfES1_KPS1_EviiT3_lPKT2_lT1_lS9_lSA_lS6_lPT4_lSA_li.has_recursion, 0
	.set _ZL32rocblas_gemvt_warp_reduce_kernelILb0ELi1024EiPK19rocblas_complex_numIfES1_KPS1_EviiT3_lPKT2_lT1_lS9_lSA_lS6_lPT4_lSA_li.has_indirect_call, 0
	.section	.AMDGPU.csdata,"",@progbits
; Kernel info:
; codeLenInByte = 1804
; TotalNumSgprs: 48
; NumVgprs: 30
; ScratchSize: 0
; MemoryBound: 0
; FloatMode: 240
; IeeeMode: 1
; LDSByteSize: 256 bytes/workgroup (compile time only)
; SGPRBlocks: 0
; VGPRBlocks: 1
; NumSGPRsForWavesPerEU: 48
; NumVGPRsForWavesPerEU: 30
; NamedBarCnt: 0
; Occupancy: 16
; WaveLimiterHint : 1
; COMPUTE_PGM_RSRC2:SCRATCH_EN: 0
; COMPUTE_PGM_RSRC2:USER_SGPR: 2
; COMPUTE_PGM_RSRC2:TRAP_HANDLER: 0
; COMPUTE_PGM_RSRC2:TGID_X_EN: 1
; COMPUTE_PGM_RSRC2:TGID_Y_EN: 0
; COMPUTE_PGM_RSRC2:TGID_Z_EN: 1
; COMPUTE_PGM_RSRC2:TIDIG_COMP_CNT: 0
	.section	.text._ZL32rocblas_gemvt_warp_reduce_kernelILb0ELi1024ElPK19rocblas_complex_numIfES1_KPS1_EviiT3_lPKT2_lT1_lS9_lSA_lS6_lPT4_lSA_li,"axG",@progbits,_ZL32rocblas_gemvt_warp_reduce_kernelILb0ELi1024ElPK19rocblas_complex_numIfES1_KPS1_EviiT3_lPKT2_lT1_lS9_lSA_lS6_lPT4_lSA_li,comdat
	.globl	_ZL32rocblas_gemvt_warp_reduce_kernelILb0ELi1024ElPK19rocblas_complex_numIfES1_KPS1_EviiT3_lPKT2_lT1_lS9_lSA_lS6_lPT4_lSA_li ; -- Begin function _ZL32rocblas_gemvt_warp_reduce_kernelILb0ELi1024ElPK19rocblas_complex_numIfES1_KPS1_EviiT3_lPKT2_lT1_lS9_lSA_lS6_lPT4_lSA_li
	.p2align	8
	.type	_ZL32rocblas_gemvt_warp_reduce_kernelILb0ELi1024ElPK19rocblas_complex_numIfES1_KPS1_EviiT3_lPKT2_lT1_lS9_lSA_lS6_lPT4_lSA_li,@function
_ZL32rocblas_gemvt_warp_reduce_kernelILb0ELi1024ElPK19rocblas_complex_numIfES1_KPS1_EviiT3_lPKT2_lT1_lS9_lSA_lS6_lPT4_lSA_li: ; @_ZL32rocblas_gemvt_warp_reduce_kernelILb0ELi1024ElPK19rocblas_complex_numIfES1_KPS1_EviiT3_lPKT2_lT1_lS9_lSA_lS6_lPT4_lSA_li
; %bb.0:
	s_load_b32 s5, s[0:1], 0x88
	s_bfe_u32 s2, ttmp6, 0x40014
	s_lshr_b32 s3, ttmp7, 16
	s_add_co_i32 s2, s2, 1
	s_bfe_u32 s6, ttmp6, 0x40008
	s_mul_i32 s4, s3, s2
	s_getreg_b32 s2, hwreg(HW_REG_IB_STS2, 6, 4)
	s_add_co_i32 s6, s6, s4
	s_cmp_eq_u32 s2, 0
	s_mov_b32 s7, 0
	s_cselect_b32 s6, s3, s6
	s_wait_kmcnt 0x0
	s_cmp_ge_u32 s6, s5
	s_cbranch_scc1 .LBB323_36
; %bb.1:
	s_clause 0x4
	s_load_b64 s[20:21], s[0:1], 0x8
	s_load_b64 s[22:23], s[0:1], 0x58
	;; [unrolled: 1-line block ×5, first 2 shown]
	v_mbcnt_lo_u32_b32 v21, -1, 0
	s_load_b128 s[16:19], s[0:1], 0x18
	s_wait_kmcnt 0x0
	s_cmp_neq_f32 s20, 0
	s_cselect_b32 s3, -1, 0
	s_cmp_neq_f32 s21, 0
	s_cselect_b32 s4, -1, 0
	s_delay_alu instid0(SALU_CYCLE_1)
	s_or_b32 s30, s3, s4
	s_cmp_neq_f32 s22, 1.0
	s_load_b32 s4, s[0:1], 0x0
	s_cselect_b32 s31, -1, 0
	s_cmp_neq_f32 s23, 0
	s_cselect_b32 s38, -1, 0
	s_or_b32 s3, s20, s21
	s_delay_alu instid0(SALU_CYCLE_1) | instskip(NEXT) | instid1(SALU_CYCLE_1)
	s_bitset0_b32 s3, 31
	s_cmp_lg_u32 s3, 0
	s_cselect_b32 s33, -1, 0
	s_cmp_eq_u32 s3, 0
	s_cselect_b32 s42, -1, 0
	s_cmp_neq_f32 s22, 0
	s_wait_kmcnt 0x0
	v_cmp_gt_i32_e32 vcc_lo, s4, v0
	s_cselect_b32 s3, -1, 0
	s_bfe_u32 s8, ttmp6, 0x4000c
	s_and_b32 s9, ttmp6, 15
	s_add_co_i32 s8, s8, 1
	s_or_b32 s43, s3, s38
	s_mul_i32 s8, ttmp9, s8
	v_cndmask_b32_e32 v2, 0, v0, vcc_lo
	s_add_co_i32 s9, s9, s8
	s_cmp_eq_u32 s2, 0
	s_cselect_b32 s2, ttmp9, s9
	s_ashr_i32 s3, s4, 31
	s_clause 0x1
	s_load_b128 s[8:11], s[0:1], 0x68
	s_load_b128 s[12:15], s[0:1], 0x38
	s_lshr_b32 s3, s3, 22
	s_wait_xcnt 0x0
	v_cmp_eq_u32_e64 s0, 0, v0
	s_add_co_i32 s3, s4, s3
	s_or_b32 s39, s30, s31
	s_and_b32 s24, s3, 0xfffffc00
	s_delay_alu instid0(SALU_CYCLE_1)
	v_dual_mov_b32 v3, 0 :: v_dual_bitop2_b32 v8, s24, v0 bitop3:0x54
	s_ashr_i32 s3, s2, 31
	v_cmp_gt_i32_e64 s1, s24, v0
	s_mul_u64 s[36:37], s[26:27], s[2:3]
	v_dual_mov_b32 v1, v3 :: v_dual_ashrrev_i32 v9, 31, v8
	s_mul_u64 s[26:27], s[28:29], s[2:3]
	v_cmp_gt_i32_e64 s2, s4, v8
	v_cmp_gt_u32_e64 s3, 32, v0
	s_delay_alu instid0(VALU_DEP_3)
	v_mul_u64_e32 v[6:7], s[34:35], v[0:1]
	v_mul_u64_e32 v[4:5], s[34:35], v[8:9]
	v_dual_lshrrev_b32 v8, 2, v0 :: v_dual_bitop2_b32 v9, 31, v0 bitop3:0x40
	v_lshlrev_b32_e32 v2, 3, v2
	s_ashr_i32 s25, s24, 31
	s_mov_b32 s28, s23
	s_delay_alu instid0(VALU_DEP_2)
	v_lshlrev_b32_e32 v1, 3, v9
	v_cmp_eq_u32_e64 s4, 0, v9
	v_and_b32_e32 v20, 0xf8, v8
	v_mov_b64_e32 v[8:9], 0
	s_mov_b32 s29, s22
	s_mov_b32 s30, s21
	;; [unrolled: 1-line block ×3, first 2 shown]
	s_lshl_b64 s[34:35], s[34:35], 13
	s_or_b32 s44, s39, s38
	s_lshl_b64 s[18:19], s[18:19], 3
	s_wait_kmcnt 0x0
	s_lshl_b64 s[14:15], s[14:15], 3
	s_lshl_b64 s[10:11], s[10:11], 3
	;; [unrolled: 1-line block ×3, first 2 shown]
	v_lshlrev_b64_e32 v[6:7], 3, v[6:7]
	s_branch .LBB323_5
.LBB323_2:                              ;   in Loop: Header=BB323_5 Depth=1
	s_delay_alu instid0(VALU_DEP_1)
	v_mov_b32_e32 v13, v11
	flat_store_b64 v3, v[12:13], s[38:39]
.LBB323_3:                              ;   in Loop: Header=BB323_5 Depth=1
	s_wait_xcnt 0x0
	s_or_b32 exec_lo, exec_lo, s40
.LBB323_4:                              ;   in Loop: Header=BB323_5 Depth=1
	s_add_co_i32 s6, s6, 0x10000
	s_delay_alu instid0(SALU_CYCLE_1)
	s_cmp_lt_u32 s6, s5
	s_cbranch_scc0 .LBB323_36
.LBB323_5:                              ; =>This Loop Header: Depth=1
                                        ;     Child Loop BB323_29 Depth 2
	s_and_not1_b32 vcc_lo, exec_lo, s44
	s_cbranch_vccnz .LBB323_4
; %bb.6:                                ;   in Loop: Header=BB323_5 Depth=1
	s_and_not1_b32 vcc_lo, exec_lo, s42
	s_cbranch_vccnz .LBB323_8
; %bb.7:                                ;   in Loop: Header=BB323_5 Depth=1
	s_wait_dscnt 0x0
	v_mov_b64_e32 v[10:11], 0
	v_mov_b64_e32 v[12:13], 0
	s_cbranch_execz .LBB323_9
	s_branch .LBB323_10
.LBB323_8:                              ;   in Loop: Header=BB323_5 Depth=1
	s_wait_dscnt 0x0
	v_mov_b64_e32 v[10:11], 0
	v_mov_b64_e32 v[12:13], 0
.LBB323_9:                              ;   in Loop: Header=BB323_5 Depth=1
	s_lshl_b64 s[38:39], s[6:7], 3
	s_delay_alu instid0(SALU_CYCLE_1)
	s_add_nc_u64 s[38:39], s[16:17], s[38:39]
	global_load_b64 v[12:13], v3, s[38:39]
	s_wait_loadcnt 0x0
	v_add_nc_u64_e32 v[12:13], s[18:19], v[12:13]
.LBB323_10:                             ;   in Loop: Header=BB323_5 Depth=1
	s_and_not1_b32 vcc_lo, exec_lo, s33
	s_cbranch_vccnz .LBB323_12
; %bb.11:                               ;   in Loop: Header=BB323_5 Depth=1
	s_wait_xcnt 0x0
	s_lshl_b64 s[38:39], s[6:7], 3
	s_delay_alu instid0(SALU_CYCLE_1)
	s_add_nc_u64 s[38:39], s[12:13], s[38:39]
	global_load_b64 v[10:11], v3, s[38:39]
	s_wait_loadcnt 0x0
	v_add_nc_u64_e32 v[10:11], s[14:15], v[10:11]
.LBB323_12:                             ;   in Loop: Header=BB323_5 Depth=1
	s_wait_xcnt 0x0
	s_lshl_b64 s[38:39], s[6:7], 3
	s_and_not1_b32 vcc_lo, exec_lo, s42
	s_add_nc_u64 s[38:39], s[8:9], s[38:39]
	s_mov_b32 s40, -1
	global_load_b64 v[14:15], v3, s[38:39]
	s_wait_loadcnt 0x0
	s_wait_xcnt 0x0
	v_readfirstlane_b32 s38, v14
	v_readfirstlane_b32 s39, v15
	s_add_nc_u64 s[38:39], s[38:39], s[10:11]
	s_cbranch_vccnz .LBB323_18
; %bb.13:                               ;   in Loop: Header=BB323_5 Depth=1
	s_and_saveexec_b32 s45, s0
	s_cbranch_execz .LBB323_17
; %bb.14:                               ;   in Loop: Header=BB323_5 Depth=1
	v_dual_mov_b32 v14, 0 :: v_dual_mov_b32 v15, 0
	s_and_not1_b32 vcc_lo, exec_lo, s43
	s_add_nc_u64 s[40:41], s[38:39], s[36:37]
	s_cbranch_vccnz .LBB323_16
; %bb.15:                               ;   in Loop: Header=BB323_5 Depth=1
	flat_load_b64 v[14:15], v3, s[40:41]
	v_mov_b64_e32 v[16:17], s[28:29]
	v_mov_b64_e32 v[18:19], s[22:23]
	s_wait_loadcnt_dscnt 0x0
	s_delay_alu instid0(VALU_DEP_2) | instskip(NEXT) | instid1(VALU_DEP_1)
	v_pk_mul_f32 v[16:17], v[16:17], v[14:15] op_sel:[0,1]
	v_pk_fma_f32 v[22:23], v[18:19], v[14:15], v[16:17] op_sel_hi:[1,0,1]
	v_pk_fma_f32 v[14:15], v[18:19], v[14:15], v[16:17] neg_lo:[0,0,1] neg_hi:[0,0,1]
	s_delay_alu instid0(VALU_DEP_2)
	v_mov_b32_e32 v15, v23
.LBB323_16:                             ;   in Loop: Header=BB323_5 Depth=1
	flat_store_b64 v3, v[14:15], s[40:41]
.LBB323_17:                             ;   in Loop: Header=BB323_5 Depth=1
	s_wait_xcnt 0x0
	s_or_b32 exec_lo, exec_lo, s45
	s_mov_b32 s40, 0
.LBB323_18:                             ;   in Loop: Header=BB323_5 Depth=1
	s_delay_alu instid0(SALU_CYCLE_1)
	s_and_not1_b32 vcc_lo, exec_lo, s40
	s_cbranch_vccnz .LBB323_4
; %bb.19:                               ;   in Loop: Header=BB323_5 Depth=1
	v_add_nc_u64_e32 v[14:15], v[12:13], v[2:3]
	v_mov_b64_e32 v[12:13], 0
	s_delay_alu instid0(VALU_DEP_2)
	v_lshl_add_u64 v[14:15], s[26:27], 3, v[14:15]
	s_and_saveexec_b32 s40, s1
	s_cbranch_execnz .LBB323_28
; %bb.20:                               ;   in Loop: Header=BB323_5 Depth=1
	s_or_b32 exec_lo, exec_lo, s40
	s_and_saveexec_b32 s40, s2
	s_cbranch_execnz .LBB323_31
.LBB323_21:                             ;   in Loop: Header=BB323_5 Depth=1
	s_or_b32 exec_lo, exec_lo, s40
	s_and_saveexec_b32 s40, s3
.LBB323_22:                             ;   in Loop: Header=BB323_5 Depth=1
	ds_store_b64 v1, v[8:9]
.LBB323_23:                             ;   in Loop: Header=BB323_5 Depth=1
	s_or_b32 exec_lo, exec_lo, s40
	v_lshl_or_b32 v14, v21, 2, 64
	v_cmp_gt_u32_e32 vcc_lo, 24, v21
	s_wait_storecnt_dscnt 0x0
	s_barrier_signal -1
	s_barrier_wait -1
	ds_bpermute_b32 v10, v14, v12
	ds_bpermute_b32 v11, v14, v13
	v_cndmask_b32_e64 v15, 0, 8, vcc_lo
	v_cmp_gt_u32_e32 vcc_lo, 28, v21
	s_wait_dscnt 0x0
	s_delay_alu instid0(VALU_DEP_2) | instskip(SKIP_2) | instid1(VALU_DEP_2)
	v_add_lshl_u32 v15, v15, v21, 2
	v_cndmask_b32_e64 v16, 0, 4, vcc_lo
	v_cmp_gt_u32_e32 vcc_lo, 30, v21
	v_add_lshl_u32 v16, v16, v21, 2
	v_cndmask_b32_e64 v17, 0, 2, vcc_lo
	v_cmp_ne_u32_e32 vcc_lo, 31, v21
	s_delay_alu instid0(VALU_DEP_2) | instskip(SKIP_2) | instid1(VALU_DEP_2)
	v_add_lshl_u32 v17, v17, v21, 2
	v_add_co_ci_u32_e64 v18, null, 0, v21, vcc_lo
	v_pk_add_f32 v[10:11], v[12:13], v[10:11]
	v_lshlrev_b32_e32 v18, 2, v18
	ds_bpermute_b32 v12, v15, v10
	ds_bpermute_b32 v13, v15, v11
	s_wait_dscnt 0x0
	v_pk_add_f32 v[10:11], v[10:11], v[12:13]
	ds_bpermute_b32 v12, v16, v10
	ds_bpermute_b32 v13, v16, v11
	s_wait_dscnt 0x0
	v_pk_add_f32 v[10:11], v[10:11], v[12:13]
	;; [unrolled: 4-line block ×3, first 2 shown]
	ds_bpermute_b32 v12, v18, v10
	ds_bpermute_b32 v13, v18, v11
	s_and_saveexec_b32 s40, s4
	s_cbranch_execz .LBB323_25
; %bb.24:                               ;   in Loop: Header=BB323_5 Depth=1
	s_wait_dscnt 0x0
	v_pk_add_f32 v[10:11], v[10:11], v[12:13]
	ds_store_b64 v20, v[10:11]
.LBB323_25:                             ;   in Loop: Header=BB323_5 Depth=1
	s_or_b32 exec_lo, exec_lo, s40
	v_mov_b64_e32 v[10:11], 0
	s_wait_dscnt 0x0
	s_barrier_signal -1
	s_barrier_wait -1
	s_and_saveexec_b32 s40, s3
	s_cbranch_execnz .LBB323_32
; %bb.26:                               ;   in Loop: Header=BB323_5 Depth=1
	s_or_b32 exec_lo, exec_lo, s40
	s_and_saveexec_b32 s40, s3
	s_cbranch_execnz .LBB323_33
.LBB323_27:                             ;   in Loop: Header=BB323_5 Depth=1
	s_or_b32 exec_lo, exec_lo, s40
	s_and_saveexec_b32 s40, s0
	s_cbranch_execz .LBB323_3
	s_branch .LBB323_34
.LBB323_28:                             ;   in Loop: Header=BB323_5 Depth=1
	v_dual_mov_b32 v12, 0 :: v_dual_mov_b32 v22, v0
	v_add_nc_u64_e32 v[16:17], v[10:11], v[6:7]
	v_mov_b64_e32 v[18:19], v[14:15]
	s_mov_b32 s41, 0
	s_delay_alu instid0(VALU_DEP_3)
	v_mov_b32_e32 v13, v12
.LBB323_29:                             ;   Parent Loop BB323_5 Depth=1
                                        ; =>  This Inner Loop Header: Depth=2
	flat_load_b64 v[24:25], v[18:19]
	flat_load_b64 v[26:27], v[16:17]
	s_wait_xcnt 0x1
	v_add_nc_u64_e32 v[18:19], 0x2000, v[18:19]
	s_wait_xcnt 0x0
	v_add_nc_u64_e32 v[16:17], s[34:35], v[16:17]
	s_wait_loadcnt_dscnt 0x0
	v_pk_mul_f32 v[28:29], v[26:27], v[24:25] op_sel:[1,1] op_sel_hi:[0,1]
	s_delay_alu instid0(VALU_DEP_1) | instskip(SKIP_2) | instid1(VALU_DEP_3)
	v_pk_fma_f32 v[30:31], v[26:27], v[24:25], v[28:29] op_sel_hi:[1,0,1]
	v_add_nc_u32_e32 v22, 0x400, v22
	v_pk_fma_f32 v[24:25], v[26:27], v[24:25], v[28:29] neg_lo:[0,0,1] neg_hi:[0,0,1]
	v_mov_b32_e32 v25, v31
	s_delay_alu instid0(VALU_DEP_3) | instskip(NEXT) | instid1(VALU_DEP_2)
	v_cmp_le_i32_e32 vcc_lo, s24, v22
	v_pk_add_f32 v[12:13], v[12:13], v[24:25]
	s_or_b32 s41, vcc_lo, s41
	s_delay_alu instid0(SALU_CYCLE_1)
	s_and_not1_b32 exec_lo, exec_lo, s41
	s_cbranch_execnz .LBB323_29
; %bb.30:                               ;   in Loop: Header=BB323_5 Depth=1
	s_or_b32 exec_lo, exec_lo, s41
	s_delay_alu instid0(SALU_CYCLE_1)
	s_or_b32 exec_lo, exec_lo, s40
	s_and_saveexec_b32 s40, s2
	s_cbranch_execz .LBB323_21
.LBB323_31:                             ;   in Loop: Header=BB323_5 Depth=1
	v_lshl_add_u64 v[14:15], s[24:25], 3, v[14:15]
	v_lshl_add_u64 v[10:11], v[4:5], 3, v[10:11]
	flat_load_b64 v[16:17], v[14:15]
	flat_load_b64 v[18:19], v[10:11]
	s_wait_loadcnt_dscnt 0x0
	v_pk_mul_f32 v[10:11], v[18:19], v[16:17] op_sel:[1,1] op_sel_hi:[0,1]
	s_delay_alu instid0(VALU_DEP_1) | instskip(SKIP_1) | instid1(VALU_DEP_2)
	v_pk_fma_f32 v[14:15], v[18:19], v[16:17], v[10:11] op_sel_hi:[1,0,1]
	v_pk_fma_f32 v[10:11], v[18:19], v[16:17], v[10:11] neg_lo:[0,0,1] neg_hi:[0,0,1]
	v_mov_b32_e32 v11, v15
	s_delay_alu instid0(VALU_DEP_1)
	v_pk_add_f32 v[12:13], v[12:13], v[10:11]
	s_or_b32 exec_lo, exec_lo, s40
	s_and_saveexec_b32 s40, s3
	s_cbranch_execnz .LBB323_22
	s_branch .LBB323_23
.LBB323_32:                             ;   in Loop: Header=BB323_5 Depth=1
	ds_load_b64 v[10:11], v1
	s_or_b32 exec_lo, exec_lo, s40
	s_and_saveexec_b32 s40, s3
	s_cbranch_execz .LBB323_27
.LBB323_33:                             ;   in Loop: Header=BB323_5 Depth=1
	s_wait_dscnt 0x0
	ds_bpermute_b32 v12, v14, v10
	ds_bpermute_b32 v13, v14, v11
	s_wait_dscnt 0x0
	v_pk_add_f32 v[10:11], v[10:11], v[12:13]
	ds_bpermute_b32 v12, v15, v10
	ds_bpermute_b32 v13, v15, v11
	s_wait_dscnt 0x0
	v_pk_add_f32 v[10:11], v[10:11], v[12:13]
	;; [unrolled: 4-line block ×5, first 2 shown]
	s_or_b32 exec_lo, exec_lo, s40
	s_and_saveexec_b32 s40, s0
	s_cbranch_execz .LBB323_3
.LBB323_34:                             ;   in Loop: Header=BB323_5 Depth=1
	v_mov_b64_e32 v[12:13], s[30:31]
	v_mov_b64_e32 v[14:15], s[20:21]
	s_and_not1_b32 vcc_lo, exec_lo, s43
	s_add_nc_u64 s[38:39], s[38:39], s[36:37]
	s_wait_dscnt 0x0
	s_delay_alu instid0(VALU_DEP_2) | instskip(NEXT) | instid1(VALU_DEP_1)
	v_pk_mul_f32 v[16:17], v[10:11], v[12:13] op_sel:[1,0]
	v_pk_fma_f32 v[12:13], v[10:11], v[14:15], v[16:17] op_sel_hi:[0,1,1] neg_lo:[0,0,1] neg_hi:[0,0,1]
	v_pk_fma_f32 v[10:11], v[10:11], v[14:15], v[16:17] op_sel_hi:[0,1,1]
	s_cbranch_vccnz .LBB323_2
; %bb.35:                               ;   in Loop: Header=BB323_5 Depth=1
	flat_load_b64 v[14:15], v3, s[38:39]
	v_mov_b64_e32 v[16:17], s[28:29]
	v_mov_b64_e32 v[18:19], s[22:23]
	s_wait_loadcnt_dscnt 0x0
	s_delay_alu instid0(VALU_DEP_2) | instskip(NEXT) | instid1(VALU_DEP_1)
	v_pk_mul_f32 v[16:17], v[16:17], v[14:15] op_sel:[0,1]
	v_pk_fma_f32 v[22:23], v[18:19], v[14:15], v[16:17] op_sel_hi:[1,0,1]
	v_mov_b32_e32 v13, v11
	v_pk_fma_f32 v[10:11], v[18:19], v[14:15], v[16:17] neg_lo:[0,0,1] neg_hi:[0,0,1]
	s_delay_alu instid0(VALU_DEP_3) | instskip(NEXT) | instid1(VALU_DEP_1)
	v_mov_b32_e32 v11, v23
	v_pk_add_f32 v[12:13], v[12:13], v[10:11]
	s_delay_alu instid0(VALU_DEP_1)
	v_mov_b32_e32 v11, v13
	s_branch .LBB323_2
.LBB323_36:
	s_endpgm
	.section	.rodata,"a",@progbits
	.p2align	6, 0x0
	.amdhsa_kernel _ZL32rocblas_gemvt_warp_reduce_kernelILb0ELi1024ElPK19rocblas_complex_numIfES1_KPS1_EviiT3_lPKT2_lT1_lS9_lSA_lS6_lPT4_lSA_li
		.amdhsa_group_segment_fixed_size 256
		.amdhsa_private_segment_fixed_size 0
		.amdhsa_kernarg_size 140
		.amdhsa_user_sgpr_count 2
		.amdhsa_user_sgpr_dispatch_ptr 0
		.amdhsa_user_sgpr_queue_ptr 0
		.amdhsa_user_sgpr_kernarg_segment_ptr 1
		.amdhsa_user_sgpr_dispatch_id 0
		.amdhsa_user_sgpr_kernarg_preload_length 0
		.amdhsa_user_sgpr_kernarg_preload_offset 0
		.amdhsa_user_sgpr_private_segment_size 0
		.amdhsa_wavefront_size32 1
		.amdhsa_uses_dynamic_stack 0
		.amdhsa_enable_private_segment 0
		.amdhsa_system_sgpr_workgroup_id_x 1
		.amdhsa_system_sgpr_workgroup_id_y 0
		.amdhsa_system_sgpr_workgroup_id_z 1
		.amdhsa_system_sgpr_workgroup_info 0
		.amdhsa_system_vgpr_workitem_id 0
		.amdhsa_next_free_vgpr 32
		.amdhsa_next_free_sgpr 46
		.amdhsa_named_barrier_count 0
		.amdhsa_reserve_vcc 1
		.amdhsa_float_round_mode_32 0
		.amdhsa_float_round_mode_16_64 0
		.amdhsa_float_denorm_mode_32 3
		.amdhsa_float_denorm_mode_16_64 3
		.amdhsa_fp16_overflow 0
		.amdhsa_memory_ordered 1
		.amdhsa_forward_progress 1
		.amdhsa_inst_pref_size 15
		.amdhsa_round_robin_scheduling 0
		.amdhsa_exception_fp_ieee_invalid_op 0
		.amdhsa_exception_fp_denorm_src 0
		.amdhsa_exception_fp_ieee_div_zero 0
		.amdhsa_exception_fp_ieee_overflow 0
		.amdhsa_exception_fp_ieee_underflow 0
		.amdhsa_exception_fp_ieee_inexact 0
		.amdhsa_exception_int_div_zero 0
	.end_amdhsa_kernel
	.section	.text._ZL32rocblas_gemvt_warp_reduce_kernelILb0ELi1024ElPK19rocblas_complex_numIfES1_KPS1_EviiT3_lPKT2_lT1_lS9_lSA_lS6_lPT4_lSA_li,"axG",@progbits,_ZL32rocblas_gemvt_warp_reduce_kernelILb0ELi1024ElPK19rocblas_complex_numIfES1_KPS1_EviiT3_lPKT2_lT1_lS9_lSA_lS6_lPT4_lSA_li,comdat
.Lfunc_end323:
	.size	_ZL32rocblas_gemvt_warp_reduce_kernelILb0ELi1024ElPK19rocblas_complex_numIfES1_KPS1_EviiT3_lPKT2_lT1_lS9_lSA_lS6_lPT4_lSA_li, .Lfunc_end323-_ZL32rocblas_gemvt_warp_reduce_kernelILb0ELi1024ElPK19rocblas_complex_numIfES1_KPS1_EviiT3_lPKT2_lT1_lS9_lSA_lS6_lPT4_lSA_li
                                        ; -- End function
	.set _ZL32rocblas_gemvt_warp_reduce_kernelILb0ELi1024ElPK19rocblas_complex_numIfES1_KPS1_EviiT3_lPKT2_lT1_lS9_lSA_lS6_lPT4_lSA_li.num_vgpr, 32
	.set _ZL32rocblas_gemvt_warp_reduce_kernelILb0ELi1024ElPK19rocblas_complex_numIfES1_KPS1_EviiT3_lPKT2_lT1_lS9_lSA_lS6_lPT4_lSA_li.num_agpr, 0
	.set _ZL32rocblas_gemvt_warp_reduce_kernelILb0ELi1024ElPK19rocblas_complex_numIfES1_KPS1_EviiT3_lPKT2_lT1_lS9_lSA_lS6_lPT4_lSA_li.numbered_sgpr, 46
	.set _ZL32rocblas_gemvt_warp_reduce_kernelILb0ELi1024ElPK19rocblas_complex_numIfES1_KPS1_EviiT3_lPKT2_lT1_lS9_lSA_lS6_lPT4_lSA_li.num_named_barrier, 0
	.set _ZL32rocblas_gemvt_warp_reduce_kernelILb0ELi1024ElPK19rocblas_complex_numIfES1_KPS1_EviiT3_lPKT2_lT1_lS9_lSA_lS6_lPT4_lSA_li.private_seg_size, 0
	.set _ZL32rocblas_gemvt_warp_reduce_kernelILb0ELi1024ElPK19rocblas_complex_numIfES1_KPS1_EviiT3_lPKT2_lT1_lS9_lSA_lS6_lPT4_lSA_li.uses_vcc, 1
	.set _ZL32rocblas_gemvt_warp_reduce_kernelILb0ELi1024ElPK19rocblas_complex_numIfES1_KPS1_EviiT3_lPKT2_lT1_lS9_lSA_lS6_lPT4_lSA_li.uses_flat_scratch, 0
	.set _ZL32rocblas_gemvt_warp_reduce_kernelILb0ELi1024ElPK19rocblas_complex_numIfES1_KPS1_EviiT3_lPKT2_lT1_lS9_lSA_lS6_lPT4_lSA_li.has_dyn_sized_stack, 0
	.set _ZL32rocblas_gemvt_warp_reduce_kernelILb0ELi1024ElPK19rocblas_complex_numIfES1_KPS1_EviiT3_lPKT2_lT1_lS9_lSA_lS6_lPT4_lSA_li.has_recursion, 0
	.set _ZL32rocblas_gemvt_warp_reduce_kernelILb0ELi1024ElPK19rocblas_complex_numIfES1_KPS1_EviiT3_lPKT2_lT1_lS9_lSA_lS6_lPT4_lSA_li.has_indirect_call, 0
	.section	.AMDGPU.csdata,"",@progbits
; Kernel info:
; codeLenInByte = 1816
; TotalNumSgprs: 48
; NumVgprs: 32
; ScratchSize: 0
; MemoryBound: 0
; FloatMode: 240
; IeeeMode: 1
; LDSByteSize: 256 bytes/workgroup (compile time only)
; SGPRBlocks: 0
; VGPRBlocks: 1
; NumSGPRsForWavesPerEU: 48
; NumVGPRsForWavesPerEU: 32
; NamedBarCnt: 0
; Occupancy: 16
; WaveLimiterHint : 1
; COMPUTE_PGM_RSRC2:SCRATCH_EN: 0
; COMPUTE_PGM_RSRC2:USER_SGPR: 2
; COMPUTE_PGM_RSRC2:TRAP_HANDLER: 0
; COMPUTE_PGM_RSRC2:TGID_X_EN: 1
; COMPUTE_PGM_RSRC2:TGID_Y_EN: 0
; COMPUTE_PGM_RSRC2:TGID_Z_EN: 1
; COMPUTE_PGM_RSRC2:TIDIG_COMP_CNT: 0
	.section	.text._ZL22rocblas_gemvtsm_kernelILb1ELi256EPK19rocblas_complex_numIfES3_KPS1_EviiT2_lPKT1_lilS9_lilS6_lPT3_lil,"axG",@progbits,_ZL22rocblas_gemvtsm_kernelILb1ELi256EPK19rocblas_complex_numIfES3_KPS1_EviiT2_lPKT1_lilS9_lilS6_lPT3_lil,comdat
	.globl	_ZL22rocblas_gemvtsm_kernelILb1ELi256EPK19rocblas_complex_numIfES3_KPS1_EviiT2_lPKT1_lilS9_lilS6_lPT3_lil ; -- Begin function _ZL22rocblas_gemvtsm_kernelILb1ELi256EPK19rocblas_complex_numIfES3_KPS1_EviiT2_lPKT1_lilS9_lilS6_lPT3_lil
	.p2align	8
	.type	_ZL22rocblas_gemvtsm_kernelILb1ELi256EPK19rocblas_complex_numIfES3_KPS1_EviiT2_lPKT1_lilS9_lilS6_lPT3_lil,@function
_ZL22rocblas_gemvtsm_kernelILb1ELi256EPK19rocblas_complex_numIfES3_KPS1_EviiT2_lPKT1_lilS9_lilS6_lPT3_lil: ; @_ZL22rocblas_gemvtsm_kernelILb1ELi256EPK19rocblas_complex_numIfES3_KPS1_EviiT2_lPKT1_lilS9_lilS6_lPT3_lil
; %bb.0:
	s_load_b256 s[12:19], s[0:1], 0x8
	s_bfe_u32 s2, ttmp6, 0x4000c
	s_load_b256 s[4:11], s[0:1], 0x58
	s_add_co_i32 s2, s2, 1
	s_and_b32 s3, ttmp6, 15
	s_mul_i32 s2, ttmp9, s2
	s_getreg_b32 s20, hwreg(HW_REG_IB_STS2, 6, 4)
	s_add_co_i32 s3, s3, s2
	s_cmp_eq_u32 s20, 0
	s_mov_b32 s23, 0
	s_cselect_b32 s22, ttmp9, s3
	s_wait_kmcnt 0x0
	s_mul_u64 s[2:3], s[14:15], s[22:23]
	s_delay_alu instid0(SALU_CYCLE_1) | instskip(NEXT) | instid1(SALU_CYCLE_1)
	s_lshl_b64 s[2:3], s[2:3], 3
	s_add_nc_u64 s[2:3], s[12:13], s[2:3]
	s_load_b64 s[14:15], s[2:3], 0x0
	s_wait_xcnt 0x0
	s_mul_u64 s[2:3], s[6:7], s[22:23]
	s_delay_alu instid0(SALU_CYCLE_1) | instskip(NEXT) | instid1(SALU_CYCLE_1)
	s_lshl_b64 s[2:3], s[2:3], 3
	s_add_nc_u64 s[4:5], s[4:5], s[2:3]
	s_load_b64 s[2:3], s[4:5], 0x0
	s_wait_kmcnt 0x0
	s_cmp_eq_f32 s15, 0
	s_cselect_b32 s4, -1, 0
	s_cmp_eq_f32 s14, 0
	s_cselect_b32 s5, -1, 0
	s_delay_alu instid0(SALU_CYCLE_1) | instskip(SKIP_4) | instid1(SALU_CYCLE_1)
	s_and_b32 s4, s5, s4
	s_cmp_eq_f32 s2, 1.0
	s_cselect_b32 s5, -1, 0
	s_cmp_eq_f32 s3, 0
	s_cselect_b32 s6, -1, 0
	s_and_b32 s5, s5, s6
	s_delay_alu instid0(SALU_CYCLE_1) | instskip(NEXT) | instid1(SALU_CYCLE_1)
	s_and_b32 s4, s4, s5
	s_and_b32 vcc_lo, exec_lo, s4
	s_cbranch_vccnz .LBB324_38
; %bb.1:
	s_or_b32 s4, s14, s15
	s_mov_b64 s[20:21], 0
	s_and_b32 s5, s4, 0x7fffffff
	s_mov_b64 s[12:13], 0
	s_cmp_lg_u32 s5, 0
	s_cselect_b32 s4, -1, 0
	s_cmp_eq_u32 s5, 0
	s_cselect_b32 s7, -1, 0
	s_delay_alu instid0(SALU_CYCLE_1)
	s_and_b32 vcc_lo, exec_lo, s7
	s_cbranch_vccnz .LBB324_3
; %bb.2:
	s_lshl_b64 s[12:13], s[22:23], 3
	s_delay_alu instid0(SALU_CYCLE_1)
	s_add_nc_u64 s[12:13], s[16:17], s[12:13]
	s_lshl_b64 s[16:17], s[18:19], 3
	s_load_b64 s[12:13], s[12:13], 0x0
	s_wait_kmcnt 0x0
	s_add_nc_u64 s[12:13], s[12:13], s[16:17]
.LBB324_3:
	s_and_not1_b32 vcc_lo, exec_lo, s4
	s_cbranch_vccnz .LBB324_5
; %bb.4:
	s_load_b128 s[16:19], s[0:1], 0x38
	s_lshl_b64 s[4:5], s[22:23], 3
	s_wait_kmcnt 0x0
	s_add_nc_u64 s[4:5], s[16:17], s[4:5]
	s_lshl_b64 s[16:17], s[18:19], 3
	s_load_b64 s[4:5], s[4:5], 0x0
	s_wait_kmcnt 0x0
	s_add_nc_u64 s[20:21], s[4:5], s[16:17]
.LBB324_5:
	s_lshl_b64 s[4:5], s[22:23], 3
	s_and_not1_b32 vcc_lo, exec_lo, s7
	s_add_nc_u64 s[8:9], s[8:9], s[4:5]
	s_clause 0x1
	s_load_b64 s[4:5], s[0:1], 0x0
	s_load_b32 s6, s[0:1], 0x78
	s_load_b64 s[16:17], s[8:9], 0x0
	s_mov_b32 s7, -1
	s_cbranch_vccnz .LBB324_20
; %bb.6:
	s_cmp_neq_f32 s2, 0
	s_cselect_b32 s7, -1, 0
	s_cmp_neq_f32 s3, 0
	s_wait_xcnt 0x0
	s_cselect_b32 s8, -1, 0
	s_delay_alu instid0(SALU_CYCLE_1)
	s_or_b32 s7, s7, s8
	s_wait_kmcnt 0x0
	s_cmp_gt_i32 s5, 0
	s_cselect_b32 s18, -1, 0
	s_and_b32 vcc_lo, exec_lo, s7
	s_mov_b32 s7, -1
	s_cbranch_vccnz .LBB324_13
; %bb.7:
	s_and_not1_b32 vcc_lo, exec_lo, s18
	s_cbranch_vccnz .LBB324_12
; %bb.8:
	v_mov_b32_e32 v1, 0
	s_ashr_i32 s7, s6, 31
	s_lshl_b64 s[8:9], s[10:11], 3
	v_mov_b64_e32 v[2:3], 0
	s_add_nc_u64 s[8:9], s[16:17], s[8:9]
	v_mul_u64_e32 v[4:5], s[6:7], v[0:1]
	s_delay_alu instid0(VALU_DEP_1)
	v_lshl_add_u64 v[4:5], v[4:5], 3, s[8:9]
	s_lshl_b64 s[8:9], s[6:7], 11
	s_mov_b32 s7, 0
	s_branch .LBB324_10
.LBB324_9:                              ;   in Loop: Header=BB324_10 Depth=1
	s_wait_xcnt 0x0
	s_or_b32 exec_lo, exec_lo, s19
	v_add_nc_u64_e32 v[4:5], s[8:9], v[4:5]
	s_addk_co_i32 s7, 0x100
	s_delay_alu instid0(SALU_CYCLE_1)
	s_cmp_ge_i32 s7, s5
	s_cbranch_scc1 .LBB324_12
.LBB324_10:                             ; =>This Inner Loop Header: Depth=1
	v_add_nc_u32_e32 v1, s7, v0
	s_mov_b32 s19, exec_lo
	s_delay_alu instid0(VALU_DEP_1)
	v_cmpx_gt_i32_e64 s5, v1
	s_cbranch_execz .LBB324_9
; %bb.11:                               ;   in Loop: Header=BB324_10 Depth=1
	flat_store_b64 v[4:5], v[2:3]
	s_branch .LBB324_9
.LBB324_12:
	s_mov_b32 s7, 0
.LBB324_13:
	s_delay_alu instid0(SALU_CYCLE_1)
	s_and_not1_b32 vcc_lo, exec_lo, s7
	s_cbranch_vccnz .LBB324_19
; %bb.14:
	s_and_not1_b32 vcc_lo, exec_lo, s18
	s_cbranch_vccnz .LBB324_19
; %bb.15:
	v_mov_b32_e32 v1, 0
	s_ashr_i32 s7, s6, 31
	s_lshl_b64 s[8:9], s[10:11], 3
	s_delay_alu instid0(SALU_CYCLE_1) | instskip(NEXT) | instid1(VALU_DEP_1)
	s_add_nc_u64 s[18:19], s[16:17], s[8:9]
	v_mul_u64_e32 v[2:3], s[6:7], v[0:1]
	s_mov_b32 s8, s3
	s_mov_b32 s9, s2
	s_delay_alu instid0(VALU_DEP_1)
	v_lshl_add_u64 v[2:3], v[2:3], 3, s[18:19]
	s_lshl_b64 s[18:19], s[6:7], 11
	s_mov_b32 s7, 0
	s_branch .LBB324_17
.LBB324_16:                             ;   in Loop: Header=BB324_17 Depth=1
	s_wait_xcnt 0x0
	s_or_b32 exec_lo, exec_lo, s22
	v_add_nc_u64_e32 v[2:3], s[18:19], v[2:3]
	s_addk_co_i32 s7, 0x100
	s_delay_alu instid0(SALU_CYCLE_1)
	s_cmp_ge_i32 s7, s5
	s_cbranch_scc1 .LBB324_19
.LBB324_17:                             ; =>This Inner Loop Header: Depth=1
	v_add_nc_u32_e32 v1, s7, v0
	s_mov_b32 s22, exec_lo
	s_delay_alu instid0(VALU_DEP_1)
	v_cmpx_gt_i32_e64 s5, v1
	s_cbranch_execz .LBB324_16
; %bb.18:                               ;   in Loop: Header=BB324_17 Depth=1
	flat_load_b64 v[4:5], v[2:3]
	v_mov_b64_e32 v[6:7], s[8:9]
	v_mov_b64_e32 v[8:9], s[2:3]
	s_wait_loadcnt_dscnt 0x0
	s_delay_alu instid0(VALU_DEP_2) | instskip(NEXT) | instid1(VALU_DEP_1)
	v_pk_mul_f32 v[6:7], v[6:7], v[4:5] op_sel:[0,1]
	v_pk_fma_f32 v[10:11], v[8:9], v[4:5], v[6:7] op_sel_hi:[1,0,1]
	v_pk_fma_f32 v[4:5], v[8:9], v[4:5], v[6:7] neg_lo:[0,0,1] neg_hi:[0,0,1]
	s_delay_alu instid0(VALU_DEP_2)
	v_mov_b32_e32 v5, v11
	flat_store_b64 v[2:3], v[4:5]
	s_branch .LBB324_16
.LBB324_19:
	s_mov_b32 s7, 0
.LBB324_20:
	s_delay_alu instid0(SALU_CYCLE_1)
	s_and_not1_b32 vcc_lo, exec_lo, s7
	s_cbranch_vccnz .LBB324_38
; %bb.21:
	s_mov_b32 s7, exec_lo
	s_wait_kmcnt 0x0
	v_cmpx_gt_i32_e64 s4, v0
	s_cbranch_execz .LBB324_23
; %bb.22:
	s_load_b32 s8, s[0:1], 0x48
	v_mov_b32_e32 v1, 0
	v_mov_b64_e32 v[4:5], s[14:15]
	s_wait_kmcnt 0x0
	s_ashr_i32 s9, s8, 31
	s_delay_alu instid0(VALU_DEP_2) | instid1(SALU_CYCLE_1)
	v_mul_u64_e32 v[2:3], s[8:9], v[0:1]
	v_lshlrev_b32_e32 v1, 3, v0
	s_delay_alu instid0(VALU_DEP_2) | instskip(SKIP_3) | instid1(VALU_DEP_1)
	v_lshl_add_u64 v[2:3], v[2:3], 3, s[20:21]
	flat_load_b64 v[2:3], v[2:3]
	s_wait_loadcnt_dscnt 0x0
	v_pk_mul_f32 v[6:7], v[2:3], v[4:5] op_sel:[1,1] op_sel_hi:[0,1]
	v_pk_fma_f32 v[8:9], v[2:3], s[14:15], v[6:7] op_sel_hi:[1,0,1]
	s_wait_xcnt 0x0
	v_pk_fma_f32 v[2:3], v[2:3], v[4:5], v[6:7] neg_lo:[0,0,1] neg_hi:[0,0,1]
	s_delay_alu instid0(VALU_DEP_2)
	v_mov_b32_e32 v3, v9
	ds_store_b64 v1, v[2:3]
.LBB324_23:
	s_or_b32 exec_lo, exec_lo, s7
	s_cmp_lt_i32 s5, 1
	s_wait_storecnt_dscnt 0x0
	s_barrier_signal -1
	s_barrier_wait -1
	s_cbranch_scc1 .LBB324_38
; %bb.24:
	s_load_b32 s20, s[0:1], 0x28
	v_mov_b32_e32 v3, 0
	s_lshl_b64 s[10:11], s[10:11], 3
	s_ashr_i32 s7, s6, 31
	s_add_nc_u64 s[10:11], s[16:17], s[10:11]
	s_wait_xcnt 0x0
	s_mov_b32 s1, 0
	v_mov_b32_e32 v1, v3
	s_mov_b32 s8, s3
	s_mov_b32 s19, 0
	s_wait_kmcnt 0x0
	s_ashr_i32 s21, s20, 31
	s_cmp_neq_f32 s2, 0
	v_mul_u64_e32 v[4:5], s[20:21], v[0:1]
	s_cselect_b32 s0, -1, 0
	s_cmp_neq_f32 s3, 0
	s_cselect_b32 s9, -1, 0
	s_delay_alu instid0(SALU_CYCLE_1)
	s_or_b32 s14, s0, s9
	s_cmp_gt_i32 s4, 0
	s_mov_b32 s9, s2
	s_cselect_b32 s15, -1, 0
	s_and_b32 s18, s4, 7
	s_cmp_gt_u32 s4, 7
	s_cselect_b32 s16, -1, 0
	s_and_b32 s4, s4, 0x7ffffff8
	s_cmp_lg_u32 s18, 0
	s_cselect_b32 s17, -1, 0
	s_delay_alu instid0(VALU_DEP_1) | instskip(SKIP_1) | instid1(VALU_DEP_1)
	v_lshl_add_u64 v[4:5], v[4:5], 3, s[12:13]
	s_lshl_b64 s[12:13], s[20:21], 11
	v_add_nc_u64_e32 v[6:7], 56, v[4:5]
	s_branch .LBB324_27
.LBB324_25:                             ;   in Loop: Header=BB324_27 Depth=1
	flat_store_b64 v[8:9], v[10:11]
.LBB324_26:                             ;   in Loop: Header=BB324_27 Depth=1
	s_wait_xcnt 0x0
	s_or_b32 exec_lo, exec_lo, s20
	v_add_nc_u64_e32 v[6:7], s[12:13], v[6:7]
	v_add_nc_u64_e32 v[4:5], s[12:13], v[4:5]
	s_addk_co_i32 s19, 0x100
	s_delay_alu instid0(SALU_CYCLE_1)
	s_cmp_ge_i32 s19, s5
	s_cbranch_scc1 .LBB324_38
.LBB324_27:                             ; =>This Loop Header: Depth=1
                                        ;     Child Loop BB324_33 Depth 2
                                        ;     Child Loop BB324_37 Depth 2
	v_add_nc_u32_e32 v2, s19, v0
	s_mov_b32 s20, exec_lo
	s_delay_alu instid0(VALU_DEP_1)
	v_cmpx_gt_i32_e64 s5, v2
	s_cbranch_execz .LBB324_26
; %bb.28:                               ;   in Loop: Header=BB324_27 Depth=1
	v_mul_u64_e32 v[8:9], s[6:7], v[2:3]
	s_and_not1_b32 vcc_lo, exec_lo, s14
	s_delay_alu instid0(VALU_DEP_1)
	v_lshl_add_u64 v[8:9], v[8:9], 3, s[10:11]
	s_cbranch_vccnz .LBB324_30
; %bb.29:                               ;   in Loop: Header=BB324_27 Depth=1
	flat_load_b64 v[10:11], v[8:9]
	v_mov_b64_e32 v[12:13], s[8:9]
	v_mov_b64_e32 v[14:15], s[2:3]
	s_wait_loadcnt_dscnt 0x0
	s_delay_alu instid0(VALU_DEP_2) | instskip(NEXT) | instid1(VALU_DEP_1)
	v_pk_mul_f32 v[12:13], v[12:13], v[10:11] op_sel:[0,1]
	v_pk_fma_f32 v[16:17], v[14:15], v[10:11], v[12:13] op_sel_hi:[1,0,1]
	v_pk_fma_f32 v[10:11], v[14:15], v[10:11], v[12:13] neg_lo:[0,0,1] neg_hi:[0,0,1]
	s_delay_alu instid0(VALU_DEP_2)
	v_mov_b32_e32 v11, v17
	s_and_not1_b32 vcc_lo, exec_lo, s15
	s_cbranch_vccz .LBB324_31
	s_branch .LBB324_25
.LBB324_30:                             ;   in Loop: Header=BB324_27 Depth=1
	v_mov_b64_e32 v[10:11], 0
	s_and_not1_b32 vcc_lo, exec_lo, s15
	s_cbranch_vccnz .LBB324_25
.LBB324_31:                             ;   in Loop: Header=BB324_27 Depth=1
	s_and_not1_b32 vcc_lo, exec_lo, s16
	s_mov_b32 s0, 0
	s_cbranch_vccnz .LBB324_35
; %bb.32:                               ;   in Loop: Header=BB324_27 Depth=1
	v_mov_b64_e32 v[12:13], v[6:7]
	s_mov_b32 s21, 0
.LBB324_33:                             ;   Parent Loop BB324_27 Depth=1
                                        ; =>  This Inner Loop Header: Depth=2
	s_clause 0x3
	flat_load_b128 v[14:17], v[12:13] offset:-56
	flat_load_b128 v[18:21], v[12:13] offset:-40
	;; [unrolled: 1-line block ×4, first 2 shown]
	v_mov_b32_e32 v1, s0
	s_wait_xcnt 0x0
	v_add_nc_u64_e32 v[12:13], 64, v[12:13]
	s_add_co_i32 s21, s21, 8
	s_add_co_i32 s0, s0, 64
	ds_load_b128 v[30:33], v1
	ds_load_b128 v[34:37], v1 offset:16
	ds_load_b128 v[38:41], v1 offset:32
	;; [unrolled: 1-line block ×3, first 2 shown]
	s_cmp_eq_u32 s4, s21
	s_wait_dscnt 0x3
	v_dual_mov_b32 v2, v31 :: v_dual_mov_b32 v46, v33
	s_wait_dscnt 0x2
	v_dual_mov_b32 v48, v33 :: v_dual_mov_b32 v50, v35
	v_dual_mov_b32 v52, v37 :: v_dual_mov_b32 v54, v37
	s_wait_dscnt 0x1
	v_dual_mov_b32 v56, v39 :: v_dual_mov_b32 v58, v41
	s_wait_dscnt 0x0
	v_dual_mov_b32 v60, v41 :: v_dual_mov_b32 v62, v43
	s_wait_loadcnt 0x3
	v_pk_mul_f32 v[64:65], v[14:15], v[30:31] op_sel_hi:[1,0]
	v_pk_mul_f32 v[32:33], v[16:17], v[32:33] op_sel_hi:[1,0]
	s_wait_loadcnt 0x2
	v_dual_mov_b32 v66, v21 :: v_dual_mov_b32 v67, v20
	v_pk_mul_f32 v[20:21], v[20:21], v[36:37] op_sel_hi:[1,0]
	v_pk_fma_f32 v[30:31], v[14:15], v[30:31], v[64:65] op_sel:[1,1,0] op_sel_hi:[0,1,1] neg_lo:[0,0,1] neg_hi:[0,0,1]
	v_pk_fma_f32 v[14:15], v[14:15], v[2:3], v[64:65] op_sel:[1,0,0] op_sel_hi:[0,1,1]
	v_dual_mov_b32 v64, v17 :: v_dual_mov_b32 v65, v16
	v_pk_mul_f32 v[16:17], v[18:19], v[34:35] op_sel_hi:[1,0]
	s_delay_alu instid0(VALU_DEP_4)
	v_mov_b32_e32 v15, v31
	s_wait_loadcnt 0x1
	v_pk_mul_f32 v[36:37], v[22:23], v[38:39] op_sel_hi:[1,0]
	v_mov_b32_e32 v30, v45
	v_pk_fma_f32 v[46:47], v[64:65], v[46:47], v[32:33]
	v_pk_fma_f32 v[32:33], v[64:65], v[48:49], v[32:33] op_sel_hi:[1,0,1] neg_lo:[0,0,1] neg_hi:[0,0,1]
	v_dual_mov_b32 v48, v25 :: v_dual_mov_b32 v49, v24
	v_pk_fma_f32 v[34:35], v[18:19], v[34:35], v[16:17] op_sel:[1,1,0] op_sel_hi:[0,1,1] neg_lo:[0,0,1] neg_hi:[0,0,1]
	v_pk_add_f32 v[10:11], v[10:11], v[14:15]
	s_delay_alu instid0(VALU_DEP_4)
	v_mov_b32_e32 v47, v33
	v_pk_fma_f32 v[16:17], v[18:19], v[50:51], v[16:17] op_sel:[1,0,0] op_sel_hi:[0,1,1]
	v_pk_fma_f32 v[18:19], v[66:67], v[54:55], v[20:21] op_sel_hi:[1,0,1] neg_lo:[0,0,1] neg_hi:[0,0,1]
	s_wait_loadcnt 0x0
	v_dual_mov_b32 v17, v35 :: v_dual_mov_b32 v18, v29
	v_pk_add_f32 v[10:11], v[10:11], v[46:47]
	v_pk_fma_f32 v[20:21], v[66:67], v[52:53], v[20:21]
	v_pk_mul_f32 v[24:25], v[24:25], v[40:41] op_sel_hi:[1,0]
	v_pk_fma_f32 v[32:33], v[22:23], v[38:39], v[36:37] op_sel:[1,1,0] op_sel_hi:[0,1,1] neg_lo:[0,0,1] neg_hi:[0,0,1]
	v_dual_mov_b32 v21, v19 :: v_dual_mov_b32 v19, v28
	v_pk_add_f32 v[10:11], v[10:11], v[16:17]
	v_pk_fma_f32 v[16:17], v[22:23], v[56:57], v[36:37] op_sel:[1,0,0] op_sel_hi:[0,1,1]
	v_pk_mul_f32 v[14:15], v[26:27], v[42:43] op_sel_hi:[1,0]
	v_pk_fma_f32 v[22:23], v[48:49], v[60:61], v[24:25] op_sel_hi:[1,0,1] neg_lo:[0,0,1] neg_hi:[0,0,1]
	v_mov_b32_e32 v17, v33
	v_pk_add_f32 v[10:11], v[10:11], v[20:21]
	v_pk_fma_f32 v[24:25], v[48:49], v[58:59], v[24:25]
	v_pk_mul_f32 v[20:21], v[28:29], v[44:45] op_sel_hi:[1,0]
	v_pk_fma_f32 v[28:29], v[26:27], v[42:43], v[14:15] op_sel:[1,1,0] op_sel_hi:[0,1,1] neg_lo:[0,0,1] neg_hi:[0,0,1]
	v_mov_b32_e32 v25, v23
	v_pk_add_f32 v[10:11], v[10:11], v[16:17]
	v_mov_b32_e32 v2, v45
	v_pk_fma_f32 v[14:15], v[26:27], v[62:63], v[14:15] op_sel:[1,0,0] op_sel_hi:[0,1,1]
	v_pk_fma_f32 v[16:17], v[18:19], v[30:31], v[20:21] op_sel_hi:[1,0,1] neg_lo:[0,0,1] neg_hi:[0,0,1]
	v_mov_b32_e32 v15, v29
	v_pk_add_f32 v[10:11], v[10:11], v[24:25]
	v_pk_fma_f32 v[18:19], v[18:19], v[2:3], v[20:21]
	s_delay_alu instid0(VALU_DEP_4) | instskip(NEXT) | instid1(VALU_DEP_3)
	v_mov_b32_e32 v19, v17
	v_pk_add_f32 v[10:11], v[10:11], v[14:15]
	s_delay_alu instid0(VALU_DEP_1)
	v_pk_add_f32 v[10:11], v[10:11], v[18:19]
	s_cbranch_scc0 .LBB324_33
; %bb.34:                               ;   in Loop: Header=BB324_27 Depth=1
	s_mov_b32 s0, s4
.LBB324_35:                             ;   in Loop: Header=BB324_27 Depth=1
	s_and_not1_b32 vcc_lo, exec_lo, s17
	s_cbranch_vccnz .LBB324_25
; %bb.36:                               ;   in Loop: Header=BB324_27 Depth=1
	v_lshl_add_u64 v[12:13], s[0:1], 3, v[4:5]
	s_lshl_b32 s0, s0, 3
	s_mov_b32 s21, s18
.LBB324_37:                             ;   Parent Loop BB324_27 Depth=1
                                        ; =>  This Inner Loop Header: Depth=2
	flat_load_b64 v[14:15], v[12:13]
	v_mov_b32_e32 v1, s0
	s_wait_xcnt 0x0
	v_add_nc_u64_e32 v[12:13], 8, v[12:13]
	s_add_co_i32 s21, s21, -1
	s_add_co_i32 s0, s0, 8
	s_cmp_lg_u32 s21, 0
	ds_load_b64 v[16:17], v1
	s_wait_dscnt 0x0
	v_mov_b32_e32 v2, v17
	s_wait_loadcnt 0x0
	v_pk_mul_f32 v[18:19], v[14:15], v[16:17] op_sel_hi:[1,0]
	s_delay_alu instid0(VALU_DEP_1) | instskip(NEXT) | instid1(VALU_DEP_3)
	v_pk_fma_f32 v[16:17], v[14:15], v[16:17], v[18:19] op_sel:[1,1,0] op_sel_hi:[0,1,1] neg_lo:[0,0,1] neg_hi:[0,0,1]
	v_pk_fma_f32 v[14:15], v[14:15], v[2:3], v[18:19] op_sel:[1,0,0] op_sel_hi:[0,1,1]
	s_delay_alu instid0(VALU_DEP_2) | instskip(NEXT) | instid1(VALU_DEP_1)
	v_mov_b32_e32 v15, v17
	v_pk_add_f32 v[10:11], v[10:11], v[14:15]
	s_cbranch_scc1 .LBB324_37
	s_branch .LBB324_25
.LBB324_38:
	s_sendmsg sendmsg(MSG_DEALLOC_VGPRS)
	s_endpgm
	.section	.rodata,"a",@progbits
	.p2align	6, 0x0
	.amdhsa_kernel _ZL22rocblas_gemvtsm_kernelILb1ELi256EPK19rocblas_complex_numIfES3_KPS1_EviiT2_lPKT1_lilS9_lilS6_lPT3_lil
		.amdhsa_group_segment_fixed_size 512
		.amdhsa_private_segment_fixed_size 0
		.amdhsa_kernarg_size 136
		.amdhsa_user_sgpr_count 2
		.amdhsa_user_sgpr_dispatch_ptr 0
		.amdhsa_user_sgpr_queue_ptr 0
		.amdhsa_user_sgpr_kernarg_segment_ptr 1
		.amdhsa_user_sgpr_dispatch_id 0
		.amdhsa_user_sgpr_kernarg_preload_length 0
		.amdhsa_user_sgpr_kernarg_preload_offset 0
		.amdhsa_user_sgpr_private_segment_size 0
		.amdhsa_wavefront_size32 1
		.amdhsa_uses_dynamic_stack 0
		.amdhsa_enable_private_segment 0
		.amdhsa_system_sgpr_workgroup_id_x 1
		.amdhsa_system_sgpr_workgroup_id_y 0
		.amdhsa_system_sgpr_workgroup_id_z 0
		.amdhsa_system_sgpr_workgroup_info 0
		.amdhsa_system_vgpr_workitem_id 0
		.amdhsa_next_free_vgpr 68
		.amdhsa_next_free_sgpr 24
		.amdhsa_named_barrier_count 0
		.amdhsa_reserve_vcc 1
		.amdhsa_float_round_mode_32 0
		.amdhsa_float_round_mode_16_64 0
		.amdhsa_float_denorm_mode_32 3
		.amdhsa_float_denorm_mode_16_64 3
		.amdhsa_fp16_overflow 0
		.amdhsa_memory_ordered 1
		.amdhsa_forward_progress 1
		.amdhsa_inst_pref_size 16
		.amdhsa_round_robin_scheduling 0
		.amdhsa_exception_fp_ieee_invalid_op 0
		.amdhsa_exception_fp_denorm_src 0
		.amdhsa_exception_fp_ieee_div_zero 0
		.amdhsa_exception_fp_ieee_overflow 0
		.amdhsa_exception_fp_ieee_underflow 0
		.amdhsa_exception_fp_ieee_inexact 0
		.amdhsa_exception_int_div_zero 0
	.end_amdhsa_kernel
	.section	.text._ZL22rocblas_gemvtsm_kernelILb1ELi256EPK19rocblas_complex_numIfES3_KPS1_EviiT2_lPKT1_lilS9_lilS6_lPT3_lil,"axG",@progbits,_ZL22rocblas_gemvtsm_kernelILb1ELi256EPK19rocblas_complex_numIfES3_KPS1_EviiT2_lPKT1_lilS9_lilS6_lPT3_lil,comdat
.Lfunc_end324:
	.size	_ZL22rocblas_gemvtsm_kernelILb1ELi256EPK19rocblas_complex_numIfES3_KPS1_EviiT2_lPKT1_lilS9_lilS6_lPT3_lil, .Lfunc_end324-_ZL22rocblas_gemvtsm_kernelILb1ELi256EPK19rocblas_complex_numIfES3_KPS1_EviiT2_lPKT1_lilS9_lilS6_lPT3_lil
                                        ; -- End function
	.set _ZL22rocblas_gemvtsm_kernelILb1ELi256EPK19rocblas_complex_numIfES3_KPS1_EviiT2_lPKT1_lilS9_lilS6_lPT3_lil.num_vgpr, 68
	.set _ZL22rocblas_gemvtsm_kernelILb1ELi256EPK19rocblas_complex_numIfES3_KPS1_EviiT2_lPKT1_lilS9_lilS6_lPT3_lil.num_agpr, 0
	.set _ZL22rocblas_gemvtsm_kernelILb1ELi256EPK19rocblas_complex_numIfES3_KPS1_EviiT2_lPKT1_lilS9_lilS6_lPT3_lil.numbered_sgpr, 24
	.set _ZL22rocblas_gemvtsm_kernelILb1ELi256EPK19rocblas_complex_numIfES3_KPS1_EviiT2_lPKT1_lilS9_lilS6_lPT3_lil.num_named_barrier, 0
	.set _ZL22rocblas_gemvtsm_kernelILb1ELi256EPK19rocblas_complex_numIfES3_KPS1_EviiT2_lPKT1_lilS9_lilS6_lPT3_lil.private_seg_size, 0
	.set _ZL22rocblas_gemvtsm_kernelILb1ELi256EPK19rocblas_complex_numIfES3_KPS1_EviiT2_lPKT1_lilS9_lilS6_lPT3_lil.uses_vcc, 1
	.set _ZL22rocblas_gemvtsm_kernelILb1ELi256EPK19rocblas_complex_numIfES3_KPS1_EviiT2_lPKT1_lilS9_lilS6_lPT3_lil.uses_flat_scratch, 1
	.set _ZL22rocblas_gemvtsm_kernelILb1ELi256EPK19rocblas_complex_numIfES3_KPS1_EviiT2_lPKT1_lilS9_lilS6_lPT3_lil.has_dyn_sized_stack, 0
	.set _ZL22rocblas_gemvtsm_kernelILb1ELi256EPK19rocblas_complex_numIfES3_KPS1_EviiT2_lPKT1_lilS9_lilS6_lPT3_lil.has_recursion, 0
	.set _ZL22rocblas_gemvtsm_kernelILb1ELi256EPK19rocblas_complex_numIfES3_KPS1_EviiT2_lPKT1_lilS9_lilS6_lPT3_lil.has_indirect_call, 0
	.section	.AMDGPU.csdata,"",@progbits
; Kernel info:
; codeLenInByte = 1940
; TotalNumSgprs: 26
; NumVgprs: 68
; ScratchSize: 0
; MemoryBound: 0
; FloatMode: 240
; IeeeMode: 1
; LDSByteSize: 512 bytes/workgroup (compile time only)
; SGPRBlocks: 0
; VGPRBlocks: 4
; NumSGPRsForWavesPerEU: 26
; NumVGPRsForWavesPerEU: 68
; NamedBarCnt: 0
; Occupancy: 12
; WaveLimiterHint : 1
; COMPUTE_PGM_RSRC2:SCRATCH_EN: 0
; COMPUTE_PGM_RSRC2:USER_SGPR: 2
; COMPUTE_PGM_RSRC2:TRAP_HANDLER: 0
; COMPUTE_PGM_RSRC2:TGID_X_EN: 1
; COMPUTE_PGM_RSRC2:TGID_Y_EN: 0
; COMPUTE_PGM_RSRC2:TGID_Z_EN: 0
; COMPUTE_PGM_RSRC2:TIDIG_COMP_CNT: 0
	.section	.text._ZL22rocblas_gemvtsm_kernelILb1ELi256EPK19rocblas_complex_numIfES1_KPS1_EviiT2_lPKT1_lilS9_lilS6_lPT3_lil,"axG",@progbits,_ZL22rocblas_gemvtsm_kernelILb1ELi256EPK19rocblas_complex_numIfES1_KPS1_EviiT2_lPKT1_lilS9_lilS6_lPT3_lil,comdat
	.globl	_ZL22rocblas_gemvtsm_kernelILb1ELi256EPK19rocblas_complex_numIfES1_KPS1_EviiT2_lPKT1_lilS9_lilS6_lPT3_lil ; -- Begin function _ZL22rocblas_gemvtsm_kernelILb1ELi256EPK19rocblas_complex_numIfES1_KPS1_EviiT2_lPKT1_lilS9_lilS6_lPT3_lil
	.p2align	8
	.type	_ZL22rocblas_gemvtsm_kernelILb1ELi256EPK19rocblas_complex_numIfES1_KPS1_EviiT2_lPKT1_lilS9_lilS6_lPT3_lil,@function
_ZL22rocblas_gemvtsm_kernelILb1ELi256EPK19rocblas_complex_numIfES1_KPS1_EviiT2_lPKT1_lilS9_lilS6_lPT3_lil: ; @_ZL22rocblas_gemvtsm_kernelILb1ELi256EPK19rocblas_complex_numIfES1_KPS1_EviiT2_lPKT1_lilS9_lilS6_lPT3_lil
; %bb.0:
	s_clause 0x1
	s_load_b128 s[4:7], s[0:1], 0x0
	s_load_b64 s[2:3], s[0:1], 0x58
	s_wait_kmcnt 0x0
	s_cmp_eq_f32 s7, 0
	s_cselect_b32 s8, -1, 0
	s_cmp_eq_f32 s6, 0
	s_cselect_b32 s9, -1, 0
	s_delay_alu instid0(SALU_CYCLE_1) | instskip(SKIP_4) | instid1(SALU_CYCLE_1)
	s_and_b32 s8, s9, s8
	s_cmp_eq_f32 s2, 1.0
	s_cselect_b32 s9, -1, 0
	s_cmp_eq_f32 s3, 0
	s_cselect_b32 s10, -1, 0
	s_and_b32 s9, s9, s10
	s_delay_alu instid0(SALU_CYCLE_1)
	s_and_b32 s8, s8, s9
	s_mov_b32 s9, 0
	s_and_b32 vcc_lo, exec_lo, s8
	s_cbranch_vccnz .LBB325_40
; %bb.1:
	s_bfe_u32 s8, ttmp6, 0x4000c
	s_and_b32 s10, ttmp6, 15
	s_add_co_i32 s8, s8, 1
	s_getreg_b32 s11, hwreg(HW_REG_IB_STS2, 6, 4)
	s_mul_i32 s8, ttmp9, s8
	s_delay_alu instid0(SALU_CYCLE_1) | instskip(SKIP_3) | instid1(SALU_CYCLE_1)
	s_add_co_i32 s10, s10, s8
	s_cmp_eq_u32 s11, 0
	s_cselect_b32 s8, ttmp9, s10
	s_or_b32 s10, s6, s7
	s_and_b32 s11, s10, 0x7fffffff
	s_delay_alu instid0(SALU_CYCLE_1)
	s_cmp_lg_u32 s11, 0
	s_cselect_b32 s10, -1, 0
	s_cmp_eq_u32 s11, 0
	s_cselect_b32 s18, -1, 0
	s_and_b32 vcc_lo, exec_lo, s10
	s_cbranch_vccnz .LBB325_3
; %bb.2:
	s_mov_b32 s13, 0
	s_mov_b32 s12, s8
	s_mov_b32 s11, s13
	s_mov_b64 s[16:17], 0
	s_and_not1_b32 vcc_lo, exec_lo, s11
	s_mov_b64 s[14:15], 0
	s_cbranch_vccz .LBB325_4
	s_branch .LBB325_5
.LBB325_3:
	s_mov_b64 s[12:13], s[8:9]
	s_mov_b64 s[16:17], 0
	;; [unrolled: 1-line block ×3, first 2 shown]
.LBB325_4:
	s_load_b128 s[20:23], s[0:1], 0x18
	s_lshl_b64 s[8:9], s[8:9], 3
	s_wait_kmcnt 0x0
	s_add_nc_u64 s[8:9], s[20:21], s[8:9]
	s_lshl_b64 s[14:15], s[22:23], 3
	s_load_b64 s[8:9], s[8:9], 0x0
	s_wait_kmcnt 0x0
	s_add_nc_u64 s[14:15], s[8:9], s[14:15]
.LBB325_5:
	s_and_not1_b32 vcc_lo, exec_lo, s10
	s_cbranch_vccnz .LBB325_7
; %bb.6:
	s_load_b128 s[8:11], s[0:1], 0x38
	s_lshl_b64 s[16:17], s[12:13], 3
	s_wait_kmcnt 0x0
	s_add_nc_u64 s[8:9], s[8:9], s[16:17]
	s_lshl_b64 s[10:11], s[10:11], 3
	s_load_b64 s[8:9], s[8:9], 0x0
	s_wait_kmcnt 0x0
	s_add_nc_u64 s[16:17], s[8:9], s[10:11]
.LBB325_7:
	s_load_b128 s[8:11], s[0:1], 0x68
	s_lshl_b64 s[20:21], s[12:13], 3
	s_load_b32 s12, s[0:1], 0x78
	s_and_not1_b32 vcc_lo, exec_lo, s18
	s_mov_b32 s13, -1
	s_wait_kmcnt 0x0
	s_add_nc_u64 s[8:9], s[8:9], s[20:21]
	s_load_b64 s[8:9], s[8:9], 0x0
	s_cbranch_vccnz .LBB325_22
; %bb.8:
	s_cmp_neq_f32 s2, 0
	s_cselect_b32 s13, -1, 0
	s_cmp_neq_f32 s3, 0
	s_cselect_b32 s18, -1, 0
	s_delay_alu instid0(SALU_CYCLE_1)
	s_or_b32 s13, s13, s18
	s_cmp_gt_i32 s5, 0
	s_cselect_b32 s20, -1, 0
	s_and_b32 vcc_lo, exec_lo, s13
	s_mov_b32 s13, -1
	s_cbranch_vccnz .LBB325_15
; %bb.9:
	s_and_not1_b32 vcc_lo, exec_lo, s20
	s_cbranch_vccnz .LBB325_14
; %bb.10:
	v_mov_b32_e32 v1, 0
	s_ashr_i32 s13, s12, 31
	s_lshl_b64 s[18:19], s[10:11], 3
	v_mov_b64_e32 v[2:3], 0
	s_wait_kmcnt 0x0
	s_add_nc_u64 s[18:19], s[8:9], s[18:19]
	v_mul_u64_e32 v[4:5], s[12:13], v[0:1]
	s_delay_alu instid0(VALU_DEP_1)
	v_lshl_add_u64 v[4:5], v[4:5], 3, s[18:19]
	s_lshl_b64 s[18:19], s[12:13], 11
	s_mov_b32 s13, 0
	s_branch .LBB325_12
.LBB325_11:                             ;   in Loop: Header=BB325_12 Depth=1
	s_wait_xcnt 0x0
	s_or_b32 exec_lo, exec_lo, s21
	v_add_nc_u64_e32 v[4:5], s[18:19], v[4:5]
	s_addk_co_i32 s13, 0x100
	s_delay_alu instid0(SALU_CYCLE_1)
	s_cmp_ge_i32 s13, s5
	s_cbranch_scc1 .LBB325_14
.LBB325_12:                             ; =>This Inner Loop Header: Depth=1
	v_add_nc_u32_e32 v1, s13, v0
	s_mov_b32 s21, exec_lo
	s_delay_alu instid0(VALU_DEP_1)
	v_cmpx_gt_i32_e64 s5, v1
	s_cbranch_execz .LBB325_11
; %bb.13:                               ;   in Loop: Header=BB325_12 Depth=1
	flat_store_b64 v[4:5], v[2:3]
	s_branch .LBB325_11
.LBB325_14:
	s_mov_b32 s13, 0
.LBB325_15:
	s_delay_alu instid0(SALU_CYCLE_1)
	s_and_not1_b32 vcc_lo, exec_lo, s13
	s_cbranch_vccnz .LBB325_21
; %bb.16:
	s_and_not1_b32 vcc_lo, exec_lo, s20
	s_cbranch_vccnz .LBB325_21
; %bb.17:
	v_mov_b32_e32 v1, 0
	s_ashr_i32 s13, s12, 31
	s_lshl_b64 s[18:19], s[10:11], 3
	s_wait_kmcnt 0x0
	s_add_nc_u64 s[20:21], s[8:9], s[18:19]
	v_mul_u64_e32 v[2:3], s[12:13], v[0:1]
	s_mov_b32 s18, s3
	s_mov_b32 s19, s2
	s_delay_alu instid0(VALU_DEP_1)
	v_lshl_add_u64 v[2:3], v[2:3], 3, s[20:21]
	s_lshl_b64 s[20:21], s[12:13], 11
	s_mov_b32 s13, 0
	s_branch .LBB325_19
.LBB325_18:                             ;   in Loop: Header=BB325_19 Depth=1
	s_wait_xcnt 0x0
	s_or_b32 exec_lo, exec_lo, s22
	v_add_nc_u64_e32 v[2:3], s[20:21], v[2:3]
	s_addk_co_i32 s13, 0x100
	s_delay_alu instid0(SALU_CYCLE_1)
	s_cmp_ge_i32 s13, s5
	s_cbranch_scc1 .LBB325_21
.LBB325_19:                             ; =>This Inner Loop Header: Depth=1
	v_add_nc_u32_e32 v1, s13, v0
	s_mov_b32 s22, exec_lo
	s_delay_alu instid0(VALU_DEP_1)
	v_cmpx_gt_i32_e64 s5, v1
	s_cbranch_execz .LBB325_18
; %bb.20:                               ;   in Loop: Header=BB325_19 Depth=1
	flat_load_b64 v[4:5], v[2:3]
	v_mov_b64_e32 v[6:7], s[18:19]
	v_mov_b64_e32 v[8:9], s[2:3]
	s_wait_loadcnt_dscnt 0x0
	s_delay_alu instid0(VALU_DEP_2) | instskip(NEXT) | instid1(VALU_DEP_1)
	v_pk_mul_f32 v[6:7], v[6:7], v[4:5] op_sel:[0,1]
	v_pk_fma_f32 v[10:11], v[8:9], v[4:5], v[6:7] op_sel_hi:[1,0,1]
	v_pk_fma_f32 v[4:5], v[8:9], v[4:5], v[6:7] neg_lo:[0,0,1] neg_hi:[0,0,1]
	s_delay_alu instid0(VALU_DEP_2)
	v_mov_b32_e32 v5, v11
	flat_store_b64 v[2:3], v[4:5]
	s_branch .LBB325_18
.LBB325_21:
	s_mov_b32 s13, 0
.LBB325_22:
	s_delay_alu instid0(SALU_CYCLE_1)
	s_and_not1_b32 vcc_lo, exec_lo, s13
	s_cbranch_vccnz .LBB325_40
; %bb.23:
	s_mov_b32 s13, exec_lo
	v_cmpx_gt_i32_e64 s4, v0
	s_cbranch_execz .LBB325_25
; %bb.24:
	s_load_b32 s18, s[0:1], 0x48
	v_mov_b32_e32 v1, 0
	v_mov_b64_e32 v[4:5], s[6:7]
	s_wait_kmcnt 0x0
	s_ashr_i32 s19, s18, 31
	s_delay_alu instid0(VALU_DEP_2) | instid1(SALU_CYCLE_1)
	v_mul_u64_e32 v[2:3], s[18:19], v[0:1]
	v_lshlrev_b32_e32 v1, 3, v0
	s_delay_alu instid0(VALU_DEP_2) | instskip(SKIP_3) | instid1(VALU_DEP_1)
	v_lshl_add_u64 v[2:3], v[2:3], 3, s[16:17]
	flat_load_b64 v[2:3], v[2:3]
	s_wait_loadcnt_dscnt 0x0
	v_pk_mul_f32 v[6:7], v[2:3], v[4:5] op_sel:[1,1] op_sel_hi:[0,1]
	v_pk_fma_f32 v[8:9], v[2:3], s[6:7], v[6:7] op_sel_hi:[1,0,1]
	s_wait_xcnt 0x0
	v_pk_fma_f32 v[2:3], v[2:3], v[4:5], v[6:7] neg_lo:[0,0,1] neg_hi:[0,0,1]
	s_delay_alu instid0(VALU_DEP_2)
	v_mov_b32_e32 v3, v9
	ds_store_b64 v1, v[2:3]
.LBB325_25:
	s_or_b32 exec_lo, exec_lo, s13
	s_cmp_lt_i32 s5, 1
	s_wait_storecnt_dscnt 0x0
	s_barrier_signal -1
	s_barrier_wait -1
	s_cbranch_scc1 .LBB325_40
; %bb.26:
	s_load_b32 s20, s[0:1], 0x28
	v_mov_b32_e32 v3, 0
	s_lshl_b64 s[10:11], s[10:11], 3
	s_ashr_i32 s13, s12, 31
	s_wait_xcnt 0x0
	s_mov_b32 s1, 0
	s_mov_b32 s6, s3
	v_mov_b32_e32 v1, v3
	s_wait_kmcnt 0x0
	s_add_nc_u64 s[8:9], s[8:9], s[10:11]
	s_mov_b32 s19, 0
	s_ashr_i32 s21, s20, 31
	s_cmp_neq_f32 s2, 0
	v_mul_u64_e32 v[4:5], s[20:21], v[0:1]
	s_cselect_b32 s0, -1, 0
	s_cmp_neq_f32 s3, 0
	s_cselect_b32 s7, -1, 0
	s_delay_alu instid0(SALU_CYCLE_1)
	s_or_b32 s16, s0, s7
	s_cmp_gt_i32 s4, 0
	s_mov_b32 s7, s2
	s_cselect_b32 s17, -1, 0
	s_and_b32 s18, s4, 7
	s_cmp_gt_u32 s4, 7
	s_delay_alu instid0(VALU_DEP_1)
	v_lshl_add_u64 v[4:5], v[4:5], 3, s[14:15]
	s_cselect_b32 s14, -1, 0
	s_and_b32 s4, s4, 0x7ffffff8
	s_cmp_lg_u32 s18, 0
	s_cselect_b32 s15, -1, 0
	v_add_nc_u64_e32 v[6:7], 56, v[4:5]
	s_lshl_b64 s[10:11], s[20:21], 11
	s_branch .LBB325_29
.LBB325_27:                             ;   in Loop: Header=BB325_29 Depth=1
	flat_store_b64 v[8:9], v[10:11]
.LBB325_28:                             ;   in Loop: Header=BB325_29 Depth=1
	s_wait_xcnt 0x0
	s_or_b32 exec_lo, exec_lo, s20
	v_add_nc_u64_e32 v[6:7], s[10:11], v[6:7]
	v_add_nc_u64_e32 v[4:5], s[10:11], v[4:5]
	s_addk_co_i32 s19, 0x100
	s_delay_alu instid0(SALU_CYCLE_1)
	s_cmp_ge_i32 s19, s5
	s_cbranch_scc1 .LBB325_40
.LBB325_29:                             ; =>This Loop Header: Depth=1
                                        ;     Child Loop BB325_35 Depth 2
                                        ;     Child Loop BB325_39 Depth 2
	v_add_nc_u32_e32 v2, s19, v0
	s_mov_b32 s20, exec_lo
	s_delay_alu instid0(VALU_DEP_1)
	v_cmpx_gt_i32_e64 s5, v2
	s_cbranch_execz .LBB325_28
; %bb.30:                               ;   in Loop: Header=BB325_29 Depth=1
	v_mul_u64_e32 v[8:9], s[12:13], v[2:3]
	s_and_not1_b32 vcc_lo, exec_lo, s16
	s_delay_alu instid0(VALU_DEP_1)
	v_lshl_add_u64 v[8:9], v[8:9], 3, s[8:9]
	s_cbranch_vccnz .LBB325_32
; %bb.31:                               ;   in Loop: Header=BB325_29 Depth=1
	flat_load_b64 v[10:11], v[8:9]
	v_mov_b64_e32 v[12:13], s[6:7]
	v_mov_b64_e32 v[14:15], s[2:3]
	s_wait_loadcnt_dscnt 0x0
	s_delay_alu instid0(VALU_DEP_2) | instskip(NEXT) | instid1(VALU_DEP_1)
	v_pk_mul_f32 v[12:13], v[12:13], v[10:11] op_sel:[0,1]
	v_pk_fma_f32 v[16:17], v[14:15], v[10:11], v[12:13] op_sel_hi:[1,0,1]
	v_pk_fma_f32 v[10:11], v[14:15], v[10:11], v[12:13] neg_lo:[0,0,1] neg_hi:[0,0,1]
	s_delay_alu instid0(VALU_DEP_2)
	v_mov_b32_e32 v11, v17
	s_and_not1_b32 vcc_lo, exec_lo, s17
	s_cbranch_vccz .LBB325_33
	s_branch .LBB325_27
.LBB325_32:                             ;   in Loop: Header=BB325_29 Depth=1
	v_mov_b64_e32 v[10:11], 0
	s_and_not1_b32 vcc_lo, exec_lo, s17
	s_cbranch_vccnz .LBB325_27
.LBB325_33:                             ;   in Loop: Header=BB325_29 Depth=1
	s_and_not1_b32 vcc_lo, exec_lo, s14
	s_mov_b32 s0, 0
	s_cbranch_vccnz .LBB325_37
; %bb.34:                               ;   in Loop: Header=BB325_29 Depth=1
	v_mov_b64_e32 v[12:13], v[6:7]
	s_mov_b32 s21, 0
.LBB325_35:                             ;   Parent Loop BB325_29 Depth=1
                                        ; =>  This Inner Loop Header: Depth=2
	s_clause 0x3
	flat_load_b128 v[14:17], v[12:13] offset:-56
	flat_load_b128 v[18:21], v[12:13] offset:-40
	;; [unrolled: 1-line block ×4, first 2 shown]
	v_mov_b32_e32 v1, s0
	s_wait_xcnt 0x0
	v_add_nc_u64_e32 v[12:13], 64, v[12:13]
	s_add_co_i32 s21, s21, 8
	s_add_co_i32 s0, s0, 64
	ds_load_b128 v[30:33], v1
	ds_load_b128 v[34:37], v1 offset:16
	ds_load_b128 v[38:41], v1 offset:32
	;; [unrolled: 1-line block ×3, first 2 shown]
	s_cmp_eq_u32 s4, s21
	s_wait_dscnt 0x3
	v_dual_mov_b32 v2, v31 :: v_dual_mov_b32 v46, v33
	s_wait_dscnt 0x2
	v_dual_mov_b32 v48, v33 :: v_dual_mov_b32 v50, v35
	v_dual_mov_b32 v52, v37 :: v_dual_mov_b32 v54, v37
	s_wait_dscnt 0x1
	v_dual_mov_b32 v56, v39 :: v_dual_mov_b32 v58, v41
	s_wait_dscnt 0x0
	v_dual_mov_b32 v60, v41 :: v_dual_mov_b32 v62, v43
	s_wait_loadcnt 0x3
	v_pk_mul_f32 v[64:65], v[14:15], v[30:31] op_sel_hi:[1,0]
	v_pk_mul_f32 v[32:33], v[16:17], v[32:33] op_sel_hi:[1,0]
	s_wait_loadcnt 0x2
	v_dual_mov_b32 v66, v21 :: v_dual_mov_b32 v67, v20
	v_pk_mul_f32 v[20:21], v[20:21], v[36:37] op_sel_hi:[1,0]
	v_pk_fma_f32 v[30:31], v[14:15], v[30:31], v[64:65] op_sel:[1,1,0] op_sel_hi:[0,1,1] neg_lo:[0,0,1] neg_hi:[0,0,1]
	v_pk_fma_f32 v[14:15], v[14:15], v[2:3], v[64:65] op_sel:[1,0,0] op_sel_hi:[0,1,1]
	v_dual_mov_b32 v64, v17 :: v_dual_mov_b32 v65, v16
	v_pk_mul_f32 v[16:17], v[18:19], v[34:35] op_sel_hi:[1,0]
	s_delay_alu instid0(VALU_DEP_4)
	v_mov_b32_e32 v15, v31
	s_wait_loadcnt 0x1
	v_pk_mul_f32 v[36:37], v[22:23], v[38:39] op_sel_hi:[1,0]
	v_mov_b32_e32 v30, v45
	v_pk_fma_f32 v[46:47], v[64:65], v[46:47], v[32:33]
	v_pk_fma_f32 v[32:33], v[64:65], v[48:49], v[32:33] op_sel_hi:[1,0,1] neg_lo:[0,0,1] neg_hi:[0,0,1]
	v_dual_mov_b32 v48, v25 :: v_dual_mov_b32 v49, v24
	v_pk_fma_f32 v[34:35], v[18:19], v[34:35], v[16:17] op_sel:[1,1,0] op_sel_hi:[0,1,1] neg_lo:[0,0,1] neg_hi:[0,0,1]
	v_pk_add_f32 v[10:11], v[10:11], v[14:15]
	s_delay_alu instid0(VALU_DEP_4)
	v_mov_b32_e32 v47, v33
	v_pk_fma_f32 v[16:17], v[18:19], v[50:51], v[16:17] op_sel:[1,0,0] op_sel_hi:[0,1,1]
	v_pk_fma_f32 v[18:19], v[66:67], v[54:55], v[20:21] op_sel_hi:[1,0,1] neg_lo:[0,0,1] neg_hi:[0,0,1]
	s_wait_loadcnt 0x0
	v_dual_mov_b32 v17, v35 :: v_dual_mov_b32 v18, v29
	v_pk_add_f32 v[10:11], v[10:11], v[46:47]
	v_pk_fma_f32 v[20:21], v[66:67], v[52:53], v[20:21]
	v_pk_mul_f32 v[24:25], v[24:25], v[40:41] op_sel_hi:[1,0]
	v_pk_fma_f32 v[32:33], v[22:23], v[38:39], v[36:37] op_sel:[1,1,0] op_sel_hi:[0,1,1] neg_lo:[0,0,1] neg_hi:[0,0,1]
	v_dual_mov_b32 v21, v19 :: v_dual_mov_b32 v19, v28
	v_pk_add_f32 v[10:11], v[10:11], v[16:17]
	v_pk_fma_f32 v[16:17], v[22:23], v[56:57], v[36:37] op_sel:[1,0,0] op_sel_hi:[0,1,1]
	v_pk_mul_f32 v[14:15], v[26:27], v[42:43] op_sel_hi:[1,0]
	v_pk_fma_f32 v[22:23], v[48:49], v[60:61], v[24:25] op_sel_hi:[1,0,1] neg_lo:[0,0,1] neg_hi:[0,0,1]
	v_mov_b32_e32 v17, v33
	v_pk_add_f32 v[10:11], v[10:11], v[20:21]
	v_pk_fma_f32 v[24:25], v[48:49], v[58:59], v[24:25]
	v_pk_mul_f32 v[20:21], v[28:29], v[44:45] op_sel_hi:[1,0]
	v_pk_fma_f32 v[28:29], v[26:27], v[42:43], v[14:15] op_sel:[1,1,0] op_sel_hi:[0,1,1] neg_lo:[0,0,1] neg_hi:[0,0,1]
	v_mov_b32_e32 v25, v23
	v_pk_add_f32 v[10:11], v[10:11], v[16:17]
	v_mov_b32_e32 v2, v45
	v_pk_fma_f32 v[14:15], v[26:27], v[62:63], v[14:15] op_sel:[1,0,0] op_sel_hi:[0,1,1]
	v_pk_fma_f32 v[16:17], v[18:19], v[30:31], v[20:21] op_sel_hi:[1,0,1] neg_lo:[0,0,1] neg_hi:[0,0,1]
	v_mov_b32_e32 v15, v29
	v_pk_add_f32 v[10:11], v[10:11], v[24:25]
	v_pk_fma_f32 v[18:19], v[18:19], v[2:3], v[20:21]
	s_delay_alu instid0(VALU_DEP_4) | instskip(NEXT) | instid1(VALU_DEP_3)
	v_mov_b32_e32 v19, v17
	v_pk_add_f32 v[10:11], v[10:11], v[14:15]
	s_delay_alu instid0(VALU_DEP_1)
	v_pk_add_f32 v[10:11], v[10:11], v[18:19]
	s_cbranch_scc0 .LBB325_35
; %bb.36:                               ;   in Loop: Header=BB325_29 Depth=1
	s_mov_b32 s0, s4
.LBB325_37:                             ;   in Loop: Header=BB325_29 Depth=1
	s_and_not1_b32 vcc_lo, exec_lo, s15
	s_cbranch_vccnz .LBB325_27
; %bb.38:                               ;   in Loop: Header=BB325_29 Depth=1
	v_lshl_add_u64 v[12:13], s[0:1], 3, v[4:5]
	s_lshl_b32 s0, s0, 3
	s_mov_b32 s21, s18
.LBB325_39:                             ;   Parent Loop BB325_29 Depth=1
                                        ; =>  This Inner Loop Header: Depth=2
	flat_load_b64 v[14:15], v[12:13]
	v_mov_b32_e32 v1, s0
	s_wait_xcnt 0x0
	v_add_nc_u64_e32 v[12:13], 8, v[12:13]
	s_add_co_i32 s21, s21, -1
	s_add_co_i32 s0, s0, 8
	s_cmp_lg_u32 s21, 0
	ds_load_b64 v[16:17], v1
	s_wait_dscnt 0x0
	v_mov_b32_e32 v2, v17
	s_wait_loadcnt 0x0
	v_pk_mul_f32 v[18:19], v[14:15], v[16:17] op_sel_hi:[1,0]
	s_delay_alu instid0(VALU_DEP_1) | instskip(NEXT) | instid1(VALU_DEP_3)
	v_pk_fma_f32 v[16:17], v[14:15], v[16:17], v[18:19] op_sel:[1,1,0] op_sel_hi:[0,1,1] neg_lo:[0,0,1] neg_hi:[0,0,1]
	v_pk_fma_f32 v[14:15], v[14:15], v[2:3], v[18:19] op_sel:[1,0,0] op_sel_hi:[0,1,1]
	s_delay_alu instid0(VALU_DEP_2) | instskip(NEXT) | instid1(VALU_DEP_1)
	v_mov_b32_e32 v15, v17
	v_pk_add_f32 v[10:11], v[10:11], v[14:15]
	s_cbranch_scc1 .LBB325_39
	s_branch .LBB325_27
.LBB325_40:
	s_sendmsg sendmsg(MSG_DEALLOC_VGPRS)
	s_endpgm
	.section	.rodata,"a",@progbits
	.p2align	6, 0x0
	.amdhsa_kernel _ZL22rocblas_gemvtsm_kernelILb1ELi256EPK19rocblas_complex_numIfES1_KPS1_EviiT2_lPKT1_lilS9_lilS6_lPT3_lil
		.amdhsa_group_segment_fixed_size 512
		.amdhsa_private_segment_fixed_size 0
		.amdhsa_kernarg_size 136
		.amdhsa_user_sgpr_count 2
		.amdhsa_user_sgpr_dispatch_ptr 0
		.amdhsa_user_sgpr_queue_ptr 0
		.amdhsa_user_sgpr_kernarg_segment_ptr 1
		.amdhsa_user_sgpr_dispatch_id 0
		.amdhsa_user_sgpr_kernarg_preload_length 0
		.amdhsa_user_sgpr_kernarg_preload_offset 0
		.amdhsa_user_sgpr_private_segment_size 0
		.amdhsa_wavefront_size32 1
		.amdhsa_uses_dynamic_stack 0
		.amdhsa_enable_private_segment 0
		.amdhsa_system_sgpr_workgroup_id_x 1
		.amdhsa_system_sgpr_workgroup_id_y 0
		.amdhsa_system_sgpr_workgroup_id_z 0
		.amdhsa_system_sgpr_workgroup_info 0
		.amdhsa_system_vgpr_workitem_id 0
		.amdhsa_next_free_vgpr 68
		.amdhsa_next_free_sgpr 24
		.amdhsa_named_barrier_count 0
		.amdhsa_reserve_vcc 1
		.amdhsa_float_round_mode_32 0
		.amdhsa_float_round_mode_16_64 0
		.amdhsa_float_denorm_mode_32 3
		.amdhsa_float_denorm_mode_16_64 3
		.amdhsa_fp16_overflow 0
		.amdhsa_memory_ordered 1
		.amdhsa_forward_progress 1
		.amdhsa_inst_pref_size 16
		.amdhsa_round_robin_scheduling 0
		.amdhsa_exception_fp_ieee_invalid_op 0
		.amdhsa_exception_fp_denorm_src 0
		.amdhsa_exception_fp_ieee_div_zero 0
		.amdhsa_exception_fp_ieee_overflow 0
		.amdhsa_exception_fp_ieee_underflow 0
		.amdhsa_exception_fp_ieee_inexact 0
		.amdhsa_exception_int_div_zero 0
	.end_amdhsa_kernel
	.section	.text._ZL22rocblas_gemvtsm_kernelILb1ELi256EPK19rocblas_complex_numIfES1_KPS1_EviiT2_lPKT1_lilS9_lilS6_lPT3_lil,"axG",@progbits,_ZL22rocblas_gemvtsm_kernelILb1ELi256EPK19rocblas_complex_numIfES1_KPS1_EviiT2_lPKT1_lilS9_lilS6_lPT3_lil,comdat
.Lfunc_end325:
	.size	_ZL22rocblas_gemvtsm_kernelILb1ELi256EPK19rocblas_complex_numIfES1_KPS1_EviiT2_lPKT1_lilS9_lilS6_lPT3_lil, .Lfunc_end325-_ZL22rocblas_gemvtsm_kernelILb1ELi256EPK19rocblas_complex_numIfES1_KPS1_EviiT2_lPKT1_lilS9_lilS6_lPT3_lil
                                        ; -- End function
	.set _ZL22rocblas_gemvtsm_kernelILb1ELi256EPK19rocblas_complex_numIfES1_KPS1_EviiT2_lPKT1_lilS9_lilS6_lPT3_lil.num_vgpr, 68
	.set _ZL22rocblas_gemvtsm_kernelILb1ELi256EPK19rocblas_complex_numIfES1_KPS1_EviiT2_lPKT1_lilS9_lilS6_lPT3_lil.num_agpr, 0
	.set _ZL22rocblas_gemvtsm_kernelILb1ELi256EPK19rocblas_complex_numIfES1_KPS1_EviiT2_lPKT1_lilS9_lilS6_lPT3_lil.numbered_sgpr, 24
	.set _ZL22rocblas_gemvtsm_kernelILb1ELi256EPK19rocblas_complex_numIfES1_KPS1_EviiT2_lPKT1_lilS9_lilS6_lPT3_lil.num_named_barrier, 0
	.set _ZL22rocblas_gemvtsm_kernelILb1ELi256EPK19rocblas_complex_numIfES1_KPS1_EviiT2_lPKT1_lilS9_lilS6_lPT3_lil.private_seg_size, 0
	.set _ZL22rocblas_gemvtsm_kernelILb1ELi256EPK19rocblas_complex_numIfES1_KPS1_EviiT2_lPKT1_lilS9_lilS6_lPT3_lil.uses_vcc, 1
	.set _ZL22rocblas_gemvtsm_kernelILb1ELi256EPK19rocblas_complex_numIfES1_KPS1_EviiT2_lPKT1_lilS9_lilS6_lPT3_lil.uses_flat_scratch, 1
	.set _ZL22rocblas_gemvtsm_kernelILb1ELi256EPK19rocblas_complex_numIfES1_KPS1_EviiT2_lPKT1_lilS9_lilS6_lPT3_lil.has_dyn_sized_stack, 0
	.set _ZL22rocblas_gemvtsm_kernelILb1ELi256EPK19rocblas_complex_numIfES1_KPS1_EviiT2_lPKT1_lilS9_lilS6_lPT3_lil.has_recursion, 0
	.set _ZL22rocblas_gemvtsm_kernelILb1ELi256EPK19rocblas_complex_numIfES1_KPS1_EviiT2_lPKT1_lilS9_lilS6_lPT3_lil.has_indirect_call, 0
	.section	.AMDGPU.csdata,"",@progbits
; Kernel info:
; codeLenInByte = 1928
; TotalNumSgprs: 26
; NumVgprs: 68
; ScratchSize: 0
; MemoryBound: 0
; FloatMode: 240
; IeeeMode: 1
; LDSByteSize: 512 bytes/workgroup (compile time only)
; SGPRBlocks: 0
; VGPRBlocks: 4
; NumSGPRsForWavesPerEU: 26
; NumVGPRsForWavesPerEU: 68
; NamedBarCnt: 0
; Occupancy: 12
; WaveLimiterHint : 1
; COMPUTE_PGM_RSRC2:SCRATCH_EN: 0
; COMPUTE_PGM_RSRC2:USER_SGPR: 2
; COMPUTE_PGM_RSRC2:TRAP_HANDLER: 0
; COMPUTE_PGM_RSRC2:TGID_X_EN: 1
; COMPUTE_PGM_RSRC2:TGID_Y_EN: 0
; COMPUTE_PGM_RSRC2:TGID_Z_EN: 0
; COMPUTE_PGM_RSRC2:TIDIG_COMP_CNT: 0
	.section	.text._ZL23rocblas_gemvt_sn_kernelILb1ELi256ELi4EiPK19rocblas_complex_numIfES3_S1_EviiT4_lPKT3_lilS7_lilPT5_i,"axG",@progbits,_ZL23rocblas_gemvt_sn_kernelILb1ELi256ELi4EiPK19rocblas_complex_numIfES3_S1_EviiT4_lPKT3_lilS7_lilPT5_i,comdat
	.globl	_ZL23rocblas_gemvt_sn_kernelILb1ELi256ELi4EiPK19rocblas_complex_numIfES3_S1_EviiT4_lPKT3_lilS7_lilPT5_i ; -- Begin function _ZL23rocblas_gemvt_sn_kernelILb1ELi256ELi4EiPK19rocblas_complex_numIfES3_S1_EviiT4_lPKT3_lilS7_lilPT5_i
	.p2align	8
	.type	_ZL23rocblas_gemvt_sn_kernelILb1ELi256ELi4EiPK19rocblas_complex_numIfES3_S1_EviiT4_lPKT3_lilS7_lilPT5_i,@function
_ZL23rocblas_gemvt_sn_kernelILb1ELi256ELi4EiPK19rocblas_complex_numIfES3_S1_EviiT4_lPKT3_lilS7_lilPT5_i: ; @_ZL23rocblas_gemvt_sn_kernelILb1ELi256ELi4EiPK19rocblas_complex_numIfES3_S1_EviiT4_lPKT3_lilS7_lilPT5_i
; %bb.0:
	s_load_b32 s33, s[2:3], 0x60
	s_bfe_u32 s4, ttmp6, 0x40014
	s_lshr_b32 s5, ttmp7, 16
	s_add_co_i32 s4, s4, 1
	s_bfe_u32 s7, ttmp6, 0x40008
	s_mul_i32 s6, s5, s4
	s_getreg_b32 s4, hwreg(HW_REG_IB_STS2, 6, 4)
	s_add_co_i32 s7, s7, s6
	s_cmp_eq_u32 s4, 0
	s_mov_b32 s25, 0
	s_cselect_b32 s10, s5, s7
	s_wait_kmcnt 0x0
	s_cmp_ge_u32 s10, s33
	s_cbranch_scc1 .LBB326_88
; %bb.1:
	s_load_b64 s[8:9], s[0:1], 0x4
	s_clause 0x5
	s_load_b64 s[26:27], s[2:3], 0x0
	s_load_b256 s[12:19], s[2:3], 0x8
	s_load_b32 s52, s[2:3], 0x28
	s_load_b128 s[20:23], s[2:3], 0x38
	s_load_b32 s53, s[2:3], 0x48
	s_load_b64 s[28:29], s[2:3], 0x58
	v_and_b32_e32 v1, 0x3ff, v0
	s_load_b32 s30, s[2:3], 0x68
	v_bfe_u32 v2, v0, 10, 10
	v_bfe_u32 v3, v0, 20, 10
	v_mbcnt_lo_u32_b32 v45, -1, 0
	s_wait_xcnt 0x0
	v_cmp_eq_u32_e64 s0, 0, v1
	v_mov_b64_e32 v[12:13], 0
	s_mov_b32 s35, s25
	s_mov_b32 s31, s25
	v_lshl_or_b32 v47, v45, 2, 64
	v_mov_b32_e32 v46, 0
	s_wait_kmcnt 0x0
	s_lshr_b32 s1, s8, 16
	s_ashr_i32 s7, s27, 31
	s_cmp_gt_i32 s27, 0
	s_mul_i32 s1, s1, s9
	s_cselect_b32 s2, -1, 0
	s_bfe_u32 s3, ttmp6, 0x4000c
	v_mul_lo_u32 v4, s1, v1
	s_add_co_i32 s3, s3, 1
	s_and_b32 s5, ttmp6, 15
	s_mul_i32 s1, ttmp9, s3
	s_and_b32 s54, s0, s2
	s_add_co_i32 s5, s5, s1
	s_cmp_eq_u32 s4, 0
	v_mul_u32_u24_e32 v2, s9, v2
	s_cselect_b32 s34, ttmp9, s5
	s_ashr_i32 s2, s26, 31
	s_lshl_b32 s3, s34, 10
	s_lshr_b32 s2, s2, 30
	v_add3_u32 v3, v4, v2, v3
	v_lshl_or_b32 v2, v1, 2, s3
	s_add_co_i32 s2, s26, s2
	s_lshr_b32 s1, s7, 30
	s_and_b32 s2, s2, -4
	v_lshl_add_u32 v42, v3, 5, 0x100
	v_mul_lo_u32 v4, s53, v2
	v_dual_ashrrev_i32 v3, 31, v2 :: v_dual_add_nc_u32 v5, 4, v2
	s_add_co_i32 s1, s27, s1
	s_sub_co_i32 s56, s26, s2
	s_and_b32 s55, s1, -4
	v_add_nc_u32_e32 v6, s56, v2
	v_cmp_ge_i32_e64 s1, s26, v5
	v_and_b32_e32 v5, 31, v0
	s_cmp_gt_i32 s55, 0
	v_lshlrev_b64_e32 v[10:11], 3, v[2:3]
	v_cmp_ge_i32_e64 s2, s26, v6
	s_delay_alu instid0(VALU_DEP_3) | instskip(SKIP_3) | instid1(VALU_DEP_2)
	v_dual_lshrrev_b32 v6, 2, v0 :: v_dual_lshlrev_b32 v43, 3, v5
	v_add_nc_u32_e32 v0, s53, v4
	s_cselect_b32 s57, -1, 0
	s_cmp_gt_i32 s56, 0
	v_and_b32_e32 v44, 56, v6
	s_cselect_b32 s26, -1, 0
	v_add_nc_u32_e32 v6, s53, v0
	s_and_b32 s58, s26, s2
	s_cmp_gt_u32 s27, 1
	v_cmp_gt_u32_e64 s3, 32, v1
	s_cselect_b32 s8, -1, 0
	s_cmp_eq_u32 s30, 1
	v_cmp_eq_u32_e64 s4, 0, v5
	v_cmp_gt_u32_e64 s5, 8, v1
	v_ashrrev_i32_e32 v1, 31, v0
	v_dual_ashrrev_i32 v5, 31, v4 :: v_dual_add_nc_u32 v8, s53, v6
	s_cselect_b32 s9, -1, 0
	s_and_b32 s59, s27, 0x7ffffffe
	s_and_b32 s60, s8, s9
	s_cmp_lg_u32 s27, s59
	v_dual_ashrrev_i32 v7, 31, v6 :: v_dual_ashrrev_i32 v9, 31, v8
	v_or_b32_e32 v10, 4, v10
	s_mov_b32 s6, s27
	s_cselect_b32 s61, -1, 0
	s_lshl_b64 s[38:39], s[34:35], 3
	s_mul_u64 s[36:37], s[6:7], s[30:31]
	s_add_nc_u64 s[40:41], s[28:29], s[38:39]
	s_lshl_b64 s[42:43], s[6:7], 3
	s_lshl_b64 s[44:45], s[30:31], 3
	s_lshl_b32 s35, s52, 2
	s_lshl_b32 s62, s52, 1
	s_mul_i32 s63, s52, 3
	s_lshl_b64 s[18:19], s[18:19], 3
	s_lshl_b64 s[22:23], s[22:23], 3
	s_branch .LBB326_3
.LBB326_2:                              ;   in Loop: Header=BB326_3 Depth=1
	s_add_co_i32 s10, s10, 0x10000
	s_delay_alu instid0(SALU_CYCLE_1)
	s_cmp_lt_u32 s10, s33
	s_cbranch_scc0 .LBB326_88
.LBB326_3:                              ; =>This Loop Header: Depth=1
                                        ;     Child Loop BB326_11 Depth 2
                                        ;     Child Loop BB326_15 Depth 2
	;; [unrolled: 1-line block ×3, first 2 shown]
                                        ;       Child Loop BB326_51 Depth 3
                                        ;       Child Loop BB326_53 Depth 3
                                        ;     Child Loop BB326_69 Depth 2
                                        ;       Child Loop BB326_81 Depth 3
                                        ;       Child Loop BB326_83 Depth 3
	s_mov_b32 s11, s25
	v_mov_b64_e32 v[28:29], 0
	s_mul_u64 s[6:7], s[14:15], s[10:11]
	s_delay_alu instid0(SALU_CYCLE_1) | instskip(NEXT) | instid1(SALU_CYCLE_1)
	s_lshl_b64 s[6:7], s[6:7], 3
	s_add_nc_u64 s[6:7], s[12:13], s[6:7]
	global_load_b64 v[14:15], v46, s[6:7]
	s_wait_loadcnt 0x0
	v_or_b32_e32 v16, v14, v15
	s_delay_alu instid0(VALU_DEP_1) | instskip(SKIP_1) | instid1(VALU_DEP_1)
	v_and_b32_e32 v16, 0x7fffffff, v16
	s_wait_xcnt 0x0
	v_cmp_eq_u32_e64 s6, 0, v16
	v_cmp_ne_u32_e64 s7, 0, v16
	s_and_b32 vcc_lo, exec_lo, s6
	s_cbranch_vccnz .LBB326_5
; %bb.4:                                ;   in Loop: Header=BB326_3 Depth=1
	s_lshl_b64 s[8:9], s[10:11], 3
	s_delay_alu instid0(SALU_CYCLE_1)
	s_add_nc_u64 s[8:9], s[16:17], s[8:9]
	global_load_b64 v[16:17], v46, s[8:9]
	s_wait_loadcnt 0x0
	v_add_nc_u64_e32 v[28:29], s[18:19], v[16:17]
.LBB326_5:                              ;   in Loop: Header=BB326_3 Depth=1
	v_mov_b64_e32 v[16:17], 0
	s_and_not1_b32 vcc_lo, exec_lo, s7
	s_cbranch_vccnz .LBB326_7
; %bb.6:                                ;   in Loop: Header=BB326_3 Depth=1
	s_wait_xcnt 0x0
	s_lshl_b64 s[8:9], s[10:11], 3
	s_delay_alu instid0(SALU_CYCLE_1)
	s_add_nc_u64 s[8:9], s[20:21], s[8:9]
	global_load_b64 v[16:17], v46, s[8:9]
	s_wait_loadcnt 0x0
	v_add_nc_u64_e32 v[16:17], s[22:23], v[16:17]
.LBB326_7:                              ;   in Loop: Header=BB326_3 Depth=1
	s_wait_xcnt 0x0
	s_mul_u64 s[8:9], s[36:37], s[10:11]
	s_and_not1_b32 vcc_lo, exec_lo, s6
	s_lshl_b64 s[8:9], s[8:9], 3
	s_mov_b32 s6, -1
	s_add_nc_u64 s[46:47], s[28:29], s[8:9]
	s_cbranch_vccnz .LBB326_17
; %bb.8:                                ;   in Loop: Header=BB326_3 Depth=1
	s_and_saveexec_b32 s50, s54
	s_cbranch_execz .LBB326_16
; %bb.9:                                ;   in Loop: Header=BB326_3 Depth=1
	s_and_not1_b32 vcc_lo, exec_lo, s60
	s_cbranch_vccnz .LBB326_13
; %bb.10:                               ;   in Loop: Header=BB326_3 Depth=1
	s_add_nc_u64 s[6:7], s[46:47], s[38:39]
	s_mov_b32 s8, 1
	s_mov_b32 s24, 0
	;; [unrolled: 1-line block ×3, first 2 shown]
.LBB326_11:                             ;   Parent Loop BB326_3 Depth=1
                                        ; =>  This Inner Loop Header: Depth=2
	s_mov_b32 s9, s25
	s_wait_xcnt 0x1
	s_lshl_b64 s[64:65], s[24:25], 3
	s_add_co_i32 s49, s49, -2
	s_add_co_i32 s24, s24, 2
	s_wait_xcnt 0x0
	s_lshl_b64 s[66:67], s[8:9], 3
	s_add_co_i32 s8, s8, 2
	s_mov_b32 s48, s59
	s_mov_b32 s51, s61
	s_add_nc_u64 s[64:65], s[6:7], s[64:65]
	s_cmp_lg_u32 s49, 0
	s_add_nc_u64 s[66:67], s[6:7], s[66:67]
	s_clause 0x1
	global_store_b64 v46, v[12:13], s[64:65]
	global_store_b64 v46, v[12:13], s[66:67]
	s_cbranch_scc1 .LBB326_11
; %bb.12:                               ;   in Loop: Header=BB326_3 Depth=1
	s_and_b32 vcc_lo, exec_lo, s51
	s_cbranch_vccnz .LBB326_14
	s_branch .LBB326_16
.LBB326_13:                             ;   in Loop: Header=BB326_3 Depth=1
	s_mov_b32 s48, 0
	s_cbranch_execz .LBB326_16
.LBB326_14:                             ;   in Loop: Header=BB326_3 Depth=1
	s_mov_b32 s49, s25
	s_mul_u64 s[6:7], s[42:43], s[10:11]
	s_lshl_b64 s[8:9], s[48:49], 3
	s_delay_alu instid0(SALU_CYCLE_1) | instskip(SKIP_2) | instid1(SALU_CYCLE_1)
	s_add_nc_u64 s[6:7], s[6:7], s[8:9]
	s_sub_co_i32 s8, s27, s48
	s_mul_u64 s[6:7], s[30:31], s[6:7]
	s_add_nc_u64 s[6:7], s[40:41], s[6:7]
.LBB326_15:                             ;   Parent Loop BB326_3 Depth=1
                                        ; =>  This Inner Loop Header: Depth=2
	s_add_co_i32 s8, s8, -1
	global_store_b64 v46, v[12:13], s[6:7]
	s_cmp_eq_u32 s8, 0
	s_wait_xcnt 0x0
	s_add_nc_u64 s[6:7], s[6:7], s[44:45]
	s_cbranch_scc0 .LBB326_15
.LBB326_16:                             ;   in Loop: Header=BB326_3 Depth=1
	s_wait_xcnt 0x0
	s_or_b32 exec_lo, exec_lo, s50
	s_mov_b32 s6, 0
.LBB326_17:                             ;   in Loop: Header=BB326_3 Depth=1
	s_delay_alu instid0(SALU_CYCLE_1)
	s_and_not1_b32 vcc_lo, exec_lo, s6
	s_cbranch_vccnz .LBB326_2
; %bb.18:                               ;   in Loop: Header=BB326_3 Depth=1
	v_lshl_add_u64 v[18:19], v[2:3], 3, v[28:29]
	v_add_nc_u64_e32 v[28:29], v[28:29], v[10:11]
	v_lshl_add_u64 v[20:21], v[4:5], 3, v[16:17]
	v_lshl_add_u64 v[22:23], v[0:1], 3, v[16:17]
	;; [unrolled: 1-line block ×4, first 2 shown]
	v_cmp_gt_u32_e64 s9, 24, v45
	v_cmp_gt_u32_e64 s8, 28, v45
	;; [unrolled: 1-line block ×3, first 2 shown]
	v_cmp_ne_u32_e64 s6, 31, v45
	s_and_not1_b32 vcc_lo, exec_lo, s57
	s_cbranch_vccnz .LBB326_65
; %bb.19:                               ;   in Loop: Header=BB326_3 Depth=1
	v_cndmask_b32_e64 v30, 0, 8, s9
	v_cndmask_b32_e64 v31, 0, 4, s8
	s_wait_dscnt 0x0
	v_cndmask_b32_e64 v32, 0, 2, s7
	v_add_co_ci_u32_e64 v33, null, 0, v45, s6
	v_add_lshl_u32 v48, v30, v45, 2
	v_add_lshl_u32 v49, v31, v45, 2
	s_delay_alu instid0(VALU_DEP_4) | instskip(NEXT) | instid1(VALU_DEP_4)
	v_add_lshl_u32 v50, v32, v45, 2
	v_dual_mov_b32 v30, v15 :: v_dual_lshlrev_b32 v51, 2, v33
	v_mov_b32_e32 v31, v14
	s_mov_b32 s6, 0
	s_mov_b32 s11, s63
	;; [unrolled: 1-line block ×5, first 2 shown]
	s_branch .LBB326_21
.LBB326_20:                             ;   in Loop: Header=BB326_21 Depth=2
	s_wait_xcnt 0x0
	s_or_b32 exec_lo, exec_lo, s7
	s_add_co_i32 s24, s24, 4
	s_add_co_i32 s65, s65, s35
	;; [unrolled: 1-line block ×5, first 2 shown]
	s_cmp_ge_i32 s24, s55
	s_cbranch_scc1 .LBB326_66
.LBB326_21:                             ;   Parent Loop BB326_3 Depth=1
                                        ; =>  This Loop Header: Depth=2
                                        ;       Child Loop BB326_51 Depth 3
                                        ;       Child Loop BB326_53 Depth 3
                                        ; implicit-def: $vgpr39
                                        ; implicit-def: $vgpr37
                                        ; implicit-def: $vgpr35
                                        ; implicit-def: $vgpr33
	s_and_saveexec_b32 s7, s1
	s_delay_alu instid0(SALU_CYCLE_1)
	s_xor_b32 s7, exec_lo, s7
	s_cbranch_execnz .LBB326_48
; %bb.22:                               ;   in Loop: Header=BB326_21 Depth=2
	s_and_not1_saveexec_b32 s66, s7
	s_cbranch_execnz .LBB326_49
.LBB326_23:                             ;   in Loop: Header=BB326_21 Depth=2
	s_or_b32 exec_lo, exec_lo, s66
	s_and_saveexec_b32 s7, s3
.LBB326_24:                             ;   in Loop: Header=BB326_21 Depth=2
	ds_store_b64 v43, v[12:13]
.LBB326_25:                             ;   in Loop: Header=BB326_21 Depth=2
	s_or_b32 exec_lo, exec_lo, s7
	ds_bpermute_b32 v40, v47, v38
	ds_bpermute_b32 v41, v47, v39
	s_wait_storecnt_dscnt 0x0
	s_barrier_signal -1
	s_barrier_wait -1
	v_pk_add_f32 v[38:39], v[38:39], v[40:41]
	ds_bpermute_b32 v40, v48, v38
	ds_bpermute_b32 v41, v48, v39
	s_wait_dscnt 0x0
	v_pk_add_f32 v[38:39], v[38:39], v[40:41]
	ds_bpermute_b32 v40, v49, v38
	ds_bpermute_b32 v41, v49, v39
	s_wait_dscnt 0x0
	;; [unrolled: 4-line block ×3, first 2 shown]
	v_pk_add_f32 v[38:39], v[38:39], v[40:41]
	ds_bpermute_b32 v40, v51, v38
	ds_bpermute_b32 v41, v51, v39
	s_and_saveexec_b32 s7, s4
	s_cbranch_execz .LBB326_27
; %bb.26:                               ;   in Loop: Header=BB326_21 Depth=2
	s_wait_dscnt 0x0
	v_pk_add_f32 v[38:39], v[38:39], v[40:41]
	ds_store_b64 v44, v[38:39]
.LBB326_27:                             ;   in Loop: Header=BB326_21 Depth=2
	s_or_b32 exec_lo, exec_lo, s7
	v_mov_b64_e32 v[38:39], 0
	s_wait_dscnt 0x0
	s_barrier_signal -1
	s_barrier_wait -1
	s_and_saveexec_b32 s7, s5
	s_cbranch_execnz .LBB326_54
; %bb.28:                               ;   in Loop: Header=BB326_21 Depth=2
	s_or_b32 exec_lo, exec_lo, s7
	s_and_saveexec_b32 s7, s3
	s_cbranch_execnz .LBB326_55
.LBB326_29:                             ;   in Loop: Header=BB326_21 Depth=2
	s_or_b32 exec_lo, exec_lo, s7
	s_and_saveexec_b32 s7, s3
.LBB326_30:                             ;   in Loop: Header=BB326_21 Depth=2
	ds_store_b64 v43, v[12:13]
.LBB326_31:                             ;   in Loop: Header=BB326_21 Depth=2
	s_or_b32 exec_lo, exec_lo, s7
	ds_bpermute_b32 v40, v47, v36
	ds_bpermute_b32 v41, v47, v37
	s_wait_dscnt 0x0
	s_barrier_signal -1
	s_barrier_wait -1
	v_pk_add_f32 v[36:37], v[36:37], v[40:41]
	ds_bpermute_b32 v40, v48, v36
	ds_bpermute_b32 v41, v48, v37
	s_wait_dscnt 0x0
	v_pk_add_f32 v[36:37], v[36:37], v[40:41]
	ds_bpermute_b32 v40, v49, v36
	ds_bpermute_b32 v41, v49, v37
	s_wait_dscnt 0x0
	;; [unrolled: 4-line block ×3, first 2 shown]
	v_pk_add_f32 v[36:37], v[36:37], v[40:41]
	ds_bpermute_b32 v40, v51, v36
	ds_bpermute_b32 v41, v51, v37
	s_and_saveexec_b32 s7, s4
	s_cbranch_execz .LBB326_33
; %bb.32:                               ;   in Loop: Header=BB326_21 Depth=2
	s_wait_dscnt 0x0
	v_pk_add_f32 v[36:37], v[36:37], v[40:41]
	ds_store_b64 v44, v[36:37]
.LBB326_33:                             ;   in Loop: Header=BB326_21 Depth=2
	s_or_b32 exec_lo, exec_lo, s7
	v_mov_b64_e32 v[36:37], 0
	s_wait_dscnt 0x0
	s_barrier_signal -1
	s_barrier_wait -1
	s_and_saveexec_b32 s7, s5
	s_cbranch_execnz .LBB326_56
; %bb.34:                               ;   in Loop: Header=BB326_21 Depth=2
	s_or_b32 exec_lo, exec_lo, s7
	s_and_saveexec_b32 s7, s3
	s_cbranch_execnz .LBB326_57
.LBB326_35:                             ;   in Loop: Header=BB326_21 Depth=2
	s_or_b32 exec_lo, exec_lo, s7
	s_and_saveexec_b32 s7, s3
.LBB326_36:                             ;   in Loop: Header=BB326_21 Depth=2
	ds_store_b64 v43, v[12:13]
.LBB326_37:                             ;   in Loop: Header=BB326_21 Depth=2
	s_or_b32 exec_lo, exec_lo, s7
	ds_bpermute_b32 v40, v47, v34
	ds_bpermute_b32 v41, v47, v35
	s_wait_dscnt 0x0
	s_barrier_signal -1
	s_barrier_wait -1
	v_pk_add_f32 v[34:35], v[34:35], v[40:41]
	ds_bpermute_b32 v40, v48, v34
	ds_bpermute_b32 v41, v48, v35
	s_wait_dscnt 0x0
	v_pk_add_f32 v[34:35], v[34:35], v[40:41]
	ds_bpermute_b32 v40, v49, v34
	ds_bpermute_b32 v41, v49, v35
	s_wait_dscnt 0x0
	;; [unrolled: 4-line block ×3, first 2 shown]
	v_pk_add_f32 v[34:35], v[34:35], v[40:41]
	ds_bpermute_b32 v40, v51, v34
	ds_bpermute_b32 v41, v51, v35
	s_and_saveexec_b32 s7, s4
	s_cbranch_execz .LBB326_39
; %bb.38:                               ;   in Loop: Header=BB326_21 Depth=2
	s_wait_dscnt 0x0
	v_pk_add_f32 v[34:35], v[34:35], v[40:41]
	ds_store_b64 v44, v[34:35]
.LBB326_39:                             ;   in Loop: Header=BB326_21 Depth=2
	s_or_b32 exec_lo, exec_lo, s7
	v_mov_b64_e32 v[34:35], 0
	s_wait_dscnt 0x0
	s_barrier_signal -1
	s_barrier_wait -1
	s_and_saveexec_b32 s7, s5
	s_cbranch_execnz .LBB326_58
; %bb.40:                               ;   in Loop: Header=BB326_21 Depth=2
	s_or_b32 exec_lo, exec_lo, s7
	s_and_saveexec_b32 s7, s3
	s_cbranch_execnz .LBB326_59
.LBB326_41:                             ;   in Loop: Header=BB326_21 Depth=2
	s_or_b32 exec_lo, exec_lo, s7
	s_and_saveexec_b32 s7, s3
.LBB326_42:                             ;   in Loop: Header=BB326_21 Depth=2
	ds_store_b64 v43, v[12:13]
.LBB326_43:                             ;   in Loop: Header=BB326_21 Depth=2
	s_or_b32 exec_lo, exec_lo, s7
	ds_bpermute_b32 v40, v47, v32
	ds_bpermute_b32 v41, v47, v33
	s_wait_dscnt 0x0
	s_barrier_signal -1
	s_barrier_wait -1
	v_pk_add_f32 v[32:33], v[32:33], v[40:41]
	ds_bpermute_b32 v40, v48, v32
	ds_bpermute_b32 v41, v48, v33
	s_wait_dscnt 0x0
	v_pk_add_f32 v[32:33], v[32:33], v[40:41]
	ds_bpermute_b32 v40, v49, v32
	ds_bpermute_b32 v41, v49, v33
	s_wait_dscnt 0x0
	;; [unrolled: 4-line block ×3, first 2 shown]
	v_pk_add_f32 v[32:33], v[32:33], v[40:41]
	ds_bpermute_b32 v40, v51, v32
	ds_bpermute_b32 v41, v51, v33
	s_and_saveexec_b32 s7, s4
	s_cbranch_execz .LBB326_45
; %bb.44:                               ;   in Loop: Header=BB326_21 Depth=2
	s_wait_dscnt 0x0
	v_pk_add_f32 v[32:33], v[32:33], v[40:41]
	ds_store_b64 v44, v[32:33]
.LBB326_45:                             ;   in Loop: Header=BB326_21 Depth=2
	s_or_b32 exec_lo, exec_lo, s7
	v_mov_b64_e32 v[32:33], 0
	s_wait_dscnt 0x0
	s_barrier_signal -1
	s_barrier_wait -1
	s_and_saveexec_b32 s7, s5
	s_cbranch_execnz .LBB326_60
; %bb.46:                               ;   in Loop: Header=BB326_21 Depth=2
	s_or_b32 exec_lo, exec_lo, s7
	s_and_saveexec_b32 s7, s3
	s_cbranch_execnz .LBB326_61
.LBB326_47:                             ;   in Loop: Header=BB326_21 Depth=2
	s_or_b32 exec_lo, exec_lo, s7
	s_and_saveexec_b32 s7, s0
	s_cbranch_execz .LBB326_20
	s_branch .LBB326_62
.LBB326_48:                             ;   in Loop: Header=BB326_21 Depth=2
	flat_load_b64 v[40:41], v[20:21]
	s_mul_i32 s8, s24, s52
	s_delay_alu instid0(SALU_CYCLE_1)
	s_add_co_i32 s48, s8, s52
	s_ashr_i32 s9, s8, 31
	s_add_co_i32 s50, s48, s52
	v_lshl_add_u64 v[60:61], s[8:9], 3, v[18:19]
	s_add_co_i32 s66, s50, s52
	s_ashr_i32 s49, s48, 31
	s_ashr_i32 s67, s66, 31
	s_ashr_i32 s51, s50, 31
	v_lshl_add_u64 v[78:79], s[66:67], 3, v[18:19]
	v_lshl_add_u64 v[64:65], s[48:49], 3, v[18:19]
	;; [unrolled: 1-line block ×3, first 2 shown]
	s_wait_loadcnt_dscnt 0x0
	ds_store_b64 v42, v[40:41]
	flat_load_b64 v[76:77], v[22:23]
	s_wait_loadcnt_dscnt 0x0
	ds_store_b64 v42, v[76:77] offset:8
	flat_load_b64 v[32:33], v[24:25]
	s_wait_loadcnt_dscnt 0x0
	ds_store_b64 v42, v[32:33] offset:16
	;; [unrolled: 3-line block ×3, first 2 shown]
	s_clause 0x6
	flat_load_b128 v[32:35], v[60:61]
	flat_load_b128 v[36:39], v[78:79]
	;; [unrolled: 1-line block ×4, first 2 shown]
	flat_load_b128 v[60:63], v[60:61] offset:16
	flat_load_b128 v[64:67], v[64:65] offset:16
	flat_load_b128 v[68:71], v[68:69] offset:16
	ds_load_b128 v[72:75], v42 offset:16
	s_wait_dscnt 0x0
	v_dual_mov_b32 v80, v75 :: v_dual_mov_b32 v81, v74
	s_wait_loadcnt 0x4
	v_dual_mul_f32 v88, v53, v41 :: v_dual_mul_f32 v53, v53, v40
	v_dual_mul_f32 v82, v33, v41 :: v_dual_mul_f32 v33, v33, v40
	;; [unrolled: 1-line block ×3, first 2 shown]
	v_pk_mul_f32 v[86:87], v[38:39], v[76:77] op_sel:[0,1]
	v_pk_mul_f32 v[90:91], v[34:35], v[76:77] op_sel:[0,1]
	s_wait_loadcnt 0x3
	v_dual_mul_f32 v92, v57, v41 :: v_dual_mul_f32 v57, v57, v40
	v_dual_fmac_f32 v84, v36, v40 :: v_dual_fma_f32 v85, v36, v41, -v37
	v_pk_fma_f32 v[36:37], v[38:39], v[76:77], v[86:87] op_sel:[0,0,1] op_sel_hi:[1,1,0]
	v_pk_fma_f32 v[38:39], v[38:39], v[76:77], v[86:87] op_sel:[0,0,1] op_sel_hi:[1,0,0] neg_lo:[1,0,0] neg_hi:[1,0,0]
	v_pk_mul_f32 v[86:87], v[54:55], v[76:77] op_sel:[0,1]
	v_pk_mul_f32 v[94:95], v[58:59], v[76:77] op_sel:[0,1]
	v_dual_fmac_f32 v82, v32, v40 :: v_dual_fma_f32 v83, v32, v41, -v33
	v_pk_fma_f32 v[96:97], v[34:35], v[76:77], v[90:91] op_sel:[0,0,1] op_sel_hi:[1,1,0]
	v_pk_fma_f32 v[90:91], v[34:35], v[76:77], v[90:91] op_sel:[0,0,1] op_sel_hi:[1,0,0] neg_lo:[1,0,0] neg_hi:[1,0,0]
	s_wait_loadcnt 0x2
	v_dual_mov_b32 v32, v63 :: v_dual_fma_f32 v89, v52, v41, -v53
	s_wait_loadcnt 0x1
	v_dual_fmac_f32 v88, v52, v40 :: v_dual_mov_b32 v38, v67
	v_pk_mul_f32 v[34:35], v[72:73], v[60:61] op_sel:[1,1] op_sel_hi:[0,1]
	v_pk_fma_f32 v[52:53], v[54:55], v[76:77], v[86:87] op_sel:[0,0,1] op_sel_hi:[1,1,0]
	v_pk_fma_f32 v[54:55], v[54:55], v[76:77], v[86:87] op_sel:[0,0,1] op_sel_hi:[1,0,0] neg_lo:[1,0,0] neg_hi:[1,0,0]
	v_dual_fma_f32 v93, v56, v41, -v57 :: v_dual_fmac_f32 v92, v56, v40
	v_pk_mul_f32 v[86:87], v[72:73], v[64:65] op_sel:[1,1] op_sel_hi:[0,1]
	v_pk_fma_f32 v[40:41], v[58:59], v[76:77], v[94:95] op_sel:[0,0,1] op_sel_hi:[1,1,0]
	v_pk_fma_f32 v[56:57], v[58:59], v[76:77], v[94:95] op_sel:[0,0,1] op_sel_hi:[1,0,0] neg_lo:[1,0,0] neg_hi:[1,0,0]
	v_pk_mul_f32 v[32:33], v[80:81], v[32:33] op_sel_hi:[1,0]
	s_wait_loadcnt 0x0
	v_mov_b32_e32 v54, v71
	v_pk_fma_f32 v[58:59], v[72:73], v[60:61], v[34:35]
	s_wait_xcnt 0x2
	v_pk_fma_f32 v[60:61], v[72:73], v[60:61], v[34:35] op_sel_hi:[1,0,1] neg_lo:[0,0,1] neg_hi:[0,0,1]
	v_pk_mul_f32 v[34:35], v[80:81], v[38:39] op_sel_hi:[1,0]
	v_pk_fma_f32 v[76:77], v[74:75], v[62:63], v[32:33]
	v_pk_fma_f32 v[62:63], v[74:75], v[62:63], v[32:33] op_sel_hi:[1,0,1] neg_lo:[0,0,1] neg_hi:[0,0,1]
	v_pk_fma_f32 v[94:95], v[72:73], v[64:65], v[86:87]
	s_wait_xcnt 0x1
	v_pk_fma_f32 v[64:65], v[72:73], v[64:65], v[86:87] op_sel_hi:[1,0,1] neg_lo:[0,0,1] neg_hi:[0,0,1]
	v_pk_fma_f32 v[86:87], v[74:75], v[66:67], v[34:35]
	v_pk_fma_f32 v[66:67], v[74:75], v[66:67], v[34:35] op_sel_hi:[1,0,1] neg_lo:[0,0,1] neg_hi:[0,0,1]
	v_pk_mul_f32 v[32:33], v[72:73], v[68:69] op_sel:[1,1] op_sel_hi:[0,1]
	v_pk_mul_f32 v[34:35], v[80:81], v[54:55] op_sel_hi:[1,0]
	v_dual_mov_b32 v37, v39 :: v_dual_mov_b32 v97, v91
	v_mov_b32_e32 v59, v61
	s_delay_alu instid0(VALU_DEP_4)
	v_pk_fma_f32 v[98:99], v[72:73], v[68:69], v[32:33]
	s_wait_xcnt 0x0
	v_pk_fma_f32 v[68:69], v[72:73], v[68:69], v[32:33] op_sel_hi:[1,0,1] neg_lo:[0,0,1] neg_hi:[0,0,1]
	v_pk_fma_f32 v[100:101], v[74:75], v[70:71], v[34:35]
	v_pk_fma_f32 v[70:71], v[74:75], v[70:71], v[34:35] op_sel_hi:[1,0,1] neg_lo:[0,0,1] neg_hi:[0,0,1]
	flat_load_b128 v[32:35], v[78:79] offset:16
	v_dual_mov_b32 v53, v55 :: v_dual_mov_b32 v95, v65
	v_dual_mov_b32 v41, v57 :: v_dual_mov_b32 v99, v69
	v_pk_add_f32 v[54:55], v[82:83], 0 op_sel_hi:[1,0]
	v_pk_add_f32 v[56:57], v[88:89], 0 op_sel_hi:[1,0]
	;; [unrolled: 1-line block ×3, first 2 shown]
	v_dual_mov_b32 v77, v63 :: v_dual_mov_b32 v87, v67
	s_delay_alu instid0(VALU_DEP_3) | instskip(NEXT) | instid1(VALU_DEP_3)
	v_pk_add_f32 v[52:53], v[56:57], v[52:53]
	v_pk_add_f32 v[40:41], v[60:61], v[40:41]
	s_delay_alu instid0(VALU_DEP_2) | instskip(NEXT) | instid1(VALU_DEP_2)
	v_pk_add_f32 v[52:53], v[52:53], v[94:95]
	v_pk_add_f32 v[40:41], v[40:41], v[98:99]
	s_wait_loadcnt_dscnt 0x0
	v_mov_b32_e32 v38, v35
	s_wait_xcnt 0x0
	s_delay_alu instid0(VALU_DEP_1) | instskip(SKIP_1) | instid1(VALU_DEP_2)
	v_pk_mul_f32 v[78:79], v[80:81], v[38:39] op_sel_hi:[1,0]
	v_pk_mul_f32 v[38:39], v[72:73], v[32:33] op_sel:[1,1] op_sel_hi:[0,1]
	v_pk_fma_f32 v[64:65], v[74:75], v[34:35], v[78:79]
	s_delay_alu instid0(VALU_DEP_2) | instskip(SKIP_3) | instid1(VALU_DEP_4)
	v_pk_fma_f32 v[80:81], v[72:73], v[32:33], v[38:39] op_sel_hi:[1,0,1] neg_lo:[0,0,1] neg_hi:[0,0,1]
	v_pk_fma_f32 v[32:33], v[72:73], v[32:33], v[38:39]
	v_pk_add_f32 v[38:39], v[84:85], 0 op_sel_hi:[1,0]
	v_pk_fma_f32 v[34:35], v[74:75], v[34:35], v[78:79] op_sel_hi:[1,0,1] neg_lo:[0,0,1] neg_hi:[0,0,1]
	v_dual_mov_b32 v101, v71 :: v_dual_mov_b32 v33, v81
	s_delay_alu instid0(VALU_DEP_3) | instskip(SKIP_1) | instid1(VALU_DEP_4)
	v_pk_add_f32 v[36:37], v[38:39], v[36:37]
	v_pk_add_f32 v[38:39], v[54:55], v[96:97]
	v_mov_b32_e32 v65, v35
	s_delay_alu instid0(VALU_DEP_3) | instskip(NEXT) | instid1(VALU_DEP_3)
	v_pk_add_f32 v[32:33], v[36:37], v[32:33]
	v_pk_add_f32 v[34:35], v[38:39], v[58:59]
	v_pk_add_f32 v[36:37], v[52:53], v[86:87]
	s_delay_alu instid0(VALU_DEP_3) | instskip(NEXT) | instid1(VALU_DEP_3)
	v_pk_add_f32 v[32:33], v[32:33], v[64:65]
	v_pk_add_f32 v[38:39], v[34:35], v[76:77]
	;; [unrolled: 1-line block ×3, first 2 shown]
	s_and_not1_saveexec_b32 s66, s7
	s_cbranch_execz .LBB326_23
.LBB326_49:                             ;   in Loop: Header=BB326_21 Depth=2
	v_dual_mov_b32 v39, 0 :: v_dual_mov_b32 v38, 0
	v_dual_mov_b32 v37, 0 :: v_dual_mov_b32 v36, 0
	v_dual_mov_b32 v35, 0 :: v_dual_mov_b32 v34, 0
	s_wait_dscnt 0x0
	v_dual_mov_b32 v33, 0 :: v_dual_mov_b32 v32, 0
	s_and_saveexec_b32 s67, s2
	s_cbranch_execz .LBB326_64
; %bb.50:                               ;   in Loop: Header=BB326_21 Depth=2
	v_dual_mov_b32 v32, v4 :: v_dual_mov_b32 v33, v42
	s_and_not1_b32 vcc_lo, exec_lo, s26
	s_mov_b32 s7, s56
	s_cbranch_vccnz .LBB326_63
.LBB326_51:                             ;   Parent Loop BB326_3 Depth=1
                                        ;     Parent Loop BB326_21 Depth=2
                                        ; =>    This Inner Loop Header: Depth=3
	v_readfirstlane_b32 s8, v16
	v_readfirstlane_b32 s9, v17
	s_add_co_i32 s7, s7, -1
	s_delay_alu instid0(SALU_CYCLE_1)
	s_cmp_eq_u32 s7, 0
	flat_load_b64 v[34:35], v32, s[8:9] scale_offset
	s_wait_xcnt 0x0
	v_add_nc_u32_e32 v32, s53, v32
	s_wait_loadcnt_dscnt 0x0
	ds_store_b64 v33, v[34:35]
	v_add_nc_u32_e32 v33, 8, v33
	s_cbranch_scc0 .LBB326_51
; %bb.52:                               ;   in Loop: Header=BB326_21 Depth=2
	v_dual_mov_b32 v32, 0 :: v_dual_mov_b32 v52, v42
	s_ashr_i32 s7, s6, 31
	s_mov_b32 s8, s11
	v_lshl_add_u64 v[40:41], s[6:7], 3, v[28:29]
	s_delay_alu instid0(VALU_DEP_2)
	v_dual_mov_b32 v33, v32 :: v_dual_mov_b32 v34, v32
	v_dual_mov_b32 v35, v32 :: v_dual_mov_b32 v36, v32
	;; [unrolled: 1-line block ×3, first 2 shown]
	v_mov_b32_e32 v39, v32
	s_mov_b32 s48, s64
	s_mov_b32 s50, s65
	;; [unrolled: 1-line block ×3, first 2 shown]
.LBB326_53:                             ;   Parent Loop BB326_3 Depth=1
                                        ;     Parent Loop BB326_21 Depth=2
                                        ; =>    This Inner Loop Header: Depth=3
	s_ashr_i32 s51, s50, 31
	s_ashr_i32 s49, s48, 31
	;; [unrolled: 1-line block ×3, first 2 shown]
	v_lshl_add_u64 v[54:55], s[50:51], 3, v[18:19]
	v_lshl_add_u64 v[56:57], s[48:49], 3, v[18:19]
	;; [unrolled: 1-line block ×3, first 2 shown]
	flat_load_b64 v[60:61], v[40:41] offset:-4
	s_clause 0x2
	flat_load_b64 v[54:55], v[54:55]
	flat_load_b64 v[56:57], v[56:57]
	;; [unrolled: 1-line block ×3, first 2 shown]
	ds_load_b64 v[62:63], v52
	s_wait_xcnt 0x3
	v_add_nc_u64_e32 v[40:41], 8, v[40:41]
	s_add_co_i32 s7, s7, -1
	s_add_co_i32 s50, s50, 1
	s_add_co_i32 s48, s48, 1
	;; [unrolled: 1-line block ×3, first 2 shown]
	s_cmp_lg_u32 s7, 0
	s_wait_loadcnt_dscnt 0x300
	v_pk_mul_f32 v[64:65], v[62:63], v[60:61] op_sel:[1,1] op_sel_hi:[0,1]
	s_wait_loadcnt 0x1
	v_pk_mul_f32 v[68:69], v[62:63], v[56:57] op_sel:[1,1] op_sel_hi:[0,1]
	s_wait_loadcnt 0x0
	v_pk_mul_f32 v[70:71], v[62:63], v[58:59] op_sel:[1,1] op_sel_hi:[0,1]
	v_pk_fma_f32 v[66:67], v[62:63], v[60:61], v[64:65]
	v_pk_fma_f32 v[60:61], v[62:63], v[60:61], v[64:65] op_sel_hi:[1,0,1] neg_lo:[0,0,1] neg_hi:[0,0,1]
	v_pk_mul_f32 v[64:65], v[62:63], v[54:55] op_sel:[1,1] op_sel_hi:[0,1]
	v_add_nc_u32_e32 v52, 8, v52
	v_pk_fma_f32 v[72:73], v[62:63], v[58:59], v[70:71] op_sel_hi:[1,0,1] neg_lo:[0,0,1] neg_hi:[0,0,1]
	s_wait_xcnt 0x0
	v_pk_fma_f32 v[58:59], v[62:63], v[58:59], v[70:71]
	v_mov_b32_e32 v67, v61
	v_pk_fma_f32 v[60:61], v[62:63], v[54:55], v[64:65]
	v_pk_fma_f32 v[54:55], v[62:63], v[54:55], v[64:65] op_sel_hi:[1,0,1] neg_lo:[0,0,1] neg_hi:[0,0,1]
	v_pk_fma_f32 v[64:65], v[62:63], v[56:57], v[68:69] op_sel_hi:[1,0,1] neg_lo:[0,0,1] neg_hi:[0,0,1]
	v_pk_fma_f32 v[56:57], v[62:63], v[56:57], v[68:69]
	v_mov_b32_e32 v59, v73
	v_pk_add_f32 v[38:39], v[38:39], v[66:67]
	s_delay_alu instid0(VALU_DEP_4) | instskip(NEXT) | instid1(VALU_DEP_3)
	v_dual_mov_b32 v61, v55 :: v_dual_mov_b32 v57, v65
	v_pk_add_f32 v[32:33], v[32:33], v[58:59]
	s_delay_alu instid0(VALU_DEP_2) | instskip(NEXT) | instid1(VALU_DEP_3)
	v_pk_add_f32 v[36:37], v[36:37], v[60:61]
	v_pk_add_f32 v[34:35], v[34:35], v[56:57]
	s_cbranch_scc1 .LBB326_53
	s_branch .LBB326_64
.LBB326_54:                             ;   in Loop: Header=BB326_21 Depth=2
	ds_load_b64 v[38:39], v43
	s_or_b32 exec_lo, exec_lo, s7
	s_and_saveexec_b32 s7, s3
	s_cbranch_execz .LBB326_29
.LBB326_55:                             ;   in Loop: Header=BB326_21 Depth=2
	s_wait_dscnt 0x0
	ds_bpermute_b32 v40, v49, v38
	ds_bpermute_b32 v41, v49, v39
	s_wait_dscnt 0x0
	v_pk_add_f32 v[38:39], v[38:39], v[40:41]
	ds_bpermute_b32 v40, v50, v38
	ds_bpermute_b32 v41, v50, v39
	s_wait_dscnt 0x0
	v_pk_add_f32 v[38:39], v[38:39], v[40:41]
	;; [unrolled: 4-line block ×3, first 2 shown]
	s_or_b32 exec_lo, exec_lo, s7
	s_and_saveexec_b32 s7, s3
	s_cbranch_execnz .LBB326_30
	s_branch .LBB326_31
.LBB326_56:                             ;   in Loop: Header=BB326_21 Depth=2
	ds_load_b64 v[36:37], v43
	s_or_b32 exec_lo, exec_lo, s7
	s_and_saveexec_b32 s7, s3
	s_cbranch_execz .LBB326_35
.LBB326_57:                             ;   in Loop: Header=BB326_21 Depth=2
	s_wait_dscnt 0x0
	ds_bpermute_b32 v40, v49, v36
	ds_bpermute_b32 v41, v49, v37
	s_wait_dscnt 0x0
	v_pk_add_f32 v[36:37], v[36:37], v[40:41]
	ds_bpermute_b32 v40, v50, v36
	ds_bpermute_b32 v41, v50, v37
	s_wait_dscnt 0x0
	v_pk_add_f32 v[36:37], v[36:37], v[40:41]
	;; [unrolled: 4-line block ×3, first 2 shown]
	s_or_b32 exec_lo, exec_lo, s7
	s_and_saveexec_b32 s7, s3
	s_cbranch_execnz .LBB326_36
	s_branch .LBB326_37
.LBB326_58:                             ;   in Loop: Header=BB326_21 Depth=2
	ds_load_b64 v[34:35], v43
	s_or_b32 exec_lo, exec_lo, s7
	s_and_saveexec_b32 s7, s3
	s_cbranch_execz .LBB326_41
.LBB326_59:                             ;   in Loop: Header=BB326_21 Depth=2
	s_wait_dscnt 0x0
	ds_bpermute_b32 v40, v49, v34
	ds_bpermute_b32 v41, v49, v35
	s_wait_dscnt 0x0
	v_pk_add_f32 v[34:35], v[34:35], v[40:41]
	ds_bpermute_b32 v40, v50, v34
	ds_bpermute_b32 v41, v50, v35
	s_wait_dscnt 0x0
	v_pk_add_f32 v[34:35], v[34:35], v[40:41]
	;; [unrolled: 4-line block ×3, first 2 shown]
	s_or_b32 exec_lo, exec_lo, s7
	s_and_saveexec_b32 s7, s3
	s_cbranch_execnz .LBB326_42
	s_branch .LBB326_43
.LBB326_60:                             ;   in Loop: Header=BB326_21 Depth=2
	ds_load_b64 v[32:33], v43
	s_or_b32 exec_lo, exec_lo, s7
	s_and_saveexec_b32 s7, s3
	s_cbranch_execz .LBB326_47
.LBB326_61:                             ;   in Loop: Header=BB326_21 Depth=2
	s_wait_dscnt 0x0
	ds_bpermute_b32 v40, v49, v32
	ds_bpermute_b32 v41, v49, v33
	s_wait_dscnt 0x0
	v_pk_add_f32 v[32:33], v[32:33], v[40:41]
	ds_bpermute_b32 v40, v50, v32
	ds_bpermute_b32 v41, v50, v33
	s_wait_dscnt 0x0
	v_pk_add_f32 v[32:33], v[32:33], v[40:41]
	;; [unrolled: 4-line block ×3, first 2 shown]
	s_or_b32 exec_lo, exec_lo, s7
	s_and_saveexec_b32 s7, s0
	s_cbranch_execz .LBB326_20
.LBB326_62:                             ;   in Loop: Header=BB326_21 Depth=2
	v_pk_mul_f32 v[40:41], v[38:39], v[30:31] op_sel:[1,0]
	v_pk_mul_f32 v[52:53], v[36:37], v[30:31] op_sel:[1,0]
	;; [unrolled: 1-line block ×3, first 2 shown]
	s_mul_i32 s8, s24, s30
	s_delay_alu instid0(SALU_CYCLE_1)
	s_add_co_i32 s8, s8, s34
	v_pk_fma_f32 v[56:57], v[38:39], v[14:15], v[40:41] op_sel_hi:[0,1,1]
	v_pk_fma_f32 v[38:39], v[38:39], v[14:15], v[40:41] neg_lo:[0,0,1] neg_hi:[0,0,1]
	s_wait_dscnt 0x0
	v_pk_mul_f32 v[40:41], v[32:33], v[30:31] op_sel:[1,0]
	v_pk_fma_f32 v[58:59], v[36:37], v[14:15], v[52:53] op_sel_hi:[0,1,1]
	v_pk_fma_f32 v[36:37], v[36:37], v[14:15], v[52:53] neg_lo:[0,0,1] neg_hi:[0,0,1]
	v_pk_fma_f32 v[52:53], v[34:35], v[14:15], v[54:55] op_sel_hi:[0,1,1]
	v_dual_mov_b32 v56, s8 :: v_dual_mov_b32 v39, v57
	s_add_co_i32 s8, s8, s30
	v_pk_fma_f32 v[34:35], v[34:35], v[14:15], v[54:55] neg_lo:[0,0,1] neg_hi:[0,0,1]
	v_pk_fma_f32 v[54:55], v[32:33], v[14:15], v[40:41] op_sel_hi:[0,1,1]
	v_dual_mov_b32 v37, v59 :: v_dual_mov_b32 v52, s8
	s_add_co_i32 s8, s8, s30
	s_delay_alu instid0(SALU_CYCLE_1)
	v_dual_mov_b32 v35, v53 :: v_dual_mov_b32 v53, s8
	s_add_co_i32 s8, s8, s30
	v_pk_fma_f32 v[32:33], v[32:33], v[14:15], v[40:41] neg_lo:[0,0,1] neg_hi:[0,0,1]
	v_dual_mov_b32 v33, v55 :: v_dual_mov_b32 v40, s8
	s_clause 0x3
	global_store_b64 v56, v[38:39], s[46:47] scale_offset
	global_store_b64 v52, v[36:37], s[46:47] scale_offset
	;; [unrolled: 1-line block ×4, first 2 shown]
	s_branch .LBB326_20
.LBB326_63:                             ;   in Loop: Header=BB326_21 Depth=2
	v_mov_b32_e32 v39, 0
	s_delay_alu instid0(VALU_DEP_1)
	v_dual_mov_b32 v38, v39 :: v_dual_mov_b32 v37, v39
	v_dual_mov_b32 v36, v39 :: v_dual_mov_b32 v35, v39
	;; [unrolled: 1-line block ×3, first 2 shown]
	v_mov_b32_e32 v32, v39
.LBB326_64:                             ;   in Loop: Header=BB326_21 Depth=2
	s_or_b32 exec_lo, exec_lo, s67
	s_delay_alu instid0(SALU_CYCLE_1)
	s_or_b32 exec_lo, exec_lo, s66
	s_and_saveexec_b32 s7, s3
	s_cbranch_execnz .LBB326_24
	s_branch .LBB326_25
.LBB326_65:                             ;   in Loop: Header=BB326_3 Depth=1
	s_mov_b32 s24, 0
.LBB326_66:                             ;   in Loop: Header=BB326_3 Depth=1
	s_delay_alu instid0(SALU_CYCLE_1)
	s_cmp_ge_i32 s24, s27
	s_cbranch_scc1 .LBB326_2
; %bb.67:                               ;   in Loop: Header=BB326_3 Depth=1
	v_cmp_gt_u32_e32 vcc_lo, 24, v45
	s_add_nc_u64 s[6:7], s[46:47], s[38:39]
	s_mul_i32 s8, s52, s24
	v_cndmask_b32_e64 v30, 0, 8, vcc_lo
	v_cmp_gt_u32_e32 vcc_lo, 28, v45
	s_delay_alu instid0(VALU_DEP_2) | instskip(SKIP_3) | instid1(VALU_DEP_3)
	v_add_lshl_u32 v36, v30, v45, 2
	v_cndmask_b32_e64 v31, 0, 4, vcc_lo
	v_cmp_gt_u32_e32 vcc_lo, 30, v45
	v_mov_b32_e32 v30, v15
	v_add_lshl_u32 v37, v31, v45, 2
	s_wait_dscnt 0x0
	v_cndmask_b32_e64 v32, 0, 2, vcc_lo
	v_cmp_ne_u32_e32 vcc_lo, 31, v45
	v_mov_b32_e32 v31, v14
	s_delay_alu instid0(VALU_DEP_3) | instskip(SKIP_1) | instid1(VALU_DEP_1)
	v_add_lshl_u32 v38, v32, v45, 2
	v_add_co_ci_u32_e64 v33, null, 0, v45, vcc_lo
	v_lshlrev_b32_e32 v39, 2, v33
	s_branch .LBB326_69
.LBB326_68:                             ;   in Loop: Header=BB326_69 Depth=2
	s_wait_xcnt 0x0
	s_or_b32 exec_lo, exec_lo, s9
	s_add_co_i32 s24, s24, 1
	s_add_co_i32 s8, s8, s52
	s_cmp_ge_i32 s24, s27
	s_cbranch_scc1 .LBB326_2
.LBB326_69:                             ;   Parent Loop BB326_3 Depth=1
                                        ; =>  This Loop Header: Depth=2
                                        ;       Child Loop BB326_81 Depth 3
                                        ;       Child Loop BB326_83 Depth 3
                                        ; implicit-def: $vgpr33
	s_and_saveexec_b32 s9, s1
	s_delay_alu instid0(SALU_CYCLE_1)
	s_xor_b32 s9, exec_lo, s9
	s_cbranch_execnz .LBB326_78
; %bb.70:                               ;   in Loop: Header=BB326_69 Depth=2
	s_and_not1_saveexec_b32 s11, s9
	s_cbranch_execnz .LBB326_79
.LBB326_71:                             ;   in Loop: Header=BB326_69 Depth=2
	s_or_b32 exec_lo, exec_lo, s11
	s_and_saveexec_b32 s9, s3
.LBB326_72:                             ;   in Loop: Header=BB326_69 Depth=2
	ds_store_b64 v43, v[12:13]
.LBB326_73:                             ;   in Loop: Header=BB326_69 Depth=2
	s_or_b32 exec_lo, exec_lo, s9
	s_wait_dscnt 0x0
	ds_bpermute_b32 v34, v47, v32
	ds_bpermute_b32 v35, v47, v33
	s_wait_storecnt_dscnt 0x0
	s_barrier_signal -1
	s_barrier_wait -1
	v_pk_add_f32 v[32:33], v[32:33], v[34:35]
	ds_bpermute_b32 v34, v36, v32
	ds_bpermute_b32 v35, v36, v33
	s_wait_dscnt 0x0
	v_pk_add_f32 v[32:33], v[32:33], v[34:35]
	ds_bpermute_b32 v34, v37, v32
	ds_bpermute_b32 v35, v37, v33
	s_wait_dscnt 0x0
	v_pk_add_f32 v[32:33], v[32:33], v[34:35]
	ds_bpermute_b32 v34, v38, v32
	ds_bpermute_b32 v35, v38, v33
	s_wait_dscnt 0x0
	v_pk_add_f32 v[32:33], v[32:33], v[34:35]
	ds_bpermute_b32 v34, v39, v32
	ds_bpermute_b32 v35, v39, v33
	s_and_saveexec_b32 s9, s4
	s_cbranch_execz .LBB326_75
; %bb.74:                               ;   in Loop: Header=BB326_69 Depth=2
	s_wait_dscnt 0x0
	v_pk_add_f32 v[32:33], v[32:33], v[34:35]
	ds_store_b64 v44, v[32:33]
.LBB326_75:                             ;   in Loop: Header=BB326_69 Depth=2
	s_or_b32 exec_lo, exec_lo, s9
	v_mov_b64_e32 v[32:33], 0
	s_wait_dscnt 0x0
	s_barrier_signal -1
	s_barrier_wait -1
	s_and_saveexec_b32 s9, s5
	s_cbranch_execnz .LBB326_85
; %bb.76:                               ;   in Loop: Header=BB326_69 Depth=2
	s_or_b32 exec_lo, exec_lo, s9
	s_and_saveexec_b32 s9, s3
	s_cbranch_execnz .LBB326_86
.LBB326_77:                             ;   in Loop: Header=BB326_69 Depth=2
	s_or_b32 exec_lo, exec_lo, s9
	s_and_saveexec_b32 s9, s0
	s_cbranch_execz .LBB326_68
	s_branch .LBB326_87
.LBB326_78:                             ;   in Loop: Header=BB326_69 Depth=2
	flat_load_b64 v[40:41], v[20:21]
	s_mul_i32 s46, s24, s52
	s_delay_alu instid0(SALU_CYCLE_1) | instskip(NEXT) | instid1(SALU_CYCLE_1)
	s_ashr_i32 s47, s46, 31
	v_lshl_add_u64 v[48:49], s[46:47], 3, v[18:19]
	s_wait_loadcnt_dscnt 0x0
	ds_store_b64 v42, v[40:41]
	flat_load_b64 v[52:53], v[22:23]
	s_wait_loadcnt_dscnt 0x0
	ds_store_b64 v42, v[52:53] offset:8
	flat_load_b64 v[54:55], v[24:25]
	s_wait_loadcnt_dscnt 0x0
	v_dual_mov_b32 v58, v53 :: v_dual_mov_b32 v60, v55
	ds_store_b64 v42, v[54:55] offset:16
	flat_load_b64 v[56:57], v[26:27]
	s_wait_loadcnt_dscnt 0x0
	ds_store_b64 v42, v[56:57] offset:24
	s_clause 0x1
	flat_load_b128 v[32:35], v[48:49]
	flat_load_b128 v[48:51], v[48:49] offset:16
	s_wait_loadcnt_dscnt 0x101
	v_dual_mul_f32 v62, v33, v41 :: v_dual_mul_f32 v33, v33, v40
	v_dual_mov_b32 v64, v35 :: v_dual_mov_b32 v65, v34
	v_pk_mul_f32 v[34:35], v[34:35], v[52:53] op_sel_hi:[1,0]
	s_wait_loadcnt_dscnt 0x0
	v_pk_mul_f32 v[66:67], v[48:49], v[54:55] op_sel_hi:[1,0]
	v_dual_mov_b32 v68, v51 :: v_dual_fmac_f32 v62, v32, v40
	v_dual_fma_f32 v63, v32, v41, -v33 :: v_dual_mov_b32 v69, v50
	v_pk_fma_f32 v[32:33], v[64:65], v[52:53], v[34:35] op_sel:[0,1,0] neg_lo:[0,0,1] neg_hi:[0,0,1]
	v_pk_fma_f32 v[34:35], v[64:65], v[58:59], v[34:35]
	v_pk_fma_f32 v[40:41], v[48:49], v[54:55], v[66:67] op_sel:[1,1,0] op_sel_hi:[0,1,1] neg_lo:[0,0,1] neg_hi:[0,0,1]
	s_delay_alu instid0(VALU_DEP_4) | instskip(NEXT) | instid1(VALU_DEP_4)
	v_pk_add_f32 v[52:53], v[62:63], 0 op_sel_hi:[1,0]
	v_dual_mov_b32 v40, v57 :: v_dual_mov_b32 v35, v33
	v_pk_mul_f32 v[32:33], v[50:51], v[56:57] op_sel_hi:[1,0]
	s_wait_xcnt 0x0
	v_pk_fma_f32 v[48:49], v[48:49], v[60:61], v[66:67] op_sel:[1,0,0] op_sel_hi:[0,1,1]
	s_delay_alu instid0(VALU_DEP_3) | instskip(NEXT) | instid1(VALU_DEP_3)
	v_pk_add_f32 v[34:35], v[52:53], v[34:35]
	v_pk_fma_f32 v[50:51], v[68:69], v[56:57], v[32:33] op_sel:[0,1,0] neg_lo:[0,0,1] neg_hi:[0,0,1]
	v_mov_b32_e32 v49, v41
	v_pk_fma_f32 v[32:33], v[68:69], v[40:41], v[32:33]
	s_delay_alu instid0(VALU_DEP_3) | instskip(NEXT) | instid1(VALU_DEP_3)
	v_mov_b32_e32 v33, v51
	v_pk_add_f32 v[34:35], v[34:35], v[48:49]
	s_delay_alu instid0(VALU_DEP_1)
	v_pk_add_f32 v[32:33], v[34:35], v[32:33]
	s_and_not1_saveexec_b32 s11, s9
	s_cbranch_execz .LBB326_71
.LBB326_79:                             ;   in Loop: Header=BB326_69 Depth=2
	s_wait_dscnt 0x0
	v_mov_b32_e32 v33, 0
	s_delay_alu instid0(VALU_DEP_1)
	v_mov_b32_e32 v32, v33
	s_and_saveexec_b32 s46, s58
	s_cbranch_execz .LBB326_84
; %bb.80:                               ;   in Loop: Header=BB326_69 Depth=2
	v_dual_mov_b32 v32, v4 :: v_dual_mov_b32 v33, v42
	s_mov_b32 s9, s56
.LBB326_81:                             ;   Parent Loop BB326_3 Depth=1
                                        ;     Parent Loop BB326_69 Depth=2
                                        ; =>    This Inner Loop Header: Depth=3
	v_readfirstlane_b32 s48, v16
	v_readfirstlane_b32 s49, v17
	s_add_co_i32 s9, s9, -1
	s_delay_alu instid0(SALU_CYCLE_1)
	s_cmp_eq_u32 s9, 0
	flat_load_b64 v[34:35], v32, s[48:49] scale_offset
	s_wait_xcnt 0x0
	v_add_nc_u32_e32 v32, s53, v32
	s_wait_loadcnt_dscnt 0x0
	ds_store_b64 v33, v[34:35]
	v_add_nc_u32_e32 v33, 8, v33
	s_cbranch_scc0 .LBB326_81
; %bb.82:                               ;   in Loop: Header=BB326_69 Depth=2
	v_dual_mov_b32 v32, 0 :: v_dual_mov_b32 v40, v42
	s_ashr_i32 s9, s8, 31
	s_delay_alu instid0(SALU_CYCLE_1) | instskip(NEXT) | instid1(VALU_DEP_2)
	v_lshl_add_u64 v[34:35], s[8:9], 3, v[28:29]
	v_mov_b32_e32 v33, v32
	s_mov_b32 s9, s56
.LBB326_83:                             ;   Parent Loop BB326_3 Depth=1
                                        ;     Parent Loop BB326_69 Depth=2
                                        ; =>    This Inner Loop Header: Depth=3
	flat_load_b64 v[48:49], v[34:35] offset:-4
	ds_load_b64 v[50:51], v40
	s_wait_xcnt 0x0
	v_add_nc_u64_e32 v[34:35], 8, v[34:35]
	s_add_co_i32 s9, s9, -1
	v_add_nc_u32_e32 v40, 8, v40
	s_cmp_lg_u32 s9, 0
	s_wait_loadcnt_dscnt 0x0
	v_pk_mul_f32 v[52:53], v[48:49], v[50:51] op_sel:[1,1] op_sel_hi:[1,0]
	s_delay_alu instid0(VALU_DEP_1) | instskip(SKIP_1) | instid1(VALU_DEP_2)
	v_pk_fma_f32 v[54:55], v[48:49], v[50:51], v[52:53] op_sel_hi:[0,1,1] neg_lo:[0,0,1] neg_hi:[0,0,1]
	v_pk_fma_f32 v[48:49], v[48:49], v[50:51], v[52:53]
	v_mov_b32_e32 v49, v55
	s_delay_alu instid0(VALU_DEP_1)
	v_pk_add_f32 v[32:33], v[32:33], v[48:49]
	s_cbranch_scc1 .LBB326_83
.LBB326_84:                             ;   in Loop: Header=BB326_69 Depth=2
	s_or_b32 exec_lo, exec_lo, s46
	s_delay_alu instid0(SALU_CYCLE_1)
	s_or_b32 exec_lo, exec_lo, s11
	s_and_saveexec_b32 s9, s3
	s_cbranch_execnz .LBB326_72
	s_branch .LBB326_73
.LBB326_85:                             ;   in Loop: Header=BB326_69 Depth=2
	ds_load_b64 v[32:33], v43
	s_or_b32 exec_lo, exec_lo, s9
	s_and_saveexec_b32 s9, s3
	s_cbranch_execz .LBB326_77
.LBB326_86:                             ;   in Loop: Header=BB326_69 Depth=2
	s_wait_dscnt 0x0
	ds_bpermute_b32 v34, v37, v32
	ds_bpermute_b32 v35, v37, v33
	s_wait_dscnt 0x0
	v_pk_add_f32 v[32:33], v[32:33], v[34:35]
	ds_bpermute_b32 v34, v38, v32
	ds_bpermute_b32 v35, v38, v33
	s_wait_dscnt 0x0
	v_pk_add_f32 v[32:33], v[32:33], v[34:35]
	;; [unrolled: 4-line block ×3, first 2 shown]
	s_or_b32 exec_lo, exec_lo, s9
	s_and_saveexec_b32 s9, s0
	s_cbranch_execz .LBB326_68
.LBB326_87:                             ;   in Loop: Header=BB326_69 Depth=2
	s_wait_dscnt 0x0
	v_pk_mul_f32 v[34:35], v[32:33], v[30:31] op_sel:[1,0]
	s_mul_u64 s[46:47], s[24:25], s[30:31]
	s_delay_alu instid0(SALU_CYCLE_1) | instskip(NEXT) | instid1(SALU_CYCLE_1)
	s_lshl_b64 s[46:47], s[46:47], 3
	s_add_nc_u64 s[46:47], s[6:7], s[46:47]
	s_delay_alu instid0(VALU_DEP_1) | instskip(SKIP_1) | instid1(VALU_DEP_2)
	v_pk_fma_f32 v[40:41], v[32:33], v[14:15], v[34:35] op_sel_hi:[0,1,1]
	v_pk_fma_f32 v[32:33], v[32:33], v[14:15], v[34:35] neg_lo:[0,0,1] neg_hi:[0,0,1]
	v_mov_b32_e32 v33, v41
	global_store_b64 v46, v[32:33], s[46:47]
	s_branch .LBB326_68
.LBB326_88:
	s_sendmsg sendmsg(MSG_DEALLOC_VGPRS)
	s_endpgm
	.section	.rodata,"a",@progbits
	.p2align	6, 0x0
	.amdhsa_kernel _ZL23rocblas_gemvt_sn_kernelILb1ELi256ELi4EiPK19rocblas_complex_numIfES3_S1_EviiT4_lPKT3_lilS7_lilPT5_i
		.amdhsa_group_segment_fixed_size 8448
		.amdhsa_private_segment_fixed_size 0
		.amdhsa_kernarg_size 360
		.amdhsa_user_sgpr_count 4
		.amdhsa_user_sgpr_dispatch_ptr 1
		.amdhsa_user_sgpr_queue_ptr 0
		.amdhsa_user_sgpr_kernarg_segment_ptr 1
		.amdhsa_user_sgpr_dispatch_id 0
		.amdhsa_user_sgpr_kernarg_preload_length 0
		.amdhsa_user_sgpr_kernarg_preload_offset 0
		.amdhsa_user_sgpr_private_segment_size 0
		.amdhsa_wavefront_size32 1
		.amdhsa_uses_dynamic_stack 0
		.amdhsa_enable_private_segment 0
		.amdhsa_system_sgpr_workgroup_id_x 1
		.amdhsa_system_sgpr_workgroup_id_y 0
		.amdhsa_system_sgpr_workgroup_id_z 1
		.amdhsa_system_sgpr_workgroup_info 0
		.amdhsa_system_vgpr_workitem_id 2
		.amdhsa_next_free_vgpr 102
		.amdhsa_next_free_sgpr 68
		.amdhsa_named_barrier_count 0
		.amdhsa_reserve_vcc 1
		.amdhsa_float_round_mode_32 0
		.amdhsa_float_round_mode_16_64 0
		.amdhsa_float_denorm_mode_32 3
		.amdhsa_float_denorm_mode_16_64 3
		.amdhsa_fp16_overflow 0
		.amdhsa_memory_ordered 1
		.amdhsa_forward_progress 1
		.amdhsa_inst_pref_size 44
		.amdhsa_round_robin_scheduling 0
		.amdhsa_exception_fp_ieee_invalid_op 0
		.amdhsa_exception_fp_denorm_src 0
		.amdhsa_exception_fp_ieee_div_zero 0
		.amdhsa_exception_fp_ieee_overflow 0
		.amdhsa_exception_fp_ieee_underflow 0
		.amdhsa_exception_fp_ieee_inexact 0
		.amdhsa_exception_int_div_zero 0
	.end_amdhsa_kernel
	.section	.text._ZL23rocblas_gemvt_sn_kernelILb1ELi256ELi4EiPK19rocblas_complex_numIfES3_S1_EviiT4_lPKT3_lilS7_lilPT5_i,"axG",@progbits,_ZL23rocblas_gemvt_sn_kernelILb1ELi256ELi4EiPK19rocblas_complex_numIfES3_S1_EviiT4_lPKT3_lilS7_lilPT5_i,comdat
.Lfunc_end326:
	.size	_ZL23rocblas_gemvt_sn_kernelILb1ELi256ELi4EiPK19rocblas_complex_numIfES3_S1_EviiT4_lPKT3_lilS7_lilPT5_i, .Lfunc_end326-_ZL23rocblas_gemvt_sn_kernelILb1ELi256ELi4EiPK19rocblas_complex_numIfES3_S1_EviiT4_lPKT3_lilS7_lilPT5_i
                                        ; -- End function
	.set _ZL23rocblas_gemvt_sn_kernelILb1ELi256ELi4EiPK19rocblas_complex_numIfES3_S1_EviiT4_lPKT3_lilS7_lilPT5_i.num_vgpr, 102
	.set _ZL23rocblas_gemvt_sn_kernelILb1ELi256ELi4EiPK19rocblas_complex_numIfES3_S1_EviiT4_lPKT3_lilS7_lilPT5_i.num_agpr, 0
	.set _ZL23rocblas_gemvt_sn_kernelILb1ELi256ELi4EiPK19rocblas_complex_numIfES3_S1_EviiT4_lPKT3_lilS7_lilPT5_i.numbered_sgpr, 68
	.set _ZL23rocblas_gemvt_sn_kernelILb1ELi256ELi4EiPK19rocblas_complex_numIfES3_S1_EviiT4_lPKT3_lilS7_lilPT5_i.num_named_barrier, 0
	.set _ZL23rocblas_gemvt_sn_kernelILb1ELi256ELi4EiPK19rocblas_complex_numIfES3_S1_EviiT4_lPKT3_lilS7_lilPT5_i.private_seg_size, 0
	.set _ZL23rocblas_gemvt_sn_kernelILb1ELi256ELi4EiPK19rocblas_complex_numIfES3_S1_EviiT4_lPKT3_lilS7_lilPT5_i.uses_vcc, 1
	.set _ZL23rocblas_gemvt_sn_kernelILb1ELi256ELi4EiPK19rocblas_complex_numIfES3_S1_EviiT4_lPKT3_lilS7_lilPT5_i.uses_flat_scratch, 1
	.set _ZL23rocblas_gemvt_sn_kernelILb1ELi256ELi4EiPK19rocblas_complex_numIfES3_S1_EviiT4_lPKT3_lilS7_lilPT5_i.has_dyn_sized_stack, 0
	.set _ZL23rocblas_gemvt_sn_kernelILb1ELi256ELi4EiPK19rocblas_complex_numIfES3_S1_EviiT4_lPKT3_lilS7_lilPT5_i.has_recursion, 0
	.set _ZL23rocblas_gemvt_sn_kernelILb1ELi256ELi4EiPK19rocblas_complex_numIfES3_S1_EviiT4_lPKT3_lilS7_lilPT5_i.has_indirect_call, 0
	.section	.AMDGPU.csdata,"",@progbits
; Kernel info:
; codeLenInByte = 5604
; TotalNumSgprs: 70
; NumVgprs: 102
; ScratchSize: 0
; MemoryBound: 0
; FloatMode: 240
; IeeeMode: 1
; LDSByteSize: 8448 bytes/workgroup (compile time only)
; SGPRBlocks: 0
; VGPRBlocks: 6
; NumSGPRsForWavesPerEU: 70
; NumVGPRsForWavesPerEU: 102
; NamedBarCnt: 0
; Occupancy: 9
; WaveLimiterHint : 0
; COMPUTE_PGM_RSRC2:SCRATCH_EN: 0
; COMPUTE_PGM_RSRC2:USER_SGPR: 4
; COMPUTE_PGM_RSRC2:TRAP_HANDLER: 0
; COMPUTE_PGM_RSRC2:TGID_X_EN: 1
; COMPUTE_PGM_RSRC2:TGID_Y_EN: 0
; COMPUTE_PGM_RSRC2:TGID_Z_EN: 1
; COMPUTE_PGM_RSRC2:TIDIG_COMP_CNT: 2
	.section	.text._ZL23rocblas_gemvt_sn_kernelILb1ELi256ELi4ElPK19rocblas_complex_numIfES3_S1_EviiT4_lPKT3_lilS7_lilPT5_i,"axG",@progbits,_ZL23rocblas_gemvt_sn_kernelILb1ELi256ELi4ElPK19rocblas_complex_numIfES3_S1_EviiT4_lPKT3_lilS7_lilPT5_i,comdat
	.globl	_ZL23rocblas_gemvt_sn_kernelILb1ELi256ELi4ElPK19rocblas_complex_numIfES3_S1_EviiT4_lPKT3_lilS7_lilPT5_i ; -- Begin function _ZL23rocblas_gemvt_sn_kernelILb1ELi256ELi4ElPK19rocblas_complex_numIfES3_S1_EviiT4_lPKT3_lilS7_lilPT5_i
	.p2align	8
	.type	_ZL23rocblas_gemvt_sn_kernelILb1ELi256ELi4ElPK19rocblas_complex_numIfES3_S1_EviiT4_lPKT3_lilS7_lilPT5_i,@function
_ZL23rocblas_gemvt_sn_kernelILb1ELi256ELi4ElPK19rocblas_complex_numIfES3_S1_EviiT4_lPKT3_lilS7_lilPT5_i: ; @_ZL23rocblas_gemvt_sn_kernelILb1ELi256ELi4ElPK19rocblas_complex_numIfES3_S1_EviiT4_lPKT3_lilS7_lilPT5_i
; %bb.0:
	s_load_b32 s33, s[2:3], 0x60
	s_bfe_u32 s4, ttmp6, 0x40014
	s_lshr_b32 s5, ttmp7, 16
	s_add_co_i32 s4, s4, 1
	s_bfe_u32 s7, ttmp6, 0x40008
	s_mul_i32 s6, s5, s4
	s_getreg_b32 s4, hwreg(HW_REG_IB_STS2, 6, 4)
	s_add_co_i32 s7, s7, s6
	s_cmp_eq_u32 s4, 0
	s_mov_b32 s25, 0
	s_cselect_b32 s10, s5, s7
	s_wait_kmcnt 0x0
	s_cmp_ge_u32 s10, s33
	s_cbranch_scc1 .LBB327_88
; %bb.1:
	s_clause 0x1
	s_load_b32 s26, s[2:3], 0x28
	s_load_b32 s6, s[2:3], 0x48
	s_load_b64 s[36:37], s[0:1], 0x4
	s_clause 0x3
	s_load_b64 s[28:29], s[2:3], 0x0
	s_load_b256 s[12:19], s[2:3], 0x8
	s_load_b128 s[20:23], s[2:3], 0x38
	s_load_b64 s[30:31], s[2:3], 0x58
	v_and_b32_e32 v1, 0x3ff, v0
	s_load_b32 s34, s[2:3], 0x68
	v_bfe_u32 v2, v0, 10, 10
	v_bfe_u32 v3, v0, 20, 10
	v_mbcnt_lo_u32_b32 v51, -1, 0
	s_wait_xcnt 0x0
	v_cmp_eq_u32_e64 s0, 0, v1
	v_cmp_gt_u32_e64 s5, 8, v1
	v_mov_b64_e32 v[14:15], 0
	s_mov_b32 s35, s25
	v_lshl_or_b32 v53, v51, 2, 64
	v_mov_b32_e32 v52, 0
	s_wait_kmcnt 0x0
	s_ashr_i32 s27, s26, 31
	s_ashr_i32 s7, s6, 31
	s_lshr_b32 s1, s36, 16
	s_ashr_i32 s9, s29, 31
	s_cmp_gt_i32 s29, 0
	s_mul_i32 s1, s1, s37
	s_cselect_b32 s2, -1, 0
	s_bfe_u32 s3, ttmp6, 0x4000c
	v_mul_lo_u32 v4, s1, v1
	s_add_co_i32 s3, s3, 1
	s_and_b32 s1, ttmp6, 15
	s_mul_i32 s3, ttmp9, s3
	s_and_b32 s56, s0, s2
	s_add_co_i32 s1, s1, s3
	s_cmp_eq_u32 s4, 0
	v_mul_u32_u24_e32 v2, s37, v2
	s_cselect_b32 s24, ttmp9, s1
	s_ashr_i32 s2, s28, 31
	s_lshl_b32 s3, s24, 10
	s_lshr_b32 s2, s2, 30
	v_add3_u32 v3, v4, v2, v3
	v_lshl_or_b32 v2, v1, 2, s3
	s_add_co_i32 s2, s28, s2
	s_lshr_b32 s1, s9, 30
	s_and_b32 s2, s2, -4
	v_lshl_add_u32 v48, v3, 5, 0x100
	v_dual_ashrrev_i32 v3, 31, v2 :: v_dual_bitop2_b32 v6, 1, v2 bitop3:0x54
	v_and_b32_e32 v12, 31, v0
	s_sub_co_i32 s58, s28, s2
	s_delay_alu instid0(SALU_CYCLE_1) | instskip(NEXT) | instid1(VALU_DEP_3)
	v_dual_add_nc_u32 v4, 4, v2 :: v_dual_add_nc_u32 v5, s58, v2
	v_ashrrev_i32_e32 v7, 31, v6
	s_delay_alu instid0(VALU_DEP_3)
	v_dual_lshlrev_b32 v49, 3, v12 :: v_dual_bitop2_b32 v8, 2, v2 bitop3:0x54
	v_or_b32_e32 v10, 3, v2
	s_add_co_i32 s1, s29, s1
	v_cmp_ge_i32_e64 s2, s28, v5
	s_and_b32 s57, s1, -4
	v_cmp_ge_i32_e64 s1, s28, v4
	v_mul_u64_e32 v[4:5], s[6:7], v[2:3]
	v_dual_ashrrev_i32 v9, 31, v8 :: v_dual_ashrrev_i32 v11, 31, v10
	v_lshrrev_b32_e32 v0, 2, v0
	v_mul_u64_e32 v[6:7], s[6:7], v[6:7]
	s_cmp_gt_i32 s57, 0
	s_delay_alu instid0(VALU_DEP_3)
	v_mul_u64_e32 v[8:9], s[6:7], v[8:9]
	v_mul_u64_e32 v[10:11], s[6:7], v[10:11]
	s_cselect_b32 s59, -1, 0
	s_cmp_gt_i32 s58, 0
	v_cmp_gt_u32_e64 s3, 32, v1
	s_cselect_b32 s28, -1, 0
	v_and_b32_e32 v50, 56, v0
	s_and_b32 s60, s28, s2
	s_cmp_gt_u32 s29, 1
	v_lshlrev_b64_e32 v[0:1], 3, v[2:3]
	s_cselect_b32 s11, -1, 0
	s_cmp_eq_u32 s34, 1
	v_cmp_eq_u32_e64 s4, 0, v12
	s_cselect_b32 s38, -1, 0
	s_and_b32 s61, s29, 0x7ffffffe
	s_and_b32 s62, s11, s38
	s_cmp_lg_u32 s29, s61
	v_or_b32_e32 v0, 4, v0
	s_mov_b32 s8, s29
	s_cselect_b32 s63, -1, 0
	s_lshl_b64 s[38:39], s[24:25], 3
	s_mul_u64 s[36:37], s[8:9], s[34:35]
	s_add_nc_u64 s[40:41], s[30:31], s[38:39]
	s_lshl_b64 s[42:43], s[8:9], 3
	s_lshl_b64 s[44:45], s[34:35], 3
	;; [unrolled: 1-line block ×3, first 2 shown]
	v_lshlrev_b64_e32 v[12:13], 3, v[4:5]
	s_lshl_b64 s[48:49], s[26:27], 5
	s_lshl_b64 s[50:51], s[26:27], 3
	;; [unrolled: 1-line block ×4, first 2 shown]
	s_branch .LBB327_3
.LBB327_2:                              ;   in Loop: Header=BB327_3 Depth=1
	s_add_co_i32 s10, s10, 0x10000
	s_delay_alu instid0(SALU_CYCLE_1)
	s_cmp_lt_u32 s10, s33
	s_cbranch_scc0 .LBB327_88
.LBB327_3:                              ; =>This Loop Header: Depth=1
                                        ;     Child Loop BB327_11 Depth 2
                                        ;     Child Loop BB327_15 Depth 2
	;; [unrolled: 1-line block ×3, first 2 shown]
                                        ;       Child Loop BB327_51 Depth 3
                                        ;       Child Loop BB327_53 Depth 3
                                        ;     Child Loop BB327_69 Depth 2
                                        ;       Child Loop BB327_81 Depth 3
                                        ;       Child Loop BB327_83 Depth 3
	s_mov_b32 s11, s25
	v_mov_b64_e32 v[30:31], 0
	s_mul_u64 s[6:7], s[14:15], s[10:11]
	s_delay_alu instid0(SALU_CYCLE_1) | instskip(NEXT) | instid1(SALU_CYCLE_1)
	s_lshl_b64 s[6:7], s[6:7], 3
	s_add_nc_u64 s[6:7], s[12:13], s[6:7]
	global_load_b64 v[16:17], v52, s[6:7]
	s_wait_loadcnt 0x0
	v_or_b32_e32 v18, v16, v17
	s_delay_alu instid0(VALU_DEP_1) | instskip(SKIP_1) | instid1(VALU_DEP_1)
	v_and_b32_e32 v18, 0x7fffffff, v18
	s_wait_xcnt 0x0
	v_cmp_eq_u32_e64 s6, 0, v18
	v_cmp_ne_u32_e64 s7, 0, v18
	s_and_b32 vcc_lo, exec_lo, s6
	s_cbranch_vccnz .LBB327_5
; %bb.4:                                ;   in Loop: Header=BB327_3 Depth=1
	s_lshl_b64 s[8:9], s[10:11], 3
	s_delay_alu instid0(SALU_CYCLE_1)
	s_add_nc_u64 s[8:9], s[16:17], s[8:9]
	global_load_b64 v[18:19], v52, s[8:9]
	s_wait_loadcnt 0x0
	v_add_nc_u64_e32 v[30:31], s[18:19], v[18:19]
.LBB327_5:                              ;   in Loop: Header=BB327_3 Depth=1
	s_wait_dscnt 0x0
	v_mov_b64_e32 v[34:35], 0
	s_and_not1_b32 vcc_lo, exec_lo, s7
	s_cbranch_vccnz .LBB327_7
; %bb.6:                                ;   in Loop: Header=BB327_3 Depth=1
	s_wait_xcnt 0x0
	s_lshl_b64 s[8:9], s[10:11], 3
	s_delay_alu instid0(SALU_CYCLE_1)
	s_add_nc_u64 s[8:9], s[20:21], s[8:9]
	global_load_b64 v[18:19], v52, s[8:9]
	s_wait_loadcnt 0x0
	v_add_nc_u64_e32 v[34:35], s[22:23], v[18:19]
.LBB327_7:                              ;   in Loop: Header=BB327_3 Depth=1
	s_wait_xcnt 0x0
	s_mul_u64 s[8:9], s[36:37], s[10:11]
	s_and_not1_b32 vcc_lo, exec_lo, s6
	s_lshl_b64 s[8:9], s[8:9], 3
	s_mov_b32 s6, -1
	s_add_nc_u64 s[52:53], s[30:31], s[8:9]
	s_cbranch_vccnz .LBB327_17
; %bb.8:                                ;   in Loop: Header=BB327_3 Depth=1
	s_and_saveexec_b32 s64, s56
	s_cbranch_execz .LBB327_16
; %bb.9:                                ;   in Loop: Header=BB327_3 Depth=1
	s_and_not1_b32 vcc_lo, exec_lo, s62
	s_cbranch_vccnz .LBB327_13
; %bb.10:                               ;   in Loop: Header=BB327_3 Depth=1
	s_add_nc_u64 s[6:7], s[52:53], s[38:39]
	s_mov_b32 s8, 1
	s_mov_b32 s24, 0
	;; [unrolled: 1-line block ×3, first 2 shown]
.LBB327_11:                             ;   Parent Loop BB327_3 Depth=1
                                        ; =>  This Inner Loop Header: Depth=2
	s_mov_b32 s9, s25
	s_wait_xcnt 0x1
	s_lshl_b64 s[66:67], s[24:25], 3
	s_add_co_i32 s55, s55, -2
	s_add_co_i32 s24, s24, 2
	s_wait_xcnt 0x0
	s_lshl_b64 s[68:69], s[8:9], 3
	s_add_co_i32 s8, s8, 2
	s_mov_b32 s54, s61
	s_mov_b32 s65, s63
	s_add_nc_u64 s[66:67], s[6:7], s[66:67]
	s_cmp_lg_u32 s55, 0
	s_add_nc_u64 s[68:69], s[6:7], s[68:69]
	s_clause 0x1
	global_store_b64 v52, v[14:15], s[66:67]
	global_store_b64 v52, v[14:15], s[68:69]
	s_cbranch_scc1 .LBB327_11
; %bb.12:                               ;   in Loop: Header=BB327_3 Depth=1
	s_and_b32 vcc_lo, exec_lo, s65
	s_cbranch_vccnz .LBB327_14
	s_branch .LBB327_16
.LBB327_13:                             ;   in Loop: Header=BB327_3 Depth=1
	s_mov_b32 s54, 0
	s_cbranch_execz .LBB327_16
.LBB327_14:                             ;   in Loop: Header=BB327_3 Depth=1
	s_mov_b32 s55, s25
	s_mul_u64 s[6:7], s[42:43], s[10:11]
	s_lshl_b64 s[8:9], s[54:55], 3
	s_delay_alu instid0(SALU_CYCLE_1) | instskip(SKIP_2) | instid1(SALU_CYCLE_1)
	s_add_nc_u64 s[6:7], s[6:7], s[8:9]
	s_sub_co_i32 s8, s29, s54
	s_mul_u64 s[6:7], s[34:35], s[6:7]
	s_add_nc_u64 s[6:7], s[40:41], s[6:7]
.LBB327_15:                             ;   Parent Loop BB327_3 Depth=1
                                        ; =>  This Inner Loop Header: Depth=2
	s_add_co_i32 s8, s8, -1
	global_store_b64 v52, v[14:15], s[6:7]
	s_cmp_eq_u32 s8, 0
	s_wait_xcnt 0x0
	s_add_nc_u64 s[6:7], s[6:7], s[44:45]
	s_cbranch_scc0 .LBB327_15
.LBB327_16:                             ;   in Loop: Header=BB327_3 Depth=1
	s_wait_xcnt 0x0
	s_or_b32 exec_lo, exec_lo, s64
	s_mov_b32 s6, 0
.LBB327_17:                             ;   in Loop: Header=BB327_3 Depth=1
	s_delay_alu instid0(SALU_CYCLE_1)
	s_and_not1_b32 vcc_lo, exec_lo, s6
	s_cbranch_vccnz .LBB327_2
; %bb.18:                               ;   in Loop: Header=BB327_3 Depth=1
	v_add_nc_u64_e32 v[28:29], v[34:35], v[12:13]
	v_lshl_add_u64 v[18:19], v[2:3], 3, v[30:31]
	v_lshl_add_u64 v[20:21], v[4:5], 3, v[34:35]
	;; [unrolled: 1-line block ×5, first 2 shown]
	v_cmp_gt_u32_e64 s7, 24, v51
	v_cmp_gt_u32_e64 s6, 28, v51
	;; [unrolled: 1-line block ×3, first 2 shown]
	v_cmp_ne_u32_e64 s8, 31, v51
	s_and_not1_b32 vcc_lo, exec_lo, s59
	s_add_nc_u64 s[52:53], s[52:53], s[38:39]
	s_cbranch_vccnz .LBB327_65
; %bb.19:                               ;   in Loop: Header=BB327_3 Depth=1
	v_cndmask_b32_e64 v36, 0, 2, s9
	v_add_co_ci_u32_e64 v37, null, 0, v51, s8
	v_cndmask_b32_e64 v32, 0, 8, s7
	v_cndmask_b32_e64 v33, 0, 4, s6
	s_delay_alu instid0(VALU_DEP_4) | instskip(NEXT) | instid1(VALU_DEP_4)
	v_add_lshl_u32 v56, v36, v51, 2
	v_lshlrev_b32_e32 v57, 2, v37
	v_add_nc_u64_e32 v[34:35], v[34:35], v[12:13]
	v_mov_b64_e32 v[36:37], v[18:19]
	v_add_lshl_u32 v54, v32, v51, 2
	v_add_lshl_u32 v55, v33, v51, 2
	v_dual_mov_b32 v32, v17 :: v_dual_mov_b32 v33, v16
	s_mov_b32 s24, 0
	s_branch .LBB327_21
.LBB327_20:                             ;   in Loop: Header=BB327_21 Depth=2
	s_wait_xcnt 0x0
	s_or_b32 exec_lo, exec_lo, s6
	v_add_nc_u64_e32 v[36:37], s[48:49], v[36:37]
	s_add_co_i32 s24, s24, 4
	s_delay_alu instid0(SALU_CYCLE_1)
	s_cmp_ge_i32 s24, s57
	s_cbranch_scc1 .LBB327_66
.LBB327_21:                             ;   Parent Loop BB327_3 Depth=1
                                        ; =>  This Loop Header: Depth=2
                                        ;       Child Loop BB327_51 Depth 3
                                        ;       Child Loop BB327_53 Depth 3
                                        ; implicit-def: $vgpr43
                                        ; implicit-def: $vgpr45
                                        ; implicit-def: $vgpr41
                                        ; implicit-def: $vgpr39
	s_and_saveexec_b32 s6, s1
	s_delay_alu instid0(SALU_CYCLE_1)
	s_xor_b32 s6, exec_lo, s6
	s_cbranch_execnz .LBB327_48
; %bb.22:                               ;   in Loop: Header=BB327_21 Depth=2
	s_and_not1_saveexec_b32 s6, s6
	s_cbranch_execnz .LBB327_49
.LBB327_23:                             ;   in Loop: Header=BB327_21 Depth=2
	s_or_b32 exec_lo, exec_lo, s6
	s_and_saveexec_b32 s6, s3
.LBB327_24:                             ;   in Loop: Header=BB327_21 Depth=2
	ds_store_b64 v49, v[14:15]
.LBB327_25:                             ;   in Loop: Header=BB327_21 Depth=2
	s_or_b32 exec_lo, exec_lo, s6
	ds_bpermute_b32 v46, v53, v42
	ds_bpermute_b32 v47, v53, v43
	s_wait_storecnt_dscnt 0x0
	s_barrier_signal -1
	s_barrier_wait -1
	v_pk_add_f32 v[42:43], v[42:43], v[46:47]
	ds_bpermute_b32 v46, v54, v42
	ds_bpermute_b32 v47, v54, v43
	s_wait_dscnt 0x0
	v_pk_add_f32 v[42:43], v[42:43], v[46:47]
	ds_bpermute_b32 v46, v55, v42
	ds_bpermute_b32 v47, v55, v43
	s_wait_dscnt 0x0
	v_pk_add_f32 v[42:43], v[42:43], v[46:47]
	ds_bpermute_b32 v46, v56, v42
	ds_bpermute_b32 v47, v56, v43
	s_wait_dscnt 0x0
	v_pk_add_f32 v[42:43], v[42:43], v[46:47]
	ds_bpermute_b32 v46, v57, v42
	ds_bpermute_b32 v47, v57, v43
	s_and_saveexec_b32 s6, s4
	s_cbranch_execz .LBB327_27
; %bb.26:                               ;   in Loop: Header=BB327_21 Depth=2
	s_wait_dscnt 0x0
	v_pk_add_f32 v[42:43], v[42:43], v[46:47]
	ds_store_b64 v50, v[42:43]
.LBB327_27:                             ;   in Loop: Header=BB327_21 Depth=2
	s_or_b32 exec_lo, exec_lo, s6
	v_mov_b64_e32 v[42:43], 0
	s_wait_dscnt 0x0
	s_barrier_signal -1
	s_barrier_wait -1
	s_and_saveexec_b32 s6, s5
	s_cbranch_execnz .LBB327_54
; %bb.28:                               ;   in Loop: Header=BB327_21 Depth=2
	s_or_b32 exec_lo, exec_lo, s6
	s_and_saveexec_b32 s6, s3
	s_cbranch_execnz .LBB327_55
.LBB327_29:                             ;   in Loop: Header=BB327_21 Depth=2
	s_or_b32 exec_lo, exec_lo, s6
	s_and_saveexec_b32 s6, s3
.LBB327_30:                             ;   in Loop: Header=BB327_21 Depth=2
	ds_store_b64 v49, v[14:15]
.LBB327_31:                             ;   in Loop: Header=BB327_21 Depth=2
	s_or_b32 exec_lo, exec_lo, s6
	ds_bpermute_b32 v46, v53, v44
	ds_bpermute_b32 v47, v53, v45
	s_wait_dscnt 0x0
	s_barrier_signal -1
	s_barrier_wait -1
	v_pk_add_f32 v[44:45], v[44:45], v[46:47]
	ds_bpermute_b32 v46, v54, v44
	ds_bpermute_b32 v47, v54, v45
	s_wait_dscnt 0x0
	v_pk_add_f32 v[44:45], v[44:45], v[46:47]
	ds_bpermute_b32 v46, v55, v44
	ds_bpermute_b32 v47, v55, v45
	s_wait_dscnt 0x0
	;; [unrolled: 4-line block ×3, first 2 shown]
	v_pk_add_f32 v[44:45], v[44:45], v[46:47]
	ds_bpermute_b32 v46, v57, v44
	ds_bpermute_b32 v47, v57, v45
	s_and_saveexec_b32 s6, s4
	s_cbranch_execz .LBB327_33
; %bb.32:                               ;   in Loop: Header=BB327_21 Depth=2
	s_wait_dscnt 0x0
	v_pk_add_f32 v[44:45], v[44:45], v[46:47]
	ds_store_b64 v50, v[44:45]
.LBB327_33:                             ;   in Loop: Header=BB327_21 Depth=2
	s_or_b32 exec_lo, exec_lo, s6
	v_mov_b64_e32 v[44:45], 0
	s_wait_dscnt 0x0
	s_barrier_signal -1
	s_barrier_wait -1
	s_and_saveexec_b32 s6, s5
	s_cbranch_execnz .LBB327_56
; %bb.34:                               ;   in Loop: Header=BB327_21 Depth=2
	s_or_b32 exec_lo, exec_lo, s6
	s_and_saveexec_b32 s6, s3
	s_cbranch_execnz .LBB327_57
.LBB327_35:                             ;   in Loop: Header=BB327_21 Depth=2
	s_or_b32 exec_lo, exec_lo, s6
	s_and_saveexec_b32 s6, s3
.LBB327_36:                             ;   in Loop: Header=BB327_21 Depth=2
	ds_store_b64 v49, v[14:15]
.LBB327_37:                             ;   in Loop: Header=BB327_21 Depth=2
	s_or_b32 exec_lo, exec_lo, s6
	ds_bpermute_b32 v46, v53, v40
	ds_bpermute_b32 v47, v53, v41
	s_wait_dscnt 0x0
	s_barrier_signal -1
	s_barrier_wait -1
	v_pk_add_f32 v[40:41], v[40:41], v[46:47]
	ds_bpermute_b32 v46, v54, v40
	ds_bpermute_b32 v47, v54, v41
	s_wait_dscnt 0x0
	v_pk_add_f32 v[40:41], v[40:41], v[46:47]
	ds_bpermute_b32 v46, v55, v40
	ds_bpermute_b32 v47, v55, v41
	s_wait_dscnt 0x0
	;; [unrolled: 4-line block ×3, first 2 shown]
	v_pk_add_f32 v[40:41], v[40:41], v[46:47]
	ds_bpermute_b32 v46, v57, v40
	ds_bpermute_b32 v47, v57, v41
	s_and_saveexec_b32 s6, s4
	s_cbranch_execz .LBB327_39
; %bb.38:                               ;   in Loop: Header=BB327_21 Depth=2
	s_wait_dscnt 0x0
	v_pk_add_f32 v[40:41], v[40:41], v[46:47]
	ds_store_b64 v50, v[40:41]
.LBB327_39:                             ;   in Loop: Header=BB327_21 Depth=2
	s_or_b32 exec_lo, exec_lo, s6
	v_mov_b64_e32 v[40:41], 0
	s_wait_dscnt 0x0
	s_barrier_signal -1
	s_barrier_wait -1
	s_and_saveexec_b32 s6, s5
	s_cbranch_execnz .LBB327_58
; %bb.40:                               ;   in Loop: Header=BB327_21 Depth=2
	s_or_b32 exec_lo, exec_lo, s6
	s_and_saveexec_b32 s6, s3
	s_cbranch_execnz .LBB327_59
.LBB327_41:                             ;   in Loop: Header=BB327_21 Depth=2
	s_or_b32 exec_lo, exec_lo, s6
	s_and_saveexec_b32 s6, s3
.LBB327_42:                             ;   in Loop: Header=BB327_21 Depth=2
	ds_store_b64 v49, v[14:15]
.LBB327_43:                             ;   in Loop: Header=BB327_21 Depth=2
	s_or_b32 exec_lo, exec_lo, s6
	ds_bpermute_b32 v46, v53, v38
	ds_bpermute_b32 v47, v53, v39
	s_wait_dscnt 0x0
	s_barrier_signal -1
	s_barrier_wait -1
	v_pk_add_f32 v[38:39], v[38:39], v[46:47]
	ds_bpermute_b32 v46, v54, v38
	ds_bpermute_b32 v47, v54, v39
	s_wait_dscnt 0x0
	v_pk_add_f32 v[38:39], v[38:39], v[46:47]
	ds_bpermute_b32 v46, v55, v38
	ds_bpermute_b32 v47, v55, v39
	s_wait_dscnt 0x0
	;; [unrolled: 4-line block ×3, first 2 shown]
	v_pk_add_f32 v[38:39], v[38:39], v[46:47]
	ds_bpermute_b32 v46, v57, v38
	ds_bpermute_b32 v47, v57, v39
	s_and_saveexec_b32 s6, s4
	s_cbranch_execz .LBB327_45
; %bb.44:                               ;   in Loop: Header=BB327_21 Depth=2
	s_wait_dscnt 0x0
	v_pk_add_f32 v[38:39], v[38:39], v[46:47]
	ds_store_b64 v50, v[38:39]
.LBB327_45:                             ;   in Loop: Header=BB327_21 Depth=2
	s_or_b32 exec_lo, exec_lo, s6
	v_mov_b64_e32 v[38:39], 0
	s_wait_dscnt 0x0
	s_barrier_signal -1
	s_barrier_wait -1
	s_and_saveexec_b32 s6, s5
	s_cbranch_execnz .LBB327_60
; %bb.46:                               ;   in Loop: Header=BB327_21 Depth=2
	s_or_b32 exec_lo, exec_lo, s6
	s_and_saveexec_b32 s6, s3
	s_cbranch_execnz .LBB327_61
.LBB327_47:                             ;   in Loop: Header=BB327_21 Depth=2
	s_or_b32 exec_lo, exec_lo, s6
	s_and_saveexec_b32 s6, s0
	s_cbranch_execz .LBB327_20
	s_branch .LBB327_62
.LBB327_48:                             ;   in Loop: Header=BB327_21 Depth=2
	flat_load_b64 v[46:47], v[20:21]
	s_mul_u64 s[8:9], s[24:25], s[26:27]
	s_or_b32 s66, s24, 3
	s_mov_b32 s67, s25
	v_lshl_add_u64 v[66:67], s[8:9], 3, v[18:19]
	s_mul_u64 s[8:9], s[66:67], s[26:27]
	s_or_b32 s54, s24, 1
	v_lshl_add_u64 v[78:79], s[8:9], 3, v[18:19]
	s_mov_b32 s55, s25
	s_or_b32 s64, s24, 2
	s_mul_u64 s[54:55], s[54:55], s[26:27]
	s_mov_b32 s65, s25
	v_lshl_add_u64 v[70:71], s[54:55], 3, v[18:19]
	s_mul_u64 s[8:9], s[64:65], s[26:27]
	s_delay_alu instid0(SALU_CYCLE_1)
	v_lshl_add_u64 v[74:75], s[8:9], 3, v[18:19]
	s_wait_loadcnt_dscnt 0x0
	ds_store_b64 v48, v[46:47]
	flat_load_b64 v[82:83], v[22:23]
	s_wait_loadcnt_dscnt 0x0
	ds_store_b64 v48, v[82:83] offset:8
	flat_load_b64 v[38:39], v[24:25]
	s_wait_loadcnt_dscnt 0x0
	ds_store_b64 v48, v[38:39] offset:16
	;; [unrolled: 3-line block ×3, first 2 shown]
	s_clause 0x7
	flat_load_b128 v[42:45], v[78:79]
	flat_load_b128 v[38:41], v[66:67]
	;; [unrolled: 1-line block ×4, first 2 shown]
	flat_load_b128 v[66:69], v[66:67] offset:16
	flat_load_b128 v[70:73], v[70:71] offset:16
	;; [unrolled: 1-line block ×4, first 2 shown]
	s_wait_loadcnt_dscnt 0x707
	v_dual_mul_f32 v86, v43, v47 :: v_dual_mul_f32 v43, v43, v46
	v_pk_mul_f32 v[88:89], v[44:45], v[82:83] op_sel:[0,1]
	s_wait_loadcnt_dscnt 0x606
	v_dual_mul_f32 v84, v39, v47 :: v_dual_mul_f32 v39, v39, v46
	v_pk_mul_f32 v[92:93], v[40:41], v[82:83] op_sel:[0,1]
	s_wait_loadcnt_dscnt 0x505
	v_dual_mul_f32 v90, v59, v47 :: v_dual_fmac_f32 v86, v42, v46
	v_fma_f32 v87, v42, v47, -v43
	v_pk_fma_f32 v[42:43], v[44:45], v[82:83], v[88:89] op_sel:[0,0,1] op_sel_hi:[1,1,0]
	v_pk_fma_f32 v[44:45], v[44:45], v[82:83], v[88:89] op_sel:[0,0,1] op_sel_hi:[1,0,0] neg_lo:[1,0,0] neg_hi:[1,0,0]
	v_mul_f32_e32 v43, v59, v46
	s_wait_loadcnt_dscnt 0x404
	v_dual_mul_f32 v88, v63, v47 :: v_dual_fmac_f32 v84, v38, v46
	v_dual_fma_f32 v85, v38, v47, -v39 :: v_dual_mul_f32 v44, v63, v46
	v_pk_fma_f32 v[94:95], v[40:41], v[82:83], v[92:93] op_sel:[0,0,1] op_sel_hi:[1,1,0]
	v_pk_fma_f32 v[92:93], v[40:41], v[82:83], v[92:93] op_sel:[0,0,1] op_sel_hi:[1,0,0] neg_lo:[1,0,0] neg_hi:[1,0,0]
	v_pk_mul_f32 v[38:39], v[60:61], v[82:83] op_sel:[0,1]
	v_pk_mul_f32 v[40:41], v[64:65], v[82:83] op_sel:[0,1]
	v_dual_fma_f32 v91, v58, v47, -v43 :: v_dual_fmac_f32 v90, v58, v46
	v_fmac_f32_e32 v88, v62, v46
	v_fma_f32 v89, v62, v47, -v44
	v_pk_fma_f32 v[46:47], v[60:61], v[82:83], v[38:39] op_sel:[0,0,1] op_sel_hi:[1,1,0]
	v_pk_fma_f32 v[58:59], v[60:61], v[82:83], v[38:39] op_sel:[0,0,1] op_sel_hi:[1,0,0] neg_lo:[1,0,0] neg_hi:[1,0,0]
	v_pk_fma_f32 v[60:61], v[64:65], v[82:83], v[40:41] op_sel:[0,0,1] op_sel_hi:[1,1,0]
	v_pk_fma_f32 v[62:63], v[64:65], v[82:83], v[40:41] op_sel:[0,0,1] op_sel_hi:[1,0,0] neg_lo:[1,0,0] neg_hi:[1,0,0]
	ds_load_b128 v[38:41], v48 offset:16
	s_wait_loadcnt_dscnt 0x304
	v_dual_mov_b32 v44, v69 :: v_dual_mov_b32 v43, v45
	s_wait_dscnt 0x0
	v_dual_mov_b32 v95, v93 :: v_dual_mov_b32 v64, v41
	v_mov_b32_e32 v65, v40
	v_pk_mul_f32 v[96:97], v[38:39], v[66:67] op_sel:[1,1] op_sel_hi:[0,1]
	s_wait_loadcnt 0x2
	v_pk_mul_f32 v[100:101], v[38:39], v[70:71] op_sel:[1,1] op_sel_hi:[0,1]
	s_wait_loadcnt 0x1
	v_pk_mul_f32 v[104:105], v[38:39], v[74:75] op_sel:[1,1] op_sel_hi:[0,1]
	v_pk_mul_f32 v[82:83], v[64:65], v[44:45] op_sel_hi:[1,0]
	v_mov_b32_e32 v44, v73
	v_pk_fma_f32 v[98:99], v[38:39], v[66:67], v[96:97]
	s_wait_xcnt 0x3
	v_pk_fma_f32 v[66:67], v[38:39], v[66:67], v[96:97] op_sel_hi:[1,0,1] neg_lo:[0,0,1] neg_hi:[0,0,1]
	v_pk_fma_f32 v[102:103], v[38:39], v[70:71], v[100:101]
	v_pk_fma_f32 v[96:97], v[40:41], v[68:69], v[82:83]
	v_pk_fma_f32 v[68:69], v[40:41], v[68:69], v[82:83] op_sel_hi:[1,0,1] neg_lo:[0,0,1] neg_hi:[0,0,1]
	v_pk_mul_f32 v[82:83], v[64:65], v[44:45] op_sel_hi:[1,0]
	v_mov_b32_e32 v44, v77
	s_wait_xcnt 0x2
	v_pk_fma_f32 v[70:71], v[38:39], v[70:71], v[100:101] op_sel_hi:[1,0,1] neg_lo:[0,0,1] neg_hi:[0,0,1]
	v_mov_b32_e32 v99, v67
	v_pk_fma_f32 v[106:107], v[38:39], v[74:75], v[104:105]
	v_pk_fma_f32 v[100:101], v[40:41], v[72:73], v[82:83]
	v_pk_fma_f32 v[72:73], v[40:41], v[72:73], v[82:83] op_sel_hi:[1,0,1] neg_lo:[0,0,1] neg_hi:[0,0,1]
	v_pk_mul_f32 v[82:83], v[64:65], v[44:45] op_sel_hi:[1,0]
	s_wait_loadcnt 0x0
	v_mov_b32_e32 v44, v81
	s_wait_xcnt 0x1
	v_pk_fma_f32 v[74:75], v[38:39], v[74:75], v[104:105] op_sel_hi:[1,0,1] neg_lo:[0,0,1] neg_hi:[0,0,1]
	v_dual_mov_b32 v47, v59 :: v_dual_mov_b32 v103, v71
	v_pk_fma_f32 v[104:105], v[40:41], v[76:77], v[82:83]
	v_pk_mul_f32 v[64:65], v[64:65], v[44:45] op_sel_hi:[1,0]
	v_pk_mul_f32 v[44:45], v[38:39], v[78:79] op_sel:[1,1] op_sel_hi:[0,1]
	v_pk_fma_f32 v[76:77], v[40:41], v[76:77], v[82:83] op_sel_hi:[1,0,1] neg_lo:[0,0,1] neg_hi:[0,0,1]
	v_dual_mov_b32 v61, v63 :: v_dual_mov_b32 v107, v75
	v_pk_add_f32 v[58:59], v[84:85], 0 op_sel_hi:[1,0]
	s_delay_alu instid0(VALU_DEP_4)
	v_pk_fma_f32 v[82:83], v[38:39], v[78:79], v[44:45] op_sel_hi:[1,0,1] neg_lo:[0,0,1] neg_hi:[0,0,1]
	v_pk_fma_f32 v[38:39], v[38:39], v[78:79], v[44:45]
	v_pk_add_f32 v[44:45], v[86:87], 0 op_sel_hi:[1,0]
	v_pk_add_f32 v[62:63], v[90:91], 0 op_sel_hi:[1,0]
	;; [unrolled: 1-line block ×3, first 2 shown]
	v_mov_b32_e32 v39, v83
	v_pk_fma_f32 v[70:71], v[40:41], v[80:81], v[64:65]
	v_pk_fma_f32 v[40:41], v[40:41], v[80:81], v[64:65] op_sel_hi:[1,0,1] neg_lo:[0,0,1] neg_hi:[0,0,1]
	v_pk_add_f32 v[42:43], v[44:45], v[42:43]
	v_pk_add_f32 v[44:45], v[58:59], v[94:95]
	;; [unrolled: 1-line block ×4, first 2 shown]
	v_dual_mov_b32 v97, v69 :: v_dual_mov_b32 v101, v73
	v_dual_mov_b32 v105, v77 :: v_dual_mov_b32 v71, v41
	v_pk_add_f32 v[40:41], v[44:45], v[98:99]
	v_pk_add_f32 v[44:45], v[46:47], v[102:103]
	v_pk_add_f32 v[46:47], v[58:59], v[106:107]
	v_pk_add_f32 v[38:39], v[42:43], v[38:39]
	s_delay_alu instid0(VALU_DEP_4) | instskip(NEXT) | instid1(VALU_DEP_4)
	v_pk_add_f32 v[42:43], v[40:41], v[96:97]
	v_pk_add_f32 v[44:45], v[44:45], v[100:101]
	s_delay_alu instid0(VALU_DEP_4) | instskip(NEXT) | instid1(VALU_DEP_4)
	v_pk_add_f32 v[40:41], v[46:47], v[104:105]
	v_pk_add_f32 v[38:39], v[38:39], v[70:71]
	s_wait_xcnt 0x0
	s_and_not1_saveexec_b32 s6, s6
	s_cbranch_execz .LBB327_23
.LBB327_49:                             ;   in Loop: Header=BB327_21 Depth=2
	v_dual_mov_b32 v43, 0 :: v_dual_mov_b32 v42, 0
	v_dual_mov_b32 v45, 0 :: v_dual_mov_b32 v44, 0
	;; [unrolled: 1-line block ×3, first 2 shown]
	s_wait_dscnt 0x0
	v_dual_mov_b32 v39, 0 :: v_dual_mov_b32 v38, 0
	s_and_saveexec_b32 s7, s2
	s_cbranch_execz .LBB327_64
; %bb.50:                               ;   in Loop: Header=BB327_21 Depth=2
	v_mov_b64_e32 v[38:39], v[34:35]
	v_mov_b32_e32 v40, v48
	s_and_not1_b32 vcc_lo, exec_lo, s28
	s_mov_b32 s8, s58
	s_cbranch_vccnz .LBB327_63
.LBB327_51:                             ;   Parent Loop BB327_3 Depth=1
                                        ;     Parent Loop BB327_21 Depth=2
                                        ; =>    This Inner Loop Header: Depth=3
	flat_load_b64 v[42:43], v[38:39]
	s_wait_xcnt 0x0
	v_add_nc_u64_e32 v[38:39], s[46:47], v[38:39]
	s_add_co_i32 s8, s8, -1
	s_delay_alu instid0(SALU_CYCLE_1)
	s_cmp_eq_u32 s8, 0
	s_wait_loadcnt_dscnt 0x0
	ds_store_b64 v40, v[42:43]
	v_add_nc_u32_e32 v40, 8, v40
	s_cbranch_scc0 .LBB327_51
; %bb.52:                               ;   in Loop: Header=BB327_21 Depth=2
	v_dual_mov_b32 v38, 0 :: v_dual_mov_b32 v58, v48
	v_mov_b64_e32 v[46:47], v[36:37]
	s_mov_b32 s8, s58
	s_delay_alu instid0(VALU_DEP_2)
	v_dual_mov_b32 v39, v38 :: v_dual_mov_b32 v40, v38
	v_dual_mov_b32 v41, v38 :: v_dual_mov_b32 v44, v38
	;; [unrolled: 1-line block ×3, first 2 shown]
	v_mov_b32_e32 v43, v38
.LBB327_53:                             ;   Parent Loop BB327_3 Depth=1
                                        ;     Parent Loop BB327_21 Depth=2
                                        ; =>    This Inner Loop Header: Depth=3
	v_add_nc_u64_e32 v[60:61], s[50:51], v[46:47]
	s_add_co_i32 s8, s8, -1
	s_delay_alu instid0(SALU_CYCLE_1) | instskip(NEXT) | instid1(VALU_DEP_1)
	s_cmp_lg_u32 s8, 0
	v_add_nc_u64_e32 v[62:63], s[50:51], v[60:61]
	s_delay_alu instid0(VALU_DEP_1)
	v_add_nc_u64_e32 v[64:65], s[50:51], v[62:63]
	s_clause 0x3
	flat_load_b64 v[66:67], v[46:47]
	flat_load_b64 v[60:61], v[60:61]
	;; [unrolled: 1-line block ×4, first 2 shown]
	ds_load_b64 v[68:69], v58
	s_wait_xcnt 0x3
	v_add_nc_u64_e32 v[46:47], 8, v[46:47]
	s_wait_loadcnt_dscnt 0x300
	v_pk_mul_f32 v[70:71], v[68:69], v[66:67] op_sel:[1,1] op_sel_hi:[0,1]
	s_wait_loadcnt 0x0
	v_pk_mul_f32 v[74:75], v[68:69], v[64:65] op_sel:[1,1] op_sel_hi:[0,1]
	s_delay_alu instid0(VALU_DEP_2)
	v_pk_fma_f32 v[72:73], v[68:69], v[66:67], v[70:71] op_sel_hi:[1,0,1] neg_lo:[0,0,1] neg_hi:[0,0,1]
	v_pk_fma_f32 v[66:67], v[68:69], v[66:67], v[70:71]
	v_add_nc_u32_e32 v58, 8, v58
	v_pk_mul_f32 v[70:71], v[68:69], v[60:61] op_sel:[1,1] op_sel_hi:[0,1]
	v_pk_fma_f32 v[78:79], v[68:69], v[64:65], v[74:75] op_sel_hi:[1,0,1] neg_lo:[0,0,1] neg_hi:[0,0,1]
	v_mov_b32_e32 v67, v73
	v_pk_mul_f32 v[72:73], v[68:69], v[62:63] op_sel:[1,1] op_sel_hi:[0,1]
	s_wait_xcnt 0x0
	v_pk_fma_f32 v[64:65], v[68:69], v[64:65], v[74:75]
	v_pk_fma_f32 v[76:77], v[68:69], v[60:61], v[70:71] op_sel_hi:[1,0,1] neg_lo:[0,0,1] neg_hi:[0,0,1]
	v_pk_fma_f32 v[60:61], v[68:69], v[60:61], v[70:71]
	v_mov_b32_e32 v65, v79
	v_pk_fma_f32 v[70:71], v[68:69], v[62:63], v[72:73] op_sel_hi:[1,0,1] neg_lo:[0,0,1] neg_hi:[0,0,1]
	v_pk_fma_f32 v[62:63], v[68:69], v[62:63], v[72:73]
	v_mov_b32_e32 v61, v77
	v_pk_add_f32 v[42:43], v[42:43], v[66:67]
	v_pk_add_f32 v[38:39], v[38:39], v[64:65]
	v_mov_b32_e32 v63, v71
	s_delay_alu instid0(VALU_DEP_4) | instskip(NEXT) | instid1(VALU_DEP_2)
	v_pk_add_f32 v[44:45], v[44:45], v[60:61]
	v_pk_add_f32 v[40:41], v[40:41], v[62:63]
	s_cbranch_scc1 .LBB327_53
	s_branch .LBB327_64
.LBB327_54:                             ;   in Loop: Header=BB327_21 Depth=2
	ds_load_b64 v[42:43], v49
	s_or_b32 exec_lo, exec_lo, s6
	s_and_saveexec_b32 s6, s3
	s_cbranch_execz .LBB327_29
.LBB327_55:                             ;   in Loop: Header=BB327_21 Depth=2
	s_wait_dscnt 0x0
	ds_bpermute_b32 v46, v55, v42
	ds_bpermute_b32 v47, v55, v43
	s_wait_dscnt 0x0
	v_pk_add_f32 v[42:43], v[42:43], v[46:47]
	ds_bpermute_b32 v46, v56, v42
	ds_bpermute_b32 v47, v56, v43
	s_wait_dscnt 0x0
	v_pk_add_f32 v[42:43], v[42:43], v[46:47]
	;; [unrolled: 4-line block ×3, first 2 shown]
	s_or_b32 exec_lo, exec_lo, s6
	s_and_saveexec_b32 s6, s3
	s_cbranch_execnz .LBB327_30
	s_branch .LBB327_31
.LBB327_56:                             ;   in Loop: Header=BB327_21 Depth=2
	ds_load_b64 v[44:45], v49
	s_or_b32 exec_lo, exec_lo, s6
	s_and_saveexec_b32 s6, s3
	s_cbranch_execz .LBB327_35
.LBB327_57:                             ;   in Loop: Header=BB327_21 Depth=2
	s_wait_dscnt 0x0
	ds_bpermute_b32 v46, v55, v44
	ds_bpermute_b32 v47, v55, v45
	s_wait_dscnt 0x0
	v_pk_add_f32 v[44:45], v[44:45], v[46:47]
	ds_bpermute_b32 v46, v56, v44
	ds_bpermute_b32 v47, v56, v45
	s_wait_dscnt 0x0
	v_pk_add_f32 v[44:45], v[44:45], v[46:47]
	;; [unrolled: 4-line block ×3, first 2 shown]
	s_or_b32 exec_lo, exec_lo, s6
	s_and_saveexec_b32 s6, s3
	s_cbranch_execnz .LBB327_36
	s_branch .LBB327_37
.LBB327_58:                             ;   in Loop: Header=BB327_21 Depth=2
	ds_load_b64 v[40:41], v49
	s_or_b32 exec_lo, exec_lo, s6
	s_and_saveexec_b32 s6, s3
	s_cbranch_execz .LBB327_41
.LBB327_59:                             ;   in Loop: Header=BB327_21 Depth=2
	s_wait_dscnt 0x0
	ds_bpermute_b32 v46, v55, v40
	ds_bpermute_b32 v47, v55, v41
	s_wait_dscnt 0x0
	v_pk_add_f32 v[40:41], v[40:41], v[46:47]
	ds_bpermute_b32 v46, v56, v40
	ds_bpermute_b32 v47, v56, v41
	s_wait_dscnt 0x0
	v_pk_add_f32 v[40:41], v[40:41], v[46:47]
	;; [unrolled: 4-line block ×3, first 2 shown]
	s_or_b32 exec_lo, exec_lo, s6
	s_and_saveexec_b32 s6, s3
	s_cbranch_execnz .LBB327_42
	s_branch .LBB327_43
.LBB327_60:                             ;   in Loop: Header=BB327_21 Depth=2
	ds_load_b64 v[38:39], v49
	s_or_b32 exec_lo, exec_lo, s6
	s_and_saveexec_b32 s6, s3
	s_cbranch_execz .LBB327_47
.LBB327_61:                             ;   in Loop: Header=BB327_21 Depth=2
	s_wait_dscnt 0x0
	ds_bpermute_b32 v46, v55, v38
	ds_bpermute_b32 v47, v55, v39
	s_wait_dscnt 0x0
	v_pk_add_f32 v[38:39], v[38:39], v[46:47]
	ds_bpermute_b32 v46, v56, v38
	ds_bpermute_b32 v47, v56, v39
	s_wait_dscnt 0x0
	v_pk_add_f32 v[38:39], v[38:39], v[46:47]
	;; [unrolled: 4-line block ×3, first 2 shown]
	s_or_b32 exec_lo, exec_lo, s6
	s_and_saveexec_b32 s6, s0
	s_cbranch_execz .LBB327_20
.LBB327_62:                             ;   in Loop: Header=BB327_21 Depth=2
	v_pk_mul_f32 v[46:47], v[42:43], v[32:33] op_sel:[1,0]
	v_pk_mul_f32 v[58:59], v[44:45], v[32:33] op_sel:[1,0]
	s_mul_u64 s[8:9], s[24:25], s[34:35]
	s_or_b32 s54, s24, 1
	s_mov_b32 s55, s25
	v_pk_fma_f32 v[60:61], v[42:43], v[16:17], v[46:47] op_sel_hi:[0,1,1]
	v_pk_fma_f32 v[42:43], v[42:43], v[16:17], v[46:47] neg_lo:[0,0,1] neg_hi:[0,0,1]
	v_pk_fma_f32 v[46:47], v[44:45], v[16:17], v[58:59] op_sel_hi:[0,1,1]
	s_lshl_b64 s[8:9], s[8:9], 3
	s_mul_u64 s[54:55], s[54:55], s[34:35]
	v_mov_b32_e32 v43, v61
	v_pk_fma_f32 v[44:45], v[44:45], v[16:17], v[58:59] neg_lo:[0,0,1] neg_hi:[0,0,1]
	v_mov_b32_e32 v45, v47
	s_add_nc_u64 s[8:9], s[52:53], s[8:9]
	s_lshl_b64 s[54:55], s[54:55], 3
	global_store_b64 v52, v[42:43], s[8:9]
	s_wait_xcnt 0x0
	s_add_nc_u64 s[8:9], s[52:53], s[54:55]
	v_pk_mul_f32 v[42:43], v[40:41], v[32:33] op_sel:[1,0]
	global_store_b64 v52, v[44:45], s[8:9]
	s_wait_dscnt 0x0
	s_wait_xcnt 0x0
	v_pk_mul_f32 v[44:45], v[38:39], v[32:33] op_sel:[1,0]
	s_or_b32 s54, s24, 2
	s_mov_b32 s55, s25
	v_pk_fma_f32 v[46:47], v[40:41], v[16:17], v[42:43] op_sel_hi:[0,1,1]
	v_pk_fma_f32 v[40:41], v[40:41], v[16:17], v[42:43] neg_lo:[0,0,1] neg_hi:[0,0,1]
	v_pk_fma_f32 v[42:43], v[38:39], v[16:17], v[44:45] op_sel_hi:[0,1,1]
	s_mul_u64 s[8:9], s[54:55], s[34:35]
	s_or_b32 s54, s24, 3
	v_mov_b32_e32 v41, v47
	s_mul_u64 s[54:55], s[54:55], s[34:35]
	v_pk_fma_f32 v[38:39], v[38:39], v[16:17], v[44:45] neg_lo:[0,0,1] neg_hi:[0,0,1]
	s_lshl_b64 s[8:9], s[8:9], 3
	v_mov_b32_e32 v39, v43
	s_lshl_b64 s[54:55], s[54:55], 3
	s_add_nc_u64 s[8:9], s[52:53], s[8:9]
	s_add_nc_u64 s[54:55], s[52:53], s[54:55]
	s_clause 0x1
	global_store_b64 v52, v[40:41], s[8:9]
	global_store_b64 v52, v[38:39], s[54:55]
	s_branch .LBB327_20
.LBB327_63:                             ;   in Loop: Header=BB327_21 Depth=2
	v_mov_b32_e32 v43, 0
	s_delay_alu instid0(VALU_DEP_1)
	v_dual_mov_b32 v42, v43 :: v_dual_mov_b32 v45, v43
	v_dual_mov_b32 v44, v43 :: v_dual_mov_b32 v41, v43
	;; [unrolled: 1-line block ×3, first 2 shown]
	v_mov_b32_e32 v38, v43
.LBB327_64:                             ;   in Loop: Header=BB327_21 Depth=2
	s_or_b32 exec_lo, exec_lo, s7
	s_delay_alu instid0(SALU_CYCLE_1)
	s_or_b32 exec_lo, exec_lo, s6
	s_and_saveexec_b32 s6, s3
	s_cbranch_execnz .LBB327_24
	s_branch .LBB327_25
.LBB327_65:                             ;   in Loop: Header=BB327_3 Depth=1
	s_mov_b32 s24, 0
.LBB327_66:                             ;   in Loop: Header=BB327_3 Depth=1
	s_delay_alu instid0(SALU_CYCLE_1)
	s_cmp_ge_i32 s24, s29
	s_cbranch_scc1 .LBB327_2
; %bb.67:                               ;   in Loop: Header=BB327_3 Depth=1
	v_cmp_gt_u32_e32 vcc_lo, 24, v51
	v_add_nc_u64_e32 v[30:31], v[30:31], v[0:1]
	v_cndmask_b32_e64 v32, 0, 8, vcc_lo
	v_cmp_gt_u32_e32 vcc_lo, 28, v51
	s_delay_alu instid0(VALU_DEP_3) | instskip(SKIP_1) | instid1(VALU_DEP_3)
	v_mad_nc_u64_u32 v[30:31], s50, s24, v[30:31]
	s_wait_dscnt 0x0
	v_add_lshl_u32 v38, v32, v51, 2
	v_cndmask_b32_e64 v33, 0, 4, vcc_lo
	v_cmp_gt_u32_e32 vcc_lo, 30, v51
	v_mov_b32_e32 v32, v17
	s_delay_alu instid0(VALU_DEP_3) | instskip(SKIP_4) | instid1(VALU_DEP_4)
	v_add_lshl_u32 v39, v33, v51, 2
	v_cndmask_b32_e64 v34, 0, 2, vcc_lo
	v_cmp_ne_u32_e32 vcc_lo, 31, v51
	v_mad_u32 v31, s51, s24, v31
	v_mov_b32_e32 v33, v16
	v_add_lshl_u32 v40, v34, v51, 2
	v_add_co_ci_u32_e64 v35, null, 0, v51, vcc_lo
	s_delay_alu instid0(VALU_DEP_1)
	v_lshlrev_b32_e32 v41, 2, v35
	s_branch .LBB327_69
.LBB327_68:                             ;   in Loop: Header=BB327_69 Depth=2
	s_wait_xcnt 0x0
	s_or_b32 exec_lo, exec_lo, s6
	v_add_nc_u64_e32 v[30:31], s[50:51], v[30:31]
	s_add_co_i32 s24, s24, 1
	s_delay_alu instid0(SALU_CYCLE_1)
	s_cmp_ge_i32 s24, s29
	s_cbranch_scc1 .LBB327_2
.LBB327_69:                             ;   Parent Loop BB327_3 Depth=1
                                        ; =>  This Loop Header: Depth=2
                                        ;       Child Loop BB327_81 Depth 3
                                        ;       Child Loop BB327_83 Depth 3
                                        ; implicit-def: $vgpr35
	s_and_saveexec_b32 s6, s1
	s_delay_alu instid0(SALU_CYCLE_1)
	s_xor_b32 s6, exec_lo, s6
	s_cbranch_execnz .LBB327_78
; %bb.70:                               ;   in Loop: Header=BB327_69 Depth=2
	s_and_not1_saveexec_b32 s6, s6
	s_cbranch_execnz .LBB327_79
.LBB327_71:                             ;   in Loop: Header=BB327_69 Depth=2
	s_or_b32 exec_lo, exec_lo, s6
	s_and_saveexec_b32 s6, s3
.LBB327_72:                             ;   in Loop: Header=BB327_69 Depth=2
	ds_store_b64 v49, v[14:15]
.LBB327_73:                             ;   in Loop: Header=BB327_69 Depth=2
	s_or_b32 exec_lo, exec_lo, s6
	s_wait_dscnt 0x0
	ds_bpermute_b32 v36, v53, v34
	ds_bpermute_b32 v37, v53, v35
	s_wait_storecnt_dscnt 0x0
	s_barrier_signal -1
	s_barrier_wait -1
	v_pk_add_f32 v[34:35], v[34:35], v[36:37]
	ds_bpermute_b32 v36, v38, v34
	ds_bpermute_b32 v37, v38, v35
	s_wait_dscnt 0x0
	v_pk_add_f32 v[34:35], v[34:35], v[36:37]
	ds_bpermute_b32 v36, v39, v34
	ds_bpermute_b32 v37, v39, v35
	s_wait_dscnt 0x0
	;; [unrolled: 4-line block ×3, first 2 shown]
	v_pk_add_f32 v[34:35], v[34:35], v[36:37]
	ds_bpermute_b32 v36, v41, v34
	ds_bpermute_b32 v37, v41, v35
	s_and_saveexec_b32 s6, s4
	s_cbranch_execz .LBB327_75
; %bb.74:                               ;   in Loop: Header=BB327_69 Depth=2
	s_wait_dscnt 0x0
	v_pk_add_f32 v[34:35], v[34:35], v[36:37]
	ds_store_b64 v50, v[34:35]
.LBB327_75:                             ;   in Loop: Header=BB327_69 Depth=2
	s_or_b32 exec_lo, exec_lo, s6
	v_mov_b64_e32 v[34:35], 0
	s_wait_dscnt 0x0
	s_barrier_signal -1
	s_barrier_wait -1
	s_and_saveexec_b32 s6, s5
	s_cbranch_execnz .LBB327_85
; %bb.76:                               ;   in Loop: Header=BB327_69 Depth=2
	s_or_b32 exec_lo, exec_lo, s6
	s_and_saveexec_b32 s6, s3
	s_cbranch_execnz .LBB327_86
.LBB327_77:                             ;   in Loop: Header=BB327_69 Depth=2
	s_or_b32 exec_lo, exec_lo, s6
	s_and_saveexec_b32 s6, s0
	s_cbranch_execz .LBB327_68
	s_branch .LBB327_87
.LBB327_78:                             ;   in Loop: Header=BB327_69 Depth=2
	flat_load_b64 v[46:47], v[20:21]
	s_mul_u64 s[8:9], s[24:25], s[26:27]
	s_delay_alu instid0(SALU_CYCLE_1)
	v_lshl_add_u64 v[42:43], s[8:9], 3, v[18:19]
	s_wait_loadcnt_dscnt 0x0
	ds_store_b64 v48, v[46:47]
	flat_load_b64 v[54:55], v[22:23]
	s_wait_loadcnt_dscnt 0x0
	ds_store_b64 v48, v[54:55] offset:8
	flat_load_b64 v[56:57], v[24:25]
	s_wait_loadcnt_dscnt 0x0
	v_dual_mov_b32 v60, v55 :: v_dual_mov_b32 v62, v57
	ds_store_b64 v48, v[56:57] offset:16
	flat_load_b64 v[58:59], v[26:27]
	s_wait_loadcnt_dscnt 0x0
	ds_store_b64 v48, v[58:59] offset:24
	s_clause 0x1
	flat_load_b128 v[34:37], v[42:43]
	flat_load_b128 v[42:45], v[42:43] offset:16
	s_wait_loadcnt_dscnt 0x101
	v_dual_mul_f32 v64, v35, v47 :: v_dual_mul_f32 v35, v35, v46
	v_dual_mov_b32 v66, v37 :: v_dual_mov_b32 v67, v36
	v_pk_mul_f32 v[36:37], v[36:37], v[54:55] op_sel_hi:[1,0]
	s_wait_loadcnt_dscnt 0x0
	v_pk_mul_f32 v[68:69], v[42:43], v[56:57] op_sel_hi:[1,0]
	v_dual_mov_b32 v70, v45 :: v_dual_fmac_f32 v64, v34, v46
	v_dual_fma_f32 v65, v34, v47, -v35 :: v_dual_mov_b32 v71, v44
	v_pk_fma_f32 v[34:35], v[66:67], v[54:55], v[36:37] op_sel:[0,1,0] neg_lo:[0,0,1] neg_hi:[0,0,1]
	v_pk_fma_f32 v[36:37], v[66:67], v[60:61], v[36:37]
	v_pk_fma_f32 v[46:47], v[42:43], v[56:57], v[68:69] op_sel:[1,1,0] op_sel_hi:[0,1,1] neg_lo:[0,0,1] neg_hi:[0,0,1]
	s_delay_alu instid0(VALU_DEP_4)
	v_pk_add_f32 v[54:55], v[64:65], 0 op_sel_hi:[1,0]
	s_wait_xcnt 0x0
	v_pk_fma_f32 v[42:43], v[42:43], v[62:63], v[68:69] op_sel:[1,0,0] op_sel_hi:[0,1,1]
	v_mov_b32_e32 v37, v35
	v_pk_mul_f32 v[34:35], v[44:45], v[58:59] op_sel_hi:[1,0]
	v_dual_mov_b32 v44, v59 :: v_dual_mov_b32 v43, v47
	s_delay_alu instid0(VALU_DEP_3) | instskip(NEXT) | instid1(VALU_DEP_3)
	v_pk_add_f32 v[36:37], v[54:55], v[36:37]
	v_pk_fma_f32 v[46:47], v[70:71], v[58:59], v[34:35] op_sel:[0,1,0] neg_lo:[0,0,1] neg_hi:[0,0,1]
	s_delay_alu instid0(VALU_DEP_3) | instskip(NEXT) | instid1(VALU_DEP_2)
	v_pk_fma_f32 v[34:35], v[70:71], v[44:45], v[34:35]
	v_mov_b32_e32 v35, v47
	s_delay_alu instid0(VALU_DEP_4) | instskip(NEXT) | instid1(VALU_DEP_1)
	v_pk_add_f32 v[36:37], v[36:37], v[42:43]
	v_pk_add_f32 v[34:35], v[36:37], v[34:35]
	s_and_not1_saveexec_b32 s6, s6
	s_cbranch_execz .LBB327_71
.LBB327_79:                             ;   in Loop: Header=BB327_69 Depth=2
	s_wait_dscnt 0x0
	v_mov_b32_e32 v35, 0
	s_delay_alu instid0(VALU_DEP_1)
	v_mov_b32_e32 v34, v35
	s_and_saveexec_b32 s7, s60
	s_cbranch_execz .LBB327_84
; %bb.80:                               ;   in Loop: Header=BB327_69 Depth=2
	v_mov_b64_e32 v[34:35], v[28:29]
	v_mov_b32_e32 v36, v48
	s_mov_b32 s8, s58
.LBB327_81:                             ;   Parent Loop BB327_3 Depth=1
                                        ;     Parent Loop BB327_69 Depth=2
                                        ; =>    This Inner Loop Header: Depth=3
	flat_load_b64 v[42:43], v[34:35]
	s_wait_xcnt 0x0
	v_add_nc_u64_e32 v[34:35], s[46:47], v[34:35]
	s_add_co_i32 s8, s8, -1
	s_delay_alu instid0(SALU_CYCLE_1)
	s_cmp_eq_u32 s8, 0
	s_wait_loadcnt_dscnt 0x0
	ds_store_b64 v36, v[42:43]
	v_add_nc_u32_e32 v36, 8, v36
	s_cbranch_scc0 .LBB327_81
; %bb.82:                               ;   in Loop: Header=BB327_69 Depth=2
	v_dual_mov_b32 v34, 0 :: v_dual_mov_b32 v42, v48
	v_mov_b64_e32 v[36:37], v[30:31]
	s_mov_b32 s8, s58
	s_delay_alu instid0(VALU_DEP_2)
	v_mov_b32_e32 v35, v34
.LBB327_83:                             ;   Parent Loop BB327_3 Depth=1
                                        ;     Parent Loop BB327_69 Depth=2
                                        ; =>    This Inner Loop Header: Depth=3
	flat_load_b64 v[44:45], v[36:37] offset:-4
	ds_load_b64 v[46:47], v42
	s_wait_xcnt 0x0
	v_add_nc_u64_e32 v[36:37], 8, v[36:37]
	s_add_co_i32 s8, s8, -1
	v_add_nc_u32_e32 v42, 8, v42
	s_cmp_lg_u32 s8, 0
	s_wait_loadcnt_dscnt 0x0
	v_pk_mul_f32 v[54:55], v[44:45], v[46:47] op_sel:[1,1] op_sel_hi:[1,0]
	s_delay_alu instid0(VALU_DEP_1) | instskip(SKIP_1) | instid1(VALU_DEP_2)
	v_pk_fma_f32 v[56:57], v[44:45], v[46:47], v[54:55] op_sel_hi:[0,1,1] neg_lo:[0,0,1] neg_hi:[0,0,1]
	v_pk_fma_f32 v[44:45], v[44:45], v[46:47], v[54:55]
	v_mov_b32_e32 v45, v57
	s_delay_alu instid0(VALU_DEP_1)
	v_pk_add_f32 v[34:35], v[34:35], v[44:45]
	s_cbranch_scc1 .LBB327_83
.LBB327_84:                             ;   in Loop: Header=BB327_69 Depth=2
	s_or_b32 exec_lo, exec_lo, s7
	s_delay_alu instid0(SALU_CYCLE_1)
	s_or_b32 exec_lo, exec_lo, s6
	s_and_saveexec_b32 s6, s3
	s_cbranch_execnz .LBB327_72
	s_branch .LBB327_73
.LBB327_85:                             ;   in Loop: Header=BB327_69 Depth=2
	ds_load_b64 v[34:35], v49
	s_or_b32 exec_lo, exec_lo, s6
	s_and_saveexec_b32 s6, s3
	s_cbranch_execz .LBB327_77
.LBB327_86:                             ;   in Loop: Header=BB327_69 Depth=2
	s_wait_dscnt 0x0
	ds_bpermute_b32 v36, v39, v34
	ds_bpermute_b32 v37, v39, v35
	s_wait_dscnt 0x0
	v_pk_add_f32 v[34:35], v[34:35], v[36:37]
	ds_bpermute_b32 v36, v40, v34
	ds_bpermute_b32 v37, v40, v35
	s_wait_dscnt 0x0
	v_pk_add_f32 v[34:35], v[34:35], v[36:37]
	;; [unrolled: 4-line block ×3, first 2 shown]
	s_or_b32 exec_lo, exec_lo, s6
	s_and_saveexec_b32 s6, s0
	s_cbranch_execz .LBB327_68
.LBB327_87:                             ;   in Loop: Header=BB327_69 Depth=2
	s_wait_dscnt 0x0
	v_pk_mul_f32 v[36:37], v[34:35], v[32:33] op_sel:[1,0]
	s_mul_u64 s[8:9], s[24:25], s[34:35]
	s_delay_alu instid0(SALU_CYCLE_1) | instskip(NEXT) | instid1(SALU_CYCLE_1)
	s_lshl_b64 s[8:9], s[8:9], 3
	s_add_nc_u64 s[8:9], s[52:53], s[8:9]
	s_delay_alu instid0(VALU_DEP_1) | instskip(SKIP_1) | instid1(VALU_DEP_2)
	v_pk_fma_f32 v[42:43], v[34:35], v[16:17], v[36:37] op_sel_hi:[0,1,1]
	v_pk_fma_f32 v[34:35], v[34:35], v[16:17], v[36:37] neg_lo:[0,0,1] neg_hi:[0,0,1]
	v_mov_b32_e32 v35, v43
	global_store_b64 v52, v[34:35], s[8:9]
	s_branch .LBB327_68
.LBB327_88:
	s_sendmsg sendmsg(MSG_DEALLOC_VGPRS)
	s_endpgm
	.section	.rodata,"a",@progbits
	.p2align	6, 0x0
	.amdhsa_kernel _ZL23rocblas_gemvt_sn_kernelILb1ELi256ELi4ElPK19rocblas_complex_numIfES3_S1_EviiT4_lPKT3_lilS7_lilPT5_i
		.amdhsa_group_segment_fixed_size 8448
		.amdhsa_private_segment_fixed_size 0
		.amdhsa_kernarg_size 360
		.amdhsa_user_sgpr_count 4
		.amdhsa_user_sgpr_dispatch_ptr 1
		.amdhsa_user_sgpr_queue_ptr 0
		.amdhsa_user_sgpr_kernarg_segment_ptr 1
		.amdhsa_user_sgpr_dispatch_id 0
		.amdhsa_user_sgpr_kernarg_preload_length 0
		.amdhsa_user_sgpr_kernarg_preload_offset 0
		.amdhsa_user_sgpr_private_segment_size 0
		.amdhsa_wavefront_size32 1
		.amdhsa_uses_dynamic_stack 0
		.amdhsa_enable_private_segment 0
		.amdhsa_system_sgpr_workgroup_id_x 1
		.amdhsa_system_sgpr_workgroup_id_y 0
		.amdhsa_system_sgpr_workgroup_id_z 1
		.amdhsa_system_sgpr_workgroup_info 0
		.amdhsa_system_vgpr_workitem_id 2
		.amdhsa_next_free_vgpr 108
		.amdhsa_next_free_sgpr 70
		.amdhsa_named_barrier_count 0
		.amdhsa_reserve_vcc 1
		.amdhsa_float_round_mode_32 0
		.amdhsa_float_round_mode_16_64 0
		.amdhsa_float_denorm_mode_32 3
		.amdhsa_float_denorm_mode_16_64 3
		.amdhsa_fp16_overflow 0
		.amdhsa_memory_ordered 1
		.amdhsa_forward_progress 1
		.amdhsa_inst_pref_size 44
		.amdhsa_round_robin_scheduling 0
		.amdhsa_exception_fp_ieee_invalid_op 0
		.amdhsa_exception_fp_denorm_src 0
		.amdhsa_exception_fp_ieee_div_zero 0
		.amdhsa_exception_fp_ieee_overflow 0
		.amdhsa_exception_fp_ieee_underflow 0
		.amdhsa_exception_fp_ieee_inexact 0
		.amdhsa_exception_int_div_zero 0
	.end_amdhsa_kernel
	.section	.text._ZL23rocblas_gemvt_sn_kernelILb1ELi256ELi4ElPK19rocblas_complex_numIfES3_S1_EviiT4_lPKT3_lilS7_lilPT5_i,"axG",@progbits,_ZL23rocblas_gemvt_sn_kernelILb1ELi256ELi4ElPK19rocblas_complex_numIfES3_S1_EviiT4_lPKT3_lilS7_lilPT5_i,comdat
.Lfunc_end327:
	.size	_ZL23rocblas_gemvt_sn_kernelILb1ELi256ELi4ElPK19rocblas_complex_numIfES3_S1_EviiT4_lPKT3_lilS7_lilPT5_i, .Lfunc_end327-_ZL23rocblas_gemvt_sn_kernelILb1ELi256ELi4ElPK19rocblas_complex_numIfES3_S1_EviiT4_lPKT3_lilS7_lilPT5_i
                                        ; -- End function
	.set _ZL23rocblas_gemvt_sn_kernelILb1ELi256ELi4ElPK19rocblas_complex_numIfES3_S1_EviiT4_lPKT3_lilS7_lilPT5_i.num_vgpr, 108
	.set _ZL23rocblas_gemvt_sn_kernelILb1ELi256ELi4ElPK19rocblas_complex_numIfES3_S1_EviiT4_lPKT3_lilS7_lilPT5_i.num_agpr, 0
	.set _ZL23rocblas_gemvt_sn_kernelILb1ELi256ELi4ElPK19rocblas_complex_numIfES3_S1_EviiT4_lPKT3_lilS7_lilPT5_i.numbered_sgpr, 70
	.set _ZL23rocblas_gemvt_sn_kernelILb1ELi256ELi4ElPK19rocblas_complex_numIfES3_S1_EviiT4_lPKT3_lilS7_lilPT5_i.num_named_barrier, 0
	.set _ZL23rocblas_gemvt_sn_kernelILb1ELi256ELi4ElPK19rocblas_complex_numIfES3_S1_EviiT4_lPKT3_lilS7_lilPT5_i.private_seg_size, 0
	.set _ZL23rocblas_gemvt_sn_kernelILb1ELi256ELi4ElPK19rocblas_complex_numIfES3_S1_EviiT4_lPKT3_lilS7_lilPT5_i.uses_vcc, 1
	.set _ZL23rocblas_gemvt_sn_kernelILb1ELi256ELi4ElPK19rocblas_complex_numIfES3_S1_EviiT4_lPKT3_lilS7_lilPT5_i.uses_flat_scratch, 1
	.set _ZL23rocblas_gemvt_sn_kernelILb1ELi256ELi4ElPK19rocblas_complex_numIfES3_S1_EviiT4_lPKT3_lilS7_lilPT5_i.has_dyn_sized_stack, 0
	.set _ZL23rocblas_gemvt_sn_kernelILb1ELi256ELi4ElPK19rocblas_complex_numIfES3_S1_EviiT4_lPKT3_lilS7_lilPT5_i.has_recursion, 0
	.set _ZL23rocblas_gemvt_sn_kernelILb1ELi256ELi4ElPK19rocblas_complex_numIfES3_S1_EviiT4_lPKT3_lilS7_lilPT5_i.has_indirect_call, 0
	.section	.AMDGPU.csdata,"",@progbits
; Kernel info:
; codeLenInByte = 5576
; TotalNumSgprs: 72
; NumVgprs: 108
; ScratchSize: 0
; MemoryBound: 0
; FloatMode: 240
; IeeeMode: 1
; LDSByteSize: 8448 bytes/workgroup (compile time only)
; SGPRBlocks: 0
; VGPRBlocks: 6
; NumSGPRsForWavesPerEU: 72
; NumVGPRsForWavesPerEU: 108
; NamedBarCnt: 0
; Occupancy: 9
; WaveLimiterHint : 0
; COMPUTE_PGM_RSRC2:SCRATCH_EN: 0
; COMPUTE_PGM_RSRC2:USER_SGPR: 4
; COMPUTE_PGM_RSRC2:TRAP_HANDLER: 0
; COMPUTE_PGM_RSRC2:TGID_X_EN: 1
; COMPUTE_PGM_RSRC2:TGID_Y_EN: 0
; COMPUTE_PGM_RSRC2:TGID_Z_EN: 1
; COMPUTE_PGM_RSRC2:TIDIG_COMP_CNT: 2
	.section	.text._ZL23rocblas_gemvt_sn_kernelILb1ELi256ELi4EiPK19rocblas_complex_numIfES1_S1_EviiT4_lPKT3_lilS7_lilPT5_i,"axG",@progbits,_ZL23rocblas_gemvt_sn_kernelILb1ELi256ELi4EiPK19rocblas_complex_numIfES1_S1_EviiT4_lPKT3_lilS7_lilPT5_i,comdat
	.globl	_ZL23rocblas_gemvt_sn_kernelILb1ELi256ELi4EiPK19rocblas_complex_numIfES1_S1_EviiT4_lPKT3_lilS7_lilPT5_i ; -- Begin function _ZL23rocblas_gemvt_sn_kernelILb1ELi256ELi4EiPK19rocblas_complex_numIfES1_S1_EviiT4_lPKT3_lilS7_lilPT5_i
	.p2align	8
	.type	_ZL23rocblas_gemvt_sn_kernelILb1ELi256ELi4EiPK19rocblas_complex_numIfES1_S1_EviiT4_lPKT3_lilS7_lilPT5_i,@function
_ZL23rocblas_gemvt_sn_kernelILb1ELi256ELi4EiPK19rocblas_complex_numIfES1_S1_EviiT4_lPKT3_lilS7_lilPT5_i: ; @_ZL23rocblas_gemvt_sn_kernelILb1ELi256ELi4EiPK19rocblas_complex_numIfES1_S1_EviiT4_lPKT3_lilS7_lilPT5_i
; %bb.0:
	s_load_b32 s33, s[2:3], 0x60
	s_bfe_u32 s4, ttmp6, 0x40014
	s_lshr_b32 s5, ttmp7, 16
	s_add_co_i32 s4, s4, 1
	s_bfe_u32 s7, ttmp6, 0x40008
	s_mul_i32 s6, s5, s4
	s_getreg_b32 s4, hwreg(HW_REG_IB_STS2, 6, 4)
	s_add_co_i32 s7, s7, s6
	s_cmp_eq_u32 s4, 0
	s_mov_b32 s25, 0
	s_cselect_b32 s10, s5, s7
	s_wait_kmcnt 0x0
	s_cmp_ge_u32 s10, s33
	s_cbranch_scc1 .LBB328_90
; %bb.1:
	s_load_b64 s[6:7], s[0:1], 0x4
	s_clause 0x6
	s_load_b128 s[12:15], s[2:3], 0x0
	s_load_b128 s[16:19], s[2:3], 0x18
	s_load_b32 s52, s[2:3], 0x28
	s_load_b128 s[20:23], s[2:3], 0x38
	s_load_b32 s53, s[2:3], 0x48
	s_load_b64 s[26:27], s[2:3], 0x58
	s_load_b32 s28, s[2:3], 0x68
	v_and_b32_e32 v1, 0x3ff, v0
	v_bfe_u32 v2, v0, 10, 10
	v_bfe_u32 v3, v0, 20, 10
	v_mbcnt_lo_u32_b32 v42, -1, 0
	v_mov_b64_e32 v[12:13], 0
	s_wait_xcnt 0x0
	v_cmp_eq_u32_e64 s0, 0, v1
	v_cmp_gt_u32_e64 s5, 8, v1
	s_mov_b32 s31, s25
	v_lshl_or_b32 v43, v42, 2, 64
	s_mov_b32 s29, s25
	v_mov_b32_e32 v41, 0
	s_wait_kmcnt 0x0
	s_lshr_b32 s1, s6, 16
	s_or_b32 s2, s14, s15
	s_mul_i32 s1, s1, s7
	s_bitset0_b32 s2, 31
	v_mul_u32_u24_e32 v2, s7, v2
	s_cmp_lg_u32 s2, 0
	v_mul_lo_u32 v4, s1, v1
	s_cselect_b32 s54, -1, 0
	s_cmp_eq_u32 s2, 0
	s_mov_b32 s6, s13
	s_cselect_b32 s55, -1, 0
	s_ashr_i32 s7, s13, 31
	s_cmp_gt_i32 s13, 0
	s_mul_u64 s[34:35], s[6:7], s[28:29]
	s_cselect_b32 s1, -1, 0
	s_bfe_u32 s2, ttmp6, 0x4000c
	s_and_b32 s3, ttmp6, 15
	s_add_co_i32 s2, s2, 1
	s_and_b32 s56, s0, s1
	s_mul_i32 s2, ttmp9, s2
	v_add3_u32 v2, v4, v2, v3
	s_add_co_i32 s3, s3, s2
	s_cmp_eq_u32 s4, 0
	s_mov_b32 s36, s15
	s_cselect_b32 s30, ttmp9, s3
	s_ashr_i32 s2, s12, 31
	s_lshl_b32 s3, s30, 10
	v_lshl_add_u32 v38, v2, 5, 0x100
	s_lshr_b32 s2, s2, 30
	v_lshl_or_b32 v2, v1, 2, s3
	s_add_co_i32 s2, s12, s2
	s_lshr_b32 s1, s7, 30
	s_and_b32 s2, s2, -4
	s_add_co_i32 s1, s13, s1
	v_mul_lo_u32 v4, s53, v2
	s_sub_co_i32 s58, s12, s2
	s_delay_alu instid0(SALU_CYCLE_1) | instskip(SKIP_3) | instid1(VALU_DEP_2)
	v_dual_add_nc_u32 v5, 4, v2 :: v_dual_add_nc_u32 v6, s58, v2
	s_and_b32 s57, s1, -4
	v_ashrrev_i32_e32 v3, 31, v2
	s_cmp_gt_i32 s57, 0
	v_cmp_ge_i32_e64 s1, s12, v5
	v_and_b32_e32 v5, 31, v0
	v_cmp_ge_i32_e64 s2, s12, v6
	v_lshrrev_b32_e32 v6, 2, v0
	s_cselect_b32 s59, -1, 0
	s_cmp_gt_i32 s58, 0
	v_dual_lshlrev_b32 v39, 3, v5 :: v_dual_add_nc_u32 v0, s53, v4
	s_delay_alu instid0(VALU_DEP_2)
	v_and_b32_e32 v40, 56, v6
	s_cselect_b32 s12, -1, 0
	v_lshlrev_b64_e32 v[10:11], 3, v[2:3]
	s_and_b32 s60, s12, s2
	v_add_nc_u32_e32 v6, s53, v0
	s_cmp_gt_u32 s13, 1
	v_cmp_gt_u32_e64 s3, 32, v1
	s_cselect_b32 s8, -1, 0
	s_cmp_eq_u32 s28, 1
	v_dual_ashrrev_i32 v1, 31, v0 :: v_dual_add_nc_u32 v8, s53, v6
	s_cselect_b32 s9, -1, 0
	s_and_b32 s61, s13, 0x7ffffffe
	s_and_b32 s62, s8, s9
	s_cmp_lg_u32 s13, s61
	v_cmp_eq_u32_e64 s4, 0, v5
	v_dual_ashrrev_i32 v5, 31, v4 :: v_dual_ashrrev_i32 v7, 31, v6
	v_dual_ashrrev_i32 v9, 31, v8 :: v_dual_bitop2_b32 v10, 4, v10 bitop3:0x54
	s_cselect_b32 s63, -1, 0
	s_lshl_b64 s[38:39], s[30:31], 3
	s_mov_b32 s37, s14
	s_add_nc_u64 s[40:41], s[26:27], s[38:39]
	s_lshl_b64 s[42:43], s[6:7], 3
	s_lshl_b64 s[44:45], s[28:29], 3
	s_lshl_b32 s31, s52, 2
	s_lshl_b32 s64, s52, 1
	s_mul_i32 s65, s52, 3
	s_lshl_b64 s[18:19], s[18:19], 3
	s_lshl_b64 s[22:23], s[22:23], 3
	s_branch .LBB328_3
.LBB328_2:                              ;   in Loop: Header=BB328_3 Depth=1
	s_add_co_i32 s10, s10, 0x10000
	s_delay_alu instid0(SALU_CYCLE_1)
	s_cmp_lt_u32 s10, s33
	s_cbranch_scc0 .LBB328_90
.LBB328_3:                              ; =>This Loop Header: Depth=1
                                        ;     Child Loop BB328_11 Depth 2
                                        ;     Child Loop BB328_17 Depth 2
                                        ;     Child Loop BB328_23 Depth 2
                                        ;       Child Loop BB328_53 Depth 3
                                        ;       Child Loop BB328_55 Depth 3
                                        ;     Child Loop BB328_71 Depth 2
                                        ;       Child Loop BB328_83 Depth 3
                                        ;       Child Loop BB328_85 Depth 3
	s_mov_b32 s11, s25
	s_and_not1_b32 vcc_lo, exec_lo, s55
	s_mov_b32 s6, -1
	s_cbranch_vccz .LBB328_13
; %bb.4:                                ;   in Loop: Header=BB328_3 Depth=1
	v_mov_b64_e32 v[14:15], 0
	v_mov_b64_e32 v[26:27], 0
	s_and_not1_b32 vcc_lo, exec_lo, s6
	s_cbranch_vccz .LBB328_14
.LBB328_5:                              ;   in Loop: Header=BB328_3 Depth=1
	s_and_not1_b32 vcc_lo, exec_lo, s54
	s_cbranch_vccnz .LBB328_7
.LBB328_6:                              ;   in Loop: Header=BB328_3 Depth=1
	s_wait_xcnt 0x0
	s_lshl_b64 s[6:7], s[10:11], 3
	s_delay_alu instid0(SALU_CYCLE_1)
	s_add_nc_u64 s[6:7], s[20:21], s[6:7]
	global_load_b64 v[14:15], v41, s[6:7]
	s_wait_loadcnt 0x0
	v_add_nc_u64_e32 v[14:15], s[22:23], v[14:15]
.LBB328_7:                              ;   in Loop: Header=BB328_3 Depth=1
	s_wait_xcnt 0x0
	s_mul_u64 s[6:7], s[34:35], s[10:11]
	s_and_not1_b32 vcc_lo, exec_lo, s55
	s_lshl_b64 s[6:7], s[6:7], 3
	s_delay_alu instid0(SALU_CYCLE_1)
	s_add_nc_u64 s[46:47], s[26:27], s[6:7]
	s_mov_b32 s6, -1
	s_cbranch_vccnz .LBB328_19
; %bb.8:                                ;   in Loop: Header=BB328_3 Depth=1
	s_and_saveexec_b32 s50, s56
	s_cbranch_execz .LBB328_18
; %bb.9:                                ;   in Loop: Header=BB328_3 Depth=1
	s_and_not1_b32 vcc_lo, exec_lo, s62
	s_cbranch_vccnz .LBB328_15
; %bb.10:                               ;   in Loop: Header=BB328_3 Depth=1
	s_add_nc_u64 s[6:7], s[46:47], s[38:39]
	s_mov_b32 s8, 1
	s_mov_b32 s24, 0
	;; [unrolled: 1-line block ×3, first 2 shown]
.LBB328_11:                             ;   Parent Loop BB328_3 Depth=1
                                        ; =>  This Inner Loop Header: Depth=2
	s_mov_b32 s9, s25
	s_wait_xcnt 0x1
	s_lshl_b64 s[66:67], s[24:25], 3
	s_add_co_i32 s49, s49, -2
	s_add_co_i32 s24, s24, 2
	s_wait_xcnt 0x0
	s_lshl_b64 s[68:69], s[8:9], 3
	s_add_co_i32 s8, s8, 2
	s_mov_b32 s48, s61
	s_mov_b32 s51, s63
	s_add_nc_u64 s[66:67], s[6:7], s[66:67]
	s_cmp_lg_u32 s49, 0
	s_add_nc_u64 s[68:69], s[6:7], s[68:69]
	s_clause 0x1
	global_store_b64 v41, v[12:13], s[66:67]
	global_store_b64 v41, v[12:13], s[68:69]
	s_cbranch_scc1 .LBB328_11
; %bb.12:                               ;   in Loop: Header=BB328_3 Depth=1
	s_and_b32 vcc_lo, exec_lo, s51
	s_cbranch_vccnz .LBB328_16
	s_branch .LBB328_18
.LBB328_13:                             ;   in Loop: Header=BB328_3 Depth=1
	v_mov_b64_e32 v[14:15], 0
	v_mov_b64_e32 v[26:27], 0
	s_cbranch_execnz .LBB328_5
.LBB328_14:                             ;   in Loop: Header=BB328_3 Depth=1
	s_lshl_b64 s[6:7], s[10:11], 3
	s_delay_alu instid0(SALU_CYCLE_1)
	s_add_nc_u64 s[6:7], s[16:17], s[6:7]
	global_load_b64 v[16:17], v41, s[6:7]
	s_wait_loadcnt 0x0
	v_add_nc_u64_e32 v[26:27], s[18:19], v[16:17]
	s_and_not1_b32 vcc_lo, exec_lo, s54
	s_cbranch_vccz .LBB328_6
	s_branch .LBB328_7
.LBB328_15:                             ;   in Loop: Header=BB328_3 Depth=1
	s_mov_b32 s48, 0
	s_cbranch_execz .LBB328_18
.LBB328_16:                             ;   in Loop: Header=BB328_3 Depth=1
	s_mov_b32 s49, s25
	s_mul_u64 s[6:7], s[42:43], s[10:11]
	s_lshl_b64 s[8:9], s[48:49], 3
	s_delay_alu instid0(SALU_CYCLE_1) | instskip(SKIP_2) | instid1(SALU_CYCLE_1)
	s_add_nc_u64 s[6:7], s[6:7], s[8:9]
	s_sub_co_i32 s8, s13, s48
	s_mul_u64 s[6:7], s[28:29], s[6:7]
	s_add_nc_u64 s[6:7], s[40:41], s[6:7]
.LBB328_17:                             ;   Parent Loop BB328_3 Depth=1
                                        ; =>  This Inner Loop Header: Depth=2
	s_add_co_i32 s8, s8, -1
	global_store_b64 v41, v[12:13], s[6:7]
	s_cmp_eq_u32 s8, 0
	s_wait_xcnt 0x0
	s_add_nc_u64 s[6:7], s[6:7], s[44:45]
	s_cbranch_scc0 .LBB328_17
.LBB328_18:                             ;   in Loop: Header=BB328_3 Depth=1
	s_wait_xcnt 0x0
	s_or_b32 exec_lo, exec_lo, s50
	s_mov_b32 s6, 0
.LBB328_19:                             ;   in Loop: Header=BB328_3 Depth=1
	s_delay_alu instid0(SALU_CYCLE_1)
	s_and_not1_b32 vcc_lo, exec_lo, s6
	s_cbranch_vccnz .LBB328_2
; %bb.20:                               ;   in Loop: Header=BB328_3 Depth=1
	v_lshl_add_u64 v[16:17], v[2:3], 3, v[26:27]
	v_add_nc_u64_e32 v[26:27], v[26:27], v[10:11]
	v_lshl_add_u64 v[18:19], v[4:5], 3, v[14:15]
	v_lshl_add_u64 v[20:21], v[0:1], 3, v[14:15]
	;; [unrolled: 1-line block ×4, first 2 shown]
	v_cmp_gt_u32_e64 s9, 24, v42
	v_cmp_gt_u32_e64 s8, 28, v42
	;; [unrolled: 1-line block ×3, first 2 shown]
	v_cmp_ne_u32_e64 s6, 31, v42
	s_and_not1_b32 vcc_lo, exec_lo, s59
	s_cbranch_vccnz .LBB328_67
; %bb.21:                               ;   in Loop: Header=BB328_3 Depth=1
	s_wait_dscnt 0x0
	v_cndmask_b32_e64 v28, 0, 8, s9
	v_cndmask_b32_e64 v29, 0, 4, s8
	;; [unrolled: 1-line block ×3, first 2 shown]
	v_add_co_ci_u32_e64 v31, null, 0, v42, s6
	s_delay_alu instid0(VALU_DEP_4) | instskip(NEXT) | instid1(VALU_DEP_4)
	v_add_lshl_u32 v44, v28, v42, 2
	v_add_lshl_u32 v45, v29, v42, 2
	s_delay_alu instid0(VALU_DEP_4) | instskip(NEXT) | instid1(VALU_DEP_4)
	v_add_lshl_u32 v46, v30, v42, 2
	v_lshlrev_b32_e32 v47, 2, v31
	s_mov_b32 s6, 0
	s_mov_b32 s11, s65
	;; [unrolled: 1-line block ×5, first 2 shown]
	s_branch .LBB328_23
.LBB328_22:                             ;   in Loop: Header=BB328_23 Depth=2
	s_wait_xcnt 0x0
	s_or_b32 exec_lo, exec_lo, s7
	s_add_co_i32 s24, s24, 4
	s_add_co_i32 s67, s67, s31
	;; [unrolled: 1-line block ×5, first 2 shown]
	s_cmp_ge_i32 s24, s57
	s_cbranch_scc1 .LBB328_68
.LBB328_23:                             ;   Parent Loop BB328_3 Depth=1
                                        ; =>  This Loop Header: Depth=2
                                        ;       Child Loop BB328_53 Depth 3
                                        ;       Child Loop BB328_55 Depth 3
                                        ; implicit-def: $vgpr35
                                        ; implicit-def: $vgpr33
                                        ; implicit-def: $vgpr31
                                        ; implicit-def: $vgpr29
	s_and_saveexec_b32 s7, s1
	s_delay_alu instid0(SALU_CYCLE_1)
	s_xor_b32 s7, exec_lo, s7
	s_cbranch_execnz .LBB328_50
; %bb.24:                               ;   in Loop: Header=BB328_23 Depth=2
	s_and_not1_saveexec_b32 s68, s7
	s_cbranch_execnz .LBB328_51
.LBB328_25:                             ;   in Loop: Header=BB328_23 Depth=2
	s_or_b32 exec_lo, exec_lo, s68
	s_and_saveexec_b32 s7, s3
.LBB328_26:                             ;   in Loop: Header=BB328_23 Depth=2
	ds_store_b64 v39, v[12:13]
.LBB328_27:                             ;   in Loop: Header=BB328_23 Depth=2
	s_or_b32 exec_lo, exec_lo, s7
	ds_bpermute_b32 v36, v43, v34
	ds_bpermute_b32 v37, v43, v35
	s_wait_storecnt_dscnt 0x0
	s_barrier_signal -1
	s_barrier_wait -1
	v_pk_add_f32 v[34:35], v[34:35], v[36:37]
	ds_bpermute_b32 v36, v44, v34
	ds_bpermute_b32 v37, v44, v35
	s_wait_dscnt 0x0
	v_pk_add_f32 v[34:35], v[34:35], v[36:37]
	ds_bpermute_b32 v36, v45, v34
	ds_bpermute_b32 v37, v45, v35
	s_wait_dscnt 0x0
	;; [unrolled: 4-line block ×3, first 2 shown]
	v_pk_add_f32 v[34:35], v[34:35], v[36:37]
	ds_bpermute_b32 v36, v47, v34
	ds_bpermute_b32 v37, v47, v35
	s_and_saveexec_b32 s7, s4
	s_cbranch_execz .LBB328_29
; %bb.28:                               ;   in Loop: Header=BB328_23 Depth=2
	s_wait_dscnt 0x0
	v_pk_add_f32 v[34:35], v[34:35], v[36:37]
	ds_store_b64 v40, v[34:35]
.LBB328_29:                             ;   in Loop: Header=BB328_23 Depth=2
	s_or_b32 exec_lo, exec_lo, s7
	v_mov_b64_e32 v[34:35], 0
	s_wait_dscnt 0x0
	s_barrier_signal -1
	s_barrier_wait -1
	s_and_saveexec_b32 s7, s5
	s_cbranch_execnz .LBB328_56
; %bb.30:                               ;   in Loop: Header=BB328_23 Depth=2
	s_or_b32 exec_lo, exec_lo, s7
	s_and_saveexec_b32 s7, s3
	s_cbranch_execnz .LBB328_57
.LBB328_31:                             ;   in Loop: Header=BB328_23 Depth=2
	s_or_b32 exec_lo, exec_lo, s7
	s_and_saveexec_b32 s7, s3
.LBB328_32:                             ;   in Loop: Header=BB328_23 Depth=2
	ds_store_b64 v39, v[12:13]
.LBB328_33:                             ;   in Loop: Header=BB328_23 Depth=2
	s_or_b32 exec_lo, exec_lo, s7
	ds_bpermute_b32 v36, v43, v32
	ds_bpermute_b32 v37, v43, v33
	s_wait_dscnt 0x0
	s_barrier_signal -1
	s_barrier_wait -1
	v_pk_add_f32 v[32:33], v[32:33], v[36:37]
	ds_bpermute_b32 v36, v44, v32
	ds_bpermute_b32 v37, v44, v33
	s_wait_dscnt 0x0
	v_pk_add_f32 v[32:33], v[32:33], v[36:37]
	ds_bpermute_b32 v36, v45, v32
	ds_bpermute_b32 v37, v45, v33
	s_wait_dscnt 0x0
	;; [unrolled: 4-line block ×3, first 2 shown]
	v_pk_add_f32 v[32:33], v[32:33], v[36:37]
	ds_bpermute_b32 v36, v47, v32
	ds_bpermute_b32 v37, v47, v33
	s_and_saveexec_b32 s7, s4
	s_cbranch_execz .LBB328_35
; %bb.34:                               ;   in Loop: Header=BB328_23 Depth=2
	s_wait_dscnt 0x0
	v_pk_add_f32 v[32:33], v[32:33], v[36:37]
	ds_store_b64 v40, v[32:33]
.LBB328_35:                             ;   in Loop: Header=BB328_23 Depth=2
	s_or_b32 exec_lo, exec_lo, s7
	v_mov_b64_e32 v[32:33], 0
	s_wait_dscnt 0x0
	s_barrier_signal -1
	s_barrier_wait -1
	s_and_saveexec_b32 s7, s5
	s_cbranch_execnz .LBB328_58
; %bb.36:                               ;   in Loop: Header=BB328_23 Depth=2
	s_or_b32 exec_lo, exec_lo, s7
	s_and_saveexec_b32 s7, s3
	s_cbranch_execnz .LBB328_59
.LBB328_37:                             ;   in Loop: Header=BB328_23 Depth=2
	s_or_b32 exec_lo, exec_lo, s7
	s_and_saveexec_b32 s7, s3
.LBB328_38:                             ;   in Loop: Header=BB328_23 Depth=2
	ds_store_b64 v39, v[12:13]
.LBB328_39:                             ;   in Loop: Header=BB328_23 Depth=2
	s_or_b32 exec_lo, exec_lo, s7
	ds_bpermute_b32 v36, v43, v30
	ds_bpermute_b32 v37, v43, v31
	s_wait_dscnt 0x0
	s_barrier_signal -1
	s_barrier_wait -1
	v_pk_add_f32 v[30:31], v[30:31], v[36:37]
	ds_bpermute_b32 v36, v44, v30
	ds_bpermute_b32 v37, v44, v31
	s_wait_dscnt 0x0
	v_pk_add_f32 v[30:31], v[30:31], v[36:37]
	ds_bpermute_b32 v36, v45, v30
	ds_bpermute_b32 v37, v45, v31
	s_wait_dscnt 0x0
	v_pk_add_f32 v[30:31], v[30:31], v[36:37]
	ds_bpermute_b32 v36, v46, v30
	ds_bpermute_b32 v37, v46, v31
	s_wait_dscnt 0x0
	v_pk_add_f32 v[30:31], v[30:31], v[36:37]
	ds_bpermute_b32 v36, v47, v30
	ds_bpermute_b32 v37, v47, v31
	s_and_saveexec_b32 s7, s4
	s_cbranch_execz .LBB328_41
; %bb.40:                               ;   in Loop: Header=BB328_23 Depth=2
	s_wait_dscnt 0x0
	v_pk_add_f32 v[30:31], v[30:31], v[36:37]
	ds_store_b64 v40, v[30:31]
.LBB328_41:                             ;   in Loop: Header=BB328_23 Depth=2
	s_or_b32 exec_lo, exec_lo, s7
	v_mov_b64_e32 v[30:31], 0
	s_wait_dscnt 0x0
	s_barrier_signal -1
	s_barrier_wait -1
	s_and_saveexec_b32 s7, s5
	s_cbranch_execnz .LBB328_60
; %bb.42:                               ;   in Loop: Header=BB328_23 Depth=2
	s_or_b32 exec_lo, exec_lo, s7
	s_and_saveexec_b32 s7, s3
	s_cbranch_execnz .LBB328_61
.LBB328_43:                             ;   in Loop: Header=BB328_23 Depth=2
	s_or_b32 exec_lo, exec_lo, s7
	s_and_saveexec_b32 s7, s3
.LBB328_44:                             ;   in Loop: Header=BB328_23 Depth=2
	ds_store_b64 v39, v[12:13]
.LBB328_45:                             ;   in Loop: Header=BB328_23 Depth=2
	s_or_b32 exec_lo, exec_lo, s7
	ds_bpermute_b32 v36, v43, v28
	ds_bpermute_b32 v37, v43, v29
	s_wait_dscnt 0x0
	s_barrier_signal -1
	s_barrier_wait -1
	v_pk_add_f32 v[28:29], v[28:29], v[36:37]
	ds_bpermute_b32 v36, v44, v28
	ds_bpermute_b32 v37, v44, v29
	s_wait_dscnt 0x0
	v_pk_add_f32 v[28:29], v[28:29], v[36:37]
	ds_bpermute_b32 v36, v45, v28
	ds_bpermute_b32 v37, v45, v29
	s_wait_dscnt 0x0
	;; [unrolled: 4-line block ×3, first 2 shown]
	v_pk_add_f32 v[28:29], v[28:29], v[36:37]
	ds_bpermute_b32 v36, v47, v28
	ds_bpermute_b32 v37, v47, v29
	s_and_saveexec_b32 s7, s4
	s_cbranch_execz .LBB328_47
; %bb.46:                               ;   in Loop: Header=BB328_23 Depth=2
	s_wait_dscnt 0x0
	v_pk_add_f32 v[28:29], v[28:29], v[36:37]
	ds_store_b64 v40, v[28:29]
.LBB328_47:                             ;   in Loop: Header=BB328_23 Depth=2
	s_or_b32 exec_lo, exec_lo, s7
	v_mov_b64_e32 v[28:29], 0
	s_wait_dscnt 0x0
	s_barrier_signal -1
	s_barrier_wait -1
	s_and_saveexec_b32 s7, s5
	s_cbranch_execnz .LBB328_62
; %bb.48:                               ;   in Loop: Header=BB328_23 Depth=2
	s_or_b32 exec_lo, exec_lo, s7
	s_and_saveexec_b32 s7, s3
	s_cbranch_execnz .LBB328_63
.LBB328_49:                             ;   in Loop: Header=BB328_23 Depth=2
	s_or_b32 exec_lo, exec_lo, s7
	s_and_saveexec_b32 s7, s0
	s_cbranch_execz .LBB328_22
	s_branch .LBB328_64
.LBB328_50:                             ;   in Loop: Header=BB328_23 Depth=2
	flat_load_b64 v[36:37], v[18:19]
	s_mul_i32 s8, s24, s52
	s_delay_alu instid0(SALU_CYCLE_1)
	s_add_co_i32 s48, s8, s52
	s_ashr_i32 s9, s8, 31
	s_add_co_i32 s50, s48, s52
	v_lshl_add_u64 v[56:57], s[8:9], 3, v[16:17]
	s_add_co_i32 s68, s50, s52
	s_ashr_i32 s49, s48, 31
	s_ashr_i32 s69, s68, 31
	;; [unrolled: 1-line block ×3, first 2 shown]
	v_lshl_add_u64 v[74:75], s[68:69], 3, v[16:17]
	v_lshl_add_u64 v[60:61], s[48:49], 3, v[16:17]
	;; [unrolled: 1-line block ×3, first 2 shown]
	s_wait_loadcnt_dscnt 0x0
	ds_store_b64 v38, v[36:37]
	flat_load_b64 v[72:73], v[20:21]
	s_wait_loadcnt_dscnt 0x0
	ds_store_b64 v38, v[72:73] offset:8
	flat_load_b64 v[28:29], v[22:23]
	s_wait_loadcnt_dscnt 0x0
	ds_store_b64 v38, v[28:29] offset:16
	;; [unrolled: 3-line block ×3, first 2 shown]
	s_clause 0x6
	flat_load_b128 v[28:31], v[56:57]
	flat_load_b128 v[32:35], v[74:75]
	;; [unrolled: 1-line block ×4, first 2 shown]
	flat_load_b128 v[56:59], v[56:57] offset:16
	flat_load_b128 v[60:63], v[60:61] offset:16
	;; [unrolled: 1-line block ×3, first 2 shown]
	ds_load_b128 v[68:71], v38 offset:16
	s_wait_dscnt 0x0
	v_dual_mov_b32 v76, v71 :: v_dual_mov_b32 v77, v70
	s_wait_loadcnt 0x4
	v_dual_mul_f32 v84, v49, v37 :: v_dual_mul_f32 v49, v49, v36
	v_dual_mul_f32 v78, v29, v37 :: v_dual_mul_f32 v29, v29, v36
	;; [unrolled: 1-line block ×3, first 2 shown]
	v_pk_mul_f32 v[82:83], v[34:35], v[72:73] op_sel:[0,1]
	v_pk_mul_f32 v[86:87], v[30:31], v[72:73] op_sel:[0,1]
	s_wait_loadcnt 0x3
	v_dual_mul_f32 v88, v53, v37 :: v_dual_mul_f32 v53, v53, v36
	v_dual_fmac_f32 v80, v32, v36 :: v_dual_fma_f32 v81, v32, v37, -v33
	v_pk_fma_f32 v[32:33], v[34:35], v[72:73], v[82:83] op_sel:[0,0,1] op_sel_hi:[1,1,0]
	v_pk_fma_f32 v[34:35], v[34:35], v[72:73], v[82:83] op_sel:[0,0,1] op_sel_hi:[1,0,0] neg_lo:[1,0,0] neg_hi:[1,0,0]
	v_pk_mul_f32 v[82:83], v[50:51], v[72:73] op_sel:[0,1]
	v_pk_mul_f32 v[90:91], v[54:55], v[72:73] op_sel:[0,1]
	v_dual_fmac_f32 v78, v28, v36 :: v_dual_fma_f32 v79, v28, v37, -v29
	v_pk_fma_f32 v[92:93], v[30:31], v[72:73], v[86:87] op_sel:[0,0,1] op_sel_hi:[1,1,0]
	v_pk_fma_f32 v[86:87], v[30:31], v[72:73], v[86:87] op_sel:[0,0,1] op_sel_hi:[1,0,0] neg_lo:[1,0,0] neg_hi:[1,0,0]
	s_wait_loadcnt 0x2
	v_dual_mov_b32 v28, v59 :: v_dual_fma_f32 v85, v48, v37, -v49
	s_wait_loadcnt 0x1
	v_dual_fmac_f32 v84, v48, v36 :: v_dual_mov_b32 v34, v63
	v_pk_mul_f32 v[30:31], v[68:69], v[56:57] op_sel:[1,1] op_sel_hi:[0,1]
	v_pk_fma_f32 v[48:49], v[50:51], v[72:73], v[82:83] op_sel:[0,0,1] op_sel_hi:[1,1,0]
	v_pk_fma_f32 v[50:51], v[50:51], v[72:73], v[82:83] op_sel:[0,0,1] op_sel_hi:[1,0,0] neg_lo:[1,0,0] neg_hi:[1,0,0]
	v_dual_fma_f32 v89, v52, v37, -v53 :: v_dual_fmac_f32 v88, v52, v36
	v_pk_mul_f32 v[82:83], v[68:69], v[60:61] op_sel:[1,1] op_sel_hi:[0,1]
	v_pk_fma_f32 v[36:37], v[54:55], v[72:73], v[90:91] op_sel:[0,0,1] op_sel_hi:[1,1,0]
	v_pk_fma_f32 v[52:53], v[54:55], v[72:73], v[90:91] op_sel:[0,0,1] op_sel_hi:[1,0,0] neg_lo:[1,0,0] neg_hi:[1,0,0]
	v_pk_mul_f32 v[28:29], v[76:77], v[28:29] op_sel_hi:[1,0]
	s_wait_loadcnt 0x0
	v_mov_b32_e32 v50, v67
	v_pk_fma_f32 v[54:55], v[68:69], v[56:57], v[30:31]
	s_wait_xcnt 0x2
	v_pk_fma_f32 v[56:57], v[68:69], v[56:57], v[30:31] op_sel_hi:[1,0,1] neg_lo:[0,0,1] neg_hi:[0,0,1]
	v_pk_mul_f32 v[30:31], v[76:77], v[34:35] op_sel_hi:[1,0]
	v_pk_fma_f32 v[72:73], v[70:71], v[58:59], v[28:29]
	v_pk_fma_f32 v[58:59], v[70:71], v[58:59], v[28:29] op_sel_hi:[1,0,1] neg_lo:[0,0,1] neg_hi:[0,0,1]
	v_pk_fma_f32 v[90:91], v[68:69], v[60:61], v[82:83]
	s_wait_xcnt 0x1
	v_pk_fma_f32 v[60:61], v[68:69], v[60:61], v[82:83] op_sel_hi:[1,0,1] neg_lo:[0,0,1] neg_hi:[0,0,1]
	v_pk_fma_f32 v[82:83], v[70:71], v[62:63], v[30:31]
	v_pk_fma_f32 v[62:63], v[70:71], v[62:63], v[30:31] op_sel_hi:[1,0,1] neg_lo:[0,0,1] neg_hi:[0,0,1]
	v_pk_mul_f32 v[28:29], v[68:69], v[64:65] op_sel:[1,1] op_sel_hi:[0,1]
	v_pk_mul_f32 v[30:31], v[76:77], v[50:51] op_sel_hi:[1,0]
	v_dual_mov_b32 v33, v35 :: v_dual_mov_b32 v93, v87
	v_mov_b32_e32 v55, v57
	s_delay_alu instid0(VALU_DEP_4)
	v_pk_fma_f32 v[94:95], v[68:69], v[64:65], v[28:29]
	s_wait_xcnt 0x0
	v_pk_fma_f32 v[64:65], v[68:69], v[64:65], v[28:29] op_sel_hi:[1,0,1] neg_lo:[0,0,1] neg_hi:[0,0,1]
	v_pk_fma_f32 v[96:97], v[70:71], v[66:67], v[30:31]
	v_pk_fma_f32 v[66:67], v[70:71], v[66:67], v[30:31] op_sel_hi:[1,0,1] neg_lo:[0,0,1] neg_hi:[0,0,1]
	flat_load_b128 v[28:31], v[74:75] offset:16
	v_dual_mov_b32 v49, v51 :: v_dual_mov_b32 v91, v61
	v_dual_mov_b32 v37, v53 :: v_dual_mov_b32 v95, v65
	v_pk_add_f32 v[50:51], v[78:79], 0 op_sel_hi:[1,0]
	v_pk_add_f32 v[52:53], v[84:85], 0 op_sel_hi:[1,0]
	;; [unrolled: 1-line block ×3, first 2 shown]
	v_dual_mov_b32 v73, v59 :: v_dual_mov_b32 v83, v63
	s_delay_alu instid0(VALU_DEP_3) | instskip(NEXT) | instid1(VALU_DEP_3)
	v_pk_add_f32 v[48:49], v[52:53], v[48:49]
	v_pk_add_f32 v[36:37], v[56:57], v[36:37]
	s_delay_alu instid0(VALU_DEP_2) | instskip(NEXT) | instid1(VALU_DEP_2)
	v_pk_add_f32 v[48:49], v[48:49], v[90:91]
	v_pk_add_f32 v[36:37], v[36:37], v[94:95]
	s_wait_loadcnt_dscnt 0x0
	v_mov_b32_e32 v34, v31
	s_wait_xcnt 0x0
	s_delay_alu instid0(VALU_DEP_1) | instskip(SKIP_1) | instid1(VALU_DEP_2)
	v_pk_mul_f32 v[74:75], v[76:77], v[34:35] op_sel_hi:[1,0]
	v_pk_mul_f32 v[34:35], v[68:69], v[28:29] op_sel:[1,1] op_sel_hi:[0,1]
	v_pk_fma_f32 v[60:61], v[70:71], v[30:31], v[74:75]
	s_delay_alu instid0(VALU_DEP_2) | instskip(SKIP_3) | instid1(VALU_DEP_4)
	v_pk_fma_f32 v[76:77], v[68:69], v[28:29], v[34:35] op_sel_hi:[1,0,1] neg_lo:[0,0,1] neg_hi:[0,0,1]
	v_pk_fma_f32 v[28:29], v[68:69], v[28:29], v[34:35]
	v_pk_add_f32 v[34:35], v[80:81], 0 op_sel_hi:[1,0]
	v_pk_fma_f32 v[30:31], v[70:71], v[30:31], v[74:75] op_sel_hi:[1,0,1] neg_lo:[0,0,1] neg_hi:[0,0,1]
	v_dual_mov_b32 v97, v67 :: v_dual_mov_b32 v29, v77
	s_delay_alu instid0(VALU_DEP_3) | instskip(SKIP_1) | instid1(VALU_DEP_4)
	v_pk_add_f32 v[32:33], v[34:35], v[32:33]
	v_pk_add_f32 v[34:35], v[50:51], v[92:93]
	v_mov_b32_e32 v61, v31
	s_delay_alu instid0(VALU_DEP_3) | instskip(NEXT) | instid1(VALU_DEP_3)
	v_pk_add_f32 v[28:29], v[32:33], v[28:29]
	v_pk_add_f32 v[30:31], v[34:35], v[54:55]
	;; [unrolled: 1-line block ×3, first 2 shown]
	s_delay_alu instid0(VALU_DEP_3) | instskip(NEXT) | instid1(VALU_DEP_3)
	v_pk_add_f32 v[28:29], v[28:29], v[60:61]
	v_pk_add_f32 v[34:35], v[30:31], v[72:73]
	;; [unrolled: 1-line block ×3, first 2 shown]
	s_and_not1_saveexec_b32 s68, s7
	s_cbranch_execz .LBB328_25
.LBB328_51:                             ;   in Loop: Header=BB328_23 Depth=2
	v_dual_mov_b32 v35, 0 :: v_dual_mov_b32 v34, 0
	v_dual_mov_b32 v33, 0 :: v_dual_mov_b32 v32, 0
	;; [unrolled: 1-line block ×3, first 2 shown]
	s_wait_dscnt 0x0
	v_dual_mov_b32 v29, 0 :: v_dual_mov_b32 v28, 0
	s_and_saveexec_b32 s69, s2
	s_cbranch_execz .LBB328_66
; %bb.52:                               ;   in Loop: Header=BB328_23 Depth=2
	v_dual_mov_b32 v28, v4 :: v_dual_mov_b32 v29, v38
	s_and_not1_b32 vcc_lo, exec_lo, s12
	s_mov_b32 s7, s58
	s_cbranch_vccnz .LBB328_65
.LBB328_53:                             ;   Parent Loop BB328_3 Depth=1
                                        ;     Parent Loop BB328_23 Depth=2
                                        ; =>    This Inner Loop Header: Depth=3
	v_readfirstlane_b32 s8, v14
	v_readfirstlane_b32 s9, v15
	s_add_co_i32 s7, s7, -1
	s_delay_alu instid0(SALU_CYCLE_1)
	s_cmp_eq_u32 s7, 0
	flat_load_b64 v[30:31], v28, s[8:9] scale_offset
	s_wait_xcnt 0x0
	v_add_nc_u32_e32 v28, s53, v28
	s_wait_loadcnt_dscnt 0x0
	ds_store_b64 v29, v[30:31]
	v_add_nc_u32_e32 v29, 8, v29
	s_cbranch_scc0 .LBB328_53
; %bb.54:                               ;   in Loop: Header=BB328_23 Depth=2
	v_dual_mov_b32 v28, 0 :: v_dual_mov_b32 v48, v38
	s_ashr_i32 s7, s6, 31
	s_mov_b32 s8, s11
	v_lshl_add_u64 v[36:37], s[6:7], 3, v[26:27]
	s_delay_alu instid0(VALU_DEP_2)
	v_dual_mov_b32 v29, v28 :: v_dual_mov_b32 v30, v28
	v_dual_mov_b32 v31, v28 :: v_dual_mov_b32 v32, v28
	;; [unrolled: 1-line block ×3, first 2 shown]
	v_mov_b32_e32 v35, v28
	s_mov_b32 s48, s66
	s_mov_b32 s50, s67
	;; [unrolled: 1-line block ×3, first 2 shown]
.LBB328_55:                             ;   Parent Loop BB328_3 Depth=1
                                        ;     Parent Loop BB328_23 Depth=2
                                        ; =>    This Inner Loop Header: Depth=3
	s_ashr_i32 s51, s50, 31
	s_ashr_i32 s49, s48, 31
	;; [unrolled: 1-line block ×3, first 2 shown]
	v_lshl_add_u64 v[50:51], s[50:51], 3, v[16:17]
	v_lshl_add_u64 v[52:53], s[48:49], 3, v[16:17]
	;; [unrolled: 1-line block ×3, first 2 shown]
	flat_load_b64 v[56:57], v[36:37] offset:-4
	s_clause 0x2
	flat_load_b64 v[50:51], v[50:51]
	flat_load_b64 v[52:53], v[52:53]
	;; [unrolled: 1-line block ×3, first 2 shown]
	ds_load_b64 v[58:59], v48
	s_wait_xcnt 0x3
	v_add_nc_u64_e32 v[36:37], 8, v[36:37]
	s_add_co_i32 s7, s7, -1
	s_add_co_i32 s50, s50, 1
	s_add_co_i32 s48, s48, 1
	;; [unrolled: 1-line block ×3, first 2 shown]
	s_cmp_lg_u32 s7, 0
	s_wait_loadcnt_dscnt 0x300
	v_pk_mul_f32 v[60:61], v[58:59], v[56:57] op_sel:[1,1] op_sel_hi:[0,1]
	s_wait_loadcnt 0x1
	v_pk_mul_f32 v[64:65], v[58:59], v[52:53] op_sel:[1,1] op_sel_hi:[0,1]
	s_wait_loadcnt 0x0
	v_pk_mul_f32 v[66:67], v[58:59], v[54:55] op_sel:[1,1] op_sel_hi:[0,1]
	v_pk_fma_f32 v[62:63], v[58:59], v[56:57], v[60:61]
	v_pk_fma_f32 v[56:57], v[58:59], v[56:57], v[60:61] op_sel_hi:[1,0,1] neg_lo:[0,0,1] neg_hi:[0,0,1]
	v_pk_mul_f32 v[60:61], v[58:59], v[50:51] op_sel:[1,1] op_sel_hi:[0,1]
	v_add_nc_u32_e32 v48, 8, v48
	v_pk_fma_f32 v[68:69], v[58:59], v[54:55], v[66:67] op_sel_hi:[1,0,1] neg_lo:[0,0,1] neg_hi:[0,0,1]
	s_wait_xcnt 0x0
	v_pk_fma_f32 v[54:55], v[58:59], v[54:55], v[66:67]
	v_mov_b32_e32 v63, v57
	v_pk_fma_f32 v[56:57], v[58:59], v[50:51], v[60:61]
	v_pk_fma_f32 v[50:51], v[58:59], v[50:51], v[60:61] op_sel_hi:[1,0,1] neg_lo:[0,0,1] neg_hi:[0,0,1]
	v_pk_fma_f32 v[60:61], v[58:59], v[52:53], v[64:65] op_sel_hi:[1,0,1] neg_lo:[0,0,1] neg_hi:[0,0,1]
	v_pk_fma_f32 v[52:53], v[58:59], v[52:53], v[64:65]
	v_mov_b32_e32 v55, v69
	v_pk_add_f32 v[34:35], v[34:35], v[62:63]
	s_delay_alu instid0(VALU_DEP_4) | instskip(NEXT) | instid1(VALU_DEP_3)
	v_dual_mov_b32 v57, v51 :: v_dual_mov_b32 v53, v61
	v_pk_add_f32 v[28:29], v[28:29], v[54:55]
	s_delay_alu instid0(VALU_DEP_2) | instskip(NEXT) | instid1(VALU_DEP_3)
	v_pk_add_f32 v[32:33], v[32:33], v[56:57]
	v_pk_add_f32 v[30:31], v[30:31], v[52:53]
	s_cbranch_scc1 .LBB328_55
	s_branch .LBB328_66
.LBB328_56:                             ;   in Loop: Header=BB328_23 Depth=2
	ds_load_b64 v[34:35], v39
	s_or_b32 exec_lo, exec_lo, s7
	s_and_saveexec_b32 s7, s3
	s_cbranch_execz .LBB328_31
.LBB328_57:                             ;   in Loop: Header=BB328_23 Depth=2
	s_wait_dscnt 0x0
	ds_bpermute_b32 v36, v45, v34
	ds_bpermute_b32 v37, v45, v35
	s_wait_dscnt 0x0
	v_pk_add_f32 v[34:35], v[34:35], v[36:37]
	ds_bpermute_b32 v36, v46, v34
	ds_bpermute_b32 v37, v46, v35
	s_wait_dscnt 0x0
	v_pk_add_f32 v[34:35], v[34:35], v[36:37]
	;; [unrolled: 4-line block ×3, first 2 shown]
	s_or_b32 exec_lo, exec_lo, s7
	s_and_saveexec_b32 s7, s3
	s_cbranch_execnz .LBB328_32
	s_branch .LBB328_33
.LBB328_58:                             ;   in Loop: Header=BB328_23 Depth=2
	ds_load_b64 v[32:33], v39
	s_or_b32 exec_lo, exec_lo, s7
	s_and_saveexec_b32 s7, s3
	s_cbranch_execz .LBB328_37
.LBB328_59:                             ;   in Loop: Header=BB328_23 Depth=2
	s_wait_dscnt 0x0
	ds_bpermute_b32 v36, v45, v32
	ds_bpermute_b32 v37, v45, v33
	s_wait_dscnt 0x0
	v_pk_add_f32 v[32:33], v[32:33], v[36:37]
	ds_bpermute_b32 v36, v46, v32
	ds_bpermute_b32 v37, v46, v33
	s_wait_dscnt 0x0
	v_pk_add_f32 v[32:33], v[32:33], v[36:37]
	;; [unrolled: 4-line block ×3, first 2 shown]
	s_or_b32 exec_lo, exec_lo, s7
	s_and_saveexec_b32 s7, s3
	s_cbranch_execnz .LBB328_38
	s_branch .LBB328_39
.LBB328_60:                             ;   in Loop: Header=BB328_23 Depth=2
	ds_load_b64 v[30:31], v39
	s_or_b32 exec_lo, exec_lo, s7
	s_and_saveexec_b32 s7, s3
	s_cbranch_execz .LBB328_43
.LBB328_61:                             ;   in Loop: Header=BB328_23 Depth=2
	s_wait_dscnt 0x0
	ds_bpermute_b32 v36, v45, v30
	ds_bpermute_b32 v37, v45, v31
	s_wait_dscnt 0x0
	v_pk_add_f32 v[30:31], v[30:31], v[36:37]
	ds_bpermute_b32 v36, v46, v30
	ds_bpermute_b32 v37, v46, v31
	s_wait_dscnt 0x0
	v_pk_add_f32 v[30:31], v[30:31], v[36:37]
	;; [unrolled: 4-line block ×3, first 2 shown]
	s_or_b32 exec_lo, exec_lo, s7
	s_and_saveexec_b32 s7, s3
	s_cbranch_execnz .LBB328_44
	s_branch .LBB328_45
.LBB328_62:                             ;   in Loop: Header=BB328_23 Depth=2
	ds_load_b64 v[28:29], v39
	s_or_b32 exec_lo, exec_lo, s7
	s_and_saveexec_b32 s7, s3
	s_cbranch_execz .LBB328_49
.LBB328_63:                             ;   in Loop: Header=BB328_23 Depth=2
	s_wait_dscnt 0x0
	ds_bpermute_b32 v36, v45, v28
	ds_bpermute_b32 v37, v45, v29
	s_wait_dscnt 0x0
	v_pk_add_f32 v[28:29], v[28:29], v[36:37]
	ds_bpermute_b32 v36, v46, v28
	ds_bpermute_b32 v37, v46, v29
	s_wait_dscnt 0x0
	v_pk_add_f32 v[28:29], v[28:29], v[36:37]
	;; [unrolled: 4-line block ×3, first 2 shown]
	s_or_b32 exec_lo, exec_lo, s7
	s_and_saveexec_b32 s7, s0
	s_cbranch_execz .LBB328_22
.LBB328_64:                             ;   in Loop: Header=BB328_23 Depth=2
	v_mov_b64_e32 v[36:37], s[36:37]
	v_mov_b64_e32 v[48:49], s[14:15]
	s_mul_i32 s8, s24, s28
	s_delay_alu instid0(SALU_CYCLE_1) | instskip(NEXT) | instid1(VALU_DEP_2)
	s_add_co_i32 s8, s8, s30
	v_pk_mul_f32 v[52:53], v[32:33], v[36:37] op_sel:[1,0]
	v_pk_mul_f32 v[50:51], v[34:35], v[36:37] op_sel:[1,0]
	;; [unrolled: 1-line block ×3, first 2 shown]
	s_wait_dscnt 0x0
	v_pk_mul_f32 v[36:37], v[28:29], v[36:37] op_sel:[1,0]
	v_pk_fma_f32 v[58:59], v[32:33], v[48:49], v[52:53] op_sel_hi:[0,1,1]
	v_pk_fma_f32 v[56:57], v[34:35], v[48:49], v[50:51] op_sel_hi:[0,1,1]
	v_pk_fma_f32 v[34:35], v[34:35], v[48:49], v[50:51] neg_lo:[0,0,1] neg_hi:[0,0,1]
	v_pk_fma_f32 v[50:51], v[30:31], v[48:49], v[54:55] op_sel_hi:[0,1,1]
	v_mov_b32_e32 v60, s8
	s_add_co_i32 s8, s8, s28
	v_pk_fma_f32 v[32:33], v[32:33], v[48:49], v[52:53] neg_lo:[0,0,1] neg_hi:[0,0,1]
	v_pk_fma_f32 v[52:53], v[28:29], v[48:49], v[36:37] op_sel_hi:[0,1,1]
	v_dual_mov_b32 v33, v59 :: v_dual_mov_b32 v50, s8
	s_add_co_i32 s8, s8, s28
	v_mov_b32_e32 v35, v57
	v_pk_fma_f32 v[30:31], v[30:31], v[48:49], v[54:55] neg_lo:[0,0,1] neg_hi:[0,0,1]
	v_dual_mov_b32 v31, v51 :: v_dual_mov_b32 v51, s8
	s_add_co_i32 s8, s8, s28
	v_pk_fma_f32 v[28:29], v[28:29], v[48:49], v[36:37] neg_lo:[0,0,1] neg_hi:[0,0,1]
	v_dual_mov_b32 v29, v53 :: v_dual_mov_b32 v36, s8
	s_clause 0x3
	global_store_b64 v60, v[34:35], s[46:47] scale_offset
	global_store_b64 v50, v[32:33], s[46:47] scale_offset
	;; [unrolled: 1-line block ×4, first 2 shown]
	s_branch .LBB328_22
.LBB328_65:                             ;   in Loop: Header=BB328_23 Depth=2
	v_mov_b32_e32 v35, 0
	s_delay_alu instid0(VALU_DEP_1)
	v_dual_mov_b32 v34, v35 :: v_dual_mov_b32 v33, v35
	v_dual_mov_b32 v32, v35 :: v_dual_mov_b32 v31, v35
	;; [unrolled: 1-line block ×3, first 2 shown]
	v_mov_b32_e32 v28, v35
.LBB328_66:                             ;   in Loop: Header=BB328_23 Depth=2
	s_or_b32 exec_lo, exec_lo, s69
	s_delay_alu instid0(SALU_CYCLE_1)
	s_or_b32 exec_lo, exec_lo, s68
	s_and_saveexec_b32 s7, s3
	s_cbranch_execnz .LBB328_26
	s_branch .LBB328_27
.LBB328_67:                             ;   in Loop: Header=BB328_3 Depth=1
	s_mov_b32 s24, 0
.LBB328_68:                             ;   in Loop: Header=BB328_3 Depth=1
	s_delay_alu instid0(SALU_CYCLE_1)
	s_cmp_ge_i32 s24, s13
	s_cbranch_scc1 .LBB328_2
; %bb.69:                               ;   in Loop: Header=BB328_3 Depth=1
	v_cmp_gt_u32_e32 vcc_lo, 24, v42
	s_add_nc_u64 s[6:7], s[46:47], s[38:39]
	s_mul_i32 s8, s52, s24
	s_wait_dscnt 0x0
	v_cndmask_b32_e64 v28, 0, 8, vcc_lo
	v_cmp_gt_u32_e32 vcc_lo, 28, v42
	s_delay_alu instid0(VALU_DEP_2) | instskip(SKIP_2) | instid1(VALU_DEP_2)
	v_add_lshl_u32 v32, v28, v42, 2
	v_cndmask_b32_e64 v29, 0, 4, vcc_lo
	v_cmp_gt_u32_e32 vcc_lo, 30, v42
	v_add_lshl_u32 v33, v29, v42, 2
	v_cndmask_b32_e64 v30, 0, 2, vcc_lo
	v_cmp_ne_u32_e32 vcc_lo, 31, v42
	s_delay_alu instid0(VALU_DEP_2) | instskip(SKIP_1) | instid1(VALU_DEP_1)
	v_add_lshl_u32 v34, v30, v42, 2
	v_add_co_ci_u32_e64 v31, null, 0, v42, vcc_lo
	v_lshlrev_b32_e32 v35, 2, v31
	s_branch .LBB328_71
.LBB328_70:                             ;   in Loop: Header=BB328_71 Depth=2
	s_wait_xcnt 0x0
	s_or_b32 exec_lo, exec_lo, s9
	s_add_co_i32 s24, s24, 1
	s_add_co_i32 s8, s8, s52
	s_cmp_ge_i32 s24, s13
	s_cbranch_scc1 .LBB328_2
.LBB328_71:                             ;   Parent Loop BB328_3 Depth=1
                                        ; =>  This Loop Header: Depth=2
                                        ;       Child Loop BB328_83 Depth 3
                                        ;       Child Loop BB328_85 Depth 3
                                        ; implicit-def: $vgpr29
	s_and_saveexec_b32 s9, s1
	s_delay_alu instid0(SALU_CYCLE_1)
	s_xor_b32 s9, exec_lo, s9
	s_cbranch_execnz .LBB328_80
; %bb.72:                               ;   in Loop: Header=BB328_71 Depth=2
	s_and_not1_saveexec_b32 s11, s9
	s_cbranch_execnz .LBB328_81
.LBB328_73:                             ;   in Loop: Header=BB328_71 Depth=2
	s_or_b32 exec_lo, exec_lo, s11
	s_and_saveexec_b32 s9, s3
.LBB328_74:                             ;   in Loop: Header=BB328_71 Depth=2
	ds_store_b64 v39, v[12:13]
.LBB328_75:                             ;   in Loop: Header=BB328_71 Depth=2
	s_or_b32 exec_lo, exec_lo, s9
	s_wait_dscnt 0x0
	ds_bpermute_b32 v30, v43, v28
	ds_bpermute_b32 v31, v43, v29
	s_wait_storecnt_dscnt 0x0
	s_barrier_signal -1
	s_barrier_wait -1
	v_pk_add_f32 v[28:29], v[28:29], v[30:31]
	ds_bpermute_b32 v30, v32, v28
	ds_bpermute_b32 v31, v32, v29
	s_wait_dscnt 0x0
	v_pk_add_f32 v[28:29], v[28:29], v[30:31]
	ds_bpermute_b32 v30, v33, v28
	ds_bpermute_b32 v31, v33, v29
	s_wait_dscnt 0x0
	v_pk_add_f32 v[28:29], v[28:29], v[30:31]
	ds_bpermute_b32 v30, v34, v28
	ds_bpermute_b32 v31, v34, v29
	s_wait_dscnt 0x0
	v_pk_add_f32 v[28:29], v[28:29], v[30:31]
	ds_bpermute_b32 v30, v35, v28
	ds_bpermute_b32 v31, v35, v29
	s_and_saveexec_b32 s9, s4
	s_cbranch_execz .LBB328_77
; %bb.76:                               ;   in Loop: Header=BB328_71 Depth=2
	s_wait_dscnt 0x0
	v_pk_add_f32 v[28:29], v[28:29], v[30:31]
	ds_store_b64 v40, v[28:29]
.LBB328_77:                             ;   in Loop: Header=BB328_71 Depth=2
	s_or_b32 exec_lo, exec_lo, s9
	v_mov_b64_e32 v[28:29], 0
	s_wait_dscnt 0x0
	s_barrier_signal -1
	s_barrier_wait -1
	s_and_saveexec_b32 s9, s5
	s_cbranch_execnz .LBB328_87
; %bb.78:                               ;   in Loop: Header=BB328_71 Depth=2
	s_or_b32 exec_lo, exec_lo, s9
	s_and_saveexec_b32 s9, s3
	s_cbranch_execnz .LBB328_88
.LBB328_79:                             ;   in Loop: Header=BB328_71 Depth=2
	s_or_b32 exec_lo, exec_lo, s9
	s_and_saveexec_b32 s9, s0
	s_cbranch_execz .LBB328_70
	s_branch .LBB328_89
.LBB328_80:                             ;   in Loop: Header=BB328_71 Depth=2
	flat_load_b64 v[36:37], v[18:19]
	s_mul_i32 s46, s24, s52
	s_delay_alu instid0(SALU_CYCLE_1) | instskip(NEXT) | instid1(SALU_CYCLE_1)
	s_ashr_i32 s47, s46, 31
	v_lshl_add_u64 v[44:45], s[46:47], 3, v[16:17]
	s_wait_loadcnt_dscnt 0x0
	ds_store_b64 v38, v[36:37]
	flat_load_b64 v[48:49], v[20:21]
	s_wait_loadcnt_dscnt 0x0
	ds_store_b64 v38, v[48:49] offset:8
	flat_load_b64 v[50:51], v[22:23]
	s_wait_loadcnt_dscnt 0x0
	v_dual_mov_b32 v54, v49 :: v_dual_mov_b32 v56, v51
	ds_store_b64 v38, v[50:51] offset:16
	flat_load_b64 v[52:53], v[24:25]
	s_wait_loadcnt_dscnt 0x0
	ds_store_b64 v38, v[52:53] offset:24
	s_clause 0x1
	flat_load_b128 v[28:31], v[44:45]
	flat_load_b128 v[44:47], v[44:45] offset:16
	s_wait_loadcnt_dscnt 0x101
	v_dual_mul_f32 v58, v29, v37 :: v_dual_mul_f32 v29, v29, v36
	v_dual_mov_b32 v60, v31 :: v_dual_mov_b32 v61, v30
	v_pk_mul_f32 v[30:31], v[30:31], v[48:49] op_sel_hi:[1,0]
	s_wait_loadcnt_dscnt 0x0
	v_pk_mul_f32 v[62:63], v[44:45], v[50:51] op_sel_hi:[1,0]
	v_dual_mov_b32 v64, v47 :: v_dual_fmac_f32 v58, v28, v36
	v_dual_fma_f32 v59, v28, v37, -v29 :: v_dual_mov_b32 v65, v46
	v_pk_fma_f32 v[28:29], v[60:61], v[48:49], v[30:31] op_sel:[0,1,0] neg_lo:[0,0,1] neg_hi:[0,0,1]
	v_pk_fma_f32 v[30:31], v[60:61], v[54:55], v[30:31]
	v_pk_fma_f32 v[36:37], v[44:45], v[50:51], v[62:63] op_sel:[1,1,0] op_sel_hi:[0,1,1] neg_lo:[0,0,1] neg_hi:[0,0,1]
	s_delay_alu instid0(VALU_DEP_4) | instskip(NEXT) | instid1(VALU_DEP_4)
	v_pk_add_f32 v[48:49], v[58:59], 0 op_sel_hi:[1,0]
	v_dual_mov_b32 v36, v53 :: v_dual_mov_b32 v31, v29
	v_pk_mul_f32 v[28:29], v[46:47], v[52:53] op_sel_hi:[1,0]
	s_wait_xcnt 0x0
	v_pk_fma_f32 v[44:45], v[44:45], v[56:57], v[62:63] op_sel:[1,0,0] op_sel_hi:[0,1,1]
	s_delay_alu instid0(VALU_DEP_3) | instskip(NEXT) | instid1(VALU_DEP_3)
	v_pk_add_f32 v[30:31], v[48:49], v[30:31]
	v_pk_fma_f32 v[46:47], v[64:65], v[52:53], v[28:29] op_sel:[0,1,0] neg_lo:[0,0,1] neg_hi:[0,0,1]
	v_mov_b32_e32 v45, v37
	v_pk_fma_f32 v[28:29], v[64:65], v[36:37], v[28:29]
	s_delay_alu instid0(VALU_DEP_3) | instskip(NEXT) | instid1(VALU_DEP_3)
	v_mov_b32_e32 v29, v47
	v_pk_add_f32 v[30:31], v[30:31], v[44:45]
	s_delay_alu instid0(VALU_DEP_1)
	v_pk_add_f32 v[28:29], v[30:31], v[28:29]
	s_and_not1_saveexec_b32 s11, s9
	s_cbranch_execz .LBB328_73
.LBB328_81:                             ;   in Loop: Header=BB328_71 Depth=2
	s_wait_dscnt 0x0
	v_mov_b32_e32 v29, 0
	s_delay_alu instid0(VALU_DEP_1)
	v_mov_b32_e32 v28, v29
	s_and_saveexec_b32 s46, s60
	s_cbranch_execz .LBB328_86
; %bb.82:                               ;   in Loop: Header=BB328_71 Depth=2
	v_dual_mov_b32 v28, v4 :: v_dual_mov_b32 v29, v38
	s_mov_b32 s9, s58
.LBB328_83:                             ;   Parent Loop BB328_3 Depth=1
                                        ;     Parent Loop BB328_71 Depth=2
                                        ; =>    This Inner Loop Header: Depth=3
	v_readfirstlane_b32 s48, v14
	v_readfirstlane_b32 s49, v15
	s_add_co_i32 s9, s9, -1
	s_delay_alu instid0(SALU_CYCLE_1)
	s_cmp_eq_u32 s9, 0
	flat_load_b64 v[30:31], v28, s[48:49] scale_offset
	s_wait_xcnt 0x0
	v_add_nc_u32_e32 v28, s53, v28
	s_wait_loadcnt_dscnt 0x0
	ds_store_b64 v29, v[30:31]
	v_add_nc_u32_e32 v29, 8, v29
	s_cbranch_scc0 .LBB328_83
; %bb.84:                               ;   in Loop: Header=BB328_71 Depth=2
	v_dual_mov_b32 v28, 0 :: v_dual_mov_b32 v36, v38
	s_ashr_i32 s9, s8, 31
	s_delay_alu instid0(SALU_CYCLE_1) | instskip(NEXT) | instid1(VALU_DEP_2)
	v_lshl_add_u64 v[30:31], s[8:9], 3, v[26:27]
	v_mov_b32_e32 v29, v28
	s_mov_b32 s9, s58
.LBB328_85:                             ;   Parent Loop BB328_3 Depth=1
                                        ;     Parent Loop BB328_71 Depth=2
                                        ; =>    This Inner Loop Header: Depth=3
	flat_load_b64 v[44:45], v[30:31] offset:-4
	ds_load_b64 v[46:47], v36
	s_wait_xcnt 0x0
	v_add_nc_u64_e32 v[30:31], 8, v[30:31]
	s_add_co_i32 s9, s9, -1
	v_add_nc_u32_e32 v36, 8, v36
	s_cmp_lg_u32 s9, 0
	s_wait_loadcnt_dscnt 0x0
	v_pk_mul_f32 v[48:49], v[44:45], v[46:47] op_sel:[1,1] op_sel_hi:[1,0]
	s_delay_alu instid0(VALU_DEP_1) | instskip(SKIP_1) | instid1(VALU_DEP_2)
	v_pk_fma_f32 v[50:51], v[44:45], v[46:47], v[48:49] op_sel_hi:[0,1,1] neg_lo:[0,0,1] neg_hi:[0,0,1]
	v_pk_fma_f32 v[44:45], v[44:45], v[46:47], v[48:49]
	v_mov_b32_e32 v45, v51
	s_delay_alu instid0(VALU_DEP_1)
	v_pk_add_f32 v[28:29], v[28:29], v[44:45]
	s_cbranch_scc1 .LBB328_85
.LBB328_86:                             ;   in Loop: Header=BB328_71 Depth=2
	s_or_b32 exec_lo, exec_lo, s46
	s_delay_alu instid0(SALU_CYCLE_1)
	s_or_b32 exec_lo, exec_lo, s11
	s_and_saveexec_b32 s9, s3
	s_cbranch_execnz .LBB328_74
	s_branch .LBB328_75
.LBB328_87:                             ;   in Loop: Header=BB328_71 Depth=2
	ds_load_b64 v[28:29], v39
	s_or_b32 exec_lo, exec_lo, s9
	s_and_saveexec_b32 s9, s3
	s_cbranch_execz .LBB328_79
.LBB328_88:                             ;   in Loop: Header=BB328_71 Depth=2
	s_wait_dscnt 0x0
	ds_bpermute_b32 v30, v33, v28
	ds_bpermute_b32 v31, v33, v29
	s_wait_dscnt 0x0
	v_pk_add_f32 v[28:29], v[28:29], v[30:31]
	ds_bpermute_b32 v30, v34, v28
	ds_bpermute_b32 v31, v34, v29
	s_wait_dscnt 0x0
	v_pk_add_f32 v[28:29], v[28:29], v[30:31]
	ds_bpermute_b32 v30, v35, v28
	ds_bpermute_b32 v31, v35, v29
	s_wait_dscnt 0x0
	v_pk_add_f32 v[28:29], v[28:29], v[30:31]
	s_or_b32 exec_lo, exec_lo, s9
	s_and_saveexec_b32 s9, s0
	s_cbranch_execz .LBB328_70
.LBB328_89:                             ;   in Loop: Header=BB328_71 Depth=2
	v_mov_b64_e32 v[30:31], s[36:37]
	v_mov_b64_e32 v[36:37], s[14:15]
	s_mul_u64 s[46:47], s[24:25], s[28:29]
	s_delay_alu instid0(SALU_CYCLE_1) | instskip(NEXT) | instid1(SALU_CYCLE_1)
	s_lshl_b64 s[46:47], s[46:47], 3
	s_add_nc_u64 s[46:47], s[6:7], s[46:47]
	s_wait_dscnt 0x0
	s_delay_alu instid0(VALU_DEP_2) | instskip(NEXT) | instid1(VALU_DEP_1)
	v_pk_mul_f32 v[30:31], v[28:29], v[30:31] op_sel:[1,0]
	v_pk_fma_f32 v[44:45], v[28:29], v[36:37], v[30:31] op_sel_hi:[0,1,1]
	v_pk_fma_f32 v[28:29], v[28:29], v[36:37], v[30:31] neg_lo:[0,0,1] neg_hi:[0,0,1]
	s_delay_alu instid0(VALU_DEP_2)
	v_mov_b32_e32 v29, v45
	global_store_b64 v41, v[28:29], s[46:47]
	s_branch .LBB328_70
.LBB328_90:
	s_sendmsg sendmsg(MSG_DEALLOC_VGPRS)
	s_endpgm
	.section	.rodata,"a",@progbits
	.p2align	6, 0x0
	.amdhsa_kernel _ZL23rocblas_gemvt_sn_kernelILb1ELi256ELi4EiPK19rocblas_complex_numIfES1_S1_EviiT4_lPKT3_lilS7_lilPT5_i
		.amdhsa_group_segment_fixed_size 8448
		.amdhsa_private_segment_fixed_size 0
		.amdhsa_kernarg_size 360
		.amdhsa_user_sgpr_count 4
		.amdhsa_user_sgpr_dispatch_ptr 1
		.amdhsa_user_sgpr_queue_ptr 0
		.amdhsa_user_sgpr_kernarg_segment_ptr 1
		.amdhsa_user_sgpr_dispatch_id 0
		.amdhsa_user_sgpr_kernarg_preload_length 0
		.amdhsa_user_sgpr_kernarg_preload_offset 0
		.amdhsa_user_sgpr_private_segment_size 0
		.amdhsa_wavefront_size32 1
		.amdhsa_uses_dynamic_stack 0
		.amdhsa_enable_private_segment 0
		.amdhsa_system_sgpr_workgroup_id_x 1
		.amdhsa_system_sgpr_workgroup_id_y 0
		.amdhsa_system_sgpr_workgroup_id_z 1
		.amdhsa_system_sgpr_workgroup_info 0
		.amdhsa_system_vgpr_workitem_id 2
		.amdhsa_next_free_vgpr 98
		.amdhsa_next_free_sgpr 70
		.amdhsa_named_barrier_count 0
		.amdhsa_reserve_vcc 1
		.amdhsa_float_round_mode_32 0
		.amdhsa_float_round_mode_16_64 0
		.amdhsa_float_denorm_mode_32 3
		.amdhsa_float_denorm_mode_16_64 3
		.amdhsa_fp16_overflow 0
		.amdhsa_memory_ordered 1
		.amdhsa_forward_progress 1
		.amdhsa_inst_pref_size 44
		.amdhsa_round_robin_scheduling 0
		.amdhsa_exception_fp_ieee_invalid_op 0
		.amdhsa_exception_fp_denorm_src 0
		.amdhsa_exception_fp_ieee_div_zero 0
		.amdhsa_exception_fp_ieee_overflow 0
		.amdhsa_exception_fp_ieee_underflow 0
		.amdhsa_exception_fp_ieee_inexact 0
		.amdhsa_exception_int_div_zero 0
	.end_amdhsa_kernel
	.section	.text._ZL23rocblas_gemvt_sn_kernelILb1ELi256ELi4EiPK19rocblas_complex_numIfES1_S1_EviiT4_lPKT3_lilS7_lilPT5_i,"axG",@progbits,_ZL23rocblas_gemvt_sn_kernelILb1ELi256ELi4EiPK19rocblas_complex_numIfES1_S1_EviiT4_lPKT3_lilS7_lilPT5_i,comdat
.Lfunc_end328:
	.size	_ZL23rocblas_gemvt_sn_kernelILb1ELi256ELi4EiPK19rocblas_complex_numIfES1_S1_EviiT4_lPKT3_lilS7_lilPT5_i, .Lfunc_end328-_ZL23rocblas_gemvt_sn_kernelILb1ELi256ELi4EiPK19rocblas_complex_numIfES1_S1_EviiT4_lPKT3_lilS7_lilPT5_i
                                        ; -- End function
	.set _ZL23rocblas_gemvt_sn_kernelILb1ELi256ELi4EiPK19rocblas_complex_numIfES1_S1_EviiT4_lPKT3_lilS7_lilPT5_i.num_vgpr, 98
	.set _ZL23rocblas_gemvt_sn_kernelILb1ELi256ELi4EiPK19rocblas_complex_numIfES1_S1_EviiT4_lPKT3_lilS7_lilPT5_i.num_agpr, 0
	.set _ZL23rocblas_gemvt_sn_kernelILb1ELi256ELi4EiPK19rocblas_complex_numIfES1_S1_EviiT4_lPKT3_lilS7_lilPT5_i.numbered_sgpr, 70
	.set _ZL23rocblas_gemvt_sn_kernelILb1ELi256ELi4EiPK19rocblas_complex_numIfES1_S1_EviiT4_lPKT3_lilS7_lilPT5_i.num_named_barrier, 0
	.set _ZL23rocblas_gemvt_sn_kernelILb1ELi256ELi4EiPK19rocblas_complex_numIfES1_S1_EviiT4_lPKT3_lilS7_lilPT5_i.private_seg_size, 0
	.set _ZL23rocblas_gemvt_sn_kernelILb1ELi256ELi4EiPK19rocblas_complex_numIfES1_S1_EviiT4_lPKT3_lilS7_lilPT5_i.uses_vcc, 1
	.set _ZL23rocblas_gemvt_sn_kernelILb1ELi256ELi4EiPK19rocblas_complex_numIfES1_S1_EviiT4_lPKT3_lilS7_lilPT5_i.uses_flat_scratch, 1
	.set _ZL23rocblas_gemvt_sn_kernelILb1ELi256ELi4EiPK19rocblas_complex_numIfES1_S1_EviiT4_lPKT3_lilS7_lilPT5_i.has_dyn_sized_stack, 0
	.set _ZL23rocblas_gemvt_sn_kernelILb1ELi256ELi4EiPK19rocblas_complex_numIfES1_S1_EviiT4_lPKT3_lilS7_lilPT5_i.has_recursion, 0
	.set _ZL23rocblas_gemvt_sn_kernelILb1ELi256ELi4EiPK19rocblas_complex_numIfES1_S1_EviiT4_lPKT3_lilS7_lilPT5_i.has_indirect_call, 0
	.section	.AMDGPU.csdata,"",@progbits
; Kernel info:
; codeLenInByte = 5620
; TotalNumSgprs: 72
; NumVgprs: 98
; ScratchSize: 0
; MemoryBound: 0
; FloatMode: 240
; IeeeMode: 1
; LDSByteSize: 8448 bytes/workgroup (compile time only)
; SGPRBlocks: 0
; VGPRBlocks: 6
; NumSGPRsForWavesPerEU: 72
; NumVGPRsForWavesPerEU: 98
; NamedBarCnt: 0
; Occupancy: 9
; WaveLimiterHint : 0
; COMPUTE_PGM_RSRC2:SCRATCH_EN: 0
; COMPUTE_PGM_RSRC2:USER_SGPR: 4
; COMPUTE_PGM_RSRC2:TRAP_HANDLER: 0
; COMPUTE_PGM_RSRC2:TGID_X_EN: 1
; COMPUTE_PGM_RSRC2:TGID_Y_EN: 0
; COMPUTE_PGM_RSRC2:TGID_Z_EN: 1
; COMPUTE_PGM_RSRC2:TIDIG_COMP_CNT: 2
	.section	.text._ZL23rocblas_gemvt_sn_kernelILb1ELi256ELi4ElPK19rocblas_complex_numIfES1_S1_EviiT4_lPKT3_lilS7_lilPT5_i,"axG",@progbits,_ZL23rocblas_gemvt_sn_kernelILb1ELi256ELi4ElPK19rocblas_complex_numIfES1_S1_EviiT4_lPKT3_lilS7_lilPT5_i,comdat
	.globl	_ZL23rocblas_gemvt_sn_kernelILb1ELi256ELi4ElPK19rocblas_complex_numIfES1_S1_EviiT4_lPKT3_lilS7_lilPT5_i ; -- Begin function _ZL23rocblas_gemvt_sn_kernelILb1ELi256ELi4ElPK19rocblas_complex_numIfES1_S1_EviiT4_lPKT3_lilS7_lilPT5_i
	.p2align	8
	.type	_ZL23rocblas_gemvt_sn_kernelILb1ELi256ELi4ElPK19rocblas_complex_numIfES1_S1_EviiT4_lPKT3_lilS7_lilPT5_i,@function
_ZL23rocblas_gemvt_sn_kernelILb1ELi256ELi4ElPK19rocblas_complex_numIfES1_S1_EviiT4_lPKT3_lilS7_lilPT5_i: ; @_ZL23rocblas_gemvt_sn_kernelILb1ELi256ELi4ElPK19rocblas_complex_numIfES1_S1_EviiT4_lPKT3_lilS7_lilPT5_i
; %bb.0:
	s_load_b32 s33, s[2:3], 0x60
	s_bfe_u32 s4, ttmp6, 0x40014
	s_lshr_b32 s5, ttmp7, 16
	s_add_co_i32 s4, s4, 1
	s_bfe_u32 s7, ttmp6, 0x40008
	s_mul_i32 s6, s5, s4
	s_getreg_b32 s4, hwreg(HW_REG_IB_STS2, 6, 4)
	s_add_co_i32 s7, s7, s6
	s_cmp_eq_u32 s4, 0
	s_mov_b32 s25, 0
	s_cselect_b32 s10, s5, s7
	s_wait_kmcnt 0x0
	s_cmp_ge_u32 s10, s33
	s_cbranch_scc1 .LBB329_90
; %bb.1:
	s_clause 0x1
	s_load_b32 s26, s[2:3], 0x28
	s_load_b32 s6, s[2:3], 0x48
	s_load_b64 s[8:9], s[0:1], 0x4
	s_clause 0x4
	s_load_b128 s[12:15], s[2:3], 0x0
	s_load_b128 s[16:19], s[2:3], 0x18
	;; [unrolled: 1-line block ×3, first 2 shown]
	s_load_b64 s[28:29], s[2:3], 0x58
	s_load_b32 s30, s[2:3], 0x68
	v_and_b32_e32 v1, 0x3ff, v0
	v_bfe_u32 v2, v0, 10, 10
	v_bfe_u32 v3, v0, 20, 10
	v_mbcnt_lo_u32_b32 v48, -1, 0
	v_mov_b64_e32 v[14:15], 0
	s_wait_xcnt 0x0
	v_cmp_eq_u32_e64 s0, 0, v1
	v_cmp_gt_u32_e64 s5, 8, v1
	v_mov_b32_e32 v47, 0
	v_lshl_or_b32 v49, v48, 2, 64
	s_mov_b32 s31, s25
	v_dual_lshrrev_b32 v0, 2, v0 :: v_dual_bitop2_b32 v11, 31, v0 bitop3:0x40
	s_wait_kmcnt 0x0
	s_ashr_i32 s27, s26, 31
	s_ashr_i32 s7, s6, 31
	s_lshr_b32 s1, s8, 16
	s_or_b32 s2, s14, s15
	s_mul_i32 s1, s1, s9
	s_bitset0_b32 s2, 31
	v_mul_u32_u24_e32 v2, s9, v2
	s_cmp_lg_u32 s2, 0
	v_mul_lo_u32 v4, s1, v1
	s_cselect_b32 s56, -1, 0
	s_cmp_eq_u32 s2, 0
	s_mov_b32 s8, s13
	s_cselect_b32 s57, -1, 0
	s_ashr_i32 s9, s13, 31
	s_cmp_gt_i32 s13, 0
	s_mul_u64 s[34:35], s[8:9], s[30:31]
	s_cselect_b32 s1, -1, 0
	s_bfe_u32 s2, ttmp6, 0x4000c
	s_and_b32 s3, ttmp6, 15
	s_add_co_i32 s2, s2, 1
	s_and_b32 s58, s0, s1
	s_mul_i32 s2, ttmp9, s2
	v_add3_u32 v2, v4, v2, v3
	s_add_co_i32 s3, s3, s2
	s_cmp_eq_u32 s4, 0
	s_mov_b32 s37, s14
	s_cselect_b32 s24, ttmp9, s3
	v_lshl_add_u32 v44, v2, 5, 0x100
	s_lshl_b32 s3, s24, 10
	s_ashr_i32 s2, s12, 31
	v_lshl_or_b32 v2, v1, 2, s3
	s_lshr_b32 s2, s2, 30
	s_lshr_b32 s1, s9, 30
	s_add_co_i32 s2, s12, s2
	s_add_co_i32 s1, s13, s1
	v_ashrrev_i32_e32 v3, 31, v2
	s_and_b32 s2, s2, -4
	v_dual_lshlrev_b32 v45, 3, v11 :: v_dual_bitop2_b32 v8, 2, v2 bitop3:0x54
	s_sub_co_i32 s60, s12, s2
	s_delay_alu instid0(SALU_CYCLE_1) | instskip(NEXT) | instid1(VALU_DEP_2)
	v_dual_add_nc_u32 v4, 4, v2 :: v_dual_add_nc_u32 v5, s60, v2
	v_dual_ashrrev_i32 v9, 31, v8 :: v_dual_bitop2_b32 v6, 1, v2 bitop3:0x54
	v_or_b32_e32 v10, 3, v2
	s_and_b32 s59, s1, -4
	s_delay_alu instid0(VALU_DEP_3)
	v_cmp_ge_i32_e64 s1, s12, v4
	v_cmp_ge_i32_e64 s2, s12, v5
	v_mul_u64_e32 v[4:5], s[6:7], v[2:3]
	v_cmp_gt_u32_e64 s3, 32, v1
	v_dual_ashrrev_i32 v7, 31, v6 :: v_dual_bitop2_b32 v46, 56, v0 bitop3:0x40
	v_lshlrev_b64_e32 v[0:1], 3, v[2:3]
	v_cmp_eq_u32_e64 s4, 0, v11
	v_ashrrev_i32_e32 v11, 31, v10
	s_delay_alu instid0(VALU_DEP_4)
	v_mul_u64_e32 v[6:7], s[6:7], v[6:7]
	v_mul_u64_e32 v[8:9], s[6:7], v[8:9]
	s_cmp_gt_i32 s59, 0
	v_or_b32_e32 v0, 4, v0
	v_mul_u64_e32 v[10:11], s[6:7], v[10:11]
	s_cselect_b32 s61, -1, 0
	s_cmp_gt_i32 s60, 0
	s_cselect_b32 s12, -1, 0
	s_delay_alu instid0(SALU_CYCLE_1)
	s_and_b32 s62, s12, s2
	s_cmp_gt_u32 s13, 1
	s_cselect_b32 s11, -1, 0
	s_cmp_eq_u32 s30, 1
	s_cselect_b32 s36, -1, 0
	s_and_b32 s63, s13, 0x7ffffffe
	s_and_b32 s64, s11, s36
	s_cmp_lg_u32 s13, s63
	s_mov_b32 s36, s15
	s_cselect_b32 s65, -1, 0
	s_lshl_b64 s[38:39], s[24:25], 3
	s_lshl_b64 s[42:43], s[8:9], 3
	v_lshlrev_b64_e32 v[12:13], 3, v[4:5]
	s_add_nc_u64 s[40:41], s[28:29], s[38:39]
	s_lshl_b64 s[44:45], s[30:31], 3
	s_lshl_b64 s[46:47], s[6:7], 3
	s_lshl_b64 s[48:49], s[26:27], 5
	s_lshl_b64 s[50:51], s[26:27], 3
	s_lshl_b64 s[18:19], s[18:19], 3
	s_lshl_b64 s[22:23], s[22:23], 3
	s_branch .LBB329_3
.LBB329_2:                              ;   in Loop: Header=BB329_3 Depth=1
	s_add_co_i32 s10, s10, 0x10000
	s_delay_alu instid0(SALU_CYCLE_1)
	s_cmp_lt_u32 s10, s33
	s_cbranch_scc0 .LBB329_90
.LBB329_3:                              ; =>This Loop Header: Depth=1
                                        ;     Child Loop BB329_11 Depth 2
                                        ;     Child Loop BB329_17 Depth 2
	;; [unrolled: 1-line block ×3, first 2 shown]
                                        ;       Child Loop BB329_53 Depth 3
                                        ;       Child Loop BB329_55 Depth 3
                                        ;     Child Loop BB329_71 Depth 2
                                        ;       Child Loop BB329_83 Depth 3
                                        ;       Child Loop BB329_85 Depth 3
	s_mov_b32 s11, s25
	s_and_not1_b32 vcc_lo, exec_lo, s57
	s_mov_b32 s6, -1
	s_cbranch_vccz .LBB329_13
; %bb.4:                                ;   in Loop: Header=BB329_3 Depth=1
	s_wait_dscnt 0x0
	v_mov_b64_e32 v[30:31], 0
	v_mov_b64_e32 v[28:29], 0
	s_and_not1_b32 vcc_lo, exec_lo, s6
	s_cbranch_vccz .LBB329_14
.LBB329_5:                              ;   in Loop: Header=BB329_3 Depth=1
	s_and_not1_b32 vcc_lo, exec_lo, s56
	s_cbranch_vccnz .LBB329_7
.LBB329_6:                              ;   in Loop: Header=BB329_3 Depth=1
	s_wait_xcnt 0x0
	s_lshl_b64 s[6:7], s[10:11], 3
	s_delay_alu instid0(SALU_CYCLE_1)
	s_add_nc_u64 s[6:7], s[20:21], s[6:7]
	global_load_b64 v[16:17], v47, s[6:7]
	s_wait_loadcnt 0x0
	v_add_nc_u64_e32 v[30:31], s[22:23], v[16:17]
.LBB329_7:                              ;   in Loop: Header=BB329_3 Depth=1
	s_wait_xcnt 0x0
	s_mul_u64 s[6:7], s[34:35], s[10:11]
	s_and_not1_b32 vcc_lo, exec_lo, s57
	s_lshl_b64 s[6:7], s[6:7], 3
	s_delay_alu instid0(SALU_CYCLE_1)
	s_add_nc_u64 s[52:53], s[28:29], s[6:7]
	s_mov_b32 s6, -1
	s_cbranch_vccnz .LBB329_19
; %bb.8:                                ;   in Loop: Header=BB329_3 Depth=1
	s_and_saveexec_b32 s66, s58
	s_cbranch_execz .LBB329_18
; %bb.9:                                ;   in Loop: Header=BB329_3 Depth=1
	s_and_not1_b32 vcc_lo, exec_lo, s64
	s_cbranch_vccnz .LBB329_15
; %bb.10:                               ;   in Loop: Header=BB329_3 Depth=1
	s_add_nc_u64 s[6:7], s[52:53], s[38:39]
	s_mov_b32 s8, 1
	s_mov_b32 s24, 0
	;; [unrolled: 1-line block ×3, first 2 shown]
.LBB329_11:                             ;   Parent Loop BB329_3 Depth=1
                                        ; =>  This Inner Loop Header: Depth=2
	s_mov_b32 s9, s25
	s_wait_xcnt 0x1
	s_lshl_b64 s[68:69], s[24:25], 3
	s_add_co_i32 s55, s55, -2
	s_add_co_i32 s24, s24, 2
	s_wait_xcnt 0x0
	s_lshl_b64 s[70:71], s[8:9], 3
	s_add_co_i32 s8, s8, 2
	s_mov_b32 s54, s63
	s_mov_b32 s67, s65
	s_add_nc_u64 s[68:69], s[6:7], s[68:69]
	s_cmp_lg_u32 s55, 0
	s_add_nc_u64 s[70:71], s[6:7], s[70:71]
	s_clause 0x1
	global_store_b64 v47, v[14:15], s[68:69]
	global_store_b64 v47, v[14:15], s[70:71]
	s_cbranch_scc1 .LBB329_11
; %bb.12:                               ;   in Loop: Header=BB329_3 Depth=1
	s_and_b32 vcc_lo, exec_lo, s67
	s_cbranch_vccnz .LBB329_16
	s_branch .LBB329_18
.LBB329_13:                             ;   in Loop: Header=BB329_3 Depth=1
	s_wait_dscnt 0x0
	v_mov_b64_e32 v[30:31], 0
	v_mov_b64_e32 v[28:29], 0
	s_cbranch_execnz .LBB329_5
.LBB329_14:                             ;   in Loop: Header=BB329_3 Depth=1
	s_lshl_b64 s[6:7], s[10:11], 3
	s_delay_alu instid0(SALU_CYCLE_1)
	s_add_nc_u64 s[6:7], s[16:17], s[6:7]
	global_load_b64 v[16:17], v47, s[6:7]
	s_wait_loadcnt 0x0
	v_add_nc_u64_e32 v[28:29], s[18:19], v[16:17]
	s_and_not1_b32 vcc_lo, exec_lo, s56
	s_cbranch_vccz .LBB329_6
	s_branch .LBB329_7
.LBB329_15:                             ;   in Loop: Header=BB329_3 Depth=1
	s_mov_b32 s54, 0
	s_cbranch_execz .LBB329_18
.LBB329_16:                             ;   in Loop: Header=BB329_3 Depth=1
	s_mov_b32 s55, s25
	s_mul_u64 s[6:7], s[42:43], s[10:11]
	s_lshl_b64 s[8:9], s[54:55], 3
	s_delay_alu instid0(SALU_CYCLE_1) | instskip(SKIP_2) | instid1(SALU_CYCLE_1)
	s_add_nc_u64 s[6:7], s[6:7], s[8:9]
	s_sub_co_i32 s8, s13, s54
	s_mul_u64 s[6:7], s[30:31], s[6:7]
	s_add_nc_u64 s[6:7], s[40:41], s[6:7]
.LBB329_17:                             ;   Parent Loop BB329_3 Depth=1
                                        ; =>  This Inner Loop Header: Depth=2
	s_add_co_i32 s8, s8, -1
	global_store_b64 v47, v[14:15], s[6:7]
	s_cmp_eq_u32 s8, 0
	s_wait_xcnt 0x0
	s_add_nc_u64 s[6:7], s[6:7], s[44:45]
	s_cbranch_scc0 .LBB329_17
.LBB329_18:                             ;   in Loop: Header=BB329_3 Depth=1
	s_wait_xcnt 0x0
	s_or_b32 exec_lo, exec_lo, s66
	s_mov_b32 s6, 0
.LBB329_19:                             ;   in Loop: Header=BB329_3 Depth=1
	s_delay_alu instid0(SALU_CYCLE_1)
	s_and_not1_b32 vcc_lo, exec_lo, s6
	s_cbranch_vccnz .LBB329_2
; %bb.20:                               ;   in Loop: Header=BB329_3 Depth=1
	v_add_nc_u64_e32 v[26:27], v[30:31], v[12:13]
	v_lshl_add_u64 v[16:17], v[2:3], 3, v[28:29]
	v_lshl_add_u64 v[18:19], v[4:5], 3, v[30:31]
	;; [unrolled: 1-line block ×5, first 2 shown]
	v_cmp_gt_u32_e64 s7, 24, v48
	v_cmp_gt_u32_e64 s6, 28, v48
	;; [unrolled: 1-line block ×3, first 2 shown]
	v_cmp_ne_u32_e64 s8, 31, v48
	s_and_not1_b32 vcc_lo, exec_lo, s61
	s_add_nc_u64 s[52:53], s[52:53], s[38:39]
	s_cbranch_vccnz .LBB329_67
; %bb.21:                               ;   in Loop: Header=BB329_3 Depth=1
	v_cndmask_b32_e64 v32, 0, 8, s7
	v_cndmask_b32_e64 v33, 0, 4, s6
	;; [unrolled: 1-line block ×3, first 2 shown]
	v_add_co_ci_u32_e64 v35, null, 0, v48, s8
	s_delay_alu instid0(VALU_DEP_4) | instskip(NEXT) | instid1(VALU_DEP_4)
	v_add_lshl_u32 v50, v32, v48, 2
	v_add_lshl_u32 v51, v33, v48, 2
	v_add_nc_u64_e32 v[30:31], v[30:31], v[12:13]
	v_mov_b64_e32 v[32:33], v[16:17]
	v_add_lshl_u32 v52, v34, v48, 2
	v_lshlrev_b32_e32 v53, 2, v35
	s_mov_b32 s24, 0
	s_branch .LBB329_23
.LBB329_22:                             ;   in Loop: Header=BB329_23 Depth=2
	s_wait_xcnt 0x0
	s_or_b32 exec_lo, exec_lo, s6
	v_add_nc_u64_e32 v[32:33], s[48:49], v[32:33]
	s_add_co_i32 s24, s24, 4
	s_delay_alu instid0(SALU_CYCLE_1)
	s_cmp_ge_i32 s24, s59
	s_cbranch_scc1 .LBB329_68
.LBB329_23:                             ;   Parent Loop BB329_3 Depth=1
                                        ; =>  This Loop Header: Depth=2
                                        ;       Child Loop BB329_53 Depth 3
                                        ;       Child Loop BB329_55 Depth 3
                                        ; implicit-def: $vgpr39
                                        ; implicit-def: $vgpr41
                                        ; implicit-def: $vgpr37
                                        ; implicit-def: $vgpr35
	s_and_saveexec_b32 s6, s1
	s_delay_alu instid0(SALU_CYCLE_1)
	s_xor_b32 s6, exec_lo, s6
	s_cbranch_execnz .LBB329_50
; %bb.24:                               ;   in Loop: Header=BB329_23 Depth=2
	s_and_not1_saveexec_b32 s6, s6
	s_cbranch_execnz .LBB329_51
.LBB329_25:                             ;   in Loop: Header=BB329_23 Depth=2
	s_or_b32 exec_lo, exec_lo, s6
	s_and_saveexec_b32 s6, s3
.LBB329_26:                             ;   in Loop: Header=BB329_23 Depth=2
	ds_store_b64 v45, v[14:15]
.LBB329_27:                             ;   in Loop: Header=BB329_23 Depth=2
	s_or_b32 exec_lo, exec_lo, s6
	ds_bpermute_b32 v42, v49, v38
	ds_bpermute_b32 v43, v49, v39
	s_wait_storecnt_dscnt 0x0
	s_barrier_signal -1
	s_barrier_wait -1
	v_pk_add_f32 v[38:39], v[38:39], v[42:43]
	ds_bpermute_b32 v42, v50, v38
	ds_bpermute_b32 v43, v50, v39
	s_wait_dscnt 0x0
	v_pk_add_f32 v[38:39], v[38:39], v[42:43]
	ds_bpermute_b32 v42, v51, v38
	ds_bpermute_b32 v43, v51, v39
	s_wait_dscnt 0x0
	;; [unrolled: 4-line block ×3, first 2 shown]
	v_pk_add_f32 v[38:39], v[38:39], v[42:43]
	ds_bpermute_b32 v42, v53, v38
	ds_bpermute_b32 v43, v53, v39
	s_and_saveexec_b32 s6, s4
	s_cbranch_execz .LBB329_29
; %bb.28:                               ;   in Loop: Header=BB329_23 Depth=2
	s_wait_dscnt 0x0
	v_pk_add_f32 v[38:39], v[38:39], v[42:43]
	ds_store_b64 v46, v[38:39]
.LBB329_29:                             ;   in Loop: Header=BB329_23 Depth=2
	s_or_b32 exec_lo, exec_lo, s6
	v_mov_b64_e32 v[38:39], 0
	s_wait_dscnt 0x0
	s_barrier_signal -1
	s_barrier_wait -1
	s_and_saveexec_b32 s6, s5
	s_cbranch_execnz .LBB329_56
; %bb.30:                               ;   in Loop: Header=BB329_23 Depth=2
	s_or_b32 exec_lo, exec_lo, s6
	s_and_saveexec_b32 s6, s3
	s_cbranch_execnz .LBB329_57
.LBB329_31:                             ;   in Loop: Header=BB329_23 Depth=2
	s_or_b32 exec_lo, exec_lo, s6
	s_and_saveexec_b32 s6, s3
.LBB329_32:                             ;   in Loop: Header=BB329_23 Depth=2
	ds_store_b64 v45, v[14:15]
.LBB329_33:                             ;   in Loop: Header=BB329_23 Depth=2
	s_or_b32 exec_lo, exec_lo, s6
	ds_bpermute_b32 v42, v49, v40
	ds_bpermute_b32 v43, v49, v41
	s_wait_dscnt 0x0
	s_barrier_signal -1
	s_barrier_wait -1
	v_pk_add_f32 v[40:41], v[40:41], v[42:43]
	ds_bpermute_b32 v42, v50, v40
	ds_bpermute_b32 v43, v50, v41
	s_wait_dscnt 0x0
	v_pk_add_f32 v[40:41], v[40:41], v[42:43]
	ds_bpermute_b32 v42, v51, v40
	ds_bpermute_b32 v43, v51, v41
	s_wait_dscnt 0x0
	;; [unrolled: 4-line block ×3, first 2 shown]
	v_pk_add_f32 v[40:41], v[40:41], v[42:43]
	ds_bpermute_b32 v42, v53, v40
	ds_bpermute_b32 v43, v53, v41
	s_and_saveexec_b32 s6, s4
	s_cbranch_execz .LBB329_35
; %bb.34:                               ;   in Loop: Header=BB329_23 Depth=2
	s_wait_dscnt 0x0
	v_pk_add_f32 v[40:41], v[40:41], v[42:43]
	ds_store_b64 v46, v[40:41]
.LBB329_35:                             ;   in Loop: Header=BB329_23 Depth=2
	s_or_b32 exec_lo, exec_lo, s6
	v_mov_b64_e32 v[40:41], 0
	s_wait_dscnt 0x0
	s_barrier_signal -1
	s_barrier_wait -1
	s_and_saveexec_b32 s6, s5
	s_cbranch_execnz .LBB329_58
; %bb.36:                               ;   in Loop: Header=BB329_23 Depth=2
	s_or_b32 exec_lo, exec_lo, s6
	s_and_saveexec_b32 s6, s3
	s_cbranch_execnz .LBB329_59
.LBB329_37:                             ;   in Loop: Header=BB329_23 Depth=2
	s_or_b32 exec_lo, exec_lo, s6
	s_and_saveexec_b32 s6, s3
.LBB329_38:                             ;   in Loop: Header=BB329_23 Depth=2
	ds_store_b64 v45, v[14:15]
.LBB329_39:                             ;   in Loop: Header=BB329_23 Depth=2
	s_or_b32 exec_lo, exec_lo, s6
	ds_bpermute_b32 v42, v49, v36
	ds_bpermute_b32 v43, v49, v37
	s_wait_dscnt 0x0
	s_barrier_signal -1
	s_barrier_wait -1
	v_pk_add_f32 v[36:37], v[36:37], v[42:43]
	ds_bpermute_b32 v42, v50, v36
	ds_bpermute_b32 v43, v50, v37
	s_wait_dscnt 0x0
	v_pk_add_f32 v[36:37], v[36:37], v[42:43]
	ds_bpermute_b32 v42, v51, v36
	ds_bpermute_b32 v43, v51, v37
	s_wait_dscnt 0x0
	;; [unrolled: 4-line block ×3, first 2 shown]
	v_pk_add_f32 v[36:37], v[36:37], v[42:43]
	ds_bpermute_b32 v42, v53, v36
	ds_bpermute_b32 v43, v53, v37
	s_and_saveexec_b32 s6, s4
	s_cbranch_execz .LBB329_41
; %bb.40:                               ;   in Loop: Header=BB329_23 Depth=2
	s_wait_dscnt 0x0
	v_pk_add_f32 v[36:37], v[36:37], v[42:43]
	ds_store_b64 v46, v[36:37]
.LBB329_41:                             ;   in Loop: Header=BB329_23 Depth=2
	s_or_b32 exec_lo, exec_lo, s6
	v_mov_b64_e32 v[36:37], 0
	s_wait_dscnt 0x0
	s_barrier_signal -1
	s_barrier_wait -1
	s_and_saveexec_b32 s6, s5
	s_cbranch_execnz .LBB329_60
; %bb.42:                               ;   in Loop: Header=BB329_23 Depth=2
	s_or_b32 exec_lo, exec_lo, s6
	s_and_saveexec_b32 s6, s3
	s_cbranch_execnz .LBB329_61
.LBB329_43:                             ;   in Loop: Header=BB329_23 Depth=2
	s_or_b32 exec_lo, exec_lo, s6
	s_and_saveexec_b32 s6, s3
.LBB329_44:                             ;   in Loop: Header=BB329_23 Depth=2
	ds_store_b64 v45, v[14:15]
.LBB329_45:                             ;   in Loop: Header=BB329_23 Depth=2
	s_or_b32 exec_lo, exec_lo, s6
	ds_bpermute_b32 v42, v49, v34
	ds_bpermute_b32 v43, v49, v35
	s_wait_dscnt 0x0
	s_barrier_signal -1
	s_barrier_wait -1
	v_pk_add_f32 v[34:35], v[34:35], v[42:43]
	ds_bpermute_b32 v42, v50, v34
	ds_bpermute_b32 v43, v50, v35
	s_wait_dscnt 0x0
	v_pk_add_f32 v[34:35], v[34:35], v[42:43]
	ds_bpermute_b32 v42, v51, v34
	ds_bpermute_b32 v43, v51, v35
	s_wait_dscnt 0x0
	;; [unrolled: 4-line block ×3, first 2 shown]
	v_pk_add_f32 v[34:35], v[34:35], v[42:43]
	ds_bpermute_b32 v42, v53, v34
	ds_bpermute_b32 v43, v53, v35
	s_and_saveexec_b32 s6, s4
	s_cbranch_execz .LBB329_47
; %bb.46:                               ;   in Loop: Header=BB329_23 Depth=2
	s_wait_dscnt 0x0
	v_pk_add_f32 v[34:35], v[34:35], v[42:43]
	ds_store_b64 v46, v[34:35]
.LBB329_47:                             ;   in Loop: Header=BB329_23 Depth=2
	s_or_b32 exec_lo, exec_lo, s6
	v_mov_b64_e32 v[34:35], 0
	s_wait_dscnt 0x0
	s_barrier_signal -1
	s_barrier_wait -1
	s_and_saveexec_b32 s6, s5
	s_cbranch_execnz .LBB329_62
; %bb.48:                               ;   in Loop: Header=BB329_23 Depth=2
	s_or_b32 exec_lo, exec_lo, s6
	s_and_saveexec_b32 s6, s3
	s_cbranch_execnz .LBB329_63
.LBB329_49:                             ;   in Loop: Header=BB329_23 Depth=2
	s_or_b32 exec_lo, exec_lo, s6
	s_and_saveexec_b32 s6, s0
	s_cbranch_execz .LBB329_22
	s_branch .LBB329_64
.LBB329_50:                             ;   in Loop: Header=BB329_23 Depth=2
	flat_load_b64 v[42:43], v[18:19]
	s_mul_u64 s[8:9], s[24:25], s[26:27]
	s_or_b32 s68, s24, 3
	s_mov_b32 s69, s25
	v_lshl_add_u64 v[62:63], s[8:9], 3, v[16:17]
	s_mul_u64 s[8:9], s[68:69], s[26:27]
	s_or_b32 s54, s24, 1
	v_lshl_add_u64 v[74:75], s[8:9], 3, v[16:17]
	s_mov_b32 s55, s25
	s_or_b32 s66, s24, 2
	s_mul_u64 s[54:55], s[54:55], s[26:27]
	s_mov_b32 s67, s25
	v_lshl_add_u64 v[66:67], s[54:55], 3, v[16:17]
	s_mul_u64 s[8:9], s[66:67], s[26:27]
	s_delay_alu instid0(SALU_CYCLE_1)
	v_lshl_add_u64 v[70:71], s[8:9], 3, v[16:17]
	s_wait_loadcnt_dscnt 0x0
	ds_store_b64 v44, v[42:43]
	flat_load_b64 v[78:79], v[20:21]
	s_wait_loadcnt_dscnt 0x0
	ds_store_b64 v44, v[78:79] offset:8
	flat_load_b64 v[34:35], v[22:23]
	s_wait_loadcnt_dscnt 0x0
	ds_store_b64 v44, v[34:35] offset:16
	;; [unrolled: 3-line block ×3, first 2 shown]
	s_clause 0x7
	flat_load_b128 v[38:41], v[74:75]
	flat_load_b128 v[34:37], v[62:63]
	;; [unrolled: 1-line block ×4, first 2 shown]
	flat_load_b128 v[62:65], v[62:63] offset:16
	flat_load_b128 v[66:69], v[66:67] offset:16
	;; [unrolled: 1-line block ×4, first 2 shown]
	s_wait_loadcnt_dscnt 0x707
	v_dual_mul_f32 v82, v39, v43 :: v_dual_mul_f32 v39, v39, v42
	v_pk_mul_f32 v[84:85], v[40:41], v[78:79] op_sel:[0,1]
	s_wait_loadcnt_dscnt 0x606
	v_dual_mul_f32 v80, v35, v43 :: v_dual_mul_f32 v35, v35, v42
	v_pk_mul_f32 v[88:89], v[36:37], v[78:79] op_sel:[0,1]
	s_wait_loadcnt_dscnt 0x505
	v_dual_mul_f32 v86, v55, v43 :: v_dual_fmac_f32 v82, v38, v42
	v_fma_f32 v83, v38, v43, -v39
	v_pk_fma_f32 v[38:39], v[40:41], v[78:79], v[84:85] op_sel:[0,0,1] op_sel_hi:[1,1,0]
	v_pk_fma_f32 v[40:41], v[40:41], v[78:79], v[84:85] op_sel:[0,0,1] op_sel_hi:[1,0,0] neg_lo:[1,0,0] neg_hi:[1,0,0]
	v_mul_f32_e32 v39, v55, v42
	s_wait_loadcnt_dscnt 0x404
	v_dual_mul_f32 v84, v59, v43 :: v_dual_fmac_f32 v80, v34, v42
	v_dual_fma_f32 v81, v34, v43, -v35 :: v_dual_mul_f32 v40, v59, v42
	v_pk_fma_f32 v[90:91], v[36:37], v[78:79], v[88:89] op_sel:[0,0,1] op_sel_hi:[1,1,0]
	v_pk_fma_f32 v[88:89], v[36:37], v[78:79], v[88:89] op_sel:[0,0,1] op_sel_hi:[1,0,0] neg_lo:[1,0,0] neg_hi:[1,0,0]
	v_pk_mul_f32 v[34:35], v[56:57], v[78:79] op_sel:[0,1]
	v_pk_mul_f32 v[36:37], v[60:61], v[78:79] op_sel:[0,1]
	v_dual_fma_f32 v87, v54, v43, -v39 :: v_dual_fmac_f32 v86, v54, v42
	v_fmac_f32_e32 v84, v58, v42
	v_fma_f32 v85, v58, v43, -v40
	v_pk_fma_f32 v[42:43], v[56:57], v[78:79], v[34:35] op_sel:[0,0,1] op_sel_hi:[1,1,0]
	v_pk_fma_f32 v[54:55], v[56:57], v[78:79], v[34:35] op_sel:[0,0,1] op_sel_hi:[1,0,0] neg_lo:[1,0,0] neg_hi:[1,0,0]
	v_pk_fma_f32 v[56:57], v[60:61], v[78:79], v[36:37] op_sel:[0,0,1] op_sel_hi:[1,1,0]
	v_pk_fma_f32 v[58:59], v[60:61], v[78:79], v[36:37] op_sel:[0,0,1] op_sel_hi:[1,0,0] neg_lo:[1,0,0] neg_hi:[1,0,0]
	ds_load_b128 v[34:37], v44 offset:16
	s_wait_loadcnt_dscnt 0x304
	v_dual_mov_b32 v40, v65 :: v_dual_mov_b32 v39, v41
	s_wait_dscnt 0x0
	v_dual_mov_b32 v91, v89 :: v_dual_mov_b32 v60, v37
	v_mov_b32_e32 v61, v36
	v_pk_mul_f32 v[92:93], v[34:35], v[62:63] op_sel:[1,1] op_sel_hi:[0,1]
	s_wait_loadcnt 0x2
	v_pk_mul_f32 v[96:97], v[34:35], v[66:67] op_sel:[1,1] op_sel_hi:[0,1]
	s_wait_loadcnt 0x1
	v_pk_mul_f32 v[100:101], v[34:35], v[70:71] op_sel:[1,1] op_sel_hi:[0,1]
	v_pk_mul_f32 v[78:79], v[60:61], v[40:41] op_sel_hi:[1,0]
	v_mov_b32_e32 v40, v69
	v_pk_fma_f32 v[94:95], v[34:35], v[62:63], v[92:93]
	s_wait_xcnt 0x3
	v_pk_fma_f32 v[62:63], v[34:35], v[62:63], v[92:93] op_sel_hi:[1,0,1] neg_lo:[0,0,1] neg_hi:[0,0,1]
	v_pk_fma_f32 v[98:99], v[34:35], v[66:67], v[96:97]
	v_pk_fma_f32 v[92:93], v[36:37], v[64:65], v[78:79]
	v_pk_fma_f32 v[64:65], v[36:37], v[64:65], v[78:79] op_sel_hi:[1,0,1] neg_lo:[0,0,1] neg_hi:[0,0,1]
	v_pk_mul_f32 v[78:79], v[60:61], v[40:41] op_sel_hi:[1,0]
	v_mov_b32_e32 v40, v73
	s_wait_xcnt 0x2
	v_pk_fma_f32 v[66:67], v[34:35], v[66:67], v[96:97] op_sel_hi:[1,0,1] neg_lo:[0,0,1] neg_hi:[0,0,1]
	v_mov_b32_e32 v95, v63
	v_pk_fma_f32 v[102:103], v[34:35], v[70:71], v[100:101]
	v_pk_fma_f32 v[96:97], v[36:37], v[68:69], v[78:79]
	v_pk_fma_f32 v[68:69], v[36:37], v[68:69], v[78:79] op_sel_hi:[1,0,1] neg_lo:[0,0,1] neg_hi:[0,0,1]
	v_pk_mul_f32 v[78:79], v[60:61], v[40:41] op_sel_hi:[1,0]
	s_wait_loadcnt 0x0
	v_mov_b32_e32 v40, v77
	s_wait_xcnt 0x1
	v_pk_fma_f32 v[70:71], v[34:35], v[70:71], v[100:101] op_sel_hi:[1,0,1] neg_lo:[0,0,1] neg_hi:[0,0,1]
	v_dual_mov_b32 v43, v55 :: v_dual_mov_b32 v99, v67
	v_pk_fma_f32 v[100:101], v[36:37], v[72:73], v[78:79]
	v_pk_mul_f32 v[60:61], v[60:61], v[40:41] op_sel_hi:[1,0]
	v_pk_mul_f32 v[40:41], v[34:35], v[74:75] op_sel:[1,1] op_sel_hi:[0,1]
	v_pk_fma_f32 v[72:73], v[36:37], v[72:73], v[78:79] op_sel_hi:[1,0,1] neg_lo:[0,0,1] neg_hi:[0,0,1]
	v_dual_mov_b32 v57, v59 :: v_dual_mov_b32 v103, v71
	v_pk_add_f32 v[54:55], v[80:81], 0 op_sel_hi:[1,0]
	s_delay_alu instid0(VALU_DEP_4)
	v_pk_fma_f32 v[78:79], v[34:35], v[74:75], v[40:41] op_sel_hi:[1,0,1] neg_lo:[0,0,1] neg_hi:[0,0,1]
	v_pk_fma_f32 v[34:35], v[34:35], v[74:75], v[40:41]
	v_pk_add_f32 v[40:41], v[82:83], 0 op_sel_hi:[1,0]
	v_pk_add_f32 v[58:59], v[86:87], 0 op_sel_hi:[1,0]
	;; [unrolled: 1-line block ×3, first 2 shown]
	v_mov_b32_e32 v35, v79
	v_pk_fma_f32 v[66:67], v[36:37], v[76:77], v[60:61]
	v_pk_fma_f32 v[36:37], v[36:37], v[76:77], v[60:61] op_sel_hi:[1,0,1] neg_lo:[0,0,1] neg_hi:[0,0,1]
	v_pk_add_f32 v[38:39], v[40:41], v[38:39]
	v_pk_add_f32 v[40:41], v[54:55], v[90:91]
	;; [unrolled: 1-line block ×4, first 2 shown]
	v_dual_mov_b32 v93, v65 :: v_dual_mov_b32 v97, v69
	v_dual_mov_b32 v101, v73 :: v_dual_mov_b32 v67, v37
	v_pk_add_f32 v[36:37], v[40:41], v[94:95]
	v_pk_add_f32 v[40:41], v[42:43], v[98:99]
	;; [unrolled: 1-line block ×4, first 2 shown]
	s_delay_alu instid0(VALU_DEP_4) | instskip(NEXT) | instid1(VALU_DEP_4)
	v_pk_add_f32 v[38:39], v[36:37], v[92:93]
	v_pk_add_f32 v[40:41], v[40:41], v[96:97]
	s_delay_alu instid0(VALU_DEP_4) | instskip(NEXT) | instid1(VALU_DEP_4)
	v_pk_add_f32 v[36:37], v[42:43], v[100:101]
	v_pk_add_f32 v[34:35], v[34:35], v[66:67]
	s_wait_xcnt 0x0
	s_and_not1_saveexec_b32 s6, s6
	s_cbranch_execz .LBB329_25
.LBB329_51:                             ;   in Loop: Header=BB329_23 Depth=2
	v_dual_mov_b32 v39, 0 :: v_dual_mov_b32 v38, 0
	v_dual_mov_b32 v41, 0 :: v_dual_mov_b32 v40, 0
	;; [unrolled: 1-line block ×3, first 2 shown]
	s_wait_dscnt 0x0
	v_dual_mov_b32 v35, 0 :: v_dual_mov_b32 v34, 0
	s_and_saveexec_b32 s7, s2
	s_cbranch_execz .LBB329_66
; %bb.52:                               ;   in Loop: Header=BB329_23 Depth=2
	v_mov_b64_e32 v[34:35], v[30:31]
	v_mov_b32_e32 v36, v44
	s_and_not1_b32 vcc_lo, exec_lo, s12
	s_mov_b32 s8, s60
	s_cbranch_vccnz .LBB329_65
.LBB329_53:                             ;   Parent Loop BB329_3 Depth=1
                                        ;     Parent Loop BB329_23 Depth=2
                                        ; =>    This Inner Loop Header: Depth=3
	flat_load_b64 v[38:39], v[34:35]
	s_wait_xcnt 0x0
	v_add_nc_u64_e32 v[34:35], s[46:47], v[34:35]
	s_add_co_i32 s8, s8, -1
	s_delay_alu instid0(SALU_CYCLE_1)
	s_cmp_eq_u32 s8, 0
	s_wait_loadcnt_dscnt 0x0
	ds_store_b64 v36, v[38:39]
	v_add_nc_u32_e32 v36, 8, v36
	s_cbranch_scc0 .LBB329_53
; %bb.54:                               ;   in Loop: Header=BB329_23 Depth=2
	v_dual_mov_b32 v34, 0 :: v_dual_mov_b32 v54, v44
	v_mov_b64_e32 v[42:43], v[32:33]
	s_mov_b32 s8, s60
	s_delay_alu instid0(VALU_DEP_2)
	v_dual_mov_b32 v35, v34 :: v_dual_mov_b32 v36, v34
	v_dual_mov_b32 v37, v34 :: v_dual_mov_b32 v40, v34
	;; [unrolled: 1-line block ×3, first 2 shown]
	v_mov_b32_e32 v39, v34
.LBB329_55:                             ;   Parent Loop BB329_3 Depth=1
                                        ;     Parent Loop BB329_23 Depth=2
                                        ; =>    This Inner Loop Header: Depth=3
	v_add_nc_u64_e32 v[56:57], s[50:51], v[42:43]
	s_add_co_i32 s8, s8, -1
	s_delay_alu instid0(SALU_CYCLE_1) | instskip(NEXT) | instid1(VALU_DEP_1)
	s_cmp_lg_u32 s8, 0
	v_add_nc_u64_e32 v[58:59], s[50:51], v[56:57]
	s_delay_alu instid0(VALU_DEP_1)
	v_add_nc_u64_e32 v[60:61], s[50:51], v[58:59]
	s_clause 0x3
	flat_load_b64 v[62:63], v[42:43]
	flat_load_b64 v[56:57], v[56:57]
	;; [unrolled: 1-line block ×4, first 2 shown]
	ds_load_b64 v[64:65], v54
	s_wait_xcnt 0x3
	v_add_nc_u64_e32 v[42:43], 8, v[42:43]
	s_wait_loadcnt_dscnt 0x300
	v_pk_mul_f32 v[66:67], v[64:65], v[62:63] op_sel:[1,1] op_sel_hi:[0,1]
	s_wait_loadcnt 0x0
	v_pk_mul_f32 v[70:71], v[64:65], v[60:61] op_sel:[1,1] op_sel_hi:[0,1]
	s_delay_alu instid0(VALU_DEP_2)
	v_pk_fma_f32 v[68:69], v[64:65], v[62:63], v[66:67] op_sel_hi:[1,0,1] neg_lo:[0,0,1] neg_hi:[0,0,1]
	v_pk_fma_f32 v[62:63], v[64:65], v[62:63], v[66:67]
	v_add_nc_u32_e32 v54, 8, v54
	v_pk_mul_f32 v[66:67], v[64:65], v[56:57] op_sel:[1,1] op_sel_hi:[0,1]
	v_pk_fma_f32 v[74:75], v[64:65], v[60:61], v[70:71] op_sel_hi:[1,0,1] neg_lo:[0,0,1] neg_hi:[0,0,1]
	v_mov_b32_e32 v63, v69
	v_pk_mul_f32 v[68:69], v[64:65], v[58:59] op_sel:[1,1] op_sel_hi:[0,1]
	s_wait_xcnt 0x0
	v_pk_fma_f32 v[60:61], v[64:65], v[60:61], v[70:71]
	v_pk_fma_f32 v[72:73], v[64:65], v[56:57], v[66:67] op_sel_hi:[1,0,1] neg_lo:[0,0,1] neg_hi:[0,0,1]
	v_pk_fma_f32 v[56:57], v[64:65], v[56:57], v[66:67]
	v_mov_b32_e32 v61, v75
	v_pk_fma_f32 v[66:67], v[64:65], v[58:59], v[68:69] op_sel_hi:[1,0,1] neg_lo:[0,0,1] neg_hi:[0,0,1]
	v_pk_fma_f32 v[58:59], v[64:65], v[58:59], v[68:69]
	v_mov_b32_e32 v57, v73
	v_pk_add_f32 v[38:39], v[38:39], v[62:63]
	v_pk_add_f32 v[34:35], v[34:35], v[60:61]
	v_mov_b32_e32 v59, v67
	s_delay_alu instid0(VALU_DEP_4) | instskip(NEXT) | instid1(VALU_DEP_2)
	v_pk_add_f32 v[40:41], v[40:41], v[56:57]
	v_pk_add_f32 v[36:37], v[36:37], v[58:59]
	s_cbranch_scc1 .LBB329_55
	s_branch .LBB329_66
.LBB329_56:                             ;   in Loop: Header=BB329_23 Depth=2
	ds_load_b64 v[38:39], v45
	s_or_b32 exec_lo, exec_lo, s6
	s_and_saveexec_b32 s6, s3
	s_cbranch_execz .LBB329_31
.LBB329_57:                             ;   in Loop: Header=BB329_23 Depth=2
	s_wait_dscnt 0x0
	ds_bpermute_b32 v42, v51, v38
	ds_bpermute_b32 v43, v51, v39
	s_wait_dscnt 0x0
	v_pk_add_f32 v[38:39], v[38:39], v[42:43]
	ds_bpermute_b32 v42, v52, v38
	ds_bpermute_b32 v43, v52, v39
	s_wait_dscnt 0x0
	v_pk_add_f32 v[38:39], v[38:39], v[42:43]
	;; [unrolled: 4-line block ×3, first 2 shown]
	s_or_b32 exec_lo, exec_lo, s6
	s_and_saveexec_b32 s6, s3
	s_cbranch_execnz .LBB329_32
	s_branch .LBB329_33
.LBB329_58:                             ;   in Loop: Header=BB329_23 Depth=2
	ds_load_b64 v[40:41], v45
	s_or_b32 exec_lo, exec_lo, s6
	s_and_saveexec_b32 s6, s3
	s_cbranch_execz .LBB329_37
.LBB329_59:                             ;   in Loop: Header=BB329_23 Depth=2
	s_wait_dscnt 0x0
	ds_bpermute_b32 v42, v51, v40
	ds_bpermute_b32 v43, v51, v41
	s_wait_dscnt 0x0
	v_pk_add_f32 v[40:41], v[40:41], v[42:43]
	ds_bpermute_b32 v42, v52, v40
	ds_bpermute_b32 v43, v52, v41
	s_wait_dscnt 0x0
	v_pk_add_f32 v[40:41], v[40:41], v[42:43]
	;; [unrolled: 4-line block ×3, first 2 shown]
	s_or_b32 exec_lo, exec_lo, s6
	s_and_saveexec_b32 s6, s3
	s_cbranch_execnz .LBB329_38
	s_branch .LBB329_39
.LBB329_60:                             ;   in Loop: Header=BB329_23 Depth=2
	ds_load_b64 v[36:37], v45
	s_or_b32 exec_lo, exec_lo, s6
	s_and_saveexec_b32 s6, s3
	s_cbranch_execz .LBB329_43
.LBB329_61:                             ;   in Loop: Header=BB329_23 Depth=2
	s_wait_dscnt 0x0
	ds_bpermute_b32 v42, v51, v36
	ds_bpermute_b32 v43, v51, v37
	s_wait_dscnt 0x0
	v_pk_add_f32 v[36:37], v[36:37], v[42:43]
	ds_bpermute_b32 v42, v52, v36
	ds_bpermute_b32 v43, v52, v37
	s_wait_dscnt 0x0
	v_pk_add_f32 v[36:37], v[36:37], v[42:43]
	;; [unrolled: 4-line block ×3, first 2 shown]
	s_or_b32 exec_lo, exec_lo, s6
	s_and_saveexec_b32 s6, s3
	s_cbranch_execnz .LBB329_44
	s_branch .LBB329_45
.LBB329_62:                             ;   in Loop: Header=BB329_23 Depth=2
	ds_load_b64 v[34:35], v45
	s_or_b32 exec_lo, exec_lo, s6
	s_and_saveexec_b32 s6, s3
	s_cbranch_execz .LBB329_49
.LBB329_63:                             ;   in Loop: Header=BB329_23 Depth=2
	s_wait_dscnt 0x0
	ds_bpermute_b32 v42, v51, v34
	ds_bpermute_b32 v43, v51, v35
	s_wait_dscnt 0x0
	v_pk_add_f32 v[34:35], v[34:35], v[42:43]
	ds_bpermute_b32 v42, v52, v34
	ds_bpermute_b32 v43, v52, v35
	s_wait_dscnt 0x0
	v_pk_add_f32 v[34:35], v[34:35], v[42:43]
	;; [unrolled: 4-line block ×3, first 2 shown]
	s_or_b32 exec_lo, exec_lo, s6
	s_and_saveexec_b32 s6, s0
	s_cbranch_execz .LBB329_22
.LBB329_64:                             ;   in Loop: Header=BB329_23 Depth=2
	v_mov_b64_e32 v[42:43], s[36:37]
	v_mov_b64_e32 v[54:55], s[14:15]
	s_or_b32 s54, s24, 1
	s_mov_b32 s55, s25
	s_mul_u64 s[8:9], s[24:25], s[30:31]
	s_mul_u64 s[54:55], s[54:55], s[30:31]
	s_lshl_b64 s[8:9], s[8:9], 3
	v_pk_mul_f32 v[56:57], v[38:39], v[42:43] op_sel:[1,0]
	v_pk_mul_f32 v[58:59], v[40:41], v[42:43] op_sel:[1,0]
	s_lshl_b64 s[54:55], s[54:55], 3
	s_add_nc_u64 s[8:9], s[52:53], s[8:9]
	s_add_nc_u64 s[54:55], s[52:53], s[54:55]
	v_pk_fma_f32 v[60:61], v[38:39], v[54:55], v[56:57] op_sel_hi:[0,1,1]
	v_pk_fma_f32 v[62:63], v[40:41], v[54:55], v[58:59] op_sel_hi:[0,1,1]
	v_pk_fma_f32 v[38:39], v[38:39], v[54:55], v[56:57] neg_lo:[0,0,1] neg_hi:[0,0,1]
	v_pk_fma_f32 v[40:41], v[40:41], v[54:55], v[58:59] neg_lo:[0,0,1] neg_hi:[0,0,1]
	s_or_b32 s66, s24, 2
	s_delay_alu instid0(VALU_DEP_3)
	v_dual_mov_b32 v39, v61 :: v_dual_mov_b32 v41, v63
	s_mov_b32 s67, s25
	global_store_b64 v47, v[38:39], s[8:9]
	s_wait_xcnt 0x0
	v_pk_mul_f32 v[38:39], v[36:37], v[42:43] op_sel:[1,0]
	global_store_b64 v47, v[40:41], s[54:55]
	s_wait_dscnt 0x0
	s_wait_xcnt 0x0
	v_pk_mul_f32 v[40:41], v[34:35], v[42:43] op_sel:[1,0]
	s_or_b32 s54, s24, 3
	s_mov_b32 s55, s25
	v_pk_fma_f32 v[42:43], v[36:37], v[54:55], v[38:39] op_sel_hi:[0,1,1]
	v_pk_fma_f32 v[36:37], v[36:37], v[54:55], v[38:39] neg_lo:[0,0,1] neg_hi:[0,0,1]
	v_pk_fma_f32 v[38:39], v[34:35], v[54:55], v[40:41] op_sel_hi:[0,1,1]
	s_mul_u64 s[8:9], s[66:67], s[30:31]
	s_mul_u64 s[54:55], s[54:55], s[30:31]
	v_mov_b32_e32 v37, v43
	v_pk_fma_f32 v[34:35], v[34:35], v[54:55], v[40:41] neg_lo:[0,0,1] neg_hi:[0,0,1]
	s_lshl_b64 s[8:9], s[8:9], 3
	v_mov_b32_e32 v35, v39
	s_lshl_b64 s[54:55], s[54:55], 3
	s_add_nc_u64 s[8:9], s[52:53], s[8:9]
	s_add_nc_u64 s[54:55], s[52:53], s[54:55]
	s_clause 0x1
	global_store_b64 v47, v[36:37], s[8:9]
	global_store_b64 v47, v[34:35], s[54:55]
	s_branch .LBB329_22
.LBB329_65:                             ;   in Loop: Header=BB329_23 Depth=2
	v_mov_b32_e32 v39, 0
	s_delay_alu instid0(VALU_DEP_1)
	v_dual_mov_b32 v38, v39 :: v_dual_mov_b32 v41, v39
	v_dual_mov_b32 v40, v39 :: v_dual_mov_b32 v37, v39
	;; [unrolled: 1-line block ×3, first 2 shown]
	v_mov_b32_e32 v34, v39
.LBB329_66:                             ;   in Loop: Header=BB329_23 Depth=2
	s_or_b32 exec_lo, exec_lo, s7
	s_delay_alu instid0(SALU_CYCLE_1)
	s_or_b32 exec_lo, exec_lo, s6
	s_and_saveexec_b32 s6, s3
	s_cbranch_execnz .LBB329_26
	s_branch .LBB329_27
.LBB329_67:                             ;   in Loop: Header=BB329_3 Depth=1
	s_mov_b32 s24, 0
.LBB329_68:                             ;   in Loop: Header=BB329_3 Depth=1
	s_delay_alu instid0(SALU_CYCLE_1)
	s_cmp_ge_i32 s24, s13
	s_cbranch_scc1 .LBB329_2
; %bb.69:                               ;   in Loop: Header=BB329_3 Depth=1
	v_cmp_gt_u32_e32 vcc_lo, 24, v48
	v_add_nc_u64_e32 v[28:29], v[28:29], v[0:1]
	v_cndmask_b32_e64 v30, 0, 8, vcc_lo
	v_cmp_gt_u32_e32 vcc_lo, 28, v48
	s_delay_alu instid0(VALU_DEP_3) | instskip(SKIP_1) | instid1(VALU_DEP_3)
	v_mad_nc_u64_u32 v[28:29], s50, s24, v[28:29]
	s_wait_dscnt 0x0
	v_add_lshl_u32 v34, v30, v48, 2
	v_cndmask_b32_e64 v31, 0, 4, vcc_lo
	v_cmp_gt_u32_e32 vcc_lo, 30, v48
	s_delay_alu instid0(VALU_DEP_2) | instskip(SKIP_3) | instid1(VALU_DEP_3)
	v_add_lshl_u32 v35, v31, v48, 2
	v_cndmask_b32_e64 v32, 0, 2, vcc_lo
	v_cmp_ne_u32_e32 vcc_lo, 31, v48
	v_mad_u32 v29, s51, s24, v29
	v_add_lshl_u32 v36, v32, v48, 2
	v_add_co_ci_u32_e64 v33, null, 0, v48, vcc_lo
	s_delay_alu instid0(VALU_DEP_1)
	v_lshlrev_b32_e32 v37, 2, v33
	s_branch .LBB329_71
.LBB329_70:                             ;   in Loop: Header=BB329_71 Depth=2
	s_wait_xcnt 0x0
	s_or_b32 exec_lo, exec_lo, s6
	v_add_nc_u64_e32 v[28:29], s[50:51], v[28:29]
	s_add_co_i32 s24, s24, 1
	s_delay_alu instid0(SALU_CYCLE_1)
	s_cmp_ge_i32 s24, s13
	s_cbranch_scc1 .LBB329_2
.LBB329_71:                             ;   Parent Loop BB329_3 Depth=1
                                        ; =>  This Loop Header: Depth=2
                                        ;       Child Loop BB329_83 Depth 3
                                        ;       Child Loop BB329_85 Depth 3
                                        ; implicit-def: $vgpr31
	s_and_saveexec_b32 s6, s1
	s_delay_alu instid0(SALU_CYCLE_1)
	s_xor_b32 s6, exec_lo, s6
	s_cbranch_execnz .LBB329_80
; %bb.72:                               ;   in Loop: Header=BB329_71 Depth=2
	s_and_not1_saveexec_b32 s6, s6
	s_cbranch_execnz .LBB329_81
.LBB329_73:                             ;   in Loop: Header=BB329_71 Depth=2
	s_or_b32 exec_lo, exec_lo, s6
	s_and_saveexec_b32 s6, s3
.LBB329_74:                             ;   in Loop: Header=BB329_71 Depth=2
	ds_store_b64 v45, v[14:15]
.LBB329_75:                             ;   in Loop: Header=BB329_71 Depth=2
	s_or_b32 exec_lo, exec_lo, s6
	s_wait_dscnt 0x0
	ds_bpermute_b32 v32, v49, v30
	ds_bpermute_b32 v33, v49, v31
	s_wait_storecnt_dscnt 0x0
	s_barrier_signal -1
	s_barrier_wait -1
	v_pk_add_f32 v[30:31], v[30:31], v[32:33]
	ds_bpermute_b32 v32, v34, v30
	ds_bpermute_b32 v33, v34, v31
	s_wait_dscnt 0x0
	v_pk_add_f32 v[30:31], v[30:31], v[32:33]
	ds_bpermute_b32 v32, v35, v30
	ds_bpermute_b32 v33, v35, v31
	s_wait_dscnt 0x0
	;; [unrolled: 4-line block ×3, first 2 shown]
	v_pk_add_f32 v[30:31], v[30:31], v[32:33]
	ds_bpermute_b32 v32, v37, v30
	ds_bpermute_b32 v33, v37, v31
	s_and_saveexec_b32 s6, s4
	s_cbranch_execz .LBB329_77
; %bb.76:                               ;   in Loop: Header=BB329_71 Depth=2
	s_wait_dscnt 0x0
	v_pk_add_f32 v[30:31], v[30:31], v[32:33]
	ds_store_b64 v46, v[30:31]
.LBB329_77:                             ;   in Loop: Header=BB329_71 Depth=2
	s_or_b32 exec_lo, exec_lo, s6
	v_mov_b64_e32 v[30:31], 0
	s_wait_dscnt 0x0
	s_barrier_signal -1
	s_barrier_wait -1
	s_and_saveexec_b32 s6, s5
	s_cbranch_execnz .LBB329_87
; %bb.78:                               ;   in Loop: Header=BB329_71 Depth=2
	s_or_b32 exec_lo, exec_lo, s6
	s_and_saveexec_b32 s6, s3
	s_cbranch_execnz .LBB329_88
.LBB329_79:                             ;   in Loop: Header=BB329_71 Depth=2
	s_or_b32 exec_lo, exec_lo, s6
	s_and_saveexec_b32 s6, s0
	s_cbranch_execz .LBB329_70
	s_branch .LBB329_89
.LBB329_80:                             ;   in Loop: Header=BB329_71 Depth=2
	flat_load_b64 v[42:43], v[18:19]
	s_mul_u64 s[8:9], s[24:25], s[26:27]
	s_delay_alu instid0(SALU_CYCLE_1)
	v_lshl_add_u64 v[38:39], s[8:9], 3, v[16:17]
	s_wait_loadcnt_dscnt 0x0
	ds_store_b64 v44, v[42:43]
	flat_load_b64 v[50:51], v[20:21]
	s_wait_loadcnt_dscnt 0x0
	ds_store_b64 v44, v[50:51] offset:8
	flat_load_b64 v[52:53], v[22:23]
	s_wait_loadcnt_dscnt 0x0
	v_dual_mov_b32 v56, v51 :: v_dual_mov_b32 v58, v53
	ds_store_b64 v44, v[52:53] offset:16
	flat_load_b64 v[54:55], v[24:25]
	s_wait_loadcnt_dscnt 0x0
	ds_store_b64 v44, v[54:55] offset:24
	s_clause 0x1
	flat_load_b128 v[30:33], v[38:39]
	flat_load_b128 v[38:41], v[38:39] offset:16
	s_wait_loadcnt_dscnt 0x101
	v_dual_mul_f32 v60, v31, v43 :: v_dual_mul_f32 v31, v31, v42
	v_dual_mov_b32 v62, v33 :: v_dual_mov_b32 v63, v32
	v_pk_mul_f32 v[32:33], v[32:33], v[50:51] op_sel_hi:[1,0]
	s_wait_loadcnt_dscnt 0x0
	v_pk_mul_f32 v[64:65], v[38:39], v[52:53] op_sel_hi:[1,0]
	v_dual_mov_b32 v66, v41 :: v_dual_fmac_f32 v60, v30, v42
	v_dual_fma_f32 v61, v30, v43, -v31 :: v_dual_mov_b32 v67, v40
	v_pk_fma_f32 v[30:31], v[62:63], v[50:51], v[32:33] op_sel:[0,1,0] neg_lo:[0,0,1] neg_hi:[0,0,1]
	v_pk_fma_f32 v[32:33], v[62:63], v[56:57], v[32:33]
	v_pk_fma_f32 v[42:43], v[38:39], v[52:53], v[64:65] op_sel:[1,1,0] op_sel_hi:[0,1,1] neg_lo:[0,0,1] neg_hi:[0,0,1]
	s_delay_alu instid0(VALU_DEP_4)
	v_pk_add_f32 v[50:51], v[60:61], 0 op_sel_hi:[1,0]
	s_wait_xcnt 0x0
	v_pk_fma_f32 v[38:39], v[38:39], v[58:59], v[64:65] op_sel:[1,0,0] op_sel_hi:[0,1,1]
	v_mov_b32_e32 v33, v31
	v_pk_mul_f32 v[30:31], v[40:41], v[54:55] op_sel_hi:[1,0]
	v_dual_mov_b32 v40, v55 :: v_dual_mov_b32 v39, v43
	s_delay_alu instid0(VALU_DEP_3) | instskip(NEXT) | instid1(VALU_DEP_3)
	v_pk_add_f32 v[32:33], v[50:51], v[32:33]
	v_pk_fma_f32 v[42:43], v[66:67], v[54:55], v[30:31] op_sel:[0,1,0] neg_lo:[0,0,1] neg_hi:[0,0,1]
	s_delay_alu instid0(VALU_DEP_3) | instskip(NEXT) | instid1(VALU_DEP_2)
	v_pk_fma_f32 v[30:31], v[66:67], v[40:41], v[30:31]
	v_mov_b32_e32 v31, v43
	s_delay_alu instid0(VALU_DEP_4) | instskip(NEXT) | instid1(VALU_DEP_1)
	v_pk_add_f32 v[32:33], v[32:33], v[38:39]
	v_pk_add_f32 v[30:31], v[32:33], v[30:31]
	s_and_not1_saveexec_b32 s6, s6
	s_cbranch_execz .LBB329_73
.LBB329_81:                             ;   in Loop: Header=BB329_71 Depth=2
	s_wait_dscnt 0x0
	v_mov_b32_e32 v31, 0
	s_delay_alu instid0(VALU_DEP_1)
	v_mov_b32_e32 v30, v31
	s_and_saveexec_b32 s7, s62
	s_cbranch_execz .LBB329_86
; %bb.82:                               ;   in Loop: Header=BB329_71 Depth=2
	v_mov_b64_e32 v[30:31], v[26:27]
	v_mov_b32_e32 v32, v44
	s_mov_b32 s8, s60
.LBB329_83:                             ;   Parent Loop BB329_3 Depth=1
                                        ;     Parent Loop BB329_71 Depth=2
                                        ; =>    This Inner Loop Header: Depth=3
	flat_load_b64 v[38:39], v[30:31]
	s_wait_xcnt 0x0
	v_add_nc_u64_e32 v[30:31], s[46:47], v[30:31]
	s_add_co_i32 s8, s8, -1
	s_delay_alu instid0(SALU_CYCLE_1)
	s_cmp_eq_u32 s8, 0
	s_wait_loadcnt_dscnt 0x0
	ds_store_b64 v32, v[38:39]
	v_add_nc_u32_e32 v32, 8, v32
	s_cbranch_scc0 .LBB329_83
; %bb.84:                               ;   in Loop: Header=BB329_71 Depth=2
	v_dual_mov_b32 v30, 0 :: v_dual_mov_b32 v38, v44
	v_mov_b64_e32 v[32:33], v[28:29]
	s_mov_b32 s8, s60
	s_delay_alu instid0(VALU_DEP_2)
	v_mov_b32_e32 v31, v30
.LBB329_85:                             ;   Parent Loop BB329_3 Depth=1
                                        ;     Parent Loop BB329_71 Depth=2
                                        ; =>    This Inner Loop Header: Depth=3
	flat_load_b64 v[40:41], v[32:33] offset:-4
	ds_load_b64 v[42:43], v38
	s_wait_xcnt 0x0
	v_add_nc_u64_e32 v[32:33], 8, v[32:33]
	s_add_co_i32 s8, s8, -1
	v_add_nc_u32_e32 v38, 8, v38
	s_cmp_lg_u32 s8, 0
	s_wait_loadcnt_dscnt 0x0
	v_pk_mul_f32 v[50:51], v[40:41], v[42:43] op_sel:[1,1] op_sel_hi:[1,0]
	s_delay_alu instid0(VALU_DEP_1) | instskip(SKIP_1) | instid1(VALU_DEP_2)
	v_pk_fma_f32 v[52:53], v[40:41], v[42:43], v[50:51] op_sel_hi:[0,1,1] neg_lo:[0,0,1] neg_hi:[0,0,1]
	v_pk_fma_f32 v[40:41], v[40:41], v[42:43], v[50:51]
	v_mov_b32_e32 v41, v53
	s_delay_alu instid0(VALU_DEP_1)
	v_pk_add_f32 v[30:31], v[30:31], v[40:41]
	s_cbranch_scc1 .LBB329_85
.LBB329_86:                             ;   in Loop: Header=BB329_71 Depth=2
	s_or_b32 exec_lo, exec_lo, s7
	s_delay_alu instid0(SALU_CYCLE_1)
	s_or_b32 exec_lo, exec_lo, s6
	s_and_saveexec_b32 s6, s3
	s_cbranch_execnz .LBB329_74
	s_branch .LBB329_75
.LBB329_87:                             ;   in Loop: Header=BB329_71 Depth=2
	ds_load_b64 v[30:31], v45
	s_or_b32 exec_lo, exec_lo, s6
	s_and_saveexec_b32 s6, s3
	s_cbranch_execz .LBB329_79
.LBB329_88:                             ;   in Loop: Header=BB329_71 Depth=2
	s_wait_dscnt 0x0
	ds_bpermute_b32 v32, v35, v30
	ds_bpermute_b32 v33, v35, v31
	s_wait_dscnt 0x0
	v_pk_add_f32 v[30:31], v[30:31], v[32:33]
	ds_bpermute_b32 v32, v36, v30
	ds_bpermute_b32 v33, v36, v31
	s_wait_dscnt 0x0
	v_pk_add_f32 v[30:31], v[30:31], v[32:33]
	;; [unrolled: 4-line block ×3, first 2 shown]
	s_or_b32 exec_lo, exec_lo, s6
	s_and_saveexec_b32 s6, s0
	s_cbranch_execz .LBB329_70
.LBB329_89:                             ;   in Loop: Header=BB329_71 Depth=2
	v_mov_b64_e32 v[32:33], s[36:37]
	v_mov_b64_e32 v[38:39], s[14:15]
	s_mul_u64 s[8:9], s[24:25], s[30:31]
	s_delay_alu instid0(SALU_CYCLE_1) | instskip(NEXT) | instid1(SALU_CYCLE_1)
	s_lshl_b64 s[8:9], s[8:9], 3
	s_add_nc_u64 s[8:9], s[52:53], s[8:9]
	s_wait_dscnt 0x0
	s_delay_alu instid0(VALU_DEP_2) | instskip(NEXT) | instid1(VALU_DEP_1)
	v_pk_mul_f32 v[32:33], v[30:31], v[32:33] op_sel:[1,0]
	v_pk_fma_f32 v[40:41], v[30:31], v[38:39], v[32:33] op_sel_hi:[0,1,1]
	v_pk_fma_f32 v[30:31], v[30:31], v[38:39], v[32:33] neg_lo:[0,0,1] neg_hi:[0,0,1]
	s_delay_alu instid0(VALU_DEP_2)
	v_mov_b32_e32 v31, v41
	global_store_b64 v47, v[30:31], s[8:9]
	s_branch .LBB329_70
.LBB329_90:
	s_sendmsg sendmsg(MSG_DEALLOC_VGPRS)
	s_endpgm
	.section	.rodata,"a",@progbits
	.p2align	6, 0x0
	.amdhsa_kernel _ZL23rocblas_gemvt_sn_kernelILb1ELi256ELi4ElPK19rocblas_complex_numIfES1_S1_EviiT4_lPKT3_lilS7_lilPT5_i
		.amdhsa_group_segment_fixed_size 8448
		.amdhsa_private_segment_fixed_size 0
		.amdhsa_kernarg_size 360
		.amdhsa_user_sgpr_count 4
		.amdhsa_user_sgpr_dispatch_ptr 1
		.amdhsa_user_sgpr_queue_ptr 0
		.amdhsa_user_sgpr_kernarg_segment_ptr 1
		.amdhsa_user_sgpr_dispatch_id 0
		.amdhsa_user_sgpr_kernarg_preload_length 0
		.amdhsa_user_sgpr_kernarg_preload_offset 0
		.amdhsa_user_sgpr_private_segment_size 0
		.amdhsa_wavefront_size32 1
		.amdhsa_uses_dynamic_stack 0
		.amdhsa_enable_private_segment 0
		.amdhsa_system_sgpr_workgroup_id_x 1
		.amdhsa_system_sgpr_workgroup_id_y 0
		.amdhsa_system_sgpr_workgroup_id_z 1
		.amdhsa_system_sgpr_workgroup_info 0
		.amdhsa_system_vgpr_workitem_id 2
		.amdhsa_next_free_vgpr 104
		.amdhsa_next_free_sgpr 72
		.amdhsa_named_barrier_count 0
		.amdhsa_reserve_vcc 1
		.amdhsa_float_round_mode_32 0
		.amdhsa_float_round_mode_16_64 0
		.amdhsa_float_denorm_mode_32 3
		.amdhsa_float_denorm_mode_16_64 3
		.amdhsa_fp16_overflow 0
		.amdhsa_memory_ordered 1
		.amdhsa_forward_progress 1
		.amdhsa_inst_pref_size 44
		.amdhsa_round_robin_scheduling 0
		.amdhsa_exception_fp_ieee_invalid_op 0
		.amdhsa_exception_fp_denorm_src 0
		.amdhsa_exception_fp_ieee_div_zero 0
		.amdhsa_exception_fp_ieee_overflow 0
		.amdhsa_exception_fp_ieee_underflow 0
		.amdhsa_exception_fp_ieee_inexact 0
		.amdhsa_exception_int_div_zero 0
	.end_amdhsa_kernel
	.section	.text._ZL23rocblas_gemvt_sn_kernelILb1ELi256ELi4ElPK19rocblas_complex_numIfES1_S1_EviiT4_lPKT3_lilS7_lilPT5_i,"axG",@progbits,_ZL23rocblas_gemvt_sn_kernelILb1ELi256ELi4ElPK19rocblas_complex_numIfES1_S1_EviiT4_lPKT3_lilS7_lilPT5_i,comdat
.Lfunc_end329:
	.size	_ZL23rocblas_gemvt_sn_kernelILb1ELi256ELi4ElPK19rocblas_complex_numIfES1_S1_EviiT4_lPKT3_lilS7_lilPT5_i, .Lfunc_end329-_ZL23rocblas_gemvt_sn_kernelILb1ELi256ELi4ElPK19rocblas_complex_numIfES1_S1_EviiT4_lPKT3_lilS7_lilPT5_i
                                        ; -- End function
	.set _ZL23rocblas_gemvt_sn_kernelILb1ELi256ELi4ElPK19rocblas_complex_numIfES1_S1_EviiT4_lPKT3_lilS7_lilPT5_i.num_vgpr, 104
	.set _ZL23rocblas_gemvt_sn_kernelILb1ELi256ELi4ElPK19rocblas_complex_numIfES1_S1_EviiT4_lPKT3_lilS7_lilPT5_i.num_agpr, 0
	.set _ZL23rocblas_gemvt_sn_kernelILb1ELi256ELi4ElPK19rocblas_complex_numIfES1_S1_EviiT4_lPKT3_lilS7_lilPT5_i.numbered_sgpr, 72
	.set _ZL23rocblas_gemvt_sn_kernelILb1ELi256ELi4ElPK19rocblas_complex_numIfES1_S1_EviiT4_lPKT3_lilS7_lilPT5_i.num_named_barrier, 0
	.set _ZL23rocblas_gemvt_sn_kernelILb1ELi256ELi4ElPK19rocblas_complex_numIfES1_S1_EviiT4_lPKT3_lilS7_lilPT5_i.private_seg_size, 0
	.set _ZL23rocblas_gemvt_sn_kernelILb1ELi256ELi4ElPK19rocblas_complex_numIfES1_S1_EviiT4_lPKT3_lilS7_lilPT5_i.uses_vcc, 1
	.set _ZL23rocblas_gemvt_sn_kernelILb1ELi256ELi4ElPK19rocblas_complex_numIfES1_S1_EviiT4_lPKT3_lilS7_lilPT5_i.uses_flat_scratch, 1
	.set _ZL23rocblas_gemvt_sn_kernelILb1ELi256ELi4ElPK19rocblas_complex_numIfES1_S1_EviiT4_lPKT3_lilS7_lilPT5_i.has_dyn_sized_stack, 0
	.set _ZL23rocblas_gemvt_sn_kernelILb1ELi256ELi4ElPK19rocblas_complex_numIfES1_S1_EviiT4_lPKT3_lilS7_lilPT5_i.has_recursion, 0
	.set _ZL23rocblas_gemvt_sn_kernelILb1ELi256ELi4ElPK19rocblas_complex_numIfES1_S1_EviiT4_lPKT3_lilS7_lilPT5_i.has_indirect_call, 0
	.section	.AMDGPU.csdata,"",@progbits
; Kernel info:
; codeLenInByte = 5608
; TotalNumSgprs: 74
; NumVgprs: 104
; ScratchSize: 0
; MemoryBound: 0
; FloatMode: 240
; IeeeMode: 1
; LDSByteSize: 8448 bytes/workgroup (compile time only)
; SGPRBlocks: 0
; VGPRBlocks: 6
; NumSGPRsForWavesPerEU: 74
; NumVGPRsForWavesPerEU: 104
; NamedBarCnt: 0
; Occupancy: 9
; WaveLimiterHint : 0
; COMPUTE_PGM_RSRC2:SCRATCH_EN: 0
; COMPUTE_PGM_RSRC2:USER_SGPR: 4
; COMPUTE_PGM_RSRC2:TRAP_HANDLER: 0
; COMPUTE_PGM_RSRC2:TGID_X_EN: 1
; COMPUTE_PGM_RSRC2:TGID_Y_EN: 0
; COMPUTE_PGM_RSRC2:TGID_Z_EN: 1
; COMPUTE_PGM_RSRC2:TIDIG_COMP_CNT: 2
	.section	.text._ZL20rocblas_gemvt_kernelILb1ELi256EPK19rocblas_complex_numIfES3_KPS1_EviiT2_lPKT1_lilS9_lilS6_lPT3_lili,"axG",@progbits,_ZL20rocblas_gemvt_kernelILb1ELi256EPK19rocblas_complex_numIfES3_KPS1_EviiT2_lPKT1_lilS9_lilS6_lPT3_lili,comdat
	.globl	_ZL20rocblas_gemvt_kernelILb1ELi256EPK19rocblas_complex_numIfES3_KPS1_EviiT2_lPKT1_lilS9_lilS6_lPT3_lili ; -- Begin function _ZL20rocblas_gemvt_kernelILb1ELi256EPK19rocblas_complex_numIfES3_KPS1_EviiT2_lPKT1_lilS9_lilS6_lPT3_lili
	.p2align	8
	.type	_ZL20rocblas_gemvt_kernelILb1ELi256EPK19rocblas_complex_numIfES3_KPS1_EviiT2_lPKT1_lilS9_lilS6_lPT3_lili,@function
_ZL20rocblas_gemvt_kernelILb1ELi256EPK19rocblas_complex_numIfES3_KPS1_EviiT2_lPKT1_lilS9_lilS6_lPT3_lili: ; @_ZL20rocblas_gemvt_kernelILb1ELi256EPK19rocblas_complex_numIfES3_KPS1_EviiT2_lPKT1_lilS9_lilS6_lPT3_lili
; %bb.0:
	s_load_b32 s33, s[0:1], 0x88
	s_bfe_u32 s2, ttmp6, 0x40014
	s_lshr_b32 s3, ttmp7, 16
	s_add_co_i32 s2, s2, 1
	s_bfe_u32 s5, ttmp6, 0x40008
	s_mul_i32 s4, s3, s2
	s_getreg_b32 s2, hwreg(HW_REG_IB_STS2, 6, 4)
	s_add_co_i32 s5, s5, s4
	s_cmp_eq_u32 s2, 0
	s_mov_b32 s11, 0
	s_cselect_b32 s10, s3, s5
	s_wait_kmcnt 0x0
	s_cmp_ge_u32 s10, s33
	s_cbranch_scc1 .LBB330_42
; %bb.1:
	s_clause 0x3
	s_load_b32 s8, s[0:1], 0x28
	s_load_b32 s38, s[0:1], 0x48
	;; [unrolled: 1-line block ×4, first 2 shown]
	s_bfe_u32 s3, ttmp6, 0x4000c
	s_and_b32 s4, ttmp6, 15
	s_add_co_i32 s3, s3, 1
	s_load_b128 s[28:31], s[0:1], 0x38
	s_mul_i32 s3, ttmp9, s3
	s_load_b256 s[12:19], s[0:1], 0x8
	s_add_co_i32 s4, s4, s3
	s_load_b256 s[20:27], s[0:1], 0x58
	s_wait_xcnt 0x0
	v_cmp_eq_u32_e64 s0, 0, v0
	v_cmp_gt_u32_e64 s1, 0x80, v0
	v_cmp_gt_u32_e64 s3, 32, v0
	;; [unrolled: 1-line block ×5, first 2 shown]
	s_wait_kmcnt 0x0
	s_ashr_i32 s9, s8, 31
	s_ashr_i32 s39, s38, 31
	;; [unrolled: 1-line block ×3, first 2 shown]
	s_cmp_eq_u32 s2, 0
	v_cmp_gt_i32_e32 vcc_lo, s35, v0
	s_cselect_b32 s40, ttmp9, s4
	s_ashr_i32 s2, s35, 31
	v_cmp_gt_u32_e64 s4, 16, v0
	s_lshr_b32 s2, s2, 24
	s_ashr_i32 s41, s40, 31
	s_add_co_i32 s2, s35, s2
	s_mul_u64 s[42:43], s[36:37], s[40:41]
	s_and_b32 s34, s2, 0xffffff00
	s_delay_alu instid0(SALU_CYCLE_1)
	v_dual_mov_b32 v1, 0 :: v_dual_bitop2_b32 v6, s34, v0 bitop3:0x54
	v_cmp_gt_u32_e64 s2, 64, v0
	s_mul_u64 s[36:37], s[8:9], s[40:41]
	s_cmp_gt_i32 s35, 0xff
	v_mul_u64_e32 v[8:9], s[38:39], v[0:1]
	v_dual_cndmask_b32 v10, 0, v0 :: v_dual_ashrrev_i32 v7, 31, v6
	v_lshlrev_b32_e32 v20, 3, v0
	v_cmp_gt_i32_e64 s8, s35, v6
	s_cselect_b32 s46, -1, 0
	v_mul_u64_e32 v[2:3], s[38:39], v[6:7]
	v_lshlrev_b32_e32 v0, 3, v10
	s_ashr_i32 s35, s34, 31
	s_lshl_b64 s[38:39], s[38:39], 11
	s_lshl_b64 s[18:19], s[18:19], 3
	;; [unrolled: 1-line block ×3, first 2 shown]
	v_lshl_add_u64 v[4:5], s[36:37], 3, v[0:1]
	s_lshl_b64 s[26:27], s[26:27], 3
	s_lshl_b64 s[40:41], s[42:43], 3
	s_delay_alu instid0(VALU_DEP_1)
	v_dual_lshlrev_b32 v0, 3, v10 :: v_dual_bitop2_b32 v4, 4, v4 bitop3:0x54
	v_lshlrev_b64_e32 v[6:7], 3, v[8:9]
	s_branch .LBB330_5
.LBB330_2:                              ;   in Loop: Header=BB330_5 Depth=1
	s_delay_alu instid0(VALU_DEP_1)
	v_mov_b32_e32 v11, v13
	flat_store_b64 v1, v[10:11], s[42:43]
.LBB330_3:                              ;   in Loop: Header=BB330_5 Depth=1
	s_wait_xcnt 0x0
	s_or_b32 exec_lo, exec_lo, s47
.LBB330_4:                              ;   in Loop: Header=BB330_5 Depth=1
	s_add_co_i32 s10, s10, 0x10000
	s_delay_alu instid0(SALU_CYCLE_1)
	s_cmp_lt_u32 s10, s33
	s_cbranch_scc0 .LBB330_42
.LBB330_5:                              ; =>This Loop Header: Depth=1
                                        ;     Child Loop BB330_19 Depth 2
	s_mul_u64 s[42:43], s[14:15], s[10:11]
	s_delay_alu instid0(SALU_CYCLE_1) | instskip(NEXT) | instid1(SALU_CYCLE_1)
	s_lshl_b64 s[42:43], s[42:43], 3
	s_add_nc_u64 s[42:43], s[12:13], s[42:43]
	global_load_b64 v[10:11], v1, s[42:43]
	s_wait_xcnt 0x0
	s_mul_u64 s[42:43], s[22:23], s[10:11]
	s_delay_alu instid0(SALU_CYCLE_1) | instskip(NEXT) | instid1(SALU_CYCLE_1)
	s_lshl_b64 s[42:43], s[42:43], 3
	s_add_nc_u64 s[42:43], s[20:21], s[42:43]
	global_load_b64 v[8:9], v1, s[42:43]
	s_wait_loadcnt 0x1
	s_wait_xcnt 0x0
	v_readfirstlane_b32 s43, v11
	v_readfirstlane_b32 s42, v10
	s_cmp_eq_f32 s43, 0
	s_wait_loadcnt 0x0
	v_cmp_eq_f32_e32 vcc_lo, 1.0, v8
	v_cmp_eq_f32_e64 s9, 0, v9
	s_cselect_b32 s44, -1, 0
	s_cmp_eq_f32 s42, 0
	s_cselect_b32 s45, -1, 0
	s_and_b32 s9, vcc_lo, s9
	s_and_b32 s44, s45, s44
	s_delay_alu instid0(SALU_CYCLE_1) | instskip(NEXT) | instid1(SALU_CYCLE_1)
	s_and_b32 s9, s44, s9
	s_and_b32 vcc_lo, exec_lo, s9
	s_cbranch_vccnz .LBB330_4
; %bb.6:                                ;   in Loop: Header=BB330_5 Depth=1
	s_or_b32 s9, s42, s43
	v_mov_b64_e32 v[10:11], 0
	s_bitset0_b32 s9, 31
	v_mov_b64_e32 v[12:13], 0
	s_cmp_lg_u32 s9, 0
	s_cselect_b32 s44, -1, 0
	s_cmp_eq_u32 s9, 0
	s_cselect_b32 s9, -1, 0
	s_delay_alu instid0(SALU_CYCLE_1)
	s_and_b32 vcc_lo, exec_lo, s9
	s_cbranch_vccnz .LBB330_8
; %bb.7:                                ;   in Loop: Header=BB330_5 Depth=1
	s_lshl_b64 s[48:49], s[10:11], 3
	s_delay_alu instid0(SALU_CYCLE_1)
	s_add_nc_u64 s[48:49], s[16:17], s[48:49]
	global_load_b64 v[12:13], v1, s[48:49]
	s_wait_loadcnt 0x0
	v_add_nc_u64_e32 v[12:13], s[18:19], v[12:13]
.LBB330_8:                              ;   in Loop: Header=BB330_5 Depth=1
	s_and_not1_b32 vcc_lo, exec_lo, s44
	s_cbranch_vccnz .LBB330_10
; %bb.9:                                ;   in Loop: Header=BB330_5 Depth=1
	s_lshl_b64 s[44:45], s[10:11], 3
	s_delay_alu instid0(SALU_CYCLE_1)
	s_add_nc_u64 s[44:45], s[28:29], s[44:45]
	global_load_b64 v[10:11], v1, s[44:45]
	s_wait_loadcnt 0x0
	v_add_nc_u64_e32 v[10:11], s[30:31], v[10:11]
.LBB330_10:                             ;   in Loop: Header=BB330_5 Depth=1
	s_wait_xcnt 0x0
	s_lshl_b64 s[44:45], s[10:11], 3
	s_and_not1_b32 vcc_lo, exec_lo, s9
	s_add_nc_u64 s[44:45], s[24:25], s[44:45]
	s_mov_b32 s9, -1
	global_load_b64 v[14:15], v1, s[44:45]
	s_wait_loadcnt 0x0
	s_wait_xcnt 0x0
	v_readfirstlane_b32 s44, v14
	v_readfirstlane_b32 s45, v15
	s_add_nc_u64 s[44:45], s[44:45], s[26:27]
	s_cbranch_vccnz .LBB330_16
; %bb.11:                               ;   in Loop: Header=BB330_5 Depth=1
	s_and_saveexec_b32 s47, s0
	s_cbranch_execz .LBB330_15
; %bb.12:                               ;   in Loop: Header=BB330_5 Depth=1
	v_cmp_neq_f32_e32 vcc_lo, 0, v8
	v_cmp_neq_f32_e64 s9, 0, v9
	v_dual_mov_b32 v14, 0 :: v_dual_mov_b32 v15, 0
	s_or_b32 s9, vcc_lo, s9
	s_delay_alu instid0(SALU_CYCLE_1)
	s_and_not1_b32 vcc_lo, exec_lo, s9
	s_cbranch_vccnz .LBB330_14
; %bb.13:                               ;   in Loop: Header=BB330_5 Depth=1
	s_add_nc_u64 s[48:49], s[44:45], s[40:41]
	flat_load_b64 v[14:15], v1, s[48:49]
	s_wait_loadcnt_dscnt 0x0
	v_pk_mul_f32 v[16:17], v[8:9], v[14:15] op_sel:[1,1] op_sel_hi:[0,1]
	s_delay_alu instid0(VALU_DEP_1) | instskip(SKIP_1) | instid1(VALU_DEP_2)
	v_pk_fma_f32 v[18:19], v[8:9], v[14:15], v[16:17] op_sel_hi:[1,0,1]
	v_pk_fma_f32 v[14:15], v[8:9], v[14:15], v[16:17] neg_lo:[0,0,1] neg_hi:[0,0,1]
	v_mov_b32_e32 v15, v19
.LBB330_14:                             ;   in Loop: Header=BB330_5 Depth=1
	s_wait_xcnt 0x0
	s_add_nc_u64 s[48:49], s[44:45], s[40:41]
	flat_store_b64 v1, v[14:15], s[48:49]
.LBB330_15:                             ;   in Loop: Header=BB330_5 Depth=1
	s_wait_xcnt 0x0
	s_or_b32 exec_lo, exec_lo, s47
	s_mov_b32 s9, 0
.LBB330_16:                             ;   in Loop: Header=BB330_5 Depth=1
	s_delay_alu instid0(SALU_CYCLE_1)
	s_and_not1_b32 vcc_lo, exec_lo, s9
	s_cbranch_vccnz .LBB330_4
; %bb.17:                               ;   in Loop: Header=BB330_5 Depth=1
	s_and_not1_b32 vcc_lo, exec_lo, s46
	s_cbranch_vccnz .LBB330_41
; %bb.18:                               ;   in Loop: Header=BB330_5 Depth=1
	v_mov_b32_e32 v14, 0
	v_add_nc_u64_e32 v[16:17], v[10:11], v[6:7]
	v_add_nc_u64_e32 v[18:19], v[12:13], v[4:5]
	s_mov_b32 s9, 0
	s_delay_alu instid0(VALU_DEP_3)
	v_mov_b32_e32 v15, v14
.LBB330_19:                             ;   Parent Loop BB330_5 Depth=1
                                        ; =>  This Inner Loop Header: Depth=2
	flat_load_b64 v[22:23], v[18:19] offset:-4
	flat_load_b64 v[24:25], v[16:17]
	s_wait_xcnt 0x0
	v_add_nc_u64_e32 v[16:17], s[38:39], v[16:17]
	v_add_nc_u64_e32 v[18:19], 0x800, v[18:19]
	s_addk_co_i32 s9, 0x100
	s_delay_alu instid0(SALU_CYCLE_1) | instskip(SKIP_2) | instid1(VALU_DEP_1)
	s_cmp_ge_i32 s9, s34
	s_wait_loadcnt_dscnt 0x0
	v_pk_mul_f32 v[26:27], v[22:23], v[24:25] op_sel:[1,1] op_sel_hi:[1,0]
	v_pk_fma_f32 v[28:29], v[22:23], v[24:25], v[26:27] op_sel_hi:[0,1,1] neg_lo:[0,0,1] neg_hi:[0,0,1]
	v_pk_fma_f32 v[22:23], v[22:23], v[24:25], v[26:27]
	s_delay_alu instid0(VALU_DEP_2) | instskip(NEXT) | instid1(VALU_DEP_1)
	v_mov_b32_e32 v23, v29
	v_pk_add_f32 v[14:15], v[14:15], v[22:23]
	s_cbranch_scc0 .LBB330_19
; %bb.20:                               ;   in Loop: Header=BB330_5 Depth=1
	s_and_saveexec_b32 s9, s8
	s_cbranch_execz .LBB330_22
.LBB330_21:                             ;   in Loop: Header=BB330_5 Depth=1
	v_add_nc_u64_e32 v[12:13], v[12:13], v[0:1]
	v_lshl_add_u64 v[10:11], v[2:3], 3, v[10:11]
	s_delay_alu instid0(VALU_DEP_2) | instskip(NEXT) | instid1(VALU_DEP_1)
	v_lshl_add_u64 v[12:13], s[36:37], 3, v[12:13]
	v_lshl_add_u64 v[12:13], s[34:35], 3, v[12:13]
	flat_load_b64 v[16:17], v[12:13]
	flat_load_b64 v[18:19], v[10:11]
	s_wait_loadcnt_dscnt 0x0
	v_pk_mul_f32 v[10:11], v[16:17], v[18:19] op_sel:[1,1] op_sel_hi:[1,0]
	s_delay_alu instid0(VALU_DEP_1) | instskip(SKIP_1) | instid1(VALU_DEP_2)
	v_pk_fma_f32 v[12:13], v[16:17], v[18:19], v[10:11] op_sel_hi:[0,1,1] neg_lo:[0,0,1] neg_hi:[0,0,1]
	v_pk_fma_f32 v[10:11], v[16:17], v[18:19], v[10:11]
	v_mov_b32_e32 v11, v13
	s_delay_alu instid0(VALU_DEP_1)
	v_pk_add_f32 v[14:15], v[14:15], v[10:11]
.LBB330_22:                             ;   in Loop: Header=BB330_5 Depth=1
	s_or_b32 exec_lo, exec_lo, s9
	ds_store_b64 v20, v[14:15]
	s_wait_storecnt_dscnt 0x0
	s_barrier_signal -1
	s_barrier_wait -1
	s_and_saveexec_b32 s9, s1
	s_cbranch_execz .LBB330_24
; %bb.23:                               ;   in Loop: Header=BB330_5 Depth=1
	ds_load_2addr_stride64_b64 v[10:13], v20 offset1:2
	s_wait_dscnt 0x0
	v_pk_add_f32 v[10:11], v[12:13], v[10:11]
	ds_store_b64 v20, v[10:11]
.LBB330_24:                             ;   in Loop: Header=BB330_5 Depth=1
	s_or_b32 exec_lo, exec_lo, s9
	s_wait_dscnt 0x0
	s_barrier_signal -1
	s_barrier_wait -1
	s_and_saveexec_b32 s9, s2
	s_cbranch_execz .LBB330_26
; %bb.25:                               ;   in Loop: Header=BB330_5 Depth=1
	ds_load_2addr_stride64_b64 v[10:13], v20 offset1:1
	s_wait_dscnt 0x0
	v_pk_add_f32 v[10:11], v[12:13], v[10:11]
	ds_store_b64 v20, v[10:11]
.LBB330_26:                             ;   in Loop: Header=BB330_5 Depth=1
	s_or_b32 exec_lo, exec_lo, s9
	s_wait_dscnt 0x0
	s_barrier_signal -1
	s_barrier_wait -1
	s_and_saveexec_b32 s9, s3
	s_cbranch_execz .LBB330_28
; %bb.27:                               ;   in Loop: Header=BB330_5 Depth=1
	ds_load_2addr_b64 v[10:13], v20 offset1:32
	s_wait_dscnt 0x0
	v_pk_add_f32 v[10:11], v[12:13], v[10:11]
	ds_store_b64 v20, v[10:11]
.LBB330_28:                             ;   in Loop: Header=BB330_5 Depth=1
	s_or_b32 exec_lo, exec_lo, s9
	s_wait_dscnt 0x0
	s_barrier_signal -1
	s_barrier_wait -1
	s_and_saveexec_b32 s9, s4
	s_cbranch_execz .LBB330_30
; %bb.29:                               ;   in Loop: Header=BB330_5 Depth=1
	ds_load_2addr_b64 v[10:13], v20 offset1:16
	s_wait_dscnt 0x0
	v_pk_add_f32 v[10:11], v[12:13], v[10:11]
	ds_store_b64 v20, v[10:11]
.LBB330_30:                             ;   in Loop: Header=BB330_5 Depth=1
	;; [unrolled: 12-line block ×5, first 2 shown]
	s_or_b32 exec_lo, exec_lo, s9
	s_wait_dscnt 0x0
	s_barrier_signal -1
	s_barrier_wait -1
	s_and_saveexec_b32 s9, s0
	s_cbranch_execz .LBB330_38
; %bb.37:                               ;   in Loop: Header=BB330_5 Depth=1
	ds_load_b128 v[10:13], v1
	s_wait_dscnt 0x0
	v_pk_add_f32 v[10:11], v[12:13], v[10:11]
	ds_store_b64 v1, v[10:11]
.LBB330_38:                             ;   in Loop: Header=BB330_5 Depth=1
	s_or_b32 exec_lo, exec_lo, s9
	s_wait_dscnt 0x0
	s_barrier_signal -1
	s_barrier_wait -1
	s_and_saveexec_b32 s47, s0
	s_cbranch_execz .LBB330_3
; %bb.39:                               ;   in Loop: Header=BB330_5 Depth=1
	ds_load_b64 v[12:13], v1
	v_mov_b64_e32 v[10:11], s[42:43]
	v_cmp_neq_f32_e32 vcc_lo, 0, v8
	v_cmp_neq_f32_e64 s9, 0, v9
	s_or_b32 s9, vcc_lo, s9
	s_delay_alu instid0(SALU_CYCLE_1) | instskip(SKIP_2) | instid1(VALU_DEP_1)
	s_and_not1_b32 vcc_lo, exec_lo, s9
	s_wait_dscnt 0x0
	v_pk_mul_f32 v[14:15], v[12:13], v[10:11] op_sel:[1,1] op_sel_hi:[0,1]
	v_pk_fma_f32 v[10:11], v[12:13], s[42:43], v[14:15] op_sel_hi:[1,0,1] neg_lo:[0,0,1] neg_hi:[0,0,1]
	v_pk_fma_f32 v[12:13], v[12:13], s[42:43], v[14:15] op_sel_hi:[1,0,1]
	s_add_nc_u64 s[42:43], s[44:45], s[40:41]
	s_cbranch_vccnz .LBB330_2
; %bb.40:                               ;   in Loop: Header=BB330_5 Depth=1
	flat_load_b64 v[14:15], v1, s[42:43]
	s_wait_loadcnt_dscnt 0x0
	v_pk_mul_f32 v[16:17], v[8:9], v[14:15] op_sel:[1,1] op_sel_hi:[0,1]
	s_delay_alu instid0(VALU_DEP_1) | instskip(SKIP_1) | instid1(VALU_DEP_2)
	v_pk_fma_f32 v[18:19], v[8:9], v[14:15], v[16:17] op_sel_hi:[1,0,1]
	v_pk_fma_f32 v[8:9], v[8:9], v[14:15], v[16:17] neg_lo:[0,0,1] neg_hi:[0,0,1]
	v_dual_mov_b32 v11, v13 :: v_dual_mov_b32 v9, v19
	s_delay_alu instid0(VALU_DEP_1) | instskip(NEXT) | instid1(VALU_DEP_1)
	v_pk_add_f32 v[10:11], v[10:11], v[8:9]
	v_mov_b32_e32 v13, v11
	s_branch .LBB330_2
.LBB330_41:                             ;   in Loop: Header=BB330_5 Depth=1
	v_mov_b64_e32 v[14:15], 0
	s_and_saveexec_b32 s9, s8
	s_cbranch_execnz .LBB330_21
	s_branch .LBB330_22
.LBB330_42:
	s_endpgm
	.section	.rodata,"a",@progbits
	.p2align	6, 0x0
	.amdhsa_kernel _ZL20rocblas_gemvt_kernelILb1ELi256EPK19rocblas_complex_numIfES3_KPS1_EviiT2_lPKT1_lilS9_lilS6_lPT3_lili
		.amdhsa_group_segment_fixed_size 2048
		.amdhsa_private_segment_fixed_size 0
		.amdhsa_kernarg_size 140
		.amdhsa_user_sgpr_count 2
		.amdhsa_user_sgpr_dispatch_ptr 0
		.amdhsa_user_sgpr_queue_ptr 0
		.amdhsa_user_sgpr_kernarg_segment_ptr 1
		.amdhsa_user_sgpr_dispatch_id 0
		.amdhsa_user_sgpr_kernarg_preload_length 0
		.amdhsa_user_sgpr_kernarg_preload_offset 0
		.amdhsa_user_sgpr_private_segment_size 0
		.amdhsa_wavefront_size32 1
		.amdhsa_uses_dynamic_stack 0
		.amdhsa_enable_private_segment 0
		.amdhsa_system_sgpr_workgroup_id_x 1
		.amdhsa_system_sgpr_workgroup_id_y 0
		.amdhsa_system_sgpr_workgroup_id_z 1
		.amdhsa_system_sgpr_workgroup_info 0
		.amdhsa_system_vgpr_workitem_id 0
		.amdhsa_next_free_vgpr 30
		.amdhsa_next_free_sgpr 50
		.amdhsa_named_barrier_count 0
		.amdhsa_reserve_vcc 1
		.amdhsa_float_round_mode_32 0
		.amdhsa_float_round_mode_16_64 0
		.amdhsa_float_denorm_mode_32 3
		.amdhsa_float_denorm_mode_16_64 3
		.amdhsa_fp16_overflow 0
		.amdhsa_memory_ordered 1
		.amdhsa_forward_progress 1
		.amdhsa_inst_pref_size 14
		.amdhsa_round_robin_scheduling 0
		.amdhsa_exception_fp_ieee_invalid_op 0
		.amdhsa_exception_fp_denorm_src 0
		.amdhsa_exception_fp_ieee_div_zero 0
		.amdhsa_exception_fp_ieee_overflow 0
		.amdhsa_exception_fp_ieee_underflow 0
		.amdhsa_exception_fp_ieee_inexact 0
		.amdhsa_exception_int_div_zero 0
	.end_amdhsa_kernel
	.section	.text._ZL20rocblas_gemvt_kernelILb1ELi256EPK19rocblas_complex_numIfES3_KPS1_EviiT2_lPKT1_lilS9_lilS6_lPT3_lili,"axG",@progbits,_ZL20rocblas_gemvt_kernelILb1ELi256EPK19rocblas_complex_numIfES3_KPS1_EviiT2_lPKT1_lilS9_lilS6_lPT3_lili,comdat
.Lfunc_end330:
	.size	_ZL20rocblas_gemvt_kernelILb1ELi256EPK19rocblas_complex_numIfES3_KPS1_EviiT2_lPKT1_lilS9_lilS6_lPT3_lili, .Lfunc_end330-_ZL20rocblas_gemvt_kernelILb1ELi256EPK19rocblas_complex_numIfES3_KPS1_EviiT2_lPKT1_lilS9_lilS6_lPT3_lili
                                        ; -- End function
	.set _ZL20rocblas_gemvt_kernelILb1ELi256EPK19rocblas_complex_numIfES3_KPS1_EviiT2_lPKT1_lilS9_lilS6_lPT3_lili.num_vgpr, 30
	.set _ZL20rocblas_gemvt_kernelILb1ELi256EPK19rocblas_complex_numIfES3_KPS1_EviiT2_lPKT1_lilS9_lilS6_lPT3_lili.num_agpr, 0
	.set _ZL20rocblas_gemvt_kernelILb1ELi256EPK19rocblas_complex_numIfES3_KPS1_EviiT2_lPKT1_lilS9_lilS6_lPT3_lili.numbered_sgpr, 50
	.set _ZL20rocblas_gemvt_kernelILb1ELi256EPK19rocblas_complex_numIfES3_KPS1_EviiT2_lPKT1_lilS9_lilS6_lPT3_lili.num_named_barrier, 0
	.set _ZL20rocblas_gemvt_kernelILb1ELi256EPK19rocblas_complex_numIfES3_KPS1_EviiT2_lPKT1_lilS9_lilS6_lPT3_lili.private_seg_size, 0
	.set _ZL20rocblas_gemvt_kernelILb1ELi256EPK19rocblas_complex_numIfES3_KPS1_EviiT2_lPKT1_lilS9_lilS6_lPT3_lili.uses_vcc, 1
	.set _ZL20rocblas_gemvt_kernelILb1ELi256EPK19rocblas_complex_numIfES3_KPS1_EviiT2_lPKT1_lilS9_lilS6_lPT3_lili.uses_flat_scratch, 0
	.set _ZL20rocblas_gemvt_kernelILb1ELi256EPK19rocblas_complex_numIfES3_KPS1_EviiT2_lPKT1_lilS9_lilS6_lPT3_lili.has_dyn_sized_stack, 0
	.set _ZL20rocblas_gemvt_kernelILb1ELi256EPK19rocblas_complex_numIfES3_KPS1_EviiT2_lPKT1_lilS9_lilS6_lPT3_lili.has_recursion, 0
	.set _ZL20rocblas_gemvt_kernelILb1ELi256EPK19rocblas_complex_numIfES3_KPS1_EviiT2_lPKT1_lilS9_lilS6_lPT3_lili.has_indirect_call, 0
	.section	.AMDGPU.csdata,"",@progbits
; Kernel info:
; codeLenInByte = 1752
; TotalNumSgprs: 52
; NumVgprs: 30
; ScratchSize: 0
; MemoryBound: 0
; FloatMode: 240
; IeeeMode: 1
; LDSByteSize: 2048 bytes/workgroup (compile time only)
; SGPRBlocks: 0
; VGPRBlocks: 1
; NumSGPRsForWavesPerEU: 52
; NumVGPRsForWavesPerEU: 30
; NamedBarCnt: 0
; Occupancy: 16
; WaveLimiterHint : 1
; COMPUTE_PGM_RSRC2:SCRATCH_EN: 0
; COMPUTE_PGM_RSRC2:USER_SGPR: 2
; COMPUTE_PGM_RSRC2:TRAP_HANDLER: 0
; COMPUTE_PGM_RSRC2:TGID_X_EN: 1
; COMPUTE_PGM_RSRC2:TGID_Y_EN: 0
; COMPUTE_PGM_RSRC2:TGID_Z_EN: 1
; COMPUTE_PGM_RSRC2:TIDIG_COMP_CNT: 0
	.section	.text._ZL20rocblas_gemvt_kernelILb1ELi256EPK19rocblas_complex_numIfES1_KPS1_EviiT2_lPKT1_lilS9_lilS6_lPT3_lili,"axG",@progbits,_ZL20rocblas_gemvt_kernelILb1ELi256EPK19rocblas_complex_numIfES1_KPS1_EviiT2_lPKT1_lilS9_lilS6_lPT3_lili,comdat
	.globl	_ZL20rocblas_gemvt_kernelILb1ELi256EPK19rocblas_complex_numIfES1_KPS1_EviiT2_lPKT1_lilS9_lilS6_lPT3_lili ; -- Begin function _ZL20rocblas_gemvt_kernelILb1ELi256EPK19rocblas_complex_numIfES1_KPS1_EviiT2_lPKT1_lilS9_lilS6_lPT3_lili
	.p2align	8
	.type	_ZL20rocblas_gemvt_kernelILb1ELi256EPK19rocblas_complex_numIfES1_KPS1_EviiT2_lPKT1_lilS9_lilS6_lPT3_lili,@function
_ZL20rocblas_gemvt_kernelILb1ELi256EPK19rocblas_complex_numIfES1_KPS1_EviiT2_lPKT1_lilS9_lilS6_lPT3_lili: ; @_ZL20rocblas_gemvt_kernelILb1ELi256EPK19rocblas_complex_numIfES1_KPS1_EviiT2_lPKT1_lilS9_lilS6_lPT3_lili
; %bb.0:
	s_load_b32 s9, s[0:1], 0x88
	s_bfe_u32 s2, ttmp6, 0x40014
	s_lshr_b32 s3, ttmp7, 16
	s_add_co_i32 s2, s2, 1
	s_bfe_u32 s5, ttmp6, 0x40008
	s_mul_i32 s2, s3, s2
	s_getreg_b32 s4, hwreg(HW_REG_IB_STS2, 6, 4)
	s_add_co_i32 s5, s5, s2
	s_cmp_eq_u32 s4, 0
	s_mov_b32 s11, 0
	s_cselect_b32 s10, s3, s5
	s_wait_kmcnt 0x0
	s_cmp_ge_u32 s10, s9
	s_cbranch_scc1 .LBB331_44
; %bb.1:
	s_clause 0x5
	s_load_b32 s2, s[0:1], 0x28
	s_load_b32 s38, s[0:1], 0x48
	;; [unrolled: 1-line block ×3, first 2 shown]
	s_load_b64 s[24:25], s[0:1], 0x8
	s_load_b64 s[26:27], s[0:1], 0x58
	s_load_b128 s[16:19], s[0:1], 0x38
	v_lshlrev_b32_e32 v18, 3, v0
	s_load_b128 s[12:15], s[0:1], 0x18
	s_wait_kmcnt 0x0
	s_ashr_i32 s3, s2, 31
	s_ashr_i32 s39, s38, 31
	;; [unrolled: 1-line block ×3, first 2 shown]
	s_cmp_neq_f32 s25, 0
	s_mov_b32 s36, s27
	s_mov_b32 s37, s26
	s_cselect_b32 s5, -1, 0
	s_cmp_neq_f32 s24, 0
	s_cselect_b32 s8, -1, 0
	s_delay_alu instid0(SALU_CYCLE_1)
	s_or_b32 s34, s8, s5
	s_cmp_neq_f32 s26, 1.0
	s_load_b32 s8, s[0:1], 0x0
	s_cselect_b32 s35, -1, 0
	s_cmp_neq_f32 s27, 0
	s_cselect_b32 s42, -1, 0
	s_or_b32 s5, s24, s25
	s_delay_alu instid0(SALU_CYCLE_1) | instskip(NEXT) | instid1(SALU_CYCLE_1)
	s_bitset0_b32 s5, 31
	s_cmp_lg_u32 s5, 0
	s_cselect_b32 s33, -1, 0
	s_cmp_eq_u32 s5, 0
	s_cselect_b32 s44, -1, 0
	s_cmp_neq_f32 s26, 0
	s_wait_kmcnt 0x0
	v_cmp_gt_i32_e32 vcc_lo, s8, v0
	s_cselect_b32 s5, -1, 0
	s_bfe_u32 s20, ttmp6, 0x4000c
	s_and_b32 s21, ttmp6, 15
	s_add_co_i32 s20, s20, 1
	s_or_b32 s45, s5, s42
	s_mul_i32 s20, ttmp9, s20
	s_delay_alu instid0(SALU_CYCLE_1)
	s_add_co_i32 s21, s21, s20
	s_cmp_eq_u32 s4, 0
	s_cselect_b32 s4, ttmp9, s21
	s_ashr_i32 s5, s8, 31
	s_load_b128 s[20:23], s[0:1], 0x68
	s_wait_xcnt 0x0
	s_lshr_b32 s0, s5, 24
	s_ashr_i32 s5, s4, 31
	s_add_co_i32 s1, s8, s0
	v_cmp_eq_u32_e64 s0, 0, v0
	s_and_b32 s28, s1, 0xffffff00
	s_delay_alu instid0(SALU_CYCLE_1) | instskip(SKIP_3) | instid1(VALU_DEP_2)
	v_dual_mov_b32 v1, 0 :: v_dual_bitop2_b32 v2, s28, v0 bitop3:0x54
	v_cndmask_b32_e32 v8, 0, v0, vcc_lo
	s_mul_u64 s[40:41], s[6:7], s[4:5]
	s_cmp_gt_i32 s8, 0xff
	v_mul_u64_e32 v[6:7], s[38:39], v[0:1]
	v_ashrrev_i32_e32 v3, 31, v2
	v_cmp_gt_i32_e64 s1, s8, v2
	s_mul_u64 s[30:31], s[2:3], s[4:5]
	v_cmp_gt_u32_e64 s2, 0x80, v0
	v_cmp_gt_u32_e64 s3, 64, v0
	v_mul_u64_e32 v[2:3], s[38:39], v[2:3]
	v_cmp_gt_u32_e64 s4, 32, v0
	v_cmp_gt_u32_e64 s5, 16, v0
	;; [unrolled: 1-line block ×5, first 2 shown]
	v_lshlrev_b32_e32 v0, 3, v8
	s_cselect_b32 s46, -1, 0
	s_or_b32 s43, s34, s35
	s_ashr_i32 s29, s28, 31
	s_mov_b32 s34, s24
	v_lshl_add_u64 v[4:5], s[30:31], 3, v[0:1]
	v_lshlrev_b32_e32 v0, 3, v8
	s_mov_b32 s35, s24
	s_mov_b32 s24, s25
	s_lshl_b64 s[38:39], s[38:39], 11
	v_or_b32_e32 v4, 4, v4
	s_or_b32 s47, s43, s42
	s_lshl_b64 s[14:15], s[14:15], 3
	s_lshl_b64 s[18:19], s[18:19], 3
	s_wait_kmcnt 0x0
	s_lshl_b64 s[22:23], s[22:23], 3
	s_lshl_b64 s[40:41], s[40:41], 3
	v_lshlrev_b64_e32 v[6:7], 3, v[6:7]
	s_branch .LBB331_5
.LBB331_2:                              ;   in Loop: Header=BB331_5 Depth=1
	s_delay_alu instid0(VALU_DEP_1)
	v_mov_b32_e32 v9, v11
	flat_store_b64 v1, v[8:9], s[42:43]
.LBB331_3:                              ;   in Loop: Header=BB331_5 Depth=1
	s_wait_xcnt 0x0
	s_or_b32 exec_lo, exec_lo, s48
.LBB331_4:                              ;   in Loop: Header=BB331_5 Depth=1
	s_add_co_i32 s10, s10, 0x10000
	s_delay_alu instid0(SALU_CYCLE_1)
	s_cmp_lt_u32 s10, s9
	s_cbranch_scc0 .LBB331_44
.LBB331_5:                              ; =>This Loop Header: Depth=1
                                        ;     Child Loop BB331_21 Depth 2
	s_and_not1_b32 vcc_lo, exec_lo, s47
	s_cbranch_vccnz .LBB331_4
; %bb.6:                                ;   in Loop: Header=BB331_5 Depth=1
	s_and_not1_b32 vcc_lo, exec_lo, s44
	s_cbranch_vccnz .LBB331_8
; %bb.7:                                ;   in Loop: Header=BB331_5 Depth=1
	v_mov_b64_e32 v[8:9], 0
	v_mov_b64_e32 v[10:11], 0
	s_cbranch_execz .LBB331_9
	s_branch .LBB331_10
.LBB331_8:                              ;   in Loop: Header=BB331_5 Depth=1
	v_mov_b64_e32 v[8:9], 0
	v_mov_b64_e32 v[10:11], 0
.LBB331_9:                              ;   in Loop: Header=BB331_5 Depth=1
	s_lshl_b64 s[42:43], s[10:11], 3
	s_delay_alu instid0(SALU_CYCLE_1)
	s_add_nc_u64 s[42:43], s[12:13], s[42:43]
	global_load_b64 v[10:11], v1, s[42:43]
	s_wait_loadcnt 0x0
	v_add_nc_u64_e32 v[10:11], s[14:15], v[10:11]
.LBB331_10:                             ;   in Loop: Header=BB331_5 Depth=1
	s_and_not1_b32 vcc_lo, exec_lo, s33
	s_cbranch_vccnz .LBB331_12
; %bb.11:                               ;   in Loop: Header=BB331_5 Depth=1
	s_wait_xcnt 0x0
	s_lshl_b64 s[42:43], s[10:11], 3
	s_delay_alu instid0(SALU_CYCLE_1)
	s_add_nc_u64 s[42:43], s[16:17], s[42:43]
	global_load_b64 v[8:9], v1, s[42:43]
	s_wait_loadcnt 0x0
	v_add_nc_u64_e32 v[8:9], s[18:19], v[8:9]
.LBB331_12:                             ;   in Loop: Header=BB331_5 Depth=1
	s_wait_xcnt 0x0
	s_lshl_b64 s[42:43], s[10:11], 3
	s_and_not1_b32 vcc_lo, exec_lo, s44
	s_add_nc_u64 s[42:43], s[20:21], s[42:43]
	s_mov_b32 s48, -1
	global_load_b64 v[12:13], v1, s[42:43]
	s_wait_loadcnt 0x0
	s_wait_xcnt 0x0
	v_readfirstlane_b32 s42, v12
	v_readfirstlane_b32 s43, v13
	s_add_nc_u64 s[42:43], s[42:43], s[22:23]
	s_cbranch_vccnz .LBB331_18
; %bb.13:                               ;   in Loop: Header=BB331_5 Depth=1
	s_and_saveexec_b32 s48, s0
	s_cbranch_execz .LBB331_17
; %bb.14:                               ;   in Loop: Header=BB331_5 Depth=1
	v_dual_mov_b32 v12, 0 :: v_dual_mov_b32 v13, 0
	s_and_not1_b32 vcc_lo, exec_lo, s45
	s_cbranch_vccnz .LBB331_16
; %bb.15:                               ;   in Loop: Header=BB331_5 Depth=1
	s_add_nc_u64 s[50:51], s[42:43], s[40:41]
	v_mov_b64_e32 v[14:15], s[36:37]
	flat_load_b64 v[12:13], v1, s[50:51]
	v_mov_b64_e32 v[16:17], s[26:27]
	s_wait_loadcnt_dscnt 0x0
	v_pk_mul_f32 v[14:15], v[14:15], v[12:13] op_sel:[0,1]
	s_delay_alu instid0(VALU_DEP_1) | instskip(SKIP_1) | instid1(VALU_DEP_2)
	v_pk_fma_f32 v[20:21], v[16:17], v[12:13], v[14:15] op_sel_hi:[1,0,1]
	v_pk_fma_f32 v[12:13], v[16:17], v[12:13], v[14:15] neg_lo:[0,0,1] neg_hi:[0,0,1]
	v_mov_b32_e32 v13, v21
.LBB331_16:                             ;   in Loop: Header=BB331_5 Depth=1
	s_wait_xcnt 0x0
	s_add_nc_u64 s[50:51], s[42:43], s[40:41]
	flat_store_b64 v1, v[12:13], s[50:51]
.LBB331_17:                             ;   in Loop: Header=BB331_5 Depth=1
	s_wait_xcnt 0x0
	s_or_b32 exec_lo, exec_lo, s48
	s_mov_b32 s48, 0
.LBB331_18:                             ;   in Loop: Header=BB331_5 Depth=1
	s_delay_alu instid0(SALU_CYCLE_1)
	s_and_not1_b32 vcc_lo, exec_lo, s48
	s_cbranch_vccnz .LBB331_4
; %bb.19:                               ;   in Loop: Header=BB331_5 Depth=1
	s_and_not1_b32 vcc_lo, exec_lo, s46
	s_cbranch_vccnz .LBB331_43
; %bb.20:                               ;   in Loop: Header=BB331_5 Depth=1
	v_mov_b32_e32 v12, 0
	v_add_nc_u64_e32 v[14:15], v[8:9], v[6:7]
	v_add_nc_u64_e32 v[16:17], v[10:11], v[4:5]
	s_mov_b32 s48, 0
	s_delay_alu instid0(VALU_DEP_3)
	v_mov_b32_e32 v13, v12
.LBB331_21:                             ;   Parent Loop BB331_5 Depth=1
                                        ; =>  This Inner Loop Header: Depth=2
	flat_load_b64 v[20:21], v[16:17] offset:-4
	flat_load_b64 v[22:23], v[14:15]
	s_wait_xcnt 0x0
	v_add_nc_u64_e32 v[14:15], s[38:39], v[14:15]
	v_add_nc_u64_e32 v[16:17], 0x800, v[16:17]
	s_addk_co_i32 s48, 0x100
	s_delay_alu instid0(SALU_CYCLE_1) | instskip(SKIP_2) | instid1(VALU_DEP_1)
	s_cmp_ge_i32 s48, s28
	s_wait_loadcnt_dscnt 0x0
	v_pk_mul_f32 v[24:25], v[20:21], v[22:23] op_sel:[1,1] op_sel_hi:[1,0]
	v_pk_fma_f32 v[26:27], v[20:21], v[22:23], v[24:25] op_sel_hi:[0,1,1] neg_lo:[0,0,1] neg_hi:[0,0,1]
	v_pk_fma_f32 v[20:21], v[20:21], v[22:23], v[24:25]
	s_delay_alu instid0(VALU_DEP_2) | instskip(NEXT) | instid1(VALU_DEP_1)
	v_mov_b32_e32 v21, v27
	v_pk_add_f32 v[12:13], v[12:13], v[20:21]
	s_cbranch_scc0 .LBB331_21
; %bb.22:                               ;   in Loop: Header=BB331_5 Depth=1
	s_and_saveexec_b32 s48, s1
	s_cbranch_execz .LBB331_24
.LBB331_23:                             ;   in Loop: Header=BB331_5 Depth=1
	v_add_nc_u64_e32 v[10:11], v[10:11], v[0:1]
	v_lshl_add_u64 v[8:9], v[2:3], 3, v[8:9]
	s_delay_alu instid0(VALU_DEP_2) | instskip(NEXT) | instid1(VALU_DEP_1)
	v_lshl_add_u64 v[10:11], s[30:31], 3, v[10:11]
	v_lshl_add_u64 v[10:11], s[28:29], 3, v[10:11]
	flat_load_b64 v[14:15], v[10:11]
	flat_load_b64 v[16:17], v[8:9]
	s_wait_loadcnt_dscnt 0x0
	v_pk_mul_f32 v[8:9], v[14:15], v[16:17] op_sel:[1,1] op_sel_hi:[1,0]
	s_delay_alu instid0(VALU_DEP_1) | instskip(SKIP_1) | instid1(VALU_DEP_2)
	v_pk_fma_f32 v[10:11], v[14:15], v[16:17], v[8:9] op_sel_hi:[0,1,1] neg_lo:[0,0,1] neg_hi:[0,0,1]
	v_pk_fma_f32 v[8:9], v[14:15], v[16:17], v[8:9]
	v_mov_b32_e32 v9, v11
	s_delay_alu instid0(VALU_DEP_1)
	v_pk_add_f32 v[12:13], v[12:13], v[8:9]
.LBB331_24:                             ;   in Loop: Header=BB331_5 Depth=1
	s_or_b32 exec_lo, exec_lo, s48
	ds_store_b64 v18, v[12:13]
	s_wait_storecnt_dscnt 0x0
	s_barrier_signal -1
	s_barrier_wait -1
	s_and_saveexec_b32 s48, s2
	s_cbranch_execz .LBB331_26
; %bb.25:                               ;   in Loop: Header=BB331_5 Depth=1
	ds_load_2addr_stride64_b64 v[8:11], v18 offset1:2
	s_wait_dscnt 0x0
	v_pk_add_f32 v[8:9], v[10:11], v[8:9]
	ds_store_b64 v18, v[8:9]
.LBB331_26:                             ;   in Loop: Header=BB331_5 Depth=1
	s_or_b32 exec_lo, exec_lo, s48
	s_wait_dscnt 0x0
	s_barrier_signal -1
	s_barrier_wait -1
	s_and_saveexec_b32 s48, s3
	s_cbranch_execz .LBB331_28
; %bb.27:                               ;   in Loop: Header=BB331_5 Depth=1
	ds_load_2addr_stride64_b64 v[8:11], v18 offset1:1
	s_wait_dscnt 0x0
	v_pk_add_f32 v[8:9], v[10:11], v[8:9]
	ds_store_b64 v18, v[8:9]
.LBB331_28:                             ;   in Loop: Header=BB331_5 Depth=1
	s_or_b32 exec_lo, exec_lo, s48
	s_wait_dscnt 0x0
	s_barrier_signal -1
	s_barrier_wait -1
	s_and_saveexec_b32 s48, s4
	s_cbranch_execz .LBB331_30
; %bb.29:                               ;   in Loop: Header=BB331_5 Depth=1
	ds_load_2addr_b64 v[8:11], v18 offset1:32
	s_wait_dscnt 0x0
	v_pk_add_f32 v[8:9], v[10:11], v[8:9]
	ds_store_b64 v18, v[8:9]
.LBB331_30:                             ;   in Loop: Header=BB331_5 Depth=1
	s_or_b32 exec_lo, exec_lo, s48
	s_wait_dscnt 0x0
	s_barrier_signal -1
	s_barrier_wait -1
	s_and_saveexec_b32 s48, s5
	s_cbranch_execz .LBB331_32
; %bb.31:                               ;   in Loop: Header=BB331_5 Depth=1
	ds_load_2addr_b64 v[8:11], v18 offset1:16
	s_wait_dscnt 0x0
	v_pk_add_f32 v[8:9], v[10:11], v[8:9]
	ds_store_b64 v18, v[8:9]
.LBB331_32:                             ;   in Loop: Header=BB331_5 Depth=1
	;; [unrolled: 12-line block ×5, first 2 shown]
	s_or_b32 exec_lo, exec_lo, s48
	s_wait_dscnt 0x0
	s_barrier_signal -1
	s_barrier_wait -1
	s_and_saveexec_b32 s48, s0
	s_cbranch_execz .LBB331_40
; %bb.39:                               ;   in Loop: Header=BB331_5 Depth=1
	ds_load_b128 v[8:11], v1
	s_wait_dscnt 0x0
	v_pk_add_f32 v[8:9], v[10:11], v[8:9]
	ds_store_b64 v1, v[8:9]
.LBB331_40:                             ;   in Loop: Header=BB331_5 Depth=1
	s_or_b32 exec_lo, exec_lo, s48
	s_wait_dscnt 0x0
	s_barrier_signal -1
	s_barrier_wait -1
	s_and_saveexec_b32 s48, s0
	s_cbranch_execz .LBB331_3
; %bb.41:                               ;   in Loop: Header=BB331_5 Depth=1
	ds_load_b64 v[10:11], v1
	v_mov_b64_e32 v[8:9], s[24:25]
	v_mov_b64_e32 v[12:13], s[34:35]
	s_and_not1_b32 vcc_lo, exec_lo, s45
	s_add_nc_u64 s[42:43], s[42:43], s[40:41]
	s_wait_dscnt 0x0
	s_delay_alu instid0(VALU_DEP_2) | instskip(NEXT) | instid1(VALU_DEP_1)
	v_pk_mul_f32 v[14:15], v[10:11], v[8:9] op_sel:[1,0] op_sel_hi:[0,1]
	v_pk_fma_f32 v[8:9], v[10:11], v[12:13], v[14:15] neg_lo:[0,0,1] neg_hi:[0,0,1]
	v_pk_fma_f32 v[10:11], v[10:11], v[12:13], v[14:15]
	s_cbranch_vccnz .LBB331_2
; %bb.42:                               ;   in Loop: Header=BB331_5 Depth=1
	flat_load_b64 v[12:13], v1, s[42:43]
	v_mov_b64_e32 v[14:15], s[36:37]
	v_mov_b64_e32 v[16:17], s[26:27]
	s_wait_loadcnt_dscnt 0x0
	s_delay_alu instid0(VALU_DEP_2) | instskip(NEXT) | instid1(VALU_DEP_1)
	v_pk_mul_f32 v[14:15], v[14:15], v[12:13] op_sel:[0,1]
	v_pk_fma_f32 v[20:21], v[16:17], v[12:13], v[14:15] op_sel_hi:[1,0,1]
	v_mov_b32_e32 v9, v11
	v_pk_fma_f32 v[10:11], v[16:17], v[12:13], v[14:15] neg_lo:[0,0,1] neg_hi:[0,0,1]
	s_delay_alu instid0(VALU_DEP_3) | instskip(NEXT) | instid1(VALU_DEP_1)
	v_mov_b32_e32 v11, v21
	v_pk_add_f32 v[8:9], v[8:9], v[10:11]
	s_delay_alu instid0(VALU_DEP_1)
	v_mov_b32_e32 v11, v9
	s_branch .LBB331_2
.LBB331_43:                             ;   in Loop: Header=BB331_5 Depth=1
	v_mov_b64_e32 v[12:13], 0
	s_and_saveexec_b32 s48, s1
	s_cbranch_execnz .LBB331_23
	s_branch .LBB331_24
.LBB331_44:
	s_endpgm
	.section	.rodata,"a",@progbits
	.p2align	6, 0x0
	.amdhsa_kernel _ZL20rocblas_gemvt_kernelILb1ELi256EPK19rocblas_complex_numIfES1_KPS1_EviiT2_lPKT1_lilS9_lilS6_lPT3_lili
		.amdhsa_group_segment_fixed_size 2048
		.amdhsa_private_segment_fixed_size 0
		.amdhsa_kernarg_size 140
		.amdhsa_user_sgpr_count 2
		.amdhsa_user_sgpr_dispatch_ptr 0
		.amdhsa_user_sgpr_queue_ptr 0
		.amdhsa_user_sgpr_kernarg_segment_ptr 1
		.amdhsa_user_sgpr_dispatch_id 0
		.amdhsa_user_sgpr_kernarg_preload_length 0
		.amdhsa_user_sgpr_kernarg_preload_offset 0
		.amdhsa_user_sgpr_private_segment_size 0
		.amdhsa_wavefront_size32 1
		.amdhsa_uses_dynamic_stack 0
		.amdhsa_enable_private_segment 0
		.amdhsa_system_sgpr_workgroup_id_x 1
		.amdhsa_system_sgpr_workgroup_id_y 0
		.amdhsa_system_sgpr_workgroup_id_z 1
		.amdhsa_system_sgpr_workgroup_info 0
		.amdhsa_system_vgpr_workitem_id 0
		.amdhsa_next_free_vgpr 28
		.amdhsa_next_free_sgpr 52
		.amdhsa_named_barrier_count 0
		.amdhsa_reserve_vcc 1
		.amdhsa_float_round_mode_32 0
		.amdhsa_float_round_mode_16_64 0
		.amdhsa_float_denorm_mode_32 3
		.amdhsa_float_denorm_mode_16_64 3
		.amdhsa_fp16_overflow 0
		.amdhsa_memory_ordered 1
		.amdhsa_forward_progress 1
		.amdhsa_inst_pref_size 14
		.amdhsa_round_robin_scheduling 0
		.amdhsa_exception_fp_ieee_invalid_op 0
		.amdhsa_exception_fp_denorm_src 0
		.amdhsa_exception_fp_ieee_div_zero 0
		.amdhsa_exception_fp_ieee_overflow 0
		.amdhsa_exception_fp_ieee_underflow 0
		.amdhsa_exception_fp_ieee_inexact 0
		.amdhsa_exception_int_div_zero 0
	.end_amdhsa_kernel
	.section	.text._ZL20rocblas_gemvt_kernelILb1ELi256EPK19rocblas_complex_numIfES1_KPS1_EviiT2_lPKT1_lilS9_lilS6_lPT3_lili,"axG",@progbits,_ZL20rocblas_gemvt_kernelILb1ELi256EPK19rocblas_complex_numIfES1_KPS1_EviiT2_lPKT1_lilS9_lilS6_lPT3_lili,comdat
.Lfunc_end331:
	.size	_ZL20rocblas_gemvt_kernelILb1ELi256EPK19rocblas_complex_numIfES1_KPS1_EviiT2_lPKT1_lilS9_lilS6_lPT3_lili, .Lfunc_end331-_ZL20rocblas_gemvt_kernelILb1ELi256EPK19rocblas_complex_numIfES1_KPS1_EviiT2_lPKT1_lilS9_lilS6_lPT3_lili
                                        ; -- End function
	.set _ZL20rocblas_gemvt_kernelILb1ELi256EPK19rocblas_complex_numIfES1_KPS1_EviiT2_lPKT1_lilS9_lilS6_lPT3_lili.num_vgpr, 28
	.set _ZL20rocblas_gemvt_kernelILb1ELi256EPK19rocblas_complex_numIfES1_KPS1_EviiT2_lPKT1_lilS9_lilS6_lPT3_lili.num_agpr, 0
	.set _ZL20rocblas_gemvt_kernelILb1ELi256EPK19rocblas_complex_numIfES1_KPS1_EviiT2_lPKT1_lilS9_lilS6_lPT3_lili.numbered_sgpr, 52
	.set _ZL20rocblas_gemvt_kernelILb1ELi256EPK19rocblas_complex_numIfES1_KPS1_EviiT2_lPKT1_lilS9_lilS6_lPT3_lili.num_named_barrier, 0
	.set _ZL20rocblas_gemvt_kernelILb1ELi256EPK19rocblas_complex_numIfES1_KPS1_EviiT2_lPKT1_lilS9_lilS6_lPT3_lili.private_seg_size, 0
	.set _ZL20rocblas_gemvt_kernelILb1ELi256EPK19rocblas_complex_numIfES1_KPS1_EviiT2_lPKT1_lilS9_lilS6_lPT3_lili.uses_vcc, 1
	.set _ZL20rocblas_gemvt_kernelILb1ELi256EPK19rocblas_complex_numIfES1_KPS1_EviiT2_lPKT1_lilS9_lilS6_lPT3_lili.uses_flat_scratch, 0
	.set _ZL20rocblas_gemvt_kernelILb1ELi256EPK19rocblas_complex_numIfES1_KPS1_EviiT2_lPKT1_lilS9_lilS6_lPT3_lili.has_dyn_sized_stack, 0
	.set _ZL20rocblas_gemvt_kernelILb1ELi256EPK19rocblas_complex_numIfES1_KPS1_EviiT2_lPKT1_lilS9_lilS6_lPT3_lili.has_recursion, 0
	.set _ZL20rocblas_gemvt_kernelILb1ELi256EPK19rocblas_complex_numIfES1_KPS1_EviiT2_lPKT1_lilS9_lilS6_lPT3_lili.has_indirect_call, 0
	.section	.AMDGPU.csdata,"",@progbits
; Kernel info:
; codeLenInByte = 1732
; TotalNumSgprs: 54
; NumVgprs: 28
; ScratchSize: 0
; MemoryBound: 0
; FloatMode: 240
; IeeeMode: 1
; LDSByteSize: 2048 bytes/workgroup (compile time only)
; SGPRBlocks: 0
; VGPRBlocks: 1
; NumSGPRsForWavesPerEU: 54
; NumVGPRsForWavesPerEU: 28
; NamedBarCnt: 0
; Occupancy: 16
; WaveLimiterHint : 1
; COMPUTE_PGM_RSRC2:SCRATCH_EN: 0
; COMPUTE_PGM_RSRC2:USER_SGPR: 2
; COMPUTE_PGM_RSRC2:TRAP_HANDLER: 0
; COMPUTE_PGM_RSRC2:TGID_X_EN: 1
; COMPUTE_PGM_RSRC2:TGID_Y_EN: 0
; COMPUTE_PGM_RSRC2:TGID_Z_EN: 1
; COMPUTE_PGM_RSRC2:TIDIG_COMP_CNT: 0
	.section	.text._ZL32rocblas_gemvt_warp_reduce_kernelILb1ELi1024EiPK19rocblas_complex_numIfES3_KPS1_EviiT3_lPKT2_lT1_lS9_lSA_lS6_lPT4_lSA_li,"axG",@progbits,_ZL32rocblas_gemvt_warp_reduce_kernelILb1ELi1024EiPK19rocblas_complex_numIfES3_KPS1_EviiT3_lPKT2_lT1_lS9_lSA_lS6_lPT4_lSA_li,comdat
	.globl	_ZL32rocblas_gemvt_warp_reduce_kernelILb1ELi1024EiPK19rocblas_complex_numIfES3_KPS1_EviiT3_lPKT2_lT1_lS9_lSA_lS6_lPT4_lSA_li ; -- Begin function _ZL32rocblas_gemvt_warp_reduce_kernelILb1ELi1024EiPK19rocblas_complex_numIfES3_KPS1_EviiT3_lPKT2_lT1_lS9_lSA_lS6_lPT4_lSA_li
	.p2align	8
	.type	_ZL32rocblas_gemvt_warp_reduce_kernelILb1ELi1024EiPK19rocblas_complex_numIfES3_KPS1_EviiT3_lPKT2_lT1_lS9_lSA_lS6_lPT4_lSA_li,@function
_ZL32rocblas_gemvt_warp_reduce_kernelILb1ELi1024EiPK19rocblas_complex_numIfES3_KPS1_EviiT3_lPKT2_lT1_lS9_lSA_lS6_lPT4_lSA_li: ; @_ZL32rocblas_gemvt_warp_reduce_kernelILb1ELi1024EiPK19rocblas_complex_numIfES3_KPS1_EviiT3_lPKT2_lT1_lS9_lSA_lS6_lPT4_lSA_li
; %bb.0:
	s_load_b32 s33, s[0:1], 0x88
	s_bfe_u32 s2, ttmp6, 0x40014
	s_lshr_b32 s3, ttmp7, 16
	s_add_co_i32 s2, s2, 1
	s_bfe_u32 s5, ttmp6, 0x40008
	s_mul_i32 s4, s3, s2
	s_getreg_b32 s2, hwreg(HW_REG_IB_STS2, 6, 4)
	s_add_co_i32 s5, s5, s4
	s_cmp_eq_u32 s2, 0
	s_mov_b32 s7, 0
	s_cselect_b32 s6, s3, s5
	s_wait_kmcnt 0x0
	s_cmp_ge_u32 s6, s33
	s_cbranch_scc1 .LBB332_34
; %bb.1:
	s_clause 0x6
	s_load_b32 s4, s[0:1], 0x0
	s_load_b256 s[8:15], s[0:1], 0x8
	s_load_b32 s3, s[0:1], 0x28
	s_load_b128 s[24:27], s[0:1], 0x38
	s_load_b32 s5, s[0:1], 0x48
	s_load_b256 s[16:23], s[0:1], 0x58
	s_load_b32 s29, s[0:1], 0x78
	s_wait_xcnt 0x0
	s_bfe_u32 s1, ttmp6, 0x4000c
	s_and_b32 s28, ttmp6, 15
	s_add_co_i32 s1, s1, 1
	v_dual_mov_b32 v3, 0 :: v_dual_bitop2_b32 v2, 31, v0 bitop3:0x40
	s_mul_i32 s30, ttmp9, s1
	v_lshrrev_b32_e32 v6, 2, v0
	s_add_co_i32 s28, s28, s30
	s_cmp_eq_u32 s2, 0
	v_lshlrev_b32_e32 v1, 3, v2
	s_cselect_b32 s30, ttmp9, s28
	v_and_b32_e32 v20, 0xf8, v6
	v_mov_b64_e32 v[4:5], 0
	s_wait_kmcnt 0x0
	s_ashr_i32 s2, s4, 31
	v_cmp_gt_i32_e32 vcc_lo, s4, v0
	s_lshr_b32 s2, s2, 22
	v_cmp_eq_u32_e64 s0, 0, v0
	s_add_co_i32 s28, s4, s2
	v_cmp_eq_u32_e64 s2, 0, v2
	s_and_b32 s28, s28, 0xfffffc00
	s_delay_alu instid0(SALU_CYCLE_1) | instskip(SKIP_3) | instid1(VALU_DEP_2)
	v_dual_cndmask_b32 v10, 0, v0, vcc_lo :: v_dual_bitop2_b32 v7, s28, v0 bitop3:0x54
	s_mul_i32 s34, s29, s30
	s_mul_i32 s30, s3, s30
	v_mul_lo_u32 v21, v0, s5
	v_lshlrev_b32_e32 v2, 3, v10
	v_mul_lo_u32 v6, s5, v7
	s_ashr_i32 s31, s30, 31
	v_cmp_gt_u32_e64 s1, 32, v0
	v_cmp_gt_i32_e64 s3, s28, v0
	v_lshl_add_u64 v[8:9], s[30:31], 3, v[2:3]
	v_cmp_gt_i32_e64 s4, s4, v7
	v_lshlrev_b32_e32 v2, 3, v10
	v_mbcnt_lo_u32_b32 v22, -1, 0
	s_ashr_i32 s35, s34, 31
	v_or_b32_e32 v8, 4, v8
	s_lshl_b32 s40, s5, 10
	v_ashrrev_i32_e32 v7, 31, v6
	s_lshl_b64 s[14:15], s[14:15], 3
	s_ashr_i32 s29, s28, 31
	s_lshl_b64 s[26:27], s[26:27], 3
	s_lshl_b64 s[22:23], s[22:23], 3
	;; [unrolled: 1-line block ×3, first 2 shown]
	s_branch .LBB332_5
.LBB332_2:                              ;   in Loop: Header=BB332_5 Depth=1
	s_delay_alu instid0(VALU_DEP_1)
	v_mov_b32_e32 v15, v13
	flat_store_b64 v3, v[14:15], s[36:37]
.LBB332_3:                              ;   in Loop: Header=BB332_5 Depth=1
	s_wait_xcnt 0x0
	s_or_b32 exec_lo, exec_lo, s41
.LBB332_4:                              ;   in Loop: Header=BB332_5 Depth=1
	s_add_co_i32 s6, s6, 0x10000
	s_delay_alu instid0(SALU_CYCLE_1)
	s_cmp_lt_u32 s6, s33
	s_cbranch_scc0 .LBB332_34
.LBB332_5:                              ; =>This Loop Header: Depth=1
                                        ;     Child Loop BB332_27 Depth 2
	s_mul_u64 s[36:37], s[10:11], s[6:7]
	s_delay_alu instid0(SALU_CYCLE_1) | instskip(NEXT) | instid1(SALU_CYCLE_1)
	s_lshl_b64 s[36:37], s[36:37], 3
	s_add_nc_u64 s[36:37], s[8:9], s[36:37]
	s_wait_dscnt 0x0
	global_load_b64 v[12:13], v3, s[36:37]
	s_wait_xcnt 0x0
	s_mul_u64 s[36:37], s[18:19], s[6:7]
	s_delay_alu instid0(SALU_CYCLE_1) | instskip(NEXT) | instid1(SALU_CYCLE_1)
	s_lshl_b64 s[36:37], s[36:37], 3
	s_add_nc_u64 s[36:37], s[16:17], s[36:37]
	global_load_b64 v[10:11], v3, s[36:37]
	s_wait_loadcnt 0x1
	s_wait_xcnt 0x0
	v_readfirstlane_b32 s36, v12
	v_readfirstlane_b32 s37, v13
	s_cmp_eq_f32 s36, 0
	s_wait_loadcnt 0x0
	v_cmp_eq_f32_e32 vcc_lo, 1.0, v10
	v_cmp_eq_f32_e64 s5, 0, v11
	s_cselect_b32 s38, -1, 0
	s_cmp_eq_f32 s37, 0
	s_cselect_b32 s39, -1, 0
	s_and_b32 s5, vcc_lo, s5
	s_and_b32 s38, s38, s39
	s_delay_alu instid0(SALU_CYCLE_1) | instskip(NEXT) | instid1(SALU_CYCLE_1)
	s_and_b32 s5, s38, s5
	s_and_b32 vcc_lo, exec_lo, s5
	s_cbranch_vccnz .LBB332_4
; %bb.6:                                ;   in Loop: Header=BB332_5 Depth=1
	s_or_b32 s5, s36, s37
	v_mov_b64_e32 v[12:13], 0
	s_bitset0_b32 s5, 31
	v_mov_b64_e32 v[14:15], 0
	s_cmp_lg_u32 s5, 0
	s_cselect_b32 s38, -1, 0
	s_cmp_eq_u32 s5, 0
	s_cselect_b32 s5, -1, 0
	s_delay_alu instid0(SALU_CYCLE_1)
	s_and_b32 vcc_lo, exec_lo, s5
	s_cbranch_vccnz .LBB332_8
; %bb.7:                                ;   in Loop: Header=BB332_5 Depth=1
	s_lshl_b64 s[42:43], s[6:7], 3
	s_delay_alu instid0(SALU_CYCLE_1)
	s_add_nc_u64 s[42:43], s[12:13], s[42:43]
	global_load_b64 v[14:15], v3, s[42:43]
	s_wait_loadcnt 0x0
	v_add_nc_u64_e32 v[14:15], s[14:15], v[14:15]
.LBB332_8:                              ;   in Loop: Header=BB332_5 Depth=1
	s_and_not1_b32 vcc_lo, exec_lo, s38
	s_cbranch_vccnz .LBB332_10
; %bb.9:                                ;   in Loop: Header=BB332_5 Depth=1
	s_lshl_b64 s[38:39], s[6:7], 3
	s_delay_alu instid0(SALU_CYCLE_1)
	s_add_nc_u64 s[38:39], s[24:25], s[38:39]
	global_load_b64 v[12:13], v3, s[38:39]
	s_wait_loadcnt 0x0
	v_add_nc_u64_e32 v[12:13], s[26:27], v[12:13]
.LBB332_10:                             ;   in Loop: Header=BB332_5 Depth=1
	s_wait_xcnt 0x0
	s_lshl_b64 s[38:39], s[6:7], 3
	s_and_not1_b32 vcc_lo, exec_lo, s5
	s_add_nc_u64 s[38:39], s[20:21], s[38:39]
	s_mov_b32 s5, -1
	global_load_b64 v[16:17], v3, s[38:39]
	s_wait_loadcnt 0x0
	s_wait_xcnt 0x0
	v_readfirstlane_b32 s38, v16
	v_readfirstlane_b32 s39, v17
	s_add_nc_u64 s[38:39], s[38:39], s[22:23]
	s_cbranch_vccnz .LBB332_16
; %bb.11:                               ;   in Loop: Header=BB332_5 Depth=1
	s_and_saveexec_b32 s41, s0
	s_cbranch_execz .LBB332_15
; %bb.12:                               ;   in Loop: Header=BB332_5 Depth=1
	v_cmp_neq_f32_e32 vcc_lo, 0, v10
	v_cmp_neq_f32_e64 s5, 0, v11
	v_dual_mov_b32 v16, 0 :: v_dual_mov_b32 v17, 0
	s_or_b32 s5, vcc_lo, s5
	s_delay_alu instid0(SALU_CYCLE_1)
	s_and_not1_b32 vcc_lo, exec_lo, s5
	s_cbranch_vccnz .LBB332_14
; %bb.13:                               ;   in Loop: Header=BB332_5 Depth=1
	s_add_nc_u64 s[42:43], s[38:39], s[34:35]
	flat_load_b64 v[16:17], v3, s[42:43]
	s_wait_loadcnt_dscnt 0x0
	v_pk_mul_f32 v[18:19], v[10:11], v[16:17] op_sel:[1,1] op_sel_hi:[0,1]
	s_delay_alu instid0(VALU_DEP_1) | instskip(SKIP_1) | instid1(VALU_DEP_2)
	v_pk_fma_f32 v[24:25], v[10:11], v[16:17], v[18:19] op_sel_hi:[1,0,1]
	v_pk_fma_f32 v[16:17], v[10:11], v[16:17], v[18:19] neg_lo:[0,0,1] neg_hi:[0,0,1]
	v_mov_b32_e32 v17, v25
.LBB332_14:                             ;   in Loop: Header=BB332_5 Depth=1
	s_wait_xcnt 0x0
	s_add_nc_u64 s[42:43], s[38:39], s[34:35]
	flat_store_b64 v3, v[16:17], s[42:43]
.LBB332_15:                             ;   in Loop: Header=BB332_5 Depth=1
	s_wait_xcnt 0x0
	s_or_b32 exec_lo, exec_lo, s41
	s_mov_b32 s5, 0
.LBB332_16:                             ;   in Loop: Header=BB332_5 Depth=1
	s_delay_alu instid0(SALU_CYCLE_1)
	s_and_not1_b32 vcc_lo, exec_lo, s5
	s_cbranch_vccnz .LBB332_4
; %bb.17:                               ;   in Loop: Header=BB332_5 Depth=1
	v_mov_b64_e32 v[16:17], 0
	s_and_saveexec_b32 s5, s3
	s_cbranch_execnz .LBB332_26
; %bb.18:                               ;   in Loop: Header=BB332_5 Depth=1
	s_or_b32 exec_lo, exec_lo, s5
	s_and_saveexec_b32 s5, s4
	s_cbranch_execnz .LBB332_29
.LBB332_19:                             ;   in Loop: Header=BB332_5 Depth=1
	s_or_b32 exec_lo, exec_lo, s5
	s_and_saveexec_b32 s5, s1
.LBB332_20:                             ;   in Loop: Header=BB332_5 Depth=1
	ds_store_b64 v1, v[4:5]
.LBB332_21:                             ;   in Loop: Header=BB332_5 Depth=1
	s_or_b32 exec_lo, exec_lo, s5
	v_lshl_or_b32 v18, v22, 2, 64
	v_cmp_gt_u32_e32 vcc_lo, 24, v22
	s_wait_storecnt_dscnt 0x0
	s_barrier_signal -1
	s_barrier_wait -1
	ds_bpermute_b32 v12, v18, v16
	ds_bpermute_b32 v13, v18, v17
	v_cndmask_b32_e64 v14, 0, 8, vcc_lo
	v_cmp_gt_u32_e32 vcc_lo, 28, v22
	s_wait_dscnt 0x0
	s_delay_alu instid0(VALU_DEP_2)
	v_add_lshl_u32 v19, v14, v22, 2
	v_pk_add_f32 v[12:13], v[16:17], v[12:13]
	v_cndmask_b32_e64 v16, 0, 4, vcc_lo
	v_cmp_gt_u32_e32 vcc_lo, 30, v22
	ds_bpermute_b32 v14, v19, v12
	ds_bpermute_b32 v15, v19, v13
	v_add_lshl_u32 v16, v16, v22, 2
	v_cndmask_b32_e64 v17, 0, 2, vcc_lo
	v_cmp_ne_u32_e32 vcc_lo, 31, v22
	s_delay_alu instid0(VALU_DEP_2) | instskip(SKIP_1) | instid1(VALU_DEP_1)
	v_add_lshl_u32 v17, v17, v22, 2
	v_add_co_ci_u32_e64 v23, null, 0, v22, vcc_lo
	v_lshlrev_b32_e32 v23, 2, v23
	s_wait_dscnt 0x0
	v_pk_add_f32 v[12:13], v[12:13], v[14:15]
	ds_bpermute_b32 v14, v16, v12
	ds_bpermute_b32 v15, v16, v13
	s_wait_dscnt 0x0
	v_pk_add_f32 v[12:13], v[12:13], v[14:15]
	ds_bpermute_b32 v14, v17, v12
	ds_bpermute_b32 v15, v17, v13
	;; [unrolled: 4-line block ×3, first 2 shown]
	s_and_saveexec_b32 s5, s2
	s_cbranch_execz .LBB332_23
; %bb.22:                               ;   in Loop: Header=BB332_5 Depth=1
	s_wait_dscnt 0x0
	v_pk_add_f32 v[12:13], v[12:13], v[14:15]
	ds_store_b64 v20, v[12:13]
.LBB332_23:                             ;   in Loop: Header=BB332_5 Depth=1
	s_or_b32 exec_lo, exec_lo, s5
	v_mov_b64_e32 v[12:13], 0
	s_wait_dscnt 0x0
	s_barrier_signal -1
	s_barrier_wait -1
	s_and_saveexec_b32 s5, s1
	s_cbranch_execnz .LBB332_30
; %bb.24:                               ;   in Loop: Header=BB332_5 Depth=1
	s_or_b32 exec_lo, exec_lo, s5
	s_and_saveexec_b32 s5, s1
	s_cbranch_execnz .LBB332_31
.LBB332_25:                             ;   in Loop: Header=BB332_5 Depth=1
	s_or_b32 exec_lo, exec_lo, s5
	s_and_saveexec_b32 s41, s0
	s_cbranch_execz .LBB332_3
	s_branch .LBB332_32
.LBB332_26:                             ;   in Loop: Header=BB332_5 Depth=1
	v_dual_mov_b32 v16, 0 :: v_dual_mov_b32 v23, v0
	v_add_nc_u64_e32 v[18:19], v[14:15], v[8:9]
	v_mov_b32_e32 v24, v21
	s_mov_b32 s41, 0
	s_delay_alu instid0(VALU_DEP_3)
	v_mov_b32_e32 v17, v16
.LBB332_27:                             ;   Parent Loop BB332_5 Depth=1
                                        ; =>  This Inner Loop Header: Depth=2
	v_readfirstlane_b32 s42, v12
	v_readfirstlane_b32 s43, v13
	v_add_nc_u32_e32 v23, 0x400, v23
	flat_load_b64 v[26:27], v[18:19] offset:-4
	flat_load_b64 v[28:29], v24, s[42:43] scale_offset
	s_wait_xcnt 0x1
	v_add_nc_u64_e32 v[18:19], 0x2000, v[18:19]
	v_cmp_le_i32_e32 vcc_lo, s28, v23
	s_wait_xcnt 0x0
	v_add_nc_u32_e32 v24, s40, v24
	s_or_b32 s41, vcc_lo, s41
	s_wait_loadcnt_dscnt 0x0
	v_pk_mul_f32 v[30:31], v[26:27], v[28:29] op_sel:[1,1] op_sel_hi:[1,0]
	s_delay_alu instid0(VALU_DEP_1) | instskip(SKIP_1) | instid1(VALU_DEP_2)
	v_pk_fma_f32 v[32:33], v[26:27], v[28:29], v[30:31] op_sel_hi:[0,1,1] neg_lo:[0,0,1] neg_hi:[0,0,1]
	v_pk_fma_f32 v[26:27], v[26:27], v[28:29], v[30:31]
	v_mov_b32_e32 v27, v33
	s_delay_alu instid0(VALU_DEP_1)
	v_pk_add_f32 v[16:17], v[16:17], v[26:27]
	s_and_not1_b32 exec_lo, exec_lo, s41
	s_cbranch_execnz .LBB332_27
; %bb.28:                               ;   in Loop: Header=BB332_5 Depth=1
	s_or_b32 exec_lo, exec_lo, s41
	s_delay_alu instid0(SALU_CYCLE_1)
	s_or_b32 exec_lo, exec_lo, s5
	s_and_saveexec_b32 s5, s4
	s_cbranch_execz .LBB332_19
.LBB332_29:                             ;   in Loop: Header=BB332_5 Depth=1
	v_add_nc_u64_e32 v[14:15], v[14:15], v[2:3]
	v_lshl_add_u64 v[12:13], v[6:7], 3, v[12:13]
	s_delay_alu instid0(VALU_DEP_2) | instskip(NEXT) | instid1(VALU_DEP_1)
	v_lshl_add_u64 v[14:15], s[30:31], 3, v[14:15]
	v_lshl_add_u64 v[14:15], s[28:29], 3, v[14:15]
	flat_load_b64 v[18:19], v[14:15]
	flat_load_b64 v[24:25], v[12:13]
	s_wait_loadcnt_dscnt 0x0
	v_pk_mul_f32 v[12:13], v[18:19], v[24:25] op_sel:[1,1] op_sel_hi:[1,0]
	s_delay_alu instid0(VALU_DEP_1) | instskip(SKIP_1) | instid1(VALU_DEP_2)
	v_pk_fma_f32 v[14:15], v[18:19], v[24:25], v[12:13] op_sel_hi:[0,1,1] neg_lo:[0,0,1] neg_hi:[0,0,1]
	v_pk_fma_f32 v[12:13], v[18:19], v[24:25], v[12:13]
	v_mov_b32_e32 v13, v15
	s_delay_alu instid0(VALU_DEP_1)
	v_pk_add_f32 v[16:17], v[16:17], v[12:13]
	s_or_b32 exec_lo, exec_lo, s5
	s_and_saveexec_b32 s5, s1
	s_cbranch_execnz .LBB332_20
	s_branch .LBB332_21
.LBB332_30:                             ;   in Loop: Header=BB332_5 Depth=1
	ds_load_b64 v[12:13], v1
	s_or_b32 exec_lo, exec_lo, s5
	s_and_saveexec_b32 s5, s1
	s_cbranch_execz .LBB332_25
.LBB332_31:                             ;   in Loop: Header=BB332_5 Depth=1
	s_wait_dscnt 0x0
	ds_bpermute_b32 v14, v18, v12
	ds_bpermute_b32 v15, v18, v13
	s_wait_dscnt 0x0
	v_pk_add_f32 v[12:13], v[12:13], v[14:15]
	ds_bpermute_b32 v14, v19, v12
	ds_bpermute_b32 v15, v19, v13
	s_wait_dscnt 0x0
	v_pk_add_f32 v[12:13], v[12:13], v[14:15]
	;; [unrolled: 4-line block ×5, first 2 shown]
	s_or_b32 exec_lo, exec_lo, s5
	s_and_saveexec_b32 s41, s0
	s_cbranch_execz .LBB332_3
.LBB332_32:                             ;   in Loop: Header=BB332_5 Depth=1
	v_mov_b64_e32 v[16:17], s[36:37]
	v_cmp_neq_f32_e32 vcc_lo, 0, v10
	v_cmp_neq_f32_e64 s5, 0, v11
	s_add_nc_u64 s[36:37], s[38:39], s[34:35]
	s_or_b32 s5, vcc_lo, s5
	s_wait_dscnt 0x0
	v_pk_mul_f32 v[18:19], v[12:13], v[16:17] op_sel:[1,1] op_sel_hi:[1,0]
	s_and_not1_b32 vcc_lo, exec_lo, s5
	s_delay_alu instid0(VALU_DEP_1)
	v_pk_fma_f32 v[14:15], v[12:13], v[16:17], v[18:19] op_sel_hi:[0,1,1] neg_lo:[0,0,1] neg_hi:[0,0,1]
	v_pk_fma_f32 v[12:13], v[12:13], v[16:17], v[18:19] op_sel_hi:[0,1,1]
	s_cbranch_vccnz .LBB332_2
; %bb.33:                               ;   in Loop: Header=BB332_5 Depth=1
	flat_load_b64 v[16:17], v3, s[36:37]
	s_wait_loadcnt_dscnt 0x0
	v_pk_mul_f32 v[18:19], v[10:11], v[16:17] op_sel:[1,1] op_sel_hi:[0,1]
	s_delay_alu instid0(VALU_DEP_1) | instskip(SKIP_1) | instid1(VALU_DEP_2)
	v_pk_fma_f32 v[24:25], v[10:11], v[16:17], v[18:19] op_sel_hi:[1,0,1]
	v_pk_fma_f32 v[10:11], v[10:11], v[16:17], v[18:19] neg_lo:[0,0,1] neg_hi:[0,0,1]
	v_dual_mov_b32 v15, v13 :: v_dual_mov_b32 v11, v25
	s_delay_alu instid0(VALU_DEP_1) | instskip(NEXT) | instid1(VALU_DEP_1)
	v_pk_add_f32 v[14:15], v[14:15], v[10:11]
	v_mov_b32_e32 v13, v15
	s_branch .LBB332_2
.LBB332_34:
	s_endpgm
	.section	.rodata,"a",@progbits
	.p2align	6, 0x0
	.amdhsa_kernel _ZL32rocblas_gemvt_warp_reduce_kernelILb1ELi1024EiPK19rocblas_complex_numIfES3_KPS1_EviiT3_lPKT2_lT1_lS9_lSA_lS6_lPT4_lSA_li
		.amdhsa_group_segment_fixed_size 256
		.amdhsa_private_segment_fixed_size 0
		.amdhsa_kernarg_size 140
		.amdhsa_user_sgpr_count 2
		.amdhsa_user_sgpr_dispatch_ptr 0
		.amdhsa_user_sgpr_queue_ptr 0
		.amdhsa_user_sgpr_kernarg_segment_ptr 1
		.amdhsa_user_sgpr_dispatch_id 0
		.amdhsa_user_sgpr_kernarg_preload_length 0
		.amdhsa_user_sgpr_kernarg_preload_offset 0
		.amdhsa_user_sgpr_private_segment_size 0
		.amdhsa_wavefront_size32 1
		.amdhsa_uses_dynamic_stack 0
		.amdhsa_enable_private_segment 0
		.amdhsa_system_sgpr_workgroup_id_x 1
		.amdhsa_system_sgpr_workgroup_id_y 0
		.amdhsa_system_sgpr_workgroup_id_z 1
		.amdhsa_system_sgpr_workgroup_info 0
		.amdhsa_system_vgpr_workitem_id 0
		.amdhsa_next_free_vgpr 34
		.amdhsa_next_free_sgpr 44
		.amdhsa_named_barrier_count 0
		.amdhsa_reserve_vcc 1
		.amdhsa_float_round_mode_32 0
		.amdhsa_float_round_mode_16_64 0
		.amdhsa_float_denorm_mode_32 3
		.amdhsa_float_denorm_mode_16_64 3
		.amdhsa_fp16_overflow 0
		.amdhsa_memory_ordered 1
		.amdhsa_forward_progress 1
		.amdhsa_inst_pref_size 15
		.amdhsa_round_robin_scheduling 0
		.amdhsa_exception_fp_ieee_invalid_op 0
		.amdhsa_exception_fp_denorm_src 0
		.amdhsa_exception_fp_ieee_div_zero 0
		.amdhsa_exception_fp_ieee_overflow 0
		.amdhsa_exception_fp_ieee_underflow 0
		.amdhsa_exception_fp_ieee_inexact 0
		.amdhsa_exception_int_div_zero 0
	.end_amdhsa_kernel
	.section	.text._ZL32rocblas_gemvt_warp_reduce_kernelILb1ELi1024EiPK19rocblas_complex_numIfES3_KPS1_EviiT3_lPKT2_lT1_lS9_lSA_lS6_lPT4_lSA_li,"axG",@progbits,_ZL32rocblas_gemvt_warp_reduce_kernelILb1ELi1024EiPK19rocblas_complex_numIfES3_KPS1_EviiT3_lPKT2_lT1_lS9_lSA_lS6_lPT4_lSA_li,comdat
.Lfunc_end332:
	.size	_ZL32rocblas_gemvt_warp_reduce_kernelILb1ELi1024EiPK19rocblas_complex_numIfES3_KPS1_EviiT3_lPKT2_lT1_lS9_lSA_lS6_lPT4_lSA_li, .Lfunc_end332-_ZL32rocblas_gemvt_warp_reduce_kernelILb1ELi1024EiPK19rocblas_complex_numIfES3_KPS1_EviiT3_lPKT2_lT1_lS9_lSA_lS6_lPT4_lSA_li
                                        ; -- End function
	.set _ZL32rocblas_gemvt_warp_reduce_kernelILb1ELi1024EiPK19rocblas_complex_numIfES3_KPS1_EviiT3_lPKT2_lT1_lS9_lSA_lS6_lPT4_lSA_li.num_vgpr, 34
	.set _ZL32rocblas_gemvt_warp_reduce_kernelILb1ELi1024EiPK19rocblas_complex_numIfES3_KPS1_EviiT3_lPKT2_lT1_lS9_lSA_lS6_lPT4_lSA_li.num_agpr, 0
	.set _ZL32rocblas_gemvt_warp_reduce_kernelILb1ELi1024EiPK19rocblas_complex_numIfES3_KPS1_EviiT3_lPKT2_lT1_lS9_lSA_lS6_lPT4_lSA_li.numbered_sgpr, 44
	.set _ZL32rocblas_gemvt_warp_reduce_kernelILb1ELi1024EiPK19rocblas_complex_numIfES3_KPS1_EviiT3_lPKT2_lT1_lS9_lSA_lS6_lPT4_lSA_li.num_named_barrier, 0
	.set _ZL32rocblas_gemvt_warp_reduce_kernelILb1ELi1024EiPK19rocblas_complex_numIfES3_KPS1_EviiT3_lPKT2_lT1_lS9_lSA_lS6_lPT4_lSA_li.private_seg_size, 0
	.set _ZL32rocblas_gemvt_warp_reduce_kernelILb1ELi1024EiPK19rocblas_complex_numIfES3_KPS1_EviiT3_lPKT2_lT1_lS9_lSA_lS6_lPT4_lSA_li.uses_vcc, 1
	.set _ZL32rocblas_gemvt_warp_reduce_kernelILb1ELi1024EiPK19rocblas_complex_numIfES3_KPS1_EviiT3_lPKT2_lT1_lS9_lSA_lS6_lPT4_lSA_li.uses_flat_scratch, 0
	.set _ZL32rocblas_gemvt_warp_reduce_kernelILb1ELi1024EiPK19rocblas_complex_numIfES3_KPS1_EviiT3_lPKT2_lT1_lS9_lSA_lS6_lPT4_lSA_li.has_dyn_sized_stack, 0
	.set _ZL32rocblas_gemvt_warp_reduce_kernelILb1ELi1024EiPK19rocblas_complex_numIfES3_KPS1_EviiT3_lPKT2_lT1_lS9_lSA_lS6_lPT4_lSA_li.has_recursion, 0
	.set _ZL32rocblas_gemvt_warp_reduce_kernelILb1ELi1024EiPK19rocblas_complex_numIfES3_KPS1_EviiT3_lPKT2_lT1_lS9_lSA_lS6_lPT4_lSA_li.has_indirect_call, 0
	.section	.AMDGPU.csdata,"",@progbits
; Kernel info:
; codeLenInByte = 1840
; TotalNumSgprs: 46
; NumVgprs: 34
; ScratchSize: 0
; MemoryBound: 0
; FloatMode: 240
; IeeeMode: 1
; LDSByteSize: 256 bytes/workgroup (compile time only)
; SGPRBlocks: 0
; VGPRBlocks: 2
; NumSGPRsForWavesPerEU: 46
; NumVGPRsForWavesPerEU: 34
; NamedBarCnt: 0
; Occupancy: 16
; WaveLimiterHint : 1
; COMPUTE_PGM_RSRC2:SCRATCH_EN: 0
; COMPUTE_PGM_RSRC2:USER_SGPR: 2
; COMPUTE_PGM_RSRC2:TRAP_HANDLER: 0
; COMPUTE_PGM_RSRC2:TGID_X_EN: 1
; COMPUTE_PGM_RSRC2:TGID_Y_EN: 0
; COMPUTE_PGM_RSRC2:TGID_Z_EN: 1
; COMPUTE_PGM_RSRC2:TIDIG_COMP_CNT: 0
	.section	.text._ZL32rocblas_gemvt_warp_reduce_kernelILb1ELi1024ElPK19rocblas_complex_numIfES3_KPS1_EviiT3_lPKT2_lT1_lS9_lSA_lS6_lPT4_lSA_li,"axG",@progbits,_ZL32rocblas_gemvt_warp_reduce_kernelILb1ELi1024ElPK19rocblas_complex_numIfES3_KPS1_EviiT3_lPKT2_lT1_lS9_lSA_lS6_lPT4_lSA_li,comdat
	.globl	_ZL32rocblas_gemvt_warp_reduce_kernelILb1ELi1024ElPK19rocblas_complex_numIfES3_KPS1_EviiT3_lPKT2_lT1_lS9_lSA_lS6_lPT4_lSA_li ; -- Begin function _ZL32rocblas_gemvt_warp_reduce_kernelILb1ELi1024ElPK19rocblas_complex_numIfES3_KPS1_EviiT3_lPKT2_lT1_lS9_lSA_lS6_lPT4_lSA_li
	.p2align	8
	.type	_ZL32rocblas_gemvt_warp_reduce_kernelILb1ELi1024ElPK19rocblas_complex_numIfES3_KPS1_EviiT3_lPKT2_lT1_lS9_lSA_lS6_lPT4_lSA_li,@function
_ZL32rocblas_gemvt_warp_reduce_kernelILb1ELi1024ElPK19rocblas_complex_numIfES3_KPS1_EviiT3_lPKT2_lT1_lS9_lSA_lS6_lPT4_lSA_li: ; @_ZL32rocblas_gemvt_warp_reduce_kernelILb1ELi1024ElPK19rocblas_complex_numIfES3_KPS1_EviiT3_lPKT2_lT1_lS9_lSA_lS6_lPT4_lSA_li
; %bb.0:
	s_load_b32 s33, s[0:1], 0x88
	s_bfe_u32 s2, ttmp6, 0x40014
	s_lshr_b32 s3, ttmp7, 16
	s_add_co_i32 s2, s2, 1
	s_bfe_u32 s5, ttmp6, 0x40008
	s_mul_i32 s4, s3, s2
	s_getreg_b32 s2, hwreg(HW_REG_IB_STS2, 6, 4)
	s_add_co_i32 s5, s5, s4
	s_cmp_eq_u32 s2, 0
	s_mov_b32 s7, 0
	s_cselect_b32 s6, s3, s5
	s_wait_kmcnt 0x0
	s_cmp_ge_u32 s6, s33
	s_cbranch_scc1 .LBB333_34
; %bb.1:
	s_clause 0x1
	s_load_b32 s29, s[0:1], 0x0
	s_load_b64 s[34:35], s[0:1], 0x48
	s_bfe_u32 s3, ttmp6, 0x4000c
	s_and_b32 s4, ttmp6, 15
	s_add_co_i32 s3, s3, 1
	s_clause 0x2
	s_load_b256 s[8:15], s[0:1], 0x8
	s_load_b128 s[24:27], s[0:1], 0x38
	s_load_b256 s[16:23], s[0:1], 0x58
	s_mul_i32 s3, ttmp9, s3
	v_mbcnt_lo_u32_b32 v25, -1, 0
	s_add_co_i32 s4, s4, s3
	s_cmp_eq_u32 s2, 0
	s_load_b64 s[30:31], s[0:1], 0x78
	s_cselect_b32 s2, ttmp9, s4
	s_load_b64 s[4:5], s[0:1], 0x28
	s_wait_xcnt 0x0
	v_cmp_eq_u32_e64 s0, 0, v0
	v_and_b32_e32 v10, 31, v0
	s_wait_kmcnt 0x0
	s_ashr_i32 s3, s29, 31
	v_cmp_gt_i32_e32 vcc_lo, s29, v0
	s_lshr_b32 s3, s3, 22
	s_lshl_b64 s[14:15], s[14:15], 3
	s_add_co_i32 s3, s29, s3
	s_lshl_b64 s[26:27], s[26:27], 3
	s_and_b32 s28, s3, 0xfffffc00
	s_delay_alu instid0(SALU_CYCLE_1) | instskip(SKIP_3) | instid1(VALU_DEP_3)
	v_dual_mov_b32 v3, 0 :: v_dual_bitop2_b32 v6, s28, v0 bitop3:0x54
	v_cndmask_b32_e32 v12, 0, v0, vcc_lo
	s_ashr_i32 s3, s2, 31
	v_cmp_gt_i32_e64 s1, s28, v0
	v_dual_mov_b32 v1, v3 :: v_dual_ashrrev_i32 v7, 31, v6
	s_delay_alu instid0(VALU_DEP_3) | instskip(SKIP_2) | instid1(VALU_DEP_2)
	v_lshlrev_b32_e32 v2, 3, v12
	s_mul_u64 s[36:37], s[30:31], s[2:3]
	s_mul_u64 s[30:31], s[4:5], s[2:3]
	v_mul_u64_e32 v[8:9], s[34:35], v[0:1]
	v_mul_u64_e32 v[4:5], s[34:35], v[6:7]
	v_cmp_gt_i32_e64 s2, s29, v6
	v_lshlrev_b32_e32 v1, 3, v10
	v_lshl_add_u64 v[6:7], s[30:31], 3, v[2:3]
	v_lshrrev_b32_e32 v11, 2, v0
	v_cmp_eq_u32_e64 s4, 0, v10
	v_cmp_gt_u32_e64 s3, 32, v0
	s_delay_alu instid0(VALU_DEP_4) | instskip(NEXT) | instid1(VALU_DEP_4)
	v_dual_lshlrev_b32 v2, 3, v12 :: v_dual_bitop2_b32 v6, 4, v6 bitop3:0x54
	v_and_b32_e32 v24, 0xf8, v11
	v_mov_b64_e32 v[10:11], 0
	s_ashr_i32 s29, s28, 31
	s_lshl_b64 s[34:35], s[34:35], 13
	s_lshl_b64 s[22:23], s[22:23], 3
	;; [unrolled: 1-line block ×3, first 2 shown]
	v_lshlrev_b64_e32 v[8:9], 3, v[8:9]
	s_branch .LBB333_5
.LBB333_2:                              ;   in Loop: Header=BB333_5 Depth=1
	s_delay_alu instid0(VALU_DEP_1)
	v_mov_b32_e32 v17, v15
	flat_store_b64 v3, v[16:17], s[38:39]
.LBB333_3:                              ;   in Loop: Header=BB333_5 Depth=1
	s_wait_xcnt 0x0
	s_or_b32 exec_lo, exec_lo, s42
.LBB333_4:                              ;   in Loop: Header=BB333_5 Depth=1
	s_add_co_i32 s6, s6, 0x10000
	s_delay_alu instid0(SALU_CYCLE_1)
	s_cmp_lt_u32 s6, s33
	s_cbranch_scc0 .LBB333_34
.LBB333_5:                              ; =>This Loop Header: Depth=1
                                        ;     Child Loop BB333_27 Depth 2
	s_mul_u64 s[38:39], s[10:11], s[6:7]
	s_delay_alu instid0(SALU_CYCLE_1) | instskip(NEXT) | instid1(SALU_CYCLE_1)
	s_lshl_b64 s[38:39], s[38:39], 3
	s_add_nc_u64 s[38:39], s[8:9], s[38:39]
	s_wait_dscnt 0x0
	global_load_b64 v[14:15], v3, s[38:39]
	s_wait_xcnt 0x0
	s_mul_u64 s[38:39], s[18:19], s[6:7]
	s_delay_alu instid0(SALU_CYCLE_1) | instskip(NEXT) | instid1(SALU_CYCLE_1)
	s_lshl_b64 s[38:39], s[38:39], 3
	s_add_nc_u64 s[38:39], s[16:17], s[38:39]
	global_load_b64 v[12:13], v3, s[38:39]
	s_wait_loadcnt 0x1
	s_wait_xcnt 0x0
	v_readfirstlane_b32 s38, v14
	v_readfirstlane_b32 s39, v15
	s_cmp_eq_f32 s38, 0
	s_wait_loadcnt 0x0
	v_cmp_eq_f32_e32 vcc_lo, 1.0, v12
	v_cmp_eq_f32_e64 s5, 0, v13
	s_cselect_b32 s40, -1, 0
	s_cmp_eq_f32 s39, 0
	s_cselect_b32 s41, -1, 0
	s_and_b32 s5, vcc_lo, s5
	s_and_b32 s40, s40, s41
	s_delay_alu instid0(SALU_CYCLE_1) | instskip(NEXT) | instid1(SALU_CYCLE_1)
	s_and_b32 s5, s40, s5
	s_and_b32 vcc_lo, exec_lo, s5
	s_cbranch_vccnz .LBB333_4
; %bb.6:                                ;   in Loop: Header=BB333_5 Depth=1
	s_or_b32 s5, s38, s39
	v_mov_b64_e32 v[14:15], 0
	s_bitset0_b32 s5, 31
	v_mov_b64_e32 v[16:17], 0
	s_cmp_lg_u32 s5, 0
	s_cselect_b32 s40, -1, 0
	s_cmp_eq_u32 s5, 0
	s_cselect_b32 s5, -1, 0
	s_delay_alu instid0(SALU_CYCLE_1)
	s_and_b32 vcc_lo, exec_lo, s5
	s_cbranch_vccnz .LBB333_8
; %bb.7:                                ;   in Loop: Header=BB333_5 Depth=1
	s_lshl_b64 s[42:43], s[6:7], 3
	s_delay_alu instid0(SALU_CYCLE_1)
	s_add_nc_u64 s[42:43], s[12:13], s[42:43]
	global_load_b64 v[16:17], v3, s[42:43]
	s_wait_loadcnt 0x0
	v_add_nc_u64_e32 v[16:17], s[14:15], v[16:17]
.LBB333_8:                              ;   in Loop: Header=BB333_5 Depth=1
	s_and_not1_b32 vcc_lo, exec_lo, s40
	s_cbranch_vccnz .LBB333_10
; %bb.9:                                ;   in Loop: Header=BB333_5 Depth=1
	s_lshl_b64 s[40:41], s[6:7], 3
	s_delay_alu instid0(SALU_CYCLE_1)
	s_add_nc_u64 s[40:41], s[24:25], s[40:41]
	global_load_b64 v[14:15], v3, s[40:41]
	s_wait_loadcnt 0x0
	v_add_nc_u64_e32 v[14:15], s[26:27], v[14:15]
.LBB333_10:                             ;   in Loop: Header=BB333_5 Depth=1
	s_wait_xcnt 0x0
	s_lshl_b64 s[40:41], s[6:7], 3
	s_and_not1_b32 vcc_lo, exec_lo, s5
	s_add_nc_u64 s[40:41], s[20:21], s[40:41]
	s_mov_b32 s5, -1
	global_load_b64 v[18:19], v3, s[40:41]
	s_wait_loadcnt 0x0
	s_wait_xcnt 0x0
	v_readfirstlane_b32 s40, v18
	v_readfirstlane_b32 s41, v19
	s_add_nc_u64 s[40:41], s[40:41], s[22:23]
	s_cbranch_vccnz .LBB333_16
; %bb.11:                               ;   in Loop: Header=BB333_5 Depth=1
	s_and_saveexec_b32 s44, s0
	s_cbranch_execz .LBB333_15
; %bb.12:                               ;   in Loop: Header=BB333_5 Depth=1
	v_cmp_neq_f32_e32 vcc_lo, 0, v12
	v_cmp_neq_f32_e64 s5, 0, v13
	v_dual_mov_b32 v18, 0 :: v_dual_mov_b32 v19, 0
	s_add_nc_u64 s[42:43], s[40:41], s[36:37]
	s_or_b32 s5, vcc_lo, s5
	s_delay_alu instid0(SALU_CYCLE_1)
	s_and_not1_b32 vcc_lo, exec_lo, s5
	s_cbranch_vccnz .LBB333_14
; %bb.13:                               ;   in Loop: Header=BB333_5 Depth=1
	flat_load_b64 v[18:19], v3, s[42:43]
	s_wait_loadcnt_dscnt 0x0
	v_pk_mul_f32 v[20:21], v[12:13], v[18:19] op_sel:[1,1] op_sel_hi:[0,1]
	s_delay_alu instid0(VALU_DEP_1) | instskip(SKIP_1) | instid1(VALU_DEP_2)
	v_pk_fma_f32 v[22:23], v[12:13], v[18:19], v[20:21] op_sel_hi:[1,0,1]
	v_pk_fma_f32 v[18:19], v[12:13], v[18:19], v[20:21] neg_lo:[0,0,1] neg_hi:[0,0,1]
	v_mov_b32_e32 v19, v23
.LBB333_14:                             ;   in Loop: Header=BB333_5 Depth=1
	flat_store_b64 v3, v[18:19], s[42:43]
.LBB333_15:                             ;   in Loop: Header=BB333_5 Depth=1
	s_wait_xcnt 0x0
	s_or_b32 exec_lo, exec_lo, s44
	s_mov_b32 s5, 0
.LBB333_16:                             ;   in Loop: Header=BB333_5 Depth=1
	s_delay_alu instid0(SALU_CYCLE_1)
	s_and_not1_b32 vcc_lo, exec_lo, s5
	s_cbranch_vccnz .LBB333_4
; %bb.17:                               ;   in Loop: Header=BB333_5 Depth=1
	v_mov_b64_e32 v[18:19], 0
	s_and_saveexec_b32 s5, s1
	s_cbranch_execnz .LBB333_26
; %bb.18:                               ;   in Loop: Header=BB333_5 Depth=1
	s_or_b32 exec_lo, exec_lo, s5
	s_and_saveexec_b32 s5, s2
	s_cbranch_execnz .LBB333_29
.LBB333_19:                             ;   in Loop: Header=BB333_5 Depth=1
	s_or_b32 exec_lo, exec_lo, s5
	s_and_saveexec_b32 s5, s3
.LBB333_20:                             ;   in Loop: Header=BB333_5 Depth=1
	ds_store_b64 v1, v[10:11]
.LBB333_21:                             ;   in Loop: Header=BB333_5 Depth=1
	s_or_b32 exec_lo, exec_lo, s5
	v_lshl_or_b32 v20, v25, 2, 64
	v_cmp_gt_u32_e32 vcc_lo, 24, v25
	s_wait_storecnt_dscnt 0x0
	s_barrier_signal -1
	s_barrier_wait -1
	ds_bpermute_b32 v14, v20, v18
	ds_bpermute_b32 v15, v20, v19
	v_cndmask_b32_e64 v16, 0, 8, vcc_lo
	v_cmp_gt_u32_e32 vcc_lo, 28, v25
	s_wait_dscnt 0x0
	s_delay_alu instid0(VALU_DEP_2)
	v_add_lshl_u32 v21, v16, v25, 2
	v_pk_add_f32 v[14:15], v[18:19], v[14:15]
	v_cndmask_b32_e64 v18, 0, 4, vcc_lo
	v_cmp_gt_u32_e32 vcc_lo, 30, v25
	ds_bpermute_b32 v16, v21, v14
	ds_bpermute_b32 v17, v21, v15
	v_add_lshl_u32 v18, v18, v25, 2
	v_cndmask_b32_e64 v19, 0, 2, vcc_lo
	v_cmp_ne_u32_e32 vcc_lo, 31, v25
	s_delay_alu instid0(VALU_DEP_2) | instskip(SKIP_1) | instid1(VALU_DEP_1)
	v_add_lshl_u32 v19, v19, v25, 2
	v_add_co_ci_u32_e64 v22, null, 0, v25, vcc_lo
	v_lshlrev_b32_e32 v22, 2, v22
	s_wait_dscnt 0x0
	v_pk_add_f32 v[14:15], v[14:15], v[16:17]
	ds_bpermute_b32 v16, v18, v14
	ds_bpermute_b32 v17, v18, v15
	s_wait_dscnt 0x0
	v_pk_add_f32 v[14:15], v[14:15], v[16:17]
	ds_bpermute_b32 v16, v19, v14
	ds_bpermute_b32 v17, v19, v15
	;; [unrolled: 4-line block ×3, first 2 shown]
	s_and_saveexec_b32 s5, s4
	s_cbranch_execz .LBB333_23
; %bb.22:                               ;   in Loop: Header=BB333_5 Depth=1
	s_wait_dscnt 0x0
	v_pk_add_f32 v[14:15], v[14:15], v[16:17]
	ds_store_b64 v24, v[14:15]
.LBB333_23:                             ;   in Loop: Header=BB333_5 Depth=1
	s_or_b32 exec_lo, exec_lo, s5
	v_mov_b64_e32 v[14:15], 0
	s_wait_dscnt 0x0
	s_barrier_signal -1
	s_barrier_wait -1
	s_and_saveexec_b32 s5, s3
	s_cbranch_execnz .LBB333_30
; %bb.24:                               ;   in Loop: Header=BB333_5 Depth=1
	s_or_b32 exec_lo, exec_lo, s5
	s_and_saveexec_b32 s5, s3
	s_cbranch_execnz .LBB333_31
.LBB333_25:                             ;   in Loop: Header=BB333_5 Depth=1
	s_or_b32 exec_lo, exec_lo, s5
	s_and_saveexec_b32 s42, s0
	s_cbranch_execz .LBB333_3
	s_branch .LBB333_32
.LBB333_26:                             ;   in Loop: Header=BB333_5 Depth=1
	v_dual_mov_b32 v18, 0 :: v_dual_mov_b32 v26, v0
	v_add_nc_u64_e32 v[20:21], v[16:17], v[6:7]
	v_add_nc_u64_e32 v[22:23], v[14:15], v[8:9]
	s_mov_b32 s42, 0
	s_delay_alu instid0(VALU_DEP_3)
	v_mov_b32_e32 v19, v18
.LBB333_27:                             ;   Parent Loop BB333_5 Depth=1
                                        ; =>  This Inner Loop Header: Depth=2
	flat_load_b64 v[28:29], v[20:21] offset:-4
	flat_load_b64 v[30:31], v[22:23]
	s_wait_xcnt 0x1
	v_add_nc_u64_e32 v[20:21], 0x2000, v[20:21]
	s_wait_xcnt 0x0
	v_add_nc_u64_e32 v[22:23], s[34:35], v[22:23]
	s_wait_loadcnt_dscnt 0x0
	v_pk_mul_f32 v[32:33], v[28:29], v[30:31] op_sel:[1,1] op_sel_hi:[1,0]
	s_delay_alu instid0(VALU_DEP_1) | instskip(SKIP_2) | instid1(VALU_DEP_3)
	v_pk_fma_f32 v[34:35], v[28:29], v[30:31], v[32:33] op_sel_hi:[0,1,1] neg_lo:[0,0,1] neg_hi:[0,0,1]
	v_add_nc_u32_e32 v26, 0x400, v26
	v_pk_fma_f32 v[28:29], v[28:29], v[30:31], v[32:33]
	v_mov_b32_e32 v29, v35
	s_delay_alu instid0(VALU_DEP_3) | instskip(NEXT) | instid1(VALU_DEP_2)
	v_cmp_le_i32_e32 vcc_lo, s28, v26
	v_pk_add_f32 v[18:19], v[18:19], v[28:29]
	s_or_b32 s42, vcc_lo, s42
	s_delay_alu instid0(SALU_CYCLE_1)
	s_and_not1_b32 exec_lo, exec_lo, s42
	s_cbranch_execnz .LBB333_27
; %bb.28:                               ;   in Loop: Header=BB333_5 Depth=1
	s_or_b32 exec_lo, exec_lo, s42
	s_delay_alu instid0(SALU_CYCLE_1)
	s_or_b32 exec_lo, exec_lo, s5
	s_and_saveexec_b32 s5, s2
	s_cbranch_execz .LBB333_19
.LBB333_29:                             ;   in Loop: Header=BB333_5 Depth=1
	v_add_nc_u64_e32 v[16:17], v[16:17], v[2:3]
	v_lshl_add_u64 v[14:15], v[4:5], 3, v[14:15]
	s_delay_alu instid0(VALU_DEP_2) | instskip(NEXT) | instid1(VALU_DEP_1)
	v_lshl_add_u64 v[16:17], s[30:31], 3, v[16:17]
	v_lshl_add_u64 v[16:17], s[28:29], 3, v[16:17]
	flat_load_b64 v[20:21], v[16:17]
	flat_load_b64 v[22:23], v[14:15]
	s_wait_loadcnt_dscnt 0x0
	v_pk_mul_f32 v[14:15], v[20:21], v[22:23] op_sel:[1,1] op_sel_hi:[1,0]
	s_delay_alu instid0(VALU_DEP_1) | instskip(SKIP_1) | instid1(VALU_DEP_2)
	v_pk_fma_f32 v[16:17], v[20:21], v[22:23], v[14:15] op_sel_hi:[0,1,1] neg_lo:[0,0,1] neg_hi:[0,0,1]
	v_pk_fma_f32 v[14:15], v[20:21], v[22:23], v[14:15]
	v_mov_b32_e32 v15, v17
	s_delay_alu instid0(VALU_DEP_1)
	v_pk_add_f32 v[18:19], v[18:19], v[14:15]
	s_or_b32 exec_lo, exec_lo, s5
	s_and_saveexec_b32 s5, s3
	s_cbranch_execnz .LBB333_20
	s_branch .LBB333_21
.LBB333_30:                             ;   in Loop: Header=BB333_5 Depth=1
	ds_load_b64 v[14:15], v1
	s_or_b32 exec_lo, exec_lo, s5
	s_and_saveexec_b32 s5, s3
	s_cbranch_execz .LBB333_25
.LBB333_31:                             ;   in Loop: Header=BB333_5 Depth=1
	s_wait_dscnt 0x0
	ds_bpermute_b32 v16, v20, v14
	ds_bpermute_b32 v17, v20, v15
	s_wait_dscnt 0x0
	v_pk_add_f32 v[14:15], v[14:15], v[16:17]
	ds_bpermute_b32 v16, v21, v14
	ds_bpermute_b32 v17, v21, v15
	s_wait_dscnt 0x0
	v_pk_add_f32 v[14:15], v[14:15], v[16:17]
	;; [unrolled: 4-line block ×5, first 2 shown]
	s_or_b32 exec_lo, exec_lo, s5
	s_and_saveexec_b32 s42, s0
	s_cbranch_execz .LBB333_3
.LBB333_32:                             ;   in Loop: Header=BB333_5 Depth=1
	v_mov_b64_e32 v[18:19], s[38:39]
	v_cmp_neq_f32_e32 vcc_lo, 0, v12
	v_cmp_neq_f32_e64 s5, 0, v13
	s_add_nc_u64 s[38:39], s[40:41], s[36:37]
	s_or_b32 s5, vcc_lo, s5
	s_wait_dscnt 0x0
	v_pk_mul_f32 v[20:21], v[14:15], v[18:19] op_sel:[1,1] op_sel_hi:[1,0]
	s_and_not1_b32 vcc_lo, exec_lo, s5
	s_delay_alu instid0(VALU_DEP_1)
	v_pk_fma_f32 v[16:17], v[14:15], v[18:19], v[20:21] op_sel_hi:[0,1,1] neg_lo:[0,0,1] neg_hi:[0,0,1]
	v_pk_fma_f32 v[14:15], v[14:15], v[18:19], v[20:21] op_sel_hi:[0,1,1]
	s_cbranch_vccnz .LBB333_2
; %bb.33:                               ;   in Loop: Header=BB333_5 Depth=1
	flat_load_b64 v[18:19], v3, s[38:39]
	s_wait_loadcnt_dscnt 0x0
	v_pk_mul_f32 v[20:21], v[12:13], v[18:19] op_sel:[1,1] op_sel_hi:[0,1]
	s_delay_alu instid0(VALU_DEP_1) | instskip(SKIP_1) | instid1(VALU_DEP_2)
	v_pk_fma_f32 v[22:23], v[12:13], v[18:19], v[20:21] op_sel_hi:[1,0,1]
	v_pk_fma_f32 v[12:13], v[12:13], v[18:19], v[20:21] neg_lo:[0,0,1] neg_hi:[0,0,1]
	v_dual_mov_b32 v17, v15 :: v_dual_mov_b32 v13, v23
	s_delay_alu instid0(VALU_DEP_1) | instskip(NEXT) | instid1(VALU_DEP_1)
	v_pk_add_f32 v[16:17], v[16:17], v[12:13]
	v_mov_b32_e32 v15, v17
	s_branch .LBB333_2
.LBB333_34:
	s_endpgm
	.section	.rodata,"a",@progbits
	.p2align	6, 0x0
	.amdhsa_kernel _ZL32rocblas_gemvt_warp_reduce_kernelILb1ELi1024ElPK19rocblas_complex_numIfES3_KPS1_EviiT3_lPKT2_lT1_lS9_lSA_lS6_lPT4_lSA_li
		.amdhsa_group_segment_fixed_size 256
		.amdhsa_private_segment_fixed_size 0
		.amdhsa_kernarg_size 140
		.amdhsa_user_sgpr_count 2
		.amdhsa_user_sgpr_dispatch_ptr 0
		.amdhsa_user_sgpr_queue_ptr 0
		.amdhsa_user_sgpr_kernarg_segment_ptr 1
		.amdhsa_user_sgpr_dispatch_id 0
		.amdhsa_user_sgpr_kernarg_preload_length 0
		.amdhsa_user_sgpr_kernarg_preload_offset 0
		.amdhsa_user_sgpr_private_segment_size 0
		.amdhsa_wavefront_size32 1
		.amdhsa_uses_dynamic_stack 0
		.amdhsa_enable_private_segment 0
		.amdhsa_system_sgpr_workgroup_id_x 1
		.amdhsa_system_sgpr_workgroup_id_y 0
		.amdhsa_system_sgpr_workgroup_id_z 1
		.amdhsa_system_sgpr_workgroup_info 0
		.amdhsa_system_vgpr_workitem_id 0
		.amdhsa_next_free_vgpr 36
		.amdhsa_next_free_sgpr 45
		.amdhsa_named_barrier_count 0
		.amdhsa_reserve_vcc 1
		.amdhsa_float_round_mode_32 0
		.amdhsa_float_round_mode_16_64 0
		.amdhsa_float_denorm_mode_32 3
		.amdhsa_float_denorm_mode_16_64 3
		.amdhsa_fp16_overflow 0
		.amdhsa_memory_ordered 1
		.amdhsa_forward_progress 1
		.amdhsa_inst_pref_size 15
		.amdhsa_round_robin_scheduling 0
		.amdhsa_exception_fp_ieee_invalid_op 0
		.amdhsa_exception_fp_denorm_src 0
		.amdhsa_exception_fp_ieee_div_zero 0
		.amdhsa_exception_fp_ieee_overflow 0
		.amdhsa_exception_fp_ieee_underflow 0
		.amdhsa_exception_fp_ieee_inexact 0
		.amdhsa_exception_int_div_zero 0
	.end_amdhsa_kernel
	.section	.text._ZL32rocblas_gemvt_warp_reduce_kernelILb1ELi1024ElPK19rocblas_complex_numIfES3_KPS1_EviiT3_lPKT2_lT1_lS9_lSA_lS6_lPT4_lSA_li,"axG",@progbits,_ZL32rocblas_gemvt_warp_reduce_kernelILb1ELi1024ElPK19rocblas_complex_numIfES3_KPS1_EviiT3_lPKT2_lT1_lS9_lSA_lS6_lPT4_lSA_li,comdat
.Lfunc_end333:
	.size	_ZL32rocblas_gemvt_warp_reduce_kernelILb1ELi1024ElPK19rocblas_complex_numIfES3_KPS1_EviiT3_lPKT2_lT1_lS9_lSA_lS6_lPT4_lSA_li, .Lfunc_end333-_ZL32rocblas_gemvt_warp_reduce_kernelILb1ELi1024ElPK19rocblas_complex_numIfES3_KPS1_EviiT3_lPKT2_lT1_lS9_lSA_lS6_lPT4_lSA_li
                                        ; -- End function
	.set _ZL32rocblas_gemvt_warp_reduce_kernelILb1ELi1024ElPK19rocblas_complex_numIfES3_KPS1_EviiT3_lPKT2_lT1_lS9_lSA_lS6_lPT4_lSA_li.num_vgpr, 36
	.set _ZL32rocblas_gemvt_warp_reduce_kernelILb1ELi1024ElPK19rocblas_complex_numIfES3_KPS1_EviiT3_lPKT2_lT1_lS9_lSA_lS6_lPT4_lSA_li.num_agpr, 0
	.set _ZL32rocblas_gemvt_warp_reduce_kernelILb1ELi1024ElPK19rocblas_complex_numIfES3_KPS1_EviiT3_lPKT2_lT1_lS9_lSA_lS6_lPT4_lSA_li.numbered_sgpr, 45
	.set _ZL32rocblas_gemvt_warp_reduce_kernelILb1ELi1024ElPK19rocblas_complex_numIfES3_KPS1_EviiT3_lPKT2_lT1_lS9_lSA_lS6_lPT4_lSA_li.num_named_barrier, 0
	.set _ZL32rocblas_gemvt_warp_reduce_kernelILb1ELi1024ElPK19rocblas_complex_numIfES3_KPS1_EviiT3_lPKT2_lT1_lS9_lSA_lS6_lPT4_lSA_li.private_seg_size, 0
	.set _ZL32rocblas_gemvt_warp_reduce_kernelILb1ELi1024ElPK19rocblas_complex_numIfES3_KPS1_EviiT3_lPKT2_lT1_lS9_lSA_lS6_lPT4_lSA_li.uses_vcc, 1
	.set _ZL32rocblas_gemvt_warp_reduce_kernelILb1ELi1024ElPK19rocblas_complex_numIfES3_KPS1_EviiT3_lPKT2_lT1_lS9_lSA_lS6_lPT4_lSA_li.uses_flat_scratch, 0
	.set _ZL32rocblas_gemvt_warp_reduce_kernelILb1ELi1024ElPK19rocblas_complex_numIfES3_KPS1_EviiT3_lPKT2_lT1_lS9_lSA_lS6_lPT4_lSA_li.has_dyn_sized_stack, 0
	.set _ZL32rocblas_gemvt_warp_reduce_kernelILb1ELi1024ElPK19rocblas_complex_numIfES3_KPS1_EviiT3_lPKT2_lT1_lS9_lSA_lS6_lPT4_lSA_li.has_recursion, 0
	.set _ZL32rocblas_gemvt_warp_reduce_kernelILb1ELi1024ElPK19rocblas_complex_numIfES3_KPS1_EviiT3_lPKT2_lT1_lS9_lSA_lS6_lPT4_lSA_li.has_indirect_call, 0
	.section	.AMDGPU.csdata,"",@progbits
; Kernel info:
; codeLenInByte = 1844
; TotalNumSgprs: 47
; NumVgprs: 36
; ScratchSize: 0
; MemoryBound: 0
; FloatMode: 240
; IeeeMode: 1
; LDSByteSize: 256 bytes/workgroup (compile time only)
; SGPRBlocks: 0
; VGPRBlocks: 2
; NumSGPRsForWavesPerEU: 47
; NumVGPRsForWavesPerEU: 36
; NamedBarCnt: 0
; Occupancy: 16
; WaveLimiterHint : 1
; COMPUTE_PGM_RSRC2:SCRATCH_EN: 0
; COMPUTE_PGM_RSRC2:USER_SGPR: 2
; COMPUTE_PGM_RSRC2:TRAP_HANDLER: 0
; COMPUTE_PGM_RSRC2:TGID_X_EN: 1
; COMPUTE_PGM_RSRC2:TGID_Y_EN: 0
; COMPUTE_PGM_RSRC2:TGID_Z_EN: 1
; COMPUTE_PGM_RSRC2:TIDIG_COMP_CNT: 0
	.section	.text._ZL32rocblas_gemvt_warp_reduce_kernelILb1ELi1024EiPK19rocblas_complex_numIfES1_KPS1_EviiT3_lPKT2_lT1_lS9_lSA_lS6_lPT4_lSA_li,"axG",@progbits,_ZL32rocblas_gemvt_warp_reduce_kernelILb1ELi1024EiPK19rocblas_complex_numIfES1_KPS1_EviiT3_lPKT2_lT1_lS9_lSA_lS6_lPT4_lSA_li,comdat
	.globl	_ZL32rocblas_gemvt_warp_reduce_kernelILb1ELi1024EiPK19rocblas_complex_numIfES1_KPS1_EviiT3_lPKT2_lT1_lS9_lSA_lS6_lPT4_lSA_li ; -- Begin function _ZL32rocblas_gemvt_warp_reduce_kernelILb1ELi1024EiPK19rocblas_complex_numIfES1_KPS1_EviiT3_lPKT2_lT1_lS9_lSA_lS6_lPT4_lSA_li
	.p2align	8
	.type	_ZL32rocblas_gemvt_warp_reduce_kernelILb1ELi1024EiPK19rocblas_complex_numIfES1_KPS1_EviiT3_lPKT2_lT1_lS9_lSA_lS6_lPT4_lSA_li,@function
_ZL32rocblas_gemvt_warp_reduce_kernelILb1ELi1024EiPK19rocblas_complex_numIfES1_KPS1_EviiT3_lPKT2_lT1_lS9_lSA_lS6_lPT4_lSA_li: ; @_ZL32rocblas_gemvt_warp_reduce_kernelILb1ELi1024EiPK19rocblas_complex_numIfES1_KPS1_EviiT3_lPKT2_lT1_lS9_lSA_lS6_lPT4_lSA_li
; %bb.0:
	s_load_b32 s5, s[0:1], 0x88
	s_bfe_u32 s2, ttmp6, 0x40014
	s_lshr_b32 s4, ttmp7, 16
	s_add_co_i32 s2, s2, 1
	s_bfe_u32 s6, ttmp6, 0x40008
	s_mul_i32 s2, s4, s2
	s_getreg_b32 s3, hwreg(HW_REG_IB_STS2, 6, 4)
	s_add_co_i32 s6, s6, s2
	s_cmp_eq_u32 s3, 0
	s_mov_b32 s7, 0
	s_cselect_b32 s6, s4, s6
	s_wait_kmcnt 0x0
	s_cmp_ge_u32 s6, s5
	s_cbranch_scc1 .LBB334_36
; %bb.1:
	s_clause 0x8
	s_load_b64 s[20:21], s[0:1], 0x8
	s_load_b64 s[22:23], s[0:1], 0x58
	s_load_b32 s4, s[0:1], 0x0
	s_load_b128 s[8:11], s[0:1], 0x68
	s_load_b128 s[12:15], s[0:1], 0x18
	s_load_b32 s29, s[0:1], 0x28
	s_load_b128 s[16:19], s[0:1], 0x38
	s_load_b32 s31, s[0:1], 0x48
	s_load_b32 s30, s[0:1], 0x78
	v_dual_mov_b32 v3, 0 :: v_dual_bitop2_b32 v2, 31, v0 bitop3:0x40
	v_lshrrev_b32_e32 v6, 2, v0
	v_mov_b64_e32 v[4:5], 0
	s_wait_xcnt 0x0
	v_cmp_eq_u32_e64 s0, 0, v0
	v_mbcnt_lo_u32_b32 v20, -1, 0
	v_lshlrev_b32_e32 v1, 3, v2
	v_and_b32_e32 v18, 0xf8, v6
	s_wait_kmcnt 0x0
	s_cmp_neq_f32 s20, 0
	s_mov_b32 s25, s22
	v_cmp_gt_i32_e32 vcc_lo, s4, v0
	v_mul_lo_u32 v19, v0, s31
	s_cselect_b32 s2, -1, 0
	s_cmp_neq_f32 s21, 0
	s_mov_b32 s26, s21
	s_mov_b32 s27, s20
	s_cselect_b32 s1, -1, 0
	s_delay_alu instid0(SALU_CYCLE_1)
	s_or_b32 s34, s2, s1
	s_cmp_neq_f32 s22, 1.0
	v_cmp_eq_u32_e64 s2, 0, v2
	v_cmp_gt_u32_e64 s1, 32, v0
	s_cselect_b32 s35, -1, 0
	s_cmp_neq_f32 s23, 0
	s_cselect_b32 s36, -1, 0
	s_or_b32 s24, s20, s21
	s_delay_alu instid0(SALU_CYCLE_1) | instskip(NEXT) | instid1(SALU_CYCLE_1)
	s_bitset0_b32 s24, 31
	s_cmp_lg_u32 s24, 0
	s_cselect_b32 s33, -1, 0
	s_cmp_eq_u32 s24, 0
	s_mov_b32 s24, s23
	s_cselect_b32 s38, -1, 0
	s_cmp_neq_f32 s22, 0
	s_cselect_b32 s28, -1, 0
	s_bfe_u32 s37, ttmp6, 0x4000c
	s_and_b32 s40, ttmp6, 15
	s_add_co_i32 s37, s37, 1
	s_or_b32 s39, s28, s36
	s_mul_i32 s37, ttmp9, s37
	s_delay_alu instid0(SALU_CYCLE_1)
	s_add_co_i32 s40, s40, s37
	s_cmp_eq_u32 s3, 0
	s_cselect_b32 s3, ttmp9, s40
	s_ashr_i32 s28, s4, 31
	s_or_b32 s35, s34, s35
	s_lshr_b32 s28, s28, 22
	s_mul_i32 s34, s30, s3
	s_add_co_i32 s28, s4, s28
	s_mul_i32 s30, s29, s3
	s_and_b32 s28, s28, 0xfffffc00
	s_delay_alu instid0(SALU_CYCLE_1)
	v_dual_cndmask_b32 v10, 0, v0, vcc_lo :: v_dual_bitop2_b32 v7, s28, v0 bitop3:0x54
	s_lshl_b32 s40, s31, 10
	v_cmp_gt_i32_e64 s3, s28, v0
	s_or_b32 s41, s35, s36
	v_lshlrev_b32_e32 v2, 3, v10
	v_mul_lo_u32 v6, s31, v7
	s_ashr_i32 s31, s30, 31
	v_cmp_gt_i32_e64 s4, s4, v7
	s_ashr_i32 s35, s34, 31
	v_lshl_add_u64 v[8:9], s[30:31], 3, v[2:3]
	v_lshlrev_b32_e32 v2, 3, v10
	s_lshl_b64 s[14:15], s[14:15], 3
	s_ashr_i32 s29, s28, 31
	s_lshl_b64 s[18:19], s[18:19], 3
	v_or_b32_e32 v8, 4, v8
	s_lshl_b64 s[10:11], s[10:11], 3
	v_ashrrev_i32_e32 v7, 31, v6
	s_lshl_b64 s[34:35], s[34:35], 3
	s_branch .LBB334_5
.LBB334_2:                              ;   in Loop: Header=BB334_5 Depth=1
	s_delay_alu instid0(VALU_DEP_1)
	v_mov_b32_e32 v13, v11
	flat_store_b64 v3, v[12:13], s[36:37]
.LBB334_3:                              ;   in Loop: Header=BB334_5 Depth=1
	s_wait_xcnt 0x0
	s_or_b32 exec_lo, exec_lo, s42
.LBB334_4:                              ;   in Loop: Header=BB334_5 Depth=1
	s_add_co_i32 s6, s6, 0x10000
	s_delay_alu instid0(SALU_CYCLE_1)
	s_cmp_lt_u32 s6, s5
	s_cbranch_scc0 .LBB334_36
.LBB334_5:                              ; =>This Loop Header: Depth=1
                                        ;     Child Loop BB334_29 Depth 2
	s_and_not1_b32 vcc_lo, exec_lo, s41
	s_cbranch_vccnz .LBB334_4
; %bb.6:                                ;   in Loop: Header=BB334_5 Depth=1
	s_and_not1_b32 vcc_lo, exec_lo, s38
	s_cbranch_vccnz .LBB334_8
; %bb.7:                                ;   in Loop: Header=BB334_5 Depth=1
	s_wait_dscnt 0x0
	v_mov_b64_e32 v[10:11], 0
	v_mov_b64_e32 v[12:13], 0
	s_cbranch_execz .LBB334_9
	s_branch .LBB334_10
.LBB334_8:                              ;   in Loop: Header=BB334_5 Depth=1
	s_wait_dscnt 0x0
	v_mov_b64_e32 v[10:11], 0
	v_mov_b64_e32 v[12:13], 0
.LBB334_9:                              ;   in Loop: Header=BB334_5 Depth=1
	s_lshl_b64 s[36:37], s[6:7], 3
	s_delay_alu instid0(SALU_CYCLE_1)
	s_add_nc_u64 s[36:37], s[12:13], s[36:37]
	global_load_b64 v[12:13], v3, s[36:37]
	s_wait_loadcnt 0x0
	v_add_nc_u64_e32 v[12:13], s[14:15], v[12:13]
.LBB334_10:                             ;   in Loop: Header=BB334_5 Depth=1
	s_and_not1_b32 vcc_lo, exec_lo, s33
	s_cbranch_vccnz .LBB334_12
; %bb.11:                               ;   in Loop: Header=BB334_5 Depth=1
	s_wait_xcnt 0x0
	s_lshl_b64 s[36:37], s[6:7], 3
	s_delay_alu instid0(SALU_CYCLE_1)
	s_add_nc_u64 s[36:37], s[16:17], s[36:37]
	global_load_b64 v[10:11], v3, s[36:37]
	s_wait_loadcnt 0x0
	v_add_nc_u64_e32 v[10:11], s[18:19], v[10:11]
.LBB334_12:                             ;   in Loop: Header=BB334_5 Depth=1
	s_wait_xcnt 0x0
	s_lshl_b64 s[36:37], s[6:7], 3
	s_and_not1_b32 vcc_lo, exec_lo, s38
	s_add_nc_u64 s[36:37], s[8:9], s[36:37]
	s_mov_b32 s42, -1
	global_load_b64 v[14:15], v3, s[36:37]
	s_wait_loadcnt 0x0
	s_wait_xcnt 0x0
	v_readfirstlane_b32 s36, v14
	v_readfirstlane_b32 s37, v15
	s_add_nc_u64 s[36:37], s[36:37], s[10:11]
	s_cbranch_vccnz .LBB334_18
; %bb.13:                               ;   in Loop: Header=BB334_5 Depth=1
	s_and_saveexec_b32 s42, s0
	s_cbranch_execz .LBB334_17
; %bb.14:                               ;   in Loop: Header=BB334_5 Depth=1
	v_dual_mov_b32 v14, 0 :: v_dual_mov_b32 v15, 0
	s_and_not1_b32 vcc_lo, exec_lo, s39
	s_cbranch_vccnz .LBB334_16
; %bb.15:                               ;   in Loop: Header=BB334_5 Depth=1
	s_add_nc_u64 s[44:45], s[36:37], s[34:35]
	v_mov_b64_e32 v[16:17], s[24:25]
	flat_load_b64 v[14:15], v3, s[44:45]
	v_mov_b64_e32 v[22:23], s[22:23]
	s_wait_loadcnt_dscnt 0x0
	v_pk_mul_f32 v[16:17], v[16:17], v[14:15] op_sel:[0,1]
	s_delay_alu instid0(VALU_DEP_1) | instskip(SKIP_1) | instid1(VALU_DEP_2)
	v_pk_fma_f32 v[24:25], v[22:23], v[14:15], v[16:17] op_sel_hi:[1,0,1]
	v_pk_fma_f32 v[14:15], v[22:23], v[14:15], v[16:17] neg_lo:[0,0,1] neg_hi:[0,0,1]
	v_mov_b32_e32 v15, v25
.LBB334_16:                             ;   in Loop: Header=BB334_5 Depth=1
	s_wait_xcnt 0x0
	s_add_nc_u64 s[44:45], s[36:37], s[34:35]
	flat_store_b64 v3, v[14:15], s[44:45]
.LBB334_17:                             ;   in Loop: Header=BB334_5 Depth=1
	s_wait_xcnt 0x0
	s_or_b32 exec_lo, exec_lo, s42
	s_mov_b32 s42, 0
.LBB334_18:                             ;   in Loop: Header=BB334_5 Depth=1
	s_delay_alu instid0(SALU_CYCLE_1)
	s_and_not1_b32 vcc_lo, exec_lo, s42
	s_cbranch_vccnz .LBB334_4
; %bb.19:                               ;   in Loop: Header=BB334_5 Depth=1
	v_mov_b64_e32 v[14:15], 0
	s_and_saveexec_b32 s42, s3
	s_cbranch_execnz .LBB334_28
; %bb.20:                               ;   in Loop: Header=BB334_5 Depth=1
	s_or_b32 exec_lo, exec_lo, s42
	s_and_saveexec_b32 s42, s4
	s_cbranch_execnz .LBB334_31
.LBB334_21:                             ;   in Loop: Header=BB334_5 Depth=1
	s_or_b32 exec_lo, exec_lo, s42
	s_and_saveexec_b32 s42, s1
.LBB334_22:                             ;   in Loop: Header=BB334_5 Depth=1
	ds_store_b64 v1, v[4:5]
.LBB334_23:                             ;   in Loop: Header=BB334_5 Depth=1
	s_or_b32 exec_lo, exec_lo, s42
	v_lshl_or_b32 v16, v20, 2, 64
	v_cmp_gt_u32_e32 vcc_lo, 24, v20
	s_wait_storecnt_dscnt 0x0
	s_barrier_signal -1
	s_barrier_wait -1
	ds_bpermute_b32 v10, v16, v14
	ds_bpermute_b32 v11, v16, v15
	v_cndmask_b32_e64 v12, 0, 8, vcc_lo
	v_cmp_gt_u32_e32 vcc_lo, 28, v20
	s_wait_dscnt 0x0
	s_delay_alu instid0(VALU_DEP_2)
	v_add_lshl_u32 v17, v12, v20, 2
	v_pk_add_f32 v[10:11], v[14:15], v[10:11]
	v_cndmask_b32_e64 v14, 0, 4, vcc_lo
	v_cmp_gt_u32_e32 vcc_lo, 30, v20
	ds_bpermute_b32 v12, v17, v10
	ds_bpermute_b32 v13, v17, v11
	v_add_lshl_u32 v14, v14, v20, 2
	v_cndmask_b32_e64 v15, 0, 2, vcc_lo
	v_cmp_ne_u32_e32 vcc_lo, 31, v20
	s_delay_alu instid0(VALU_DEP_2) | instskip(SKIP_1) | instid1(VALU_DEP_1)
	v_add_lshl_u32 v15, v15, v20, 2
	v_add_co_ci_u32_e64 v21, null, 0, v20, vcc_lo
	v_lshlrev_b32_e32 v21, 2, v21
	s_wait_dscnt 0x0
	v_pk_add_f32 v[10:11], v[10:11], v[12:13]
	ds_bpermute_b32 v12, v14, v10
	ds_bpermute_b32 v13, v14, v11
	s_wait_dscnt 0x0
	v_pk_add_f32 v[10:11], v[10:11], v[12:13]
	ds_bpermute_b32 v12, v15, v10
	ds_bpermute_b32 v13, v15, v11
	;; [unrolled: 4-line block ×3, first 2 shown]
	s_and_saveexec_b32 s42, s2
	s_cbranch_execz .LBB334_25
; %bb.24:                               ;   in Loop: Header=BB334_5 Depth=1
	s_wait_dscnt 0x0
	v_pk_add_f32 v[10:11], v[10:11], v[12:13]
	ds_store_b64 v18, v[10:11]
.LBB334_25:                             ;   in Loop: Header=BB334_5 Depth=1
	s_or_b32 exec_lo, exec_lo, s42
	v_mov_b64_e32 v[10:11], 0
	s_wait_dscnt 0x0
	s_barrier_signal -1
	s_barrier_wait -1
	s_and_saveexec_b32 s42, s1
	s_cbranch_execnz .LBB334_32
; %bb.26:                               ;   in Loop: Header=BB334_5 Depth=1
	s_or_b32 exec_lo, exec_lo, s42
	s_and_saveexec_b32 s42, s1
	s_cbranch_execnz .LBB334_33
.LBB334_27:                             ;   in Loop: Header=BB334_5 Depth=1
	s_or_b32 exec_lo, exec_lo, s42
	s_and_saveexec_b32 s42, s0
	s_cbranch_execz .LBB334_3
	s_branch .LBB334_34
.LBB334_28:                             ;   in Loop: Header=BB334_5 Depth=1
	v_dual_mov_b32 v14, 0 :: v_dual_mov_b32 v21, v0
	v_add_nc_u64_e32 v[16:17], v[12:13], v[8:9]
	v_mov_b32_e32 v22, v19
	s_mov_b32 s43, 0
	s_delay_alu instid0(VALU_DEP_3)
	v_mov_b32_e32 v15, v14
.LBB334_29:                             ;   Parent Loop BB334_5 Depth=1
                                        ; =>  This Inner Loop Header: Depth=2
	v_readfirstlane_b32 s44, v10
	v_readfirstlane_b32 s45, v11
	v_add_nc_u32_e32 v21, 0x400, v21
	flat_load_b64 v[24:25], v[16:17] offset:-4
	flat_load_b64 v[26:27], v22, s[44:45] scale_offset
	s_wait_xcnt 0x1
	v_add_nc_u64_e32 v[16:17], 0x2000, v[16:17]
	v_cmp_le_i32_e32 vcc_lo, s28, v21
	s_wait_xcnt 0x0
	v_add_nc_u32_e32 v22, s40, v22
	s_or_b32 s43, vcc_lo, s43
	s_wait_loadcnt_dscnt 0x0
	v_pk_mul_f32 v[28:29], v[24:25], v[26:27] op_sel:[1,1] op_sel_hi:[1,0]
	s_delay_alu instid0(VALU_DEP_1) | instskip(SKIP_1) | instid1(VALU_DEP_2)
	v_pk_fma_f32 v[30:31], v[24:25], v[26:27], v[28:29] op_sel_hi:[0,1,1] neg_lo:[0,0,1] neg_hi:[0,0,1]
	v_pk_fma_f32 v[24:25], v[24:25], v[26:27], v[28:29]
	v_mov_b32_e32 v25, v31
	s_delay_alu instid0(VALU_DEP_1)
	v_pk_add_f32 v[14:15], v[14:15], v[24:25]
	s_and_not1_b32 exec_lo, exec_lo, s43
	s_cbranch_execnz .LBB334_29
; %bb.30:                               ;   in Loop: Header=BB334_5 Depth=1
	s_or_b32 exec_lo, exec_lo, s43
	s_delay_alu instid0(SALU_CYCLE_1)
	s_or_b32 exec_lo, exec_lo, s42
	s_and_saveexec_b32 s42, s4
	s_cbranch_execz .LBB334_21
.LBB334_31:                             ;   in Loop: Header=BB334_5 Depth=1
	v_add_nc_u64_e32 v[12:13], v[12:13], v[2:3]
	v_lshl_add_u64 v[10:11], v[6:7], 3, v[10:11]
	s_delay_alu instid0(VALU_DEP_2) | instskip(NEXT) | instid1(VALU_DEP_1)
	v_lshl_add_u64 v[12:13], s[30:31], 3, v[12:13]
	v_lshl_add_u64 v[12:13], s[28:29], 3, v[12:13]
	flat_load_b64 v[16:17], v[12:13]
	flat_load_b64 v[22:23], v[10:11]
	s_wait_loadcnt_dscnt 0x0
	v_pk_mul_f32 v[10:11], v[16:17], v[22:23] op_sel:[1,1] op_sel_hi:[1,0]
	s_delay_alu instid0(VALU_DEP_1) | instskip(SKIP_1) | instid1(VALU_DEP_2)
	v_pk_fma_f32 v[12:13], v[16:17], v[22:23], v[10:11] op_sel_hi:[0,1,1] neg_lo:[0,0,1] neg_hi:[0,0,1]
	v_pk_fma_f32 v[10:11], v[16:17], v[22:23], v[10:11]
	v_mov_b32_e32 v11, v13
	s_delay_alu instid0(VALU_DEP_1)
	v_pk_add_f32 v[14:15], v[14:15], v[10:11]
	s_or_b32 exec_lo, exec_lo, s42
	s_and_saveexec_b32 s42, s1
	s_cbranch_execnz .LBB334_22
	s_branch .LBB334_23
.LBB334_32:                             ;   in Loop: Header=BB334_5 Depth=1
	ds_load_b64 v[10:11], v1
	s_or_b32 exec_lo, exec_lo, s42
	s_and_saveexec_b32 s42, s1
	s_cbranch_execz .LBB334_27
.LBB334_33:                             ;   in Loop: Header=BB334_5 Depth=1
	s_wait_dscnt 0x0
	ds_bpermute_b32 v12, v16, v10
	ds_bpermute_b32 v13, v16, v11
	s_wait_dscnt 0x0
	v_pk_add_f32 v[10:11], v[10:11], v[12:13]
	ds_bpermute_b32 v12, v17, v10
	ds_bpermute_b32 v13, v17, v11
	s_wait_dscnt 0x0
	v_pk_add_f32 v[10:11], v[10:11], v[12:13]
	;; [unrolled: 4-line block ×5, first 2 shown]
	s_or_b32 exec_lo, exec_lo, s42
	s_and_saveexec_b32 s42, s0
	s_cbranch_execz .LBB334_3
.LBB334_34:                             ;   in Loop: Header=BB334_5 Depth=1
	v_mov_b64_e32 v[12:13], s[26:27]
	v_mov_b64_e32 v[14:15], s[20:21]
	s_and_not1_b32 vcc_lo, exec_lo, s39
	s_add_nc_u64 s[36:37], s[36:37], s[34:35]
	s_wait_dscnt 0x0
	s_delay_alu instid0(VALU_DEP_2) | instskip(NEXT) | instid1(VALU_DEP_1)
	v_pk_mul_f32 v[16:17], v[10:11], v[12:13] op_sel:[1,0]
	v_pk_fma_f32 v[12:13], v[10:11], v[14:15], v[16:17] op_sel_hi:[0,1,1] neg_lo:[0,0,1] neg_hi:[0,0,1]
	v_pk_fma_f32 v[10:11], v[10:11], v[14:15], v[16:17] op_sel_hi:[0,1,1]
	s_cbranch_vccnz .LBB334_2
; %bb.35:                               ;   in Loop: Header=BB334_5 Depth=1
	flat_load_b64 v[14:15], v3, s[36:37]
	v_mov_b64_e32 v[16:17], s[24:25]
	v_mov_b64_e32 v[22:23], s[22:23]
	s_wait_loadcnt_dscnt 0x0
	s_delay_alu instid0(VALU_DEP_2) | instskip(NEXT) | instid1(VALU_DEP_1)
	v_pk_mul_f32 v[16:17], v[16:17], v[14:15] op_sel:[0,1]
	v_pk_fma_f32 v[24:25], v[22:23], v[14:15], v[16:17] op_sel_hi:[1,0,1]
	v_mov_b32_e32 v13, v11
	v_pk_fma_f32 v[10:11], v[22:23], v[14:15], v[16:17] neg_lo:[0,0,1] neg_hi:[0,0,1]
	s_delay_alu instid0(VALU_DEP_3) | instskip(NEXT) | instid1(VALU_DEP_1)
	v_mov_b32_e32 v11, v25
	v_pk_add_f32 v[12:13], v[12:13], v[10:11]
	s_delay_alu instid0(VALU_DEP_1)
	v_mov_b32_e32 v11, v13
	s_branch .LBB334_2
.LBB334_36:
	s_endpgm
	.section	.rodata,"a",@progbits
	.p2align	6, 0x0
	.amdhsa_kernel _ZL32rocblas_gemvt_warp_reduce_kernelILb1ELi1024EiPK19rocblas_complex_numIfES1_KPS1_EviiT3_lPKT2_lT1_lS9_lSA_lS6_lPT4_lSA_li
		.amdhsa_group_segment_fixed_size 256
		.amdhsa_private_segment_fixed_size 0
		.amdhsa_kernarg_size 140
		.amdhsa_user_sgpr_count 2
		.amdhsa_user_sgpr_dispatch_ptr 0
		.amdhsa_user_sgpr_queue_ptr 0
		.amdhsa_user_sgpr_kernarg_segment_ptr 1
		.amdhsa_user_sgpr_dispatch_id 0
		.amdhsa_user_sgpr_kernarg_preload_length 0
		.amdhsa_user_sgpr_kernarg_preload_offset 0
		.amdhsa_user_sgpr_private_segment_size 0
		.amdhsa_wavefront_size32 1
		.amdhsa_uses_dynamic_stack 0
		.amdhsa_enable_private_segment 0
		.amdhsa_system_sgpr_workgroup_id_x 1
		.amdhsa_system_sgpr_workgroup_id_y 0
		.amdhsa_system_sgpr_workgroup_id_z 1
		.amdhsa_system_sgpr_workgroup_info 0
		.amdhsa_system_vgpr_workitem_id 0
		.amdhsa_next_free_vgpr 32
		.amdhsa_next_free_sgpr 46
		.amdhsa_named_barrier_count 0
		.amdhsa_reserve_vcc 1
		.amdhsa_float_round_mode_32 0
		.amdhsa_float_round_mode_16_64 0
		.amdhsa_float_denorm_mode_32 3
		.amdhsa_float_denorm_mode_16_64 3
		.amdhsa_fp16_overflow 0
		.amdhsa_memory_ordered 1
		.amdhsa_forward_progress 1
		.amdhsa_inst_pref_size 15
		.amdhsa_round_robin_scheduling 0
		.amdhsa_exception_fp_ieee_invalid_op 0
		.amdhsa_exception_fp_denorm_src 0
		.amdhsa_exception_fp_ieee_div_zero 0
		.amdhsa_exception_fp_ieee_overflow 0
		.amdhsa_exception_fp_ieee_underflow 0
		.amdhsa_exception_fp_ieee_inexact 0
		.amdhsa_exception_int_div_zero 0
	.end_amdhsa_kernel
	.section	.text._ZL32rocblas_gemvt_warp_reduce_kernelILb1ELi1024EiPK19rocblas_complex_numIfES1_KPS1_EviiT3_lPKT2_lT1_lS9_lSA_lS6_lPT4_lSA_li,"axG",@progbits,_ZL32rocblas_gemvt_warp_reduce_kernelILb1ELi1024EiPK19rocblas_complex_numIfES1_KPS1_EviiT3_lPKT2_lT1_lS9_lSA_lS6_lPT4_lSA_li,comdat
.Lfunc_end334:
	.size	_ZL32rocblas_gemvt_warp_reduce_kernelILb1ELi1024EiPK19rocblas_complex_numIfES1_KPS1_EviiT3_lPKT2_lT1_lS9_lSA_lS6_lPT4_lSA_li, .Lfunc_end334-_ZL32rocblas_gemvt_warp_reduce_kernelILb1ELi1024EiPK19rocblas_complex_numIfES1_KPS1_EviiT3_lPKT2_lT1_lS9_lSA_lS6_lPT4_lSA_li
                                        ; -- End function
	.set _ZL32rocblas_gemvt_warp_reduce_kernelILb1ELi1024EiPK19rocblas_complex_numIfES1_KPS1_EviiT3_lPKT2_lT1_lS9_lSA_lS6_lPT4_lSA_li.num_vgpr, 32
	.set _ZL32rocblas_gemvt_warp_reduce_kernelILb1ELi1024EiPK19rocblas_complex_numIfES1_KPS1_EviiT3_lPKT2_lT1_lS9_lSA_lS6_lPT4_lSA_li.num_agpr, 0
	.set _ZL32rocblas_gemvt_warp_reduce_kernelILb1ELi1024EiPK19rocblas_complex_numIfES1_KPS1_EviiT3_lPKT2_lT1_lS9_lSA_lS6_lPT4_lSA_li.numbered_sgpr, 46
	.set _ZL32rocblas_gemvt_warp_reduce_kernelILb1ELi1024EiPK19rocblas_complex_numIfES1_KPS1_EviiT3_lPKT2_lT1_lS9_lSA_lS6_lPT4_lSA_li.num_named_barrier, 0
	.set _ZL32rocblas_gemvt_warp_reduce_kernelILb1ELi1024EiPK19rocblas_complex_numIfES1_KPS1_EviiT3_lPKT2_lT1_lS9_lSA_lS6_lPT4_lSA_li.private_seg_size, 0
	.set _ZL32rocblas_gemvt_warp_reduce_kernelILb1ELi1024EiPK19rocblas_complex_numIfES1_KPS1_EviiT3_lPKT2_lT1_lS9_lSA_lS6_lPT4_lSA_li.uses_vcc, 1
	.set _ZL32rocblas_gemvt_warp_reduce_kernelILb1ELi1024EiPK19rocblas_complex_numIfES1_KPS1_EviiT3_lPKT2_lT1_lS9_lSA_lS6_lPT4_lSA_li.uses_flat_scratch, 0
	.set _ZL32rocblas_gemvt_warp_reduce_kernelILb1ELi1024EiPK19rocblas_complex_numIfES1_KPS1_EviiT3_lPKT2_lT1_lS9_lSA_lS6_lPT4_lSA_li.has_dyn_sized_stack, 0
	.set _ZL32rocblas_gemvt_warp_reduce_kernelILb1ELi1024EiPK19rocblas_complex_numIfES1_KPS1_EviiT3_lPKT2_lT1_lS9_lSA_lS6_lPT4_lSA_li.has_recursion, 0
	.set _ZL32rocblas_gemvt_warp_reduce_kernelILb1ELi1024EiPK19rocblas_complex_numIfES1_KPS1_EviiT3_lPKT2_lT1_lS9_lSA_lS6_lPT4_lSA_li.has_indirect_call, 0
	.section	.AMDGPU.csdata,"",@progbits
; Kernel info:
; codeLenInByte = 1820
; TotalNumSgprs: 48
; NumVgprs: 32
; ScratchSize: 0
; MemoryBound: 0
; FloatMode: 240
; IeeeMode: 1
; LDSByteSize: 256 bytes/workgroup (compile time only)
; SGPRBlocks: 0
; VGPRBlocks: 1
; NumSGPRsForWavesPerEU: 48
; NumVGPRsForWavesPerEU: 32
; NamedBarCnt: 0
; Occupancy: 16
; WaveLimiterHint : 1
; COMPUTE_PGM_RSRC2:SCRATCH_EN: 0
; COMPUTE_PGM_RSRC2:USER_SGPR: 2
; COMPUTE_PGM_RSRC2:TRAP_HANDLER: 0
; COMPUTE_PGM_RSRC2:TGID_X_EN: 1
; COMPUTE_PGM_RSRC2:TGID_Y_EN: 0
; COMPUTE_PGM_RSRC2:TGID_Z_EN: 1
; COMPUTE_PGM_RSRC2:TIDIG_COMP_CNT: 0
	.section	.text._ZL32rocblas_gemvt_warp_reduce_kernelILb1ELi1024ElPK19rocblas_complex_numIfES1_KPS1_EviiT3_lPKT2_lT1_lS9_lSA_lS6_lPT4_lSA_li,"axG",@progbits,_ZL32rocblas_gemvt_warp_reduce_kernelILb1ELi1024ElPK19rocblas_complex_numIfES1_KPS1_EviiT3_lPKT2_lT1_lS9_lSA_lS6_lPT4_lSA_li,comdat
	.globl	_ZL32rocblas_gemvt_warp_reduce_kernelILb1ELi1024ElPK19rocblas_complex_numIfES1_KPS1_EviiT3_lPKT2_lT1_lS9_lSA_lS6_lPT4_lSA_li ; -- Begin function _ZL32rocblas_gemvt_warp_reduce_kernelILb1ELi1024ElPK19rocblas_complex_numIfES1_KPS1_EviiT3_lPKT2_lT1_lS9_lSA_lS6_lPT4_lSA_li
	.p2align	8
	.type	_ZL32rocblas_gemvt_warp_reduce_kernelILb1ELi1024ElPK19rocblas_complex_numIfES1_KPS1_EviiT3_lPKT2_lT1_lS9_lSA_lS6_lPT4_lSA_li,@function
_ZL32rocblas_gemvt_warp_reduce_kernelILb1ELi1024ElPK19rocblas_complex_numIfES1_KPS1_EviiT3_lPKT2_lT1_lS9_lSA_lS6_lPT4_lSA_li: ; @_ZL32rocblas_gemvt_warp_reduce_kernelILb1ELi1024ElPK19rocblas_complex_numIfES1_KPS1_EviiT3_lPKT2_lT1_lS9_lSA_lS6_lPT4_lSA_li
; %bb.0:
	s_load_b32 s5, s[0:1], 0x88
	s_bfe_u32 s2, ttmp6, 0x40014
	s_lshr_b32 s3, ttmp7, 16
	s_add_co_i32 s2, s2, 1
	s_bfe_u32 s6, ttmp6, 0x40008
	s_mul_i32 s4, s3, s2
	s_getreg_b32 s2, hwreg(HW_REG_IB_STS2, 6, 4)
	s_add_co_i32 s6, s6, s4
	s_cmp_eq_u32 s2, 0
	s_mov_b32 s7, 0
	s_cselect_b32 s6, s3, s6
	s_wait_kmcnt 0x0
	s_cmp_ge_u32 s6, s5
	s_cbranch_scc1 .LBB335_36
; %bb.1:
	s_clause 0x6
	s_load_b64 s[20:21], s[0:1], 0x8
	s_load_b64 s[22:23], s[0:1], 0x58
	;; [unrolled: 1-line block ×3, first 2 shown]
	s_load_b128 s[12:15], s[0:1], 0x38
	s_load_b64 s[26:27], s[0:1], 0x28
	s_load_b64 s[28:29], s[0:1], 0x78
	s_load_b128 s[16:19], s[0:1], 0x68
	v_mov_b64_e32 v[10:11], 0
	v_mbcnt_lo_u32_b32 v23, -1, 0
	s_wait_kmcnt 0x0
	s_cmp_neq_f32 s20, 0
	s_cselect_b32 s3, -1, 0
	s_cmp_neq_f32 s21, 0
	s_cselect_b32 s4, -1, 0
	s_delay_alu instid0(SALU_CYCLE_1)
	s_or_b32 s30, s3, s4
	s_cmp_neq_f32 s22, 1.0
	s_load_b32 s4, s[0:1], 0x0
	s_cselect_b32 s31, -1, 0
	s_cmp_neq_f32 s23, 0
	s_cselect_b32 s38, -1, 0
	s_or_b32 s3, s20, s21
	s_delay_alu instid0(SALU_CYCLE_1) | instskip(NEXT) | instid1(SALU_CYCLE_1)
	s_bitset0_b32 s3, 31
	s_cmp_lg_u32 s3, 0
	s_cselect_b32 s33, -1, 0
	s_cmp_eq_u32 s3, 0
	s_cselect_b32 s42, -1, 0
	s_cmp_neq_f32 s22, 0
	s_cselect_b32 s3, -1, 0
	s_bfe_u32 s8, ttmp6, 0x4000c
	s_and_b32 s9, ttmp6, 15
	s_add_co_i32 s8, s8, 1
	s_or_b32 s43, s3, s38
	s_mul_i32 s8, ttmp9, s8
	s_delay_alu instid0(SALU_CYCLE_1)
	s_add_co_i32 s9, s9, s8
	s_cmp_eq_u32 s2, 0
	s_cselect_b32 s2, ttmp9, s9
	s_load_b128 s[8:11], s[0:1], 0x18
	s_wait_kmcnt 0x0
	s_ashr_i32 s3, s4, 31
	v_cmp_gt_i32_e32 vcc_lo, s4, v0
	s_lshr_b32 s3, s3, 22
	v_cmp_eq_u32_e64 s0, 0, v0
	s_add_co_i32 s3, s4, s3
	s_or_b32 s39, s30, s31
	s_and_b32 s24, s3, 0xfffffc00
	s_delay_alu instid0(SALU_CYCLE_1) | instskip(SKIP_3) | instid1(VALU_DEP_3)
	v_dual_mov_b32 v3, 0 :: v_dual_bitop2_b32 v6, s24, v0 bitop3:0x54
	v_cndmask_b32_e32 v12, 0, v0, vcc_lo
	s_ashr_i32 s3, s2, 31
	v_cmp_gt_i32_e64 s1, s24, v0
	v_dual_mov_b32 v1, v3 :: v_dual_ashrrev_i32 v7, 31, v6
	s_mul_u64 s[36:37], s[28:29], s[2:3]
	s_mul_u64 s[26:27], s[26:27], s[2:3]
	v_cmp_gt_i32_e64 s2, s4, v6
	s_delay_alu instid0(VALU_DEP_2)
	v_mul_u64_e32 v[8:9], s[34:35], v[0:1]
	v_mul_u64_e32 v[4:5], s[34:35], v[6:7]
	v_dual_lshrrev_b32 v7, 2, v0 :: v_dual_bitop2_b32 v6, 31, v0 bitop3:0x40
	v_lshlrev_b32_e32 v2, 3, v12
	v_cmp_gt_u32_e64 s3, 32, v0
	s_ashr_i32 s25, s24, 31
	v_lshlrev_b32_e32 v1, 3, v6
	v_cmp_eq_u32_e64 s4, 0, v6
	v_and_b32_e32 v22, 0xf8, v7
	v_lshl_add_u64 v[6:7], s[26:27], 3, v[2:3]
	v_lshlrev_b32_e32 v2, 3, v12
	s_mov_b32 s28, s23
	s_mov_b32 s29, s22
	;; [unrolled: 1-line block ×3, first 2 shown]
	v_or_b32_e32 v6, 4, v6
	s_mov_b32 s31, s20
	s_lshl_b64 s[34:35], s[34:35], 13
	s_or_b32 s44, s39, s38
	s_lshl_b64 s[10:11], s[10:11], 3
	s_lshl_b64 s[14:15], s[14:15], 3
	;; [unrolled: 1-line block ×4, first 2 shown]
	v_lshlrev_b64_e32 v[8:9], 3, v[8:9]
	s_branch .LBB335_5
.LBB335_2:                              ;   in Loop: Header=BB335_5 Depth=1
	s_delay_alu instid0(VALU_DEP_1)
	v_mov_b32_e32 v15, v13
	flat_store_b64 v3, v[14:15], s[38:39]
.LBB335_3:                              ;   in Loop: Header=BB335_5 Depth=1
	s_wait_xcnt 0x0
	s_or_b32 exec_lo, exec_lo, s40
.LBB335_4:                              ;   in Loop: Header=BB335_5 Depth=1
	s_add_co_i32 s6, s6, 0x10000
	s_delay_alu instid0(SALU_CYCLE_1)
	s_cmp_lt_u32 s6, s5
	s_cbranch_scc0 .LBB335_36
.LBB335_5:                              ; =>This Loop Header: Depth=1
                                        ;     Child Loop BB335_29 Depth 2
	s_and_not1_b32 vcc_lo, exec_lo, s44
	s_cbranch_vccnz .LBB335_4
; %bb.6:                                ;   in Loop: Header=BB335_5 Depth=1
	s_and_not1_b32 vcc_lo, exec_lo, s42
	s_cbranch_vccnz .LBB335_8
; %bb.7:                                ;   in Loop: Header=BB335_5 Depth=1
	s_wait_dscnt 0x0
	v_mov_b64_e32 v[12:13], 0
	v_mov_b64_e32 v[14:15], 0
	s_cbranch_execz .LBB335_9
	s_branch .LBB335_10
.LBB335_8:                              ;   in Loop: Header=BB335_5 Depth=1
	s_wait_dscnt 0x0
	v_mov_b64_e32 v[12:13], 0
	v_mov_b64_e32 v[14:15], 0
.LBB335_9:                              ;   in Loop: Header=BB335_5 Depth=1
	s_lshl_b64 s[38:39], s[6:7], 3
	s_delay_alu instid0(SALU_CYCLE_1)
	s_add_nc_u64 s[38:39], s[8:9], s[38:39]
	global_load_b64 v[14:15], v3, s[38:39]
	s_wait_loadcnt 0x0
	v_add_nc_u64_e32 v[14:15], s[10:11], v[14:15]
.LBB335_10:                             ;   in Loop: Header=BB335_5 Depth=1
	s_and_not1_b32 vcc_lo, exec_lo, s33
	s_cbranch_vccnz .LBB335_12
; %bb.11:                               ;   in Loop: Header=BB335_5 Depth=1
	s_wait_xcnt 0x0
	s_lshl_b64 s[38:39], s[6:7], 3
	s_delay_alu instid0(SALU_CYCLE_1)
	s_add_nc_u64 s[38:39], s[12:13], s[38:39]
	global_load_b64 v[12:13], v3, s[38:39]
	s_wait_loadcnt 0x0
	v_add_nc_u64_e32 v[12:13], s[14:15], v[12:13]
.LBB335_12:                             ;   in Loop: Header=BB335_5 Depth=1
	s_wait_xcnt 0x0
	s_lshl_b64 s[38:39], s[6:7], 3
	s_and_not1_b32 vcc_lo, exec_lo, s42
	s_add_nc_u64 s[38:39], s[16:17], s[38:39]
	s_mov_b32 s40, -1
	global_load_b64 v[16:17], v3, s[38:39]
	s_wait_loadcnt 0x0
	s_wait_xcnt 0x0
	v_readfirstlane_b32 s38, v16
	v_readfirstlane_b32 s39, v17
	s_add_nc_u64 s[38:39], s[38:39], s[18:19]
	s_cbranch_vccnz .LBB335_18
; %bb.13:                               ;   in Loop: Header=BB335_5 Depth=1
	s_and_saveexec_b32 s45, s0
	s_cbranch_execz .LBB335_17
; %bb.14:                               ;   in Loop: Header=BB335_5 Depth=1
	v_dual_mov_b32 v16, 0 :: v_dual_mov_b32 v17, 0
	s_and_not1_b32 vcc_lo, exec_lo, s43
	s_add_nc_u64 s[40:41], s[38:39], s[36:37]
	s_cbranch_vccnz .LBB335_16
; %bb.15:                               ;   in Loop: Header=BB335_5 Depth=1
	flat_load_b64 v[16:17], v3, s[40:41]
	v_mov_b64_e32 v[18:19], s[28:29]
	v_mov_b64_e32 v[20:21], s[22:23]
	s_wait_loadcnt_dscnt 0x0
	s_delay_alu instid0(VALU_DEP_2) | instskip(NEXT) | instid1(VALU_DEP_1)
	v_pk_mul_f32 v[18:19], v[18:19], v[16:17] op_sel:[0,1]
	v_pk_fma_f32 v[24:25], v[20:21], v[16:17], v[18:19] op_sel_hi:[1,0,1]
	v_pk_fma_f32 v[16:17], v[20:21], v[16:17], v[18:19] neg_lo:[0,0,1] neg_hi:[0,0,1]
	s_delay_alu instid0(VALU_DEP_2)
	v_mov_b32_e32 v17, v25
.LBB335_16:                             ;   in Loop: Header=BB335_5 Depth=1
	flat_store_b64 v3, v[16:17], s[40:41]
.LBB335_17:                             ;   in Loop: Header=BB335_5 Depth=1
	s_wait_xcnt 0x0
	s_or_b32 exec_lo, exec_lo, s45
	s_mov_b32 s40, 0
.LBB335_18:                             ;   in Loop: Header=BB335_5 Depth=1
	s_delay_alu instid0(SALU_CYCLE_1)
	s_and_not1_b32 vcc_lo, exec_lo, s40
	s_cbranch_vccnz .LBB335_4
; %bb.19:                               ;   in Loop: Header=BB335_5 Depth=1
	v_mov_b64_e32 v[16:17], 0
	s_and_saveexec_b32 s40, s1
	s_cbranch_execnz .LBB335_28
; %bb.20:                               ;   in Loop: Header=BB335_5 Depth=1
	s_or_b32 exec_lo, exec_lo, s40
	s_and_saveexec_b32 s40, s2
	s_cbranch_execnz .LBB335_31
.LBB335_21:                             ;   in Loop: Header=BB335_5 Depth=1
	s_or_b32 exec_lo, exec_lo, s40
	s_and_saveexec_b32 s40, s3
.LBB335_22:                             ;   in Loop: Header=BB335_5 Depth=1
	ds_store_b64 v1, v[10:11]
.LBB335_23:                             ;   in Loop: Header=BB335_5 Depth=1
	s_or_b32 exec_lo, exec_lo, s40
	v_lshl_or_b32 v18, v23, 2, 64
	v_cmp_gt_u32_e32 vcc_lo, 24, v23
	s_wait_storecnt_dscnt 0x0
	s_barrier_signal -1
	s_barrier_wait -1
	ds_bpermute_b32 v12, v18, v16
	ds_bpermute_b32 v13, v18, v17
	v_cndmask_b32_e64 v14, 0, 8, vcc_lo
	v_cmp_gt_u32_e32 vcc_lo, 28, v23
	s_wait_dscnt 0x0
	s_delay_alu instid0(VALU_DEP_2)
	v_add_lshl_u32 v19, v14, v23, 2
	v_pk_add_f32 v[12:13], v[16:17], v[12:13]
	v_cndmask_b32_e64 v16, 0, 4, vcc_lo
	v_cmp_gt_u32_e32 vcc_lo, 30, v23
	ds_bpermute_b32 v14, v19, v12
	ds_bpermute_b32 v15, v19, v13
	v_add_lshl_u32 v16, v16, v23, 2
	v_cndmask_b32_e64 v17, 0, 2, vcc_lo
	v_cmp_ne_u32_e32 vcc_lo, 31, v23
	s_delay_alu instid0(VALU_DEP_2) | instskip(SKIP_1) | instid1(VALU_DEP_1)
	v_add_lshl_u32 v17, v17, v23, 2
	v_add_co_ci_u32_e64 v20, null, 0, v23, vcc_lo
	v_lshlrev_b32_e32 v20, 2, v20
	s_wait_dscnt 0x0
	v_pk_add_f32 v[12:13], v[12:13], v[14:15]
	ds_bpermute_b32 v14, v16, v12
	ds_bpermute_b32 v15, v16, v13
	s_wait_dscnt 0x0
	v_pk_add_f32 v[12:13], v[12:13], v[14:15]
	ds_bpermute_b32 v14, v17, v12
	ds_bpermute_b32 v15, v17, v13
	;; [unrolled: 4-line block ×3, first 2 shown]
	s_and_saveexec_b32 s40, s4
	s_cbranch_execz .LBB335_25
; %bb.24:                               ;   in Loop: Header=BB335_5 Depth=1
	s_wait_dscnt 0x0
	v_pk_add_f32 v[12:13], v[12:13], v[14:15]
	ds_store_b64 v22, v[12:13]
.LBB335_25:                             ;   in Loop: Header=BB335_5 Depth=1
	s_or_b32 exec_lo, exec_lo, s40
	v_mov_b64_e32 v[12:13], 0
	s_wait_dscnt 0x0
	s_barrier_signal -1
	s_barrier_wait -1
	s_and_saveexec_b32 s40, s3
	s_cbranch_execnz .LBB335_32
; %bb.26:                               ;   in Loop: Header=BB335_5 Depth=1
	s_or_b32 exec_lo, exec_lo, s40
	s_and_saveexec_b32 s40, s3
	s_cbranch_execnz .LBB335_33
.LBB335_27:                             ;   in Loop: Header=BB335_5 Depth=1
	s_or_b32 exec_lo, exec_lo, s40
	s_and_saveexec_b32 s40, s0
	s_cbranch_execz .LBB335_3
	s_branch .LBB335_34
.LBB335_28:                             ;   in Loop: Header=BB335_5 Depth=1
	v_dual_mov_b32 v16, 0 :: v_dual_mov_b32 v24, v0
	v_add_nc_u64_e32 v[18:19], v[14:15], v[6:7]
	v_add_nc_u64_e32 v[20:21], v[12:13], v[8:9]
	s_mov_b32 s41, 0
	s_delay_alu instid0(VALU_DEP_3)
	v_mov_b32_e32 v17, v16
.LBB335_29:                             ;   Parent Loop BB335_5 Depth=1
                                        ; =>  This Inner Loop Header: Depth=2
	flat_load_b64 v[26:27], v[18:19] offset:-4
	flat_load_b64 v[28:29], v[20:21]
	s_wait_xcnt 0x1
	v_add_nc_u64_e32 v[18:19], 0x2000, v[18:19]
	s_wait_xcnt 0x0
	v_add_nc_u64_e32 v[20:21], s[34:35], v[20:21]
	s_wait_loadcnt_dscnt 0x0
	v_pk_mul_f32 v[30:31], v[26:27], v[28:29] op_sel:[1,1] op_sel_hi:[1,0]
	s_delay_alu instid0(VALU_DEP_1) | instskip(SKIP_2) | instid1(VALU_DEP_3)
	v_pk_fma_f32 v[32:33], v[26:27], v[28:29], v[30:31] op_sel_hi:[0,1,1] neg_lo:[0,0,1] neg_hi:[0,0,1]
	v_add_nc_u32_e32 v24, 0x400, v24
	v_pk_fma_f32 v[26:27], v[26:27], v[28:29], v[30:31]
	v_mov_b32_e32 v27, v33
	s_delay_alu instid0(VALU_DEP_3) | instskip(NEXT) | instid1(VALU_DEP_2)
	v_cmp_le_i32_e32 vcc_lo, s24, v24
	v_pk_add_f32 v[16:17], v[16:17], v[26:27]
	s_or_b32 s41, vcc_lo, s41
	s_delay_alu instid0(SALU_CYCLE_1)
	s_and_not1_b32 exec_lo, exec_lo, s41
	s_cbranch_execnz .LBB335_29
; %bb.30:                               ;   in Loop: Header=BB335_5 Depth=1
	s_or_b32 exec_lo, exec_lo, s41
	s_delay_alu instid0(SALU_CYCLE_1)
	s_or_b32 exec_lo, exec_lo, s40
	s_and_saveexec_b32 s40, s2
	s_cbranch_execz .LBB335_21
.LBB335_31:                             ;   in Loop: Header=BB335_5 Depth=1
	v_add_nc_u64_e32 v[14:15], v[14:15], v[2:3]
	v_lshl_add_u64 v[12:13], v[4:5], 3, v[12:13]
	s_delay_alu instid0(VALU_DEP_2) | instskip(NEXT) | instid1(VALU_DEP_1)
	v_lshl_add_u64 v[14:15], s[26:27], 3, v[14:15]
	v_lshl_add_u64 v[14:15], s[24:25], 3, v[14:15]
	flat_load_b64 v[18:19], v[14:15]
	flat_load_b64 v[20:21], v[12:13]
	s_wait_loadcnt_dscnt 0x0
	v_pk_mul_f32 v[12:13], v[18:19], v[20:21] op_sel:[1,1] op_sel_hi:[1,0]
	s_delay_alu instid0(VALU_DEP_1) | instskip(SKIP_1) | instid1(VALU_DEP_2)
	v_pk_fma_f32 v[14:15], v[18:19], v[20:21], v[12:13] op_sel_hi:[0,1,1] neg_lo:[0,0,1] neg_hi:[0,0,1]
	v_pk_fma_f32 v[12:13], v[18:19], v[20:21], v[12:13]
	v_mov_b32_e32 v13, v15
	s_delay_alu instid0(VALU_DEP_1)
	v_pk_add_f32 v[16:17], v[16:17], v[12:13]
	s_or_b32 exec_lo, exec_lo, s40
	s_and_saveexec_b32 s40, s3
	s_cbranch_execnz .LBB335_22
	s_branch .LBB335_23
.LBB335_32:                             ;   in Loop: Header=BB335_5 Depth=1
	ds_load_b64 v[12:13], v1
	s_or_b32 exec_lo, exec_lo, s40
	s_and_saveexec_b32 s40, s3
	s_cbranch_execz .LBB335_27
.LBB335_33:                             ;   in Loop: Header=BB335_5 Depth=1
	s_wait_dscnt 0x0
	ds_bpermute_b32 v14, v18, v12
	ds_bpermute_b32 v15, v18, v13
	s_wait_dscnt 0x0
	v_pk_add_f32 v[12:13], v[12:13], v[14:15]
	ds_bpermute_b32 v14, v19, v12
	ds_bpermute_b32 v15, v19, v13
	s_wait_dscnt 0x0
	v_pk_add_f32 v[12:13], v[12:13], v[14:15]
	;; [unrolled: 4-line block ×5, first 2 shown]
	s_or_b32 exec_lo, exec_lo, s40
	s_and_saveexec_b32 s40, s0
	s_cbranch_execz .LBB335_3
.LBB335_34:                             ;   in Loop: Header=BB335_5 Depth=1
	v_mov_b64_e32 v[14:15], s[30:31]
	v_mov_b64_e32 v[16:17], s[20:21]
	s_and_not1_b32 vcc_lo, exec_lo, s43
	s_add_nc_u64 s[38:39], s[38:39], s[36:37]
	s_wait_dscnt 0x0
	s_delay_alu instid0(VALU_DEP_2) | instskip(NEXT) | instid1(VALU_DEP_1)
	v_pk_mul_f32 v[18:19], v[12:13], v[14:15] op_sel:[1,0]
	v_pk_fma_f32 v[14:15], v[12:13], v[16:17], v[18:19] op_sel_hi:[0,1,1] neg_lo:[0,0,1] neg_hi:[0,0,1]
	v_pk_fma_f32 v[12:13], v[12:13], v[16:17], v[18:19] op_sel_hi:[0,1,1]
	s_cbranch_vccnz .LBB335_2
; %bb.35:                               ;   in Loop: Header=BB335_5 Depth=1
	flat_load_b64 v[16:17], v3, s[38:39]
	v_mov_b64_e32 v[18:19], s[28:29]
	v_mov_b64_e32 v[20:21], s[22:23]
	s_wait_loadcnt_dscnt 0x0
	s_delay_alu instid0(VALU_DEP_2) | instskip(NEXT) | instid1(VALU_DEP_1)
	v_pk_mul_f32 v[18:19], v[18:19], v[16:17] op_sel:[0,1]
	v_pk_fma_f32 v[24:25], v[20:21], v[16:17], v[18:19] op_sel_hi:[1,0,1]
	v_mov_b32_e32 v15, v13
	v_pk_fma_f32 v[12:13], v[20:21], v[16:17], v[18:19] neg_lo:[0,0,1] neg_hi:[0,0,1]
	s_delay_alu instid0(VALU_DEP_3) | instskip(NEXT) | instid1(VALU_DEP_1)
	v_mov_b32_e32 v13, v25
	v_pk_add_f32 v[14:15], v[14:15], v[12:13]
	s_delay_alu instid0(VALU_DEP_1)
	v_mov_b32_e32 v13, v15
	s_branch .LBB335_2
.LBB335_36:
	s_endpgm
	.section	.rodata,"a",@progbits
	.p2align	6, 0x0
	.amdhsa_kernel _ZL32rocblas_gemvt_warp_reduce_kernelILb1ELi1024ElPK19rocblas_complex_numIfES1_KPS1_EviiT3_lPKT2_lT1_lS9_lSA_lS6_lPT4_lSA_li
		.amdhsa_group_segment_fixed_size 256
		.amdhsa_private_segment_fixed_size 0
		.amdhsa_kernarg_size 140
		.amdhsa_user_sgpr_count 2
		.amdhsa_user_sgpr_dispatch_ptr 0
		.amdhsa_user_sgpr_queue_ptr 0
		.amdhsa_user_sgpr_kernarg_segment_ptr 1
		.amdhsa_user_sgpr_dispatch_id 0
		.amdhsa_user_sgpr_kernarg_preload_length 0
		.amdhsa_user_sgpr_kernarg_preload_offset 0
		.amdhsa_user_sgpr_private_segment_size 0
		.amdhsa_wavefront_size32 1
		.amdhsa_uses_dynamic_stack 0
		.amdhsa_enable_private_segment 0
		.amdhsa_system_sgpr_workgroup_id_x 1
		.amdhsa_system_sgpr_workgroup_id_y 0
		.amdhsa_system_sgpr_workgroup_id_z 1
		.amdhsa_system_sgpr_workgroup_info 0
		.amdhsa_system_vgpr_workitem_id 0
		.amdhsa_next_free_vgpr 34
		.amdhsa_next_free_sgpr 46
		.amdhsa_named_barrier_count 0
		.amdhsa_reserve_vcc 1
		.amdhsa_float_round_mode_32 0
		.amdhsa_float_round_mode_16_64 0
		.amdhsa_float_denorm_mode_32 3
		.amdhsa_float_denorm_mode_16_64 3
		.amdhsa_fp16_overflow 0
		.amdhsa_memory_ordered 1
		.amdhsa_forward_progress 1
		.amdhsa_inst_pref_size 15
		.amdhsa_round_robin_scheduling 0
		.amdhsa_exception_fp_ieee_invalid_op 0
		.amdhsa_exception_fp_denorm_src 0
		.amdhsa_exception_fp_ieee_div_zero 0
		.amdhsa_exception_fp_ieee_overflow 0
		.amdhsa_exception_fp_ieee_underflow 0
		.amdhsa_exception_fp_ieee_inexact 0
		.amdhsa_exception_int_div_zero 0
	.end_amdhsa_kernel
	.section	.text._ZL32rocblas_gemvt_warp_reduce_kernelILb1ELi1024ElPK19rocblas_complex_numIfES1_KPS1_EviiT3_lPKT2_lT1_lS9_lSA_lS6_lPT4_lSA_li,"axG",@progbits,_ZL32rocblas_gemvt_warp_reduce_kernelILb1ELi1024ElPK19rocblas_complex_numIfES1_KPS1_EviiT3_lPKT2_lT1_lS9_lSA_lS6_lPT4_lSA_li,comdat
.Lfunc_end335:
	.size	_ZL32rocblas_gemvt_warp_reduce_kernelILb1ELi1024ElPK19rocblas_complex_numIfES1_KPS1_EviiT3_lPKT2_lT1_lS9_lSA_lS6_lPT4_lSA_li, .Lfunc_end335-_ZL32rocblas_gemvt_warp_reduce_kernelILb1ELi1024ElPK19rocblas_complex_numIfES1_KPS1_EviiT3_lPKT2_lT1_lS9_lSA_lS6_lPT4_lSA_li
                                        ; -- End function
	.set _ZL32rocblas_gemvt_warp_reduce_kernelILb1ELi1024ElPK19rocblas_complex_numIfES1_KPS1_EviiT3_lPKT2_lT1_lS9_lSA_lS6_lPT4_lSA_li.num_vgpr, 34
	.set _ZL32rocblas_gemvt_warp_reduce_kernelILb1ELi1024ElPK19rocblas_complex_numIfES1_KPS1_EviiT3_lPKT2_lT1_lS9_lSA_lS6_lPT4_lSA_li.num_agpr, 0
	.set _ZL32rocblas_gemvt_warp_reduce_kernelILb1ELi1024ElPK19rocblas_complex_numIfES1_KPS1_EviiT3_lPKT2_lT1_lS9_lSA_lS6_lPT4_lSA_li.numbered_sgpr, 46
	.set _ZL32rocblas_gemvt_warp_reduce_kernelILb1ELi1024ElPK19rocblas_complex_numIfES1_KPS1_EviiT3_lPKT2_lT1_lS9_lSA_lS6_lPT4_lSA_li.num_named_barrier, 0
	.set _ZL32rocblas_gemvt_warp_reduce_kernelILb1ELi1024ElPK19rocblas_complex_numIfES1_KPS1_EviiT3_lPKT2_lT1_lS9_lSA_lS6_lPT4_lSA_li.private_seg_size, 0
	.set _ZL32rocblas_gemvt_warp_reduce_kernelILb1ELi1024ElPK19rocblas_complex_numIfES1_KPS1_EviiT3_lPKT2_lT1_lS9_lSA_lS6_lPT4_lSA_li.uses_vcc, 1
	.set _ZL32rocblas_gemvt_warp_reduce_kernelILb1ELi1024ElPK19rocblas_complex_numIfES1_KPS1_EviiT3_lPKT2_lT1_lS9_lSA_lS6_lPT4_lSA_li.uses_flat_scratch, 0
	.set _ZL32rocblas_gemvt_warp_reduce_kernelILb1ELi1024ElPK19rocblas_complex_numIfES1_KPS1_EviiT3_lPKT2_lT1_lS9_lSA_lS6_lPT4_lSA_li.has_dyn_sized_stack, 0
	.set _ZL32rocblas_gemvt_warp_reduce_kernelILb1ELi1024ElPK19rocblas_complex_numIfES1_KPS1_EviiT3_lPKT2_lT1_lS9_lSA_lS6_lPT4_lSA_li.has_recursion, 0
	.set _ZL32rocblas_gemvt_warp_reduce_kernelILb1ELi1024ElPK19rocblas_complex_numIfES1_KPS1_EviiT3_lPKT2_lT1_lS9_lSA_lS6_lPT4_lSA_li.has_indirect_call, 0
	.section	.AMDGPU.csdata,"",@progbits
; Kernel info:
; codeLenInByte = 1820
; TotalNumSgprs: 48
; NumVgprs: 34
; ScratchSize: 0
; MemoryBound: 0
; FloatMode: 240
; IeeeMode: 1
; LDSByteSize: 256 bytes/workgroup (compile time only)
; SGPRBlocks: 0
; VGPRBlocks: 2
; NumSGPRsForWavesPerEU: 48
; NumVGPRsForWavesPerEU: 34
; NamedBarCnt: 0
; Occupancy: 16
; WaveLimiterHint : 1
; COMPUTE_PGM_RSRC2:SCRATCH_EN: 0
; COMPUTE_PGM_RSRC2:USER_SGPR: 2
; COMPUTE_PGM_RSRC2:TRAP_HANDLER: 0
; COMPUTE_PGM_RSRC2:TGID_X_EN: 1
; COMPUTE_PGM_RSRC2:TGID_Y_EN: 0
; COMPUTE_PGM_RSRC2:TGID_Z_EN: 1
; COMPUTE_PGM_RSRC2:TIDIG_COMP_CNT: 0
	.section	.text._ZL34rocblas_gemvn_sm_mn_batched_kernelILi32ELi24EPK19rocblas_complex_numIdES3_KPS1_EviiT2_lPKT1_lilS9_lilS6_lPT3_lili,"axG",@progbits,_ZL34rocblas_gemvn_sm_mn_batched_kernelILi32ELi24EPK19rocblas_complex_numIdES3_KPS1_EviiT2_lPKT1_lilS9_lilS6_lPT3_lili,comdat
	.globl	_ZL34rocblas_gemvn_sm_mn_batched_kernelILi32ELi24EPK19rocblas_complex_numIdES3_KPS1_EviiT2_lPKT1_lilS9_lilS6_lPT3_lili ; -- Begin function _ZL34rocblas_gemvn_sm_mn_batched_kernelILi32ELi24EPK19rocblas_complex_numIdES3_KPS1_EviiT2_lPKT1_lilS9_lilS6_lPT3_lili
	.p2align	8
	.type	_ZL34rocblas_gemvn_sm_mn_batched_kernelILi32ELi24EPK19rocblas_complex_numIdES3_KPS1_EviiT2_lPKT1_lilS9_lilS6_lPT3_lili,@function
_ZL34rocblas_gemvn_sm_mn_batched_kernelILi32ELi24EPK19rocblas_complex_numIdES3_KPS1_EviiT2_lPKT1_lilS9_lilS6_lPT3_lili: ; @_ZL34rocblas_gemvn_sm_mn_batched_kernelILi32ELi24EPK19rocblas_complex_numIdES3_KPS1_EviiT2_lPKT1_lilS9_lilS6_lPT3_lili
; %bb.0:
	s_endpgm
	.section	.rodata,"a",@progbits
	.p2align	6, 0x0
	.amdhsa_kernel _ZL34rocblas_gemvn_sm_mn_batched_kernelILi32ELi24EPK19rocblas_complex_numIdES3_KPS1_EviiT2_lPKT1_lilS9_lilS6_lPT3_lili
		.amdhsa_group_segment_fixed_size 0
		.amdhsa_private_segment_fixed_size 0
		.amdhsa_kernarg_size 140
		.amdhsa_user_sgpr_count 2
		.amdhsa_user_sgpr_dispatch_ptr 0
		.amdhsa_user_sgpr_queue_ptr 0
		.amdhsa_user_sgpr_kernarg_segment_ptr 1
		.amdhsa_user_sgpr_dispatch_id 0
		.amdhsa_user_sgpr_kernarg_preload_length 0
		.amdhsa_user_sgpr_kernarg_preload_offset 0
		.amdhsa_user_sgpr_private_segment_size 0
		.amdhsa_wavefront_size32 1
		.amdhsa_uses_dynamic_stack 0
		.amdhsa_enable_private_segment 0
		.amdhsa_system_sgpr_workgroup_id_x 1
		.amdhsa_system_sgpr_workgroup_id_y 0
		.amdhsa_system_sgpr_workgroup_id_z 0
		.amdhsa_system_sgpr_workgroup_info 0
		.amdhsa_system_vgpr_workitem_id 0
		.amdhsa_next_free_vgpr 1
		.amdhsa_next_free_sgpr 1
		.amdhsa_named_barrier_count 0
		.amdhsa_reserve_vcc 0
		.amdhsa_float_round_mode_32 0
		.amdhsa_float_round_mode_16_64 0
		.amdhsa_float_denorm_mode_32 3
		.amdhsa_float_denorm_mode_16_64 3
		.amdhsa_fp16_overflow 0
		.amdhsa_memory_ordered 1
		.amdhsa_forward_progress 1
		.amdhsa_inst_pref_size 1
		.amdhsa_round_robin_scheduling 0
		.amdhsa_exception_fp_ieee_invalid_op 0
		.amdhsa_exception_fp_denorm_src 0
		.amdhsa_exception_fp_ieee_div_zero 0
		.amdhsa_exception_fp_ieee_overflow 0
		.amdhsa_exception_fp_ieee_underflow 0
		.amdhsa_exception_fp_ieee_inexact 0
		.amdhsa_exception_int_div_zero 0
	.end_amdhsa_kernel
	.section	.text._ZL34rocblas_gemvn_sm_mn_batched_kernelILi32ELi24EPK19rocblas_complex_numIdES3_KPS1_EviiT2_lPKT1_lilS9_lilS6_lPT3_lili,"axG",@progbits,_ZL34rocblas_gemvn_sm_mn_batched_kernelILi32ELi24EPK19rocblas_complex_numIdES3_KPS1_EviiT2_lPKT1_lilS9_lilS6_lPT3_lili,comdat
.Lfunc_end336:
	.size	_ZL34rocblas_gemvn_sm_mn_batched_kernelILi32ELi24EPK19rocblas_complex_numIdES3_KPS1_EviiT2_lPKT1_lilS9_lilS6_lPT3_lili, .Lfunc_end336-_ZL34rocblas_gemvn_sm_mn_batched_kernelILi32ELi24EPK19rocblas_complex_numIdES3_KPS1_EviiT2_lPKT1_lilS9_lilS6_lPT3_lili
                                        ; -- End function
	.set _ZL34rocblas_gemvn_sm_mn_batched_kernelILi32ELi24EPK19rocblas_complex_numIdES3_KPS1_EviiT2_lPKT1_lilS9_lilS6_lPT3_lili.num_vgpr, 0
	.set _ZL34rocblas_gemvn_sm_mn_batched_kernelILi32ELi24EPK19rocblas_complex_numIdES3_KPS1_EviiT2_lPKT1_lilS9_lilS6_lPT3_lili.num_agpr, 0
	.set _ZL34rocblas_gemvn_sm_mn_batched_kernelILi32ELi24EPK19rocblas_complex_numIdES3_KPS1_EviiT2_lPKT1_lilS9_lilS6_lPT3_lili.numbered_sgpr, 0
	.set _ZL34rocblas_gemvn_sm_mn_batched_kernelILi32ELi24EPK19rocblas_complex_numIdES3_KPS1_EviiT2_lPKT1_lilS9_lilS6_lPT3_lili.num_named_barrier, 0
	.set _ZL34rocblas_gemvn_sm_mn_batched_kernelILi32ELi24EPK19rocblas_complex_numIdES3_KPS1_EviiT2_lPKT1_lilS9_lilS6_lPT3_lili.private_seg_size, 0
	.set _ZL34rocblas_gemvn_sm_mn_batched_kernelILi32ELi24EPK19rocblas_complex_numIdES3_KPS1_EviiT2_lPKT1_lilS9_lilS6_lPT3_lili.uses_vcc, 0
	.set _ZL34rocblas_gemvn_sm_mn_batched_kernelILi32ELi24EPK19rocblas_complex_numIdES3_KPS1_EviiT2_lPKT1_lilS9_lilS6_lPT3_lili.uses_flat_scratch, 0
	.set _ZL34rocblas_gemvn_sm_mn_batched_kernelILi32ELi24EPK19rocblas_complex_numIdES3_KPS1_EviiT2_lPKT1_lilS9_lilS6_lPT3_lili.has_dyn_sized_stack, 0
	.set _ZL34rocblas_gemvn_sm_mn_batched_kernelILi32ELi24EPK19rocblas_complex_numIdES3_KPS1_EviiT2_lPKT1_lilS9_lilS6_lPT3_lili.has_recursion, 0
	.set _ZL34rocblas_gemvn_sm_mn_batched_kernelILi32ELi24EPK19rocblas_complex_numIdES3_KPS1_EviiT2_lPKT1_lilS9_lilS6_lPT3_lili.has_indirect_call, 0
	.section	.AMDGPU.csdata,"",@progbits
; Kernel info:
; codeLenInByte = 4
; TotalNumSgprs: 0
; NumVgprs: 0
; ScratchSize: 0
; MemoryBound: 0
; FloatMode: 240
; IeeeMode: 1
; LDSByteSize: 0 bytes/workgroup (compile time only)
; SGPRBlocks: 0
; VGPRBlocks: 0
; NumSGPRsForWavesPerEU: 1
; NumVGPRsForWavesPerEU: 1
; NamedBarCnt: 0
; Occupancy: 16
; WaveLimiterHint : 0
; COMPUTE_PGM_RSRC2:SCRATCH_EN: 0
; COMPUTE_PGM_RSRC2:USER_SGPR: 2
; COMPUTE_PGM_RSRC2:TRAP_HANDLER: 0
; COMPUTE_PGM_RSRC2:TGID_X_EN: 1
; COMPUTE_PGM_RSRC2:TGID_Y_EN: 0
; COMPUTE_PGM_RSRC2:TGID_Z_EN: 0
; COMPUTE_PGM_RSRC2:TIDIG_COMP_CNT: 0
	.section	.text._ZL34rocblas_gemvn_sm_mn_batched_kernelILi32ELi24EPK19rocblas_complex_numIdES1_KPS1_EviiT2_lPKT1_lilS9_lilS6_lPT3_lili,"axG",@progbits,_ZL34rocblas_gemvn_sm_mn_batched_kernelILi32ELi24EPK19rocblas_complex_numIdES1_KPS1_EviiT2_lPKT1_lilS9_lilS6_lPT3_lili,comdat
	.globl	_ZL34rocblas_gemvn_sm_mn_batched_kernelILi32ELi24EPK19rocblas_complex_numIdES1_KPS1_EviiT2_lPKT1_lilS9_lilS6_lPT3_lili ; -- Begin function _ZL34rocblas_gemvn_sm_mn_batched_kernelILi32ELi24EPK19rocblas_complex_numIdES1_KPS1_EviiT2_lPKT1_lilS9_lilS6_lPT3_lili
	.p2align	8
	.type	_ZL34rocblas_gemvn_sm_mn_batched_kernelILi32ELi24EPK19rocblas_complex_numIdES1_KPS1_EviiT2_lPKT1_lilS9_lilS6_lPT3_lili,@function
_ZL34rocblas_gemvn_sm_mn_batched_kernelILi32ELi24EPK19rocblas_complex_numIdES1_KPS1_EviiT2_lPKT1_lilS9_lilS6_lPT3_lili: ; @_ZL34rocblas_gemvn_sm_mn_batched_kernelILi32ELi24EPK19rocblas_complex_numIdES1_KPS1_EviiT2_lPKT1_lilS9_lilS6_lPT3_lili
; %bb.0:
	s_endpgm
	.section	.rodata,"a",@progbits
	.p2align	6, 0x0
	.amdhsa_kernel _ZL34rocblas_gemvn_sm_mn_batched_kernelILi32ELi24EPK19rocblas_complex_numIdES1_KPS1_EviiT2_lPKT1_lilS9_lilS6_lPT3_lili
		.amdhsa_group_segment_fixed_size 0
		.amdhsa_private_segment_fixed_size 0
		.amdhsa_kernarg_size 156
		.amdhsa_user_sgpr_count 2
		.amdhsa_user_sgpr_dispatch_ptr 0
		.amdhsa_user_sgpr_queue_ptr 0
		.amdhsa_user_sgpr_kernarg_segment_ptr 1
		.amdhsa_user_sgpr_dispatch_id 0
		.amdhsa_user_sgpr_kernarg_preload_length 0
		.amdhsa_user_sgpr_kernarg_preload_offset 0
		.amdhsa_user_sgpr_private_segment_size 0
		.amdhsa_wavefront_size32 1
		.amdhsa_uses_dynamic_stack 0
		.amdhsa_enable_private_segment 0
		.amdhsa_system_sgpr_workgroup_id_x 1
		.amdhsa_system_sgpr_workgroup_id_y 0
		.amdhsa_system_sgpr_workgroup_id_z 0
		.amdhsa_system_sgpr_workgroup_info 0
		.amdhsa_system_vgpr_workitem_id 0
		.amdhsa_next_free_vgpr 1
		.amdhsa_next_free_sgpr 1
		.amdhsa_named_barrier_count 0
		.amdhsa_reserve_vcc 0
		.amdhsa_float_round_mode_32 0
		.amdhsa_float_round_mode_16_64 0
		.amdhsa_float_denorm_mode_32 3
		.amdhsa_float_denorm_mode_16_64 3
		.amdhsa_fp16_overflow 0
		.amdhsa_memory_ordered 1
		.amdhsa_forward_progress 1
		.amdhsa_inst_pref_size 1
		.amdhsa_round_robin_scheduling 0
		.amdhsa_exception_fp_ieee_invalid_op 0
		.amdhsa_exception_fp_denorm_src 0
		.amdhsa_exception_fp_ieee_div_zero 0
		.amdhsa_exception_fp_ieee_overflow 0
		.amdhsa_exception_fp_ieee_underflow 0
		.amdhsa_exception_fp_ieee_inexact 0
		.amdhsa_exception_int_div_zero 0
	.end_amdhsa_kernel
	.section	.text._ZL34rocblas_gemvn_sm_mn_batched_kernelILi32ELi24EPK19rocblas_complex_numIdES1_KPS1_EviiT2_lPKT1_lilS9_lilS6_lPT3_lili,"axG",@progbits,_ZL34rocblas_gemvn_sm_mn_batched_kernelILi32ELi24EPK19rocblas_complex_numIdES1_KPS1_EviiT2_lPKT1_lilS9_lilS6_lPT3_lili,comdat
.Lfunc_end337:
	.size	_ZL34rocblas_gemvn_sm_mn_batched_kernelILi32ELi24EPK19rocblas_complex_numIdES1_KPS1_EviiT2_lPKT1_lilS9_lilS6_lPT3_lili, .Lfunc_end337-_ZL34rocblas_gemvn_sm_mn_batched_kernelILi32ELi24EPK19rocblas_complex_numIdES1_KPS1_EviiT2_lPKT1_lilS9_lilS6_lPT3_lili
                                        ; -- End function
	.set _ZL34rocblas_gemvn_sm_mn_batched_kernelILi32ELi24EPK19rocblas_complex_numIdES1_KPS1_EviiT2_lPKT1_lilS9_lilS6_lPT3_lili.num_vgpr, 0
	.set _ZL34rocblas_gemvn_sm_mn_batched_kernelILi32ELi24EPK19rocblas_complex_numIdES1_KPS1_EviiT2_lPKT1_lilS9_lilS6_lPT3_lili.num_agpr, 0
	.set _ZL34rocblas_gemvn_sm_mn_batched_kernelILi32ELi24EPK19rocblas_complex_numIdES1_KPS1_EviiT2_lPKT1_lilS9_lilS6_lPT3_lili.numbered_sgpr, 0
	.set _ZL34rocblas_gemvn_sm_mn_batched_kernelILi32ELi24EPK19rocblas_complex_numIdES1_KPS1_EviiT2_lPKT1_lilS9_lilS6_lPT3_lili.num_named_barrier, 0
	.set _ZL34rocblas_gemvn_sm_mn_batched_kernelILi32ELi24EPK19rocblas_complex_numIdES1_KPS1_EviiT2_lPKT1_lilS9_lilS6_lPT3_lili.private_seg_size, 0
	.set _ZL34rocblas_gemvn_sm_mn_batched_kernelILi32ELi24EPK19rocblas_complex_numIdES1_KPS1_EviiT2_lPKT1_lilS9_lilS6_lPT3_lili.uses_vcc, 0
	.set _ZL34rocblas_gemvn_sm_mn_batched_kernelILi32ELi24EPK19rocblas_complex_numIdES1_KPS1_EviiT2_lPKT1_lilS9_lilS6_lPT3_lili.uses_flat_scratch, 0
	.set _ZL34rocblas_gemvn_sm_mn_batched_kernelILi32ELi24EPK19rocblas_complex_numIdES1_KPS1_EviiT2_lPKT1_lilS9_lilS6_lPT3_lili.has_dyn_sized_stack, 0
	.set _ZL34rocblas_gemvn_sm_mn_batched_kernelILi32ELi24EPK19rocblas_complex_numIdES1_KPS1_EviiT2_lPKT1_lilS9_lilS6_lPT3_lili.has_recursion, 0
	.set _ZL34rocblas_gemvn_sm_mn_batched_kernelILi32ELi24EPK19rocblas_complex_numIdES1_KPS1_EviiT2_lPKT1_lilS9_lilS6_lPT3_lili.has_indirect_call, 0
	.section	.AMDGPU.csdata,"",@progbits
; Kernel info:
; codeLenInByte = 4
; TotalNumSgprs: 0
; NumVgprs: 0
; ScratchSize: 0
; MemoryBound: 0
; FloatMode: 240
; IeeeMode: 1
; LDSByteSize: 0 bytes/workgroup (compile time only)
; SGPRBlocks: 0
; VGPRBlocks: 0
; NumSGPRsForWavesPerEU: 1
; NumVGPRsForWavesPerEU: 1
; NamedBarCnt: 0
; Occupancy: 16
; WaveLimiterHint : 0
; COMPUTE_PGM_RSRC2:SCRATCH_EN: 0
; COMPUTE_PGM_RSRC2:USER_SGPR: 2
; COMPUTE_PGM_RSRC2:TRAP_HANDLER: 0
; COMPUTE_PGM_RSRC2:TGID_X_EN: 1
; COMPUTE_PGM_RSRC2:TGID_Y_EN: 0
; COMPUTE_PGM_RSRC2:TGID_Z_EN: 0
; COMPUTE_PGM_RSRC2:TIDIG_COMP_CNT: 0
	.section	.text._ZL20rocblas_gemvn_kernelILi64ELi4EiPK19rocblas_complex_numIdES3_KPS1_EviiT3_lPKT2_lT1_lS9_lSA_lS6_lPT4_lSA_li,"axG",@progbits,_ZL20rocblas_gemvn_kernelILi64ELi4EiPK19rocblas_complex_numIdES3_KPS1_EviiT3_lPKT2_lT1_lS9_lSA_lS6_lPT4_lSA_li,comdat
	.globl	_ZL20rocblas_gemvn_kernelILi64ELi4EiPK19rocblas_complex_numIdES3_KPS1_EviiT3_lPKT2_lT1_lS9_lSA_lS6_lPT4_lSA_li ; -- Begin function _ZL20rocblas_gemvn_kernelILi64ELi4EiPK19rocblas_complex_numIdES3_KPS1_EviiT3_lPKT2_lT1_lS9_lSA_lS6_lPT4_lSA_li
	.p2align	8
	.type	_ZL20rocblas_gemvn_kernelILi64ELi4EiPK19rocblas_complex_numIdES3_KPS1_EviiT3_lPKT2_lT1_lS9_lSA_lS6_lPT4_lSA_li,@function
_ZL20rocblas_gemvn_kernelILi64ELi4EiPK19rocblas_complex_numIdES3_KPS1_EviiT3_lPKT2_lT1_lS9_lSA_lS6_lPT4_lSA_li: ; @_ZL20rocblas_gemvn_kernelILi64ELi4EiPK19rocblas_complex_numIdES3_KPS1_EviiT3_lPKT2_lT1_lS9_lSA_lS6_lPT4_lSA_li
; %bb.0:
	s_clause 0x1
	s_load_b64 s[4:5], s[0:1], 0x9c
	s_load_b32 s28, s[0:1], 0x88
	s_bfe_u32 s2, ttmp6, 0x40014
	s_lshr_b32 s6, ttmp7, 16
	s_add_co_i32 s2, s2, 1
	s_bfe_u32 s3, ttmp6, 0x40008
	s_mul_i32 s7, s6, s2
	s_getreg_b32 s2, hwreg(HW_REG_IB_STS2, 6, 4)
	s_add_co_i32 s7, s3, s7
	s_wait_kmcnt 0x0
	s_lshr_b32 s8, s4, 16
	s_and_b32 s3, s4, 0xffff
	s_and_b32 s4, s5, 0xffff
	s_mul_i32 s5, s8, s3
	s_cmp_eq_u32 s2, 0
	s_mul_i32 s5, s5, s4
	s_cselect_b32 s6, s6, s7
	s_cmp_lg_u32 s5, 0x100
	s_mov_b32 s7, 0
	s_cselect_b32 s4, -1, 0
	s_cmp_ge_u32 s6, s28
	s_cselect_b32 s5, -1, 0
	s_delay_alu instid0(SALU_CYCLE_1) | instskip(NEXT) | instid1(SALU_CYCLE_1)
	s_or_b32 s4, s4, s5
	s_and_b32 vcc_lo, exec_lo, s4
	s_cbranch_vccnz .LBB338_39
; %bb.1:
	s_clause 0x1
	s_load_b32 s34, s[0:1], 0x78
	s_load_b64 s[4:5], s[0:1], 0x0
	s_bfe_u32 s8, ttmp6, 0x4000c
	v_and_b32_e32 v1, 0x3ff, v0
	s_add_co_i32 s8, s8, 1
	v_bfe_u32 v0, v0, 10, 10
	s_and_b32 s9, ttmp6, 15
	s_mul_i32 s8, ttmp9, s8
	s_load_b32 s29, s[0:1], 0x28
	s_add_co_i32 s9, s9, s8
	v_mad_u32_u24 v0, v0, s3, v1
	s_load_b256 s[16:23], s[0:1], 0x58
	s_delay_alu instid0(VALU_DEP_1)
	v_dual_mov_b32 v17, 0 :: v_dual_bitop2_b32 v1, 63, v0 bitop3:0x40
	v_lshlrev_b32_e32 v29, 4, v0
	s_wait_kmcnt 0x0
	s_ashr_i32 s35, s34, 31
	s_cmp_eq_u32 s2, 0
	s_cselect_b32 s2, ttmp9, s9
	s_clause 0x2
	s_load_b256 s[8:15], s[0:1], 0x8
	s_load_b128 s[24:27], s[0:1], 0x38
	s_load_b32 s30, s[0:1], 0x48
	s_lshl_b32 s36, s2, 6
	s_ashr_i32 s3, s4, 31
	v_add_nc_u32_e32 v16, s36, v0
	s_mov_b32 s2, s4
	v_or_b32_e32 v2, s36, v0
	s_wait_xcnt 0x0
	s_ashr_i32 s0, s5, 31
	s_delay_alu instid0(SALU_CYCLE_1)
	s_lshr_b32 s0, s0, 30
	v_mul_u64_e32 v[18:19], s[34:35], v[16:17]
	v_cmp_gt_i64_e32 vcc_lo, s[2:3], v[16:17]
	v_lshrrev_b32_e32 v16, 6, v0
	v_mul_lo_u32 v20, v2, s34
	s_add_co_i32 s0, s5, s0
	v_or_b32_e32 v28, s36, v1
	s_and_b32 s31, s0, -4
	v_mul_lo_u32 v3, s29, v16
	s_sub_co_i32 s1, s5, s31
	v_cmp_gt_u32_e64 s2, 64, v0
	v_cmp_gt_i32_e64 s0, s31, v16
	s_wait_kmcnt 0x0
	v_mul_lo_u32 v30, s30, v16
	s_cmp_gt_i32 s1, 0
	v_cmp_gt_i32_e64 s3, s4, v2
	v_ashrrev_i32_e32 v21, 31, v20
	v_cmp_gt_i32_e64 s1, s4, v28
	s_cselect_b32 s33, -1, 0
	s_and_b32 s34, s2, vcc_lo
	v_add3_u32 v31, v3, s36, v1
	s_lshl_b32 s35, s30, 2
	s_lshl_b32 s36, s29, 2
	s_lshl_b64 s[14:15], s[14:15], 4
	s_lshl_b64 s[26:27], s[26:27], 4
	;; [unrolled: 1-line block ×3, first 2 shown]
	s_branch .LBB338_4
.LBB338_2:                              ;   in Loop: Header=BB338_4 Depth=1
	s_wait_xcnt 0x0
	s_or_b32 exec_lo, exec_lo, s4
.LBB338_3:                              ;   in Loop: Header=BB338_4 Depth=1
	s_add_co_i32 s6, s6, 0x10000
	s_delay_alu instid0(SALU_CYCLE_1)
	s_cmp_lt_u32 s6, s28
	s_cbranch_scc0 .LBB338_39
.LBB338_4:                              ; =>This Loop Header: Depth=1
                                        ;     Child Loop BB338_20 Depth 2
	s_wait_xcnt 0x0
	s_mul_u64 s[38:39], s[10:11], s[6:7]
	s_delay_alu instid0(SALU_CYCLE_1) | instskip(NEXT) | instid1(SALU_CYCLE_1)
	s_lshl_b64 s[38:39], s[38:39], 4
	s_add_nc_u64 s[38:39], s[8:9], s[38:39]
	global_load_b128 v[4:7], v17, s[38:39]
	s_wait_xcnt 0x0
	s_mul_u64 s[38:39], s[18:19], s[6:7]
	s_delay_alu instid0(SALU_CYCLE_1) | instskip(NEXT) | instid1(SALU_CYCLE_1)
	s_lshl_b64 s[38:39], s[38:39], 4
	s_add_nc_u64 s[38:39], s[16:17], s[38:39]
	s_wait_loadcnt 0x1
	global_load_b128 v[0:3], v17, s[38:39]
	s_wait_xcnt 0x0
	s_mov_b32 s38, -1
	s_wait_loadcnt 0x1
	v_cmp_neq_f64_e32 vcc_lo, 0, v[4:5]
	v_cmp_neq_f64_e64 s4, 0, v[6:7]
	s_or_b32 s37, vcc_lo, s4
	s_mov_b32 s4, 0
	s_and_b32 vcc_lo, exec_lo, s37
	s_cbranch_vccz .LBB338_7
; %bb.5:                                ;   in Loop: Header=BB338_4 Depth=1
	v_mov_b64_e32 v[24:25], 0
	s_and_not1_b32 vcc_lo, exec_lo, s38
	s_cbranch_vccz .LBB338_8
.LBB338_6:                              ;   in Loop: Header=BB338_4 Depth=1
	s_and_not1_b32 vcc_lo, exec_lo, s4
	s_cbranch_vccnz .LBB338_3
	s_branch .LBB338_9
.LBB338_7:                              ;   in Loop: Header=BB338_4 Depth=1
	s_wait_loadcnt 0x0
	v_cmp_neq_f64_e32 vcc_lo, 1.0, v[0:1]
	v_cmp_neq_f64_e64 s4, 0, v[2:3]
	s_or_b32 s4, vcc_lo, s4
	v_mov_b64_e32 v[24:25], 0
	s_cbranch_execnz .LBB338_6
.LBB338_8:                              ;   in Loop: Header=BB338_4 Depth=1
	s_lshl_b64 s[38:39], s[6:7], 3
	s_delay_alu instid0(SALU_CYCLE_1)
	s_add_nc_u64 s[38:39], s[12:13], s[38:39]
	global_load_b64 v[8:9], v17, s[38:39]
	s_wait_loadcnt 0x0
	v_add_nc_u64_e32 v[24:25], s[14:15], v[8:9]
.LBB338_9:                              ;   in Loop: Header=BB338_4 Depth=1
	v_mov_b64_e32 v[26:27], 0
	s_and_not1_b32 vcc_lo, exec_lo, s37
	s_cbranch_vccnz .LBB338_11
; %bb.10:                               ;   in Loop: Header=BB338_4 Depth=1
	s_wait_xcnt 0x0
	s_lshl_b64 s[38:39], s[6:7], 3
	s_delay_alu instid0(SALU_CYCLE_1)
	s_add_nc_u64 s[38:39], s[24:25], s[38:39]
	global_load_b64 v[8:9], v17, s[38:39]
	s_wait_loadcnt 0x0
	v_add_nc_u64_e32 v[26:27], s[26:27], v[8:9]
.LBB338_11:                             ;   in Loop: Header=BB338_4 Depth=1
	s_wait_xcnt 0x0
	s_lshl_b64 s[38:39], s[6:7], 3
	s_xor_b32 s4, s37, -1
	s_add_nc_u64 s[38:39], s[20:21], s[38:39]
	s_and_not1_b32 vcc_lo, exec_lo, s4
	global_load_b64 v[8:9], v17, s[38:39]
	s_wait_loadcnt 0x0
	v_add_nc_u64_e32 v[22:23], s[22:23], v[8:9]
	s_cbranch_vccnz .LBB338_16
; %bb.12:                               ;   in Loop: Header=BB338_4 Depth=1
	s_wait_xcnt 0x0
	s_mov_b32 s38, 0
	s_mov_b32 s37, 0
                                        ; implicit-def: $vgpr10_vgpr11
	s_and_saveexec_b32 s39, s34
	s_cbranch_execz .LBB338_22
; %bb.13:                               ;   in Loop: Header=BB338_4 Depth=1
	v_cmp_neq_f64_e32 vcc_lo, 0, v[0:1]
	v_cmp_neq_f64_e64 s4, 0, v[2:3]
	v_mov_b64_e32 v[10:11], 0
	v_mov_b64_e32 v[8:9], 0
	s_or_b32 s4, vcc_lo, s4
	s_delay_alu instid0(SALU_CYCLE_1)
	s_and_not1_b32 vcc_lo, exec_lo, s4
	s_cbranch_vccnz .LBB338_15
; %bb.14:                               ;   in Loop: Header=BB338_4 Depth=1
	v_lshl_add_u64 v[8:9], v[18:19], 4, v[22:23]
	flat_load_b128 v[12:15], v[8:9]
	s_wait_loadcnt_dscnt 0x0
	s_wait_xcnt 0x0
	v_mul_f64_e32 v[8:9], v[2:3], v[14:15]
	v_mul_f64_e32 v[10:11], v[0:1], v[14:15]
	s_delay_alu instid0(VALU_DEP_2) | instskip(NEXT) | instid1(VALU_DEP_2)
	v_fma_f64 v[8:9], v[0:1], v[12:13], -v[8:9]
	v_fmac_f64_e32 v[10:11], v[2:3], v[12:13]
.LBB338_15:                             ;   in Loop: Header=BB338_4 Depth=1
	s_mov_b32 s37, exec_lo
	s_or_b32 exec_lo, exec_lo, s39
	s_delay_alu instid0(SALU_CYCLE_1)
	s_and_b32 vcc_lo, exec_lo, s38
	s_cbranch_vccnz .LBB338_17
	s_branch .LBB338_23
.LBB338_16:                             ;   in Loop: Header=BB338_4 Depth=1
	s_wait_xcnt 0x0
	s_mov_b32 s37, 0
                                        ; implicit-def: $vgpr10_vgpr11
	s_cbranch_execz .LBB338_23
.LBB338_17:                             ;   in Loop: Header=BB338_4 Depth=1
	v_mov_b64_e32 v[10:11], 0
	v_mov_b64_e32 v[8:9], 0
	v_mov_b32_e32 v32, v16
	s_and_saveexec_b32 s4, s0
	s_cbranch_execz .LBB338_25
; %bb.18:                               ;   in Loop: Header=BB338_4 Depth=1
	v_mov_b64_e32 v[10:11], 0
	v_dual_mov_b32 v12, v31 :: v_dual_mov_b32 v13, v30
	v_mov_b32_e32 v32, v16
	s_mov_b32 s38, 0
	s_delay_alu instid0(VALU_DEP_3)
	v_mov_b64_e32 v[8:9], v[10:11]
	s_branch .LBB338_20
.LBB338_19:                             ;   in Loop: Header=BB338_20 Depth=2
	s_wait_xcnt 0x0
	s_or_b32 exec_lo, exec_lo, s39
	v_dual_add_nc_u32 v32, 4, v32 :: v_dual_add_nc_u32 v13, s35, v13
	v_add_nc_u32_e32 v12, s36, v12
	s_delay_alu instid0(VALU_DEP_2) | instskip(SKIP_1) | instid1(SALU_CYCLE_1)
	v_cmp_le_i32_e32 vcc_lo, s31, v32
	s_or_b32 s38, vcc_lo, s38
	s_and_not1_b32 exec_lo, exec_lo, s38
	s_cbranch_execz .LBB338_24
.LBB338_20:                             ;   Parent Loop BB338_4 Depth=1
                                        ; =>  This Inner Loop Header: Depth=2
	s_and_saveexec_b32 s39, s1
	s_cbranch_execz .LBB338_19
; %bb.21:                               ;   in Loop: Header=BB338_20 Depth=2
	v_readfirstlane_b32 s40, v26
	v_readfirstlane_b32 s41, v27
	;; [unrolled: 1-line block ×4, first 2 shown]
	flat_load_b128 v[34:37], v13, s[40:41] scale_offset
	flat_load_b128 v[38:41], v12, s[42:43] scale_offset
	s_wait_loadcnt_dscnt 0x0
	v_mul_f64_e32 v[14:15], v[36:37], v[40:41]
	v_mul_f64_e32 v[40:41], v[34:35], v[40:41]
	s_delay_alu instid0(VALU_DEP_2) | instskip(NEXT) | instid1(VALU_DEP_2)
	v_fma_f64 v[14:15], v[34:35], v[38:39], -v[14:15]
	v_fmac_f64_e32 v[40:41], v[36:37], v[38:39]
	s_delay_alu instid0(VALU_DEP_2) | instskip(NEXT) | instid1(VALU_DEP_2)
	v_add_f64_e32 v[8:9], v[8:9], v[14:15]
	v_add_f64_e32 v[10:11], v[10:11], v[40:41]
	s_branch .LBB338_19
.LBB338_22:                             ;   in Loop: Header=BB338_4 Depth=1
	s_or_b32 exec_lo, exec_lo, s39
	s_delay_alu instid0(SALU_CYCLE_1)
	s_and_b32 vcc_lo, exec_lo, s38
	s_cbranch_vccnz .LBB338_17
.LBB338_23:                             ;   in Loop: Header=BB338_4 Depth=1
	v_mov_b64_e32 v[0:1], v[18:19]
	s_and_saveexec_b32 s4, s37
	s_cbranch_execz .LBB338_2
	s_branch .LBB338_38
.LBB338_24:                             ;   in Loop: Header=BB338_4 Depth=1
	s_or_b32 exec_lo, exec_lo, s38
.LBB338_25:                             ;   in Loop: Header=BB338_4 Depth=1
	s_delay_alu instid0(SALU_CYCLE_1) | instskip(NEXT) | instid1(SALU_CYCLE_1)
	s_or_b32 exec_lo, exec_lo, s4
	s_and_not1_b32 vcc_lo, exec_lo, s33
	s_cbranch_vccnz .LBB338_31
; %bb.26:                               ;   in Loop: Header=BB338_4 Depth=1
	v_mov_b64_e32 v[12:13], 0
	v_mov_b64_e32 v[14:15], 0
	v_cmp_gt_i32_e32 vcc_lo, s5, v32
	s_and_saveexec_b32 s4, vcc_lo
	s_cbranch_execz .LBB338_28
; %bb.27:                               ;   in Loop: Header=BB338_4 Depth=1
	v_mul_lo_u32 v12, v32, s30
	v_readfirstlane_b32 s38, v26
	v_readfirstlane_b32 s39, v27
	flat_load_b128 v[12:15], v12, s[38:39] scale_offset
.LBB338_28:                             ;   in Loop: Header=BB338_4 Depth=1
	s_wait_xcnt 0x0
	s_or_b32 exec_lo, exec_lo, s4
	s_and_saveexec_b32 s4, s1
	s_cbranch_execz .LBB338_30
; %bb.29:                               ;   in Loop: Header=BB338_4 Depth=1
	v_mul_lo_u32 v26, v32, s29
	v_readfirstlane_b32 s38, v24
	v_readfirstlane_b32 s39, v25
	s_delay_alu instid0(VALU_DEP_3) | instskip(NEXT) | instid1(VALU_DEP_1)
	v_cndmask_b32_e32 v26, 0, v26, vcc_lo
	v_add_nc_u32_e32 v24, v26, v28
	flat_load_b128 v[24:27], v24, s[38:39] scale_offset
	s_wait_loadcnt_dscnt 0x0
	v_mul_f64_e32 v[32:33], v[14:15], v[26:27]
	v_mul_f64_e32 v[26:27], v[12:13], v[26:27]
	s_delay_alu instid0(VALU_DEP_2) | instskip(NEXT) | instid1(VALU_DEP_2)
	v_fma_f64 v[12:13], v[12:13], v[24:25], -v[32:33]
	v_fmac_f64_e32 v[26:27], v[14:15], v[24:25]
	s_delay_alu instid0(VALU_DEP_2) | instskip(NEXT) | instid1(VALU_DEP_2)
	v_add_f64_e32 v[8:9], v[8:9], v[12:13]
	v_add_f64_e32 v[10:11], v[10:11], v[26:27]
.LBB338_30:                             ;   in Loop: Header=BB338_4 Depth=1
	s_wait_xcnt 0x0
	s_or_b32 exec_lo, exec_lo, s4
.LBB338_31:                             ;   in Loop: Header=BB338_4 Depth=1
	ds_store_b128 v29, v[8:11]
	s_wait_loadcnt_dscnt 0x0
	s_barrier_signal -1
	s_barrier_wait -1
                                        ; implicit-def: $vgpr10_vgpr11
	s_and_saveexec_b32 s38, s2
	s_cbranch_execz .LBB338_37
; %bb.32:                               ;   in Loop: Header=BB338_4 Depth=1
	ds_load_b128 v[8:11], v29
	ds_load_b128 v[12:15], v29 offset:1024
	s_mov_b32 s4, s37
	s_wait_dscnt 0x0
	v_add_f64_e32 v[24:25], v[8:9], v[12:13]
	v_add_f64_e32 v[26:27], v[10:11], v[14:15]
	ds_load_b128 v[8:11], v29 offset:2048
	ds_load_b128 v[12:15], v29 offset:3072
	s_wait_dscnt 0x1
	v_add_f64_e32 v[8:9], v[24:25], v[8:9]
	v_add_f64_e32 v[10:11], v[26:27], v[10:11]
	s_wait_dscnt 0x0
	s_delay_alu instid0(VALU_DEP_2) | instskip(NEXT) | instid1(VALU_DEP_2)
	v_add_f64_e32 v[12:13], v[8:9], v[12:13]
	v_add_f64_e32 v[14:15], v[10:11], v[14:15]
                                        ; implicit-def: $vgpr10_vgpr11
	ds_store_b128 v29, v[12:15]
	s_and_saveexec_b32 s39, s3
	s_cbranch_execz .LBB338_36
; %bb.33:                               ;   in Loop: Header=BB338_4 Depth=1
	v_mul_f64_e32 v[8:9], v[6:7], v[14:15]
	v_mul_f64_e32 v[10:11], v[4:5], v[14:15]
	v_cmp_neq_f64_e32 vcc_lo, 0, v[0:1]
	v_cmp_neq_f64_e64 s4, 0, v[2:3]
	s_delay_alu instid0(VALU_DEP_4) | instskip(NEXT) | instid1(VALU_DEP_4)
	v_fma_f64 v[8:9], v[4:5], v[12:13], -v[8:9]
	v_fmac_f64_e32 v[10:11], v[6:7], v[12:13]
	s_or_b32 s4, vcc_lo, s4
	s_delay_alu instid0(SALU_CYCLE_1)
	s_and_not1_b32 vcc_lo, exec_lo, s4
	s_cbranch_vccnz .LBB338_35
; %bb.34:                               ;   in Loop: Header=BB338_4 Depth=1
	v_lshl_add_u64 v[4:5], v[20:21], 4, v[22:23]
	flat_load_b128 v[4:7], v[4:5]
	s_wait_loadcnt_dscnt 0x0
	v_mul_f64_e32 v[12:13], v[2:3], v[6:7]
	v_mul_f64_e32 v[6:7], v[0:1], v[6:7]
	s_delay_alu instid0(VALU_DEP_2) | instskip(NEXT) | instid1(VALU_DEP_2)
	v_fma_f64 v[0:1], v[0:1], v[4:5], -v[12:13]
	v_fmac_f64_e32 v[6:7], v[2:3], v[4:5]
	s_delay_alu instid0(VALU_DEP_2) | instskip(NEXT) | instid1(VALU_DEP_2)
	v_add_f64_e32 v[8:9], v[8:9], v[0:1]
	v_add_f64_e32 v[10:11], v[10:11], v[6:7]
.LBB338_35:                             ;   in Loop: Header=BB338_4 Depth=1
	s_or_b32 s4, s37, exec_lo
.LBB338_36:                             ;   in Loop: Header=BB338_4 Depth=1
	s_wait_xcnt 0x0
	s_or_b32 exec_lo, exec_lo, s39
	s_delay_alu instid0(SALU_CYCLE_1) | instskip(SKIP_1) | instid1(SALU_CYCLE_1)
	s_and_not1_b32 s37, s37, exec_lo
	s_and_b32 s4, s4, exec_lo
	s_or_b32 s37, s37, s4
.LBB338_37:                             ;   in Loop: Header=BB338_4 Depth=1
	s_or_b32 exec_lo, exec_lo, s38
	v_mov_b64_e32 v[0:1], v[20:21]
	s_and_saveexec_b32 s4, s37
	s_cbranch_execz .LBB338_2
.LBB338_38:                             ;   in Loop: Header=BB338_4 Depth=1
	s_delay_alu instid0(VALU_DEP_1)
	v_lshl_add_u64 v[0:1], v[0:1], 4, v[22:23]
	flat_store_b128 v[0:1], v[8:11]
	s_branch .LBB338_2
.LBB338_39:
	s_endpgm
	.section	.rodata,"a",@progbits
	.p2align	6, 0x0
	.amdhsa_kernel _ZL20rocblas_gemvn_kernelILi64ELi4EiPK19rocblas_complex_numIdES3_KPS1_EviiT3_lPKT2_lT1_lS9_lSA_lS6_lPT4_lSA_li
		.amdhsa_group_segment_fixed_size 4096
		.amdhsa_private_segment_fixed_size 0
		.amdhsa_kernarg_size 400
		.amdhsa_user_sgpr_count 2
		.amdhsa_user_sgpr_dispatch_ptr 0
		.amdhsa_user_sgpr_queue_ptr 0
		.amdhsa_user_sgpr_kernarg_segment_ptr 1
		.amdhsa_user_sgpr_dispatch_id 0
		.amdhsa_user_sgpr_kernarg_preload_length 0
		.amdhsa_user_sgpr_kernarg_preload_offset 0
		.amdhsa_user_sgpr_private_segment_size 0
		.amdhsa_wavefront_size32 1
		.amdhsa_uses_dynamic_stack 0
		.amdhsa_enable_private_segment 0
		.amdhsa_system_sgpr_workgroup_id_x 1
		.amdhsa_system_sgpr_workgroup_id_y 0
		.amdhsa_system_sgpr_workgroup_id_z 1
		.amdhsa_system_sgpr_workgroup_info 0
		.amdhsa_system_vgpr_workitem_id 1
		.amdhsa_next_free_vgpr 42
		.amdhsa_next_free_sgpr 44
		.amdhsa_named_barrier_count 0
		.amdhsa_reserve_vcc 1
		.amdhsa_float_round_mode_32 0
		.amdhsa_float_round_mode_16_64 0
		.amdhsa_float_denorm_mode_32 3
		.amdhsa_float_denorm_mode_16_64 3
		.amdhsa_fp16_overflow 0
		.amdhsa_memory_ordered 1
		.amdhsa_forward_progress 1
		.amdhsa_inst_pref_size 13
		.amdhsa_round_robin_scheduling 0
		.amdhsa_exception_fp_ieee_invalid_op 0
		.amdhsa_exception_fp_denorm_src 0
		.amdhsa_exception_fp_ieee_div_zero 0
		.amdhsa_exception_fp_ieee_overflow 0
		.amdhsa_exception_fp_ieee_underflow 0
		.amdhsa_exception_fp_ieee_inexact 0
		.amdhsa_exception_int_div_zero 0
	.end_amdhsa_kernel
	.section	.text._ZL20rocblas_gemvn_kernelILi64ELi4EiPK19rocblas_complex_numIdES3_KPS1_EviiT3_lPKT2_lT1_lS9_lSA_lS6_lPT4_lSA_li,"axG",@progbits,_ZL20rocblas_gemvn_kernelILi64ELi4EiPK19rocblas_complex_numIdES3_KPS1_EviiT3_lPKT2_lT1_lS9_lSA_lS6_lPT4_lSA_li,comdat
.Lfunc_end338:
	.size	_ZL20rocblas_gemvn_kernelILi64ELi4EiPK19rocblas_complex_numIdES3_KPS1_EviiT3_lPKT2_lT1_lS9_lSA_lS6_lPT4_lSA_li, .Lfunc_end338-_ZL20rocblas_gemvn_kernelILi64ELi4EiPK19rocblas_complex_numIdES3_KPS1_EviiT3_lPKT2_lT1_lS9_lSA_lS6_lPT4_lSA_li
                                        ; -- End function
	.set _ZL20rocblas_gemvn_kernelILi64ELi4EiPK19rocblas_complex_numIdES3_KPS1_EviiT3_lPKT2_lT1_lS9_lSA_lS6_lPT4_lSA_li.num_vgpr, 42
	.set _ZL20rocblas_gemvn_kernelILi64ELi4EiPK19rocblas_complex_numIdES3_KPS1_EviiT3_lPKT2_lT1_lS9_lSA_lS6_lPT4_lSA_li.num_agpr, 0
	.set _ZL20rocblas_gemvn_kernelILi64ELi4EiPK19rocblas_complex_numIdES3_KPS1_EviiT3_lPKT2_lT1_lS9_lSA_lS6_lPT4_lSA_li.numbered_sgpr, 44
	.set _ZL20rocblas_gemvn_kernelILi64ELi4EiPK19rocblas_complex_numIdES3_KPS1_EviiT3_lPKT2_lT1_lS9_lSA_lS6_lPT4_lSA_li.num_named_barrier, 0
	.set _ZL20rocblas_gemvn_kernelILi64ELi4EiPK19rocblas_complex_numIdES3_KPS1_EviiT3_lPKT2_lT1_lS9_lSA_lS6_lPT4_lSA_li.private_seg_size, 0
	.set _ZL20rocblas_gemvn_kernelILi64ELi4EiPK19rocblas_complex_numIdES3_KPS1_EviiT3_lPKT2_lT1_lS9_lSA_lS6_lPT4_lSA_li.uses_vcc, 1
	.set _ZL20rocblas_gemvn_kernelILi64ELi4EiPK19rocblas_complex_numIdES3_KPS1_EviiT3_lPKT2_lT1_lS9_lSA_lS6_lPT4_lSA_li.uses_flat_scratch, 0
	.set _ZL20rocblas_gemvn_kernelILi64ELi4EiPK19rocblas_complex_numIdES3_KPS1_EviiT3_lPKT2_lT1_lS9_lSA_lS6_lPT4_lSA_li.has_dyn_sized_stack, 0
	.set _ZL20rocblas_gemvn_kernelILi64ELi4EiPK19rocblas_complex_numIdES3_KPS1_EviiT3_lPKT2_lT1_lS9_lSA_lS6_lPT4_lSA_li.has_recursion, 0
	.set _ZL20rocblas_gemvn_kernelILi64ELi4EiPK19rocblas_complex_numIdES3_KPS1_EviiT3_lPKT2_lT1_lS9_lSA_lS6_lPT4_lSA_li.has_indirect_call, 0
	.section	.AMDGPU.csdata,"",@progbits
; Kernel info:
; codeLenInByte = 1612
; TotalNumSgprs: 46
; NumVgprs: 42
; ScratchSize: 0
; MemoryBound: 1
; FloatMode: 240
; IeeeMode: 1
; LDSByteSize: 4096 bytes/workgroup (compile time only)
; SGPRBlocks: 0
; VGPRBlocks: 2
; NumSGPRsForWavesPerEU: 46
; NumVGPRsForWavesPerEU: 42
; NamedBarCnt: 0
; Occupancy: 16
; WaveLimiterHint : 1
; COMPUTE_PGM_RSRC2:SCRATCH_EN: 0
; COMPUTE_PGM_RSRC2:USER_SGPR: 2
; COMPUTE_PGM_RSRC2:TRAP_HANDLER: 0
; COMPUTE_PGM_RSRC2:TGID_X_EN: 1
; COMPUTE_PGM_RSRC2:TGID_Y_EN: 0
; COMPUTE_PGM_RSRC2:TGID_Z_EN: 1
; COMPUTE_PGM_RSRC2:TIDIG_COMP_CNT: 1
	.section	.text._ZL20rocblas_gemvn_kernelILi64ELi4ElPK19rocblas_complex_numIdES3_KPS1_EviiT3_lPKT2_lT1_lS9_lSA_lS6_lPT4_lSA_li,"axG",@progbits,_ZL20rocblas_gemvn_kernelILi64ELi4ElPK19rocblas_complex_numIdES3_KPS1_EviiT3_lPKT2_lT1_lS9_lSA_lS6_lPT4_lSA_li,comdat
	.globl	_ZL20rocblas_gemvn_kernelILi64ELi4ElPK19rocblas_complex_numIdES3_KPS1_EviiT3_lPKT2_lT1_lS9_lSA_lS6_lPT4_lSA_li ; -- Begin function _ZL20rocblas_gemvn_kernelILi64ELi4ElPK19rocblas_complex_numIdES3_KPS1_EviiT3_lPKT2_lT1_lS9_lSA_lS6_lPT4_lSA_li
	.p2align	8
	.type	_ZL20rocblas_gemvn_kernelILi64ELi4ElPK19rocblas_complex_numIdES3_KPS1_EviiT3_lPKT2_lT1_lS9_lSA_lS6_lPT4_lSA_li,@function
_ZL20rocblas_gemvn_kernelILi64ELi4ElPK19rocblas_complex_numIdES3_KPS1_EviiT3_lPKT2_lT1_lS9_lSA_lS6_lPT4_lSA_li: ; @_ZL20rocblas_gemvn_kernelILi64ELi4ElPK19rocblas_complex_numIdES3_KPS1_EviiT3_lPKT2_lT1_lS9_lSA_lS6_lPT4_lSA_li
; %bb.0:
	s_clause 0x1
	s_load_b64 s[4:5], s[0:1], 0x9c
	s_load_b32 s33, s[0:1], 0x88
	s_bfe_u32 s2, ttmp6, 0x40014
	s_lshr_b32 s6, ttmp7, 16
	s_add_co_i32 s2, s2, 1
	s_bfe_u32 s3, ttmp6, 0x40008
	s_mul_i32 s7, s6, s2
	s_getreg_b32 s2, hwreg(HW_REG_IB_STS2, 6, 4)
	s_add_co_i32 s7, s3, s7
	s_wait_kmcnt 0x0
	s_lshr_b32 s8, s4, 16
	s_and_b32 s3, s4, 0xffff
	s_and_b32 s4, s5, 0xffff
	s_mul_i32 s5, s8, s3
	s_cmp_eq_u32 s2, 0
	s_mul_i32 s5, s5, s4
	s_cselect_b32 s6, s6, s7
	s_cmp_lg_u32 s5, 0x100
	s_mov_b32 s7, 0
	s_cselect_b32 s4, -1, 0
	s_cmp_ge_u32 s6, s33
	s_cselect_b32 s5, -1, 0
	s_delay_alu instid0(SALU_CYCLE_1) | instskip(NEXT) | instid1(SALU_CYCLE_1)
	s_or_b32 s4, s4, s5
	s_and_b32 vcc_lo, exec_lo, s4
	s_cbranch_vccnz .LBB339_39
; %bb.1:
	s_clause 0x2
	s_load_b64 s[28:29], s[0:1], 0x48
	s_load_b64 s[30:31], s[0:1], 0x28
	;; [unrolled: 1-line block ×3, first 2 shown]
	v_and_b32_e32 v1, 0x3ff, v0
	v_bfe_u32 v0, v0, 10, 10
	s_bfe_u32 s4, ttmp6, 0x4000c
	s_and_b32 s5, ttmp6, 15
	s_add_co_i32 s4, s4, 1
	s_load_b128 s[24:27], s[0:1], 0x38
	v_mad_u32_u24 v6, v0, s3, v1
	s_mul_i32 s3, ttmp9, s4
	v_mov_b32_e32 v17, 0
	s_add_co_i32 s3, s5, s3
	s_cmp_eq_u32 s2, 0
	v_lshrrev_b32_e32 v18, 6, v6
	s_cselect_b32 s2, ttmp9, s3
	s_load_b64 s[4:5], s[0:1], 0x0
	s_lshl_b32 s2, s2, 6
	s_delay_alu instid0(SALU_CYCLE_1) | instskip(SKIP_3) | instid1(VALU_DEP_3)
	v_dual_mov_b32 v19, v17 :: v_dual_bitop2_b32 v4, s2, v6 bitop3:0x54
	v_add_nc_u32_e32 v16, s2, v6
	v_and_or_b32 v24, v6, 63, s2
	s_wait_kmcnt 0x0
	v_mul_u64_e32 v[0:1], s[28:29], v[18:19]
	v_mul_u64_e32 v[2:3], s[30:31], v[18:19]
	v_ashrrev_i32_e32 v5, 31, v4
	v_mul_u64_e32 v[20:21], s[8:9], v[16:17]
	v_dual_lshlrev_b32 v19, 4, v6 :: v_dual_ashrrev_i32 v25, 31, v24
	s_delay_alu instid0(VALU_DEP_3)
	v_mul_u64_e32 v[22:23], s[8:9], v[4:5]
	s_clause 0x1
	s_load_b256 s[8:15], s[0:1], 0x8
	s_load_b256 s[16:23], s[0:1], 0x58
	s_wait_xcnt 0x0
	v_cmp_gt_u32_e64 s0, 64, v6
	v_lshlrev_b64_e32 v[6:7], 4, v[24:25]
	s_ashr_i32 s1, s5, 31
	s_ashr_i32 s3, s4, 31
	s_lshr_b32 s34, s1, 30
	s_mov_b32 s2, s4
	s_add_co_i32 s34, s5, s34
	v_cmp_gt_i64_e32 vcc_lo, s[2:3], v[16:17]
	s_and_b32 s38, s34, -4
	v_cmp_gt_i32_e64 s1, s4, v24
	s_sub_co_i32 s3, s5, s38
	v_cmp_gt_i32_e64 s2, s4, v4
	s_cmp_gt_i32 s3, 0
	v_cmp_gt_i32_e64 s3, s38, v18
	s_cselect_b32 s39, -1, 0
	s_and_b32 s40, s0, vcc_lo
	s_lshl_b64 s[34:35], s[28:29], 6
	s_lshl_b64 s[36:37], s[30:31], 6
	s_wait_kmcnt 0x0
	s_lshl_b64 s[14:15], s[14:15], 4
	s_lshl_b64 s[26:27], s[26:27], 4
	;; [unrolled: 1-line block ×3, first 2 shown]
	v_lshlrev_b64_e32 v[26:27], 4, v[0:1]
	v_lshl_add_u64 v[28:29], v[2:3], 4, v[6:7]
	s_delay_alu instid0(VALU_DEP_1) | instskip(NEXT) | instid1(VALU_DEP_3)
	v_or_b32_e32 v28, 8, v28
	v_or_b32_e32 v26, 8, v26
	s_branch .LBB339_4
.LBB339_2:                              ;   in Loop: Header=BB339_4 Depth=1
	s_wait_xcnt 0x0
	s_or_b32 exec_lo, exec_lo, s4
.LBB339_3:                              ;   in Loop: Header=BB339_4 Depth=1
	s_add_co_i32 s6, s6, 0x10000
	s_delay_alu instid0(SALU_CYCLE_1)
	s_cmp_lt_u32 s6, s33
	s_cbranch_scc0 .LBB339_39
.LBB339_4:                              ; =>This Loop Header: Depth=1
                                        ;     Child Loop BB339_20 Depth 2
	s_wait_xcnt 0x0
	s_mul_u64 s[42:43], s[10:11], s[6:7]
	s_delay_alu instid0(SALU_CYCLE_1) | instskip(NEXT) | instid1(SALU_CYCLE_1)
	s_lshl_b64 s[42:43], s[42:43], 4
	s_add_nc_u64 s[42:43], s[8:9], s[42:43]
	global_load_b128 v[4:7], v17, s[42:43]
	s_wait_xcnt 0x0
	s_mul_u64 s[42:43], s[18:19], s[6:7]
	s_delay_alu instid0(SALU_CYCLE_1) | instskip(NEXT) | instid1(SALU_CYCLE_1)
	s_lshl_b64 s[42:43], s[42:43], 4
	s_add_nc_u64 s[42:43], s[16:17], s[42:43]
	s_wait_loadcnt 0x1
	global_load_b128 v[0:3], v17, s[42:43]
	s_wait_xcnt 0x0
	s_mov_b32 s42, -1
	s_wait_loadcnt 0x1
	v_cmp_neq_f64_e32 vcc_lo, 0, v[4:5]
	v_cmp_neq_f64_e64 s4, 0, v[6:7]
	s_or_b32 s41, vcc_lo, s4
	s_mov_b32 s4, 0
	s_and_b32 vcc_lo, exec_lo, s41
	s_cbranch_vccz .LBB339_7
; %bb.5:                                ;   in Loop: Header=BB339_4 Depth=1
	v_mov_b64_e32 v[32:33], 0
	s_and_not1_b32 vcc_lo, exec_lo, s42
	s_cbranch_vccz .LBB339_8
.LBB339_6:                              ;   in Loop: Header=BB339_4 Depth=1
	s_and_not1_b32 vcc_lo, exec_lo, s4
	s_cbranch_vccnz .LBB339_3
	s_branch .LBB339_9
.LBB339_7:                              ;   in Loop: Header=BB339_4 Depth=1
	s_wait_loadcnt 0x0
	v_cmp_neq_f64_e32 vcc_lo, 1.0, v[0:1]
	v_cmp_neq_f64_e64 s4, 0, v[2:3]
	s_or_b32 s4, vcc_lo, s4
	v_mov_b64_e32 v[32:33], 0
	s_cbranch_execnz .LBB339_6
.LBB339_8:                              ;   in Loop: Header=BB339_4 Depth=1
	s_lshl_b64 s[42:43], s[6:7], 3
	s_delay_alu instid0(SALU_CYCLE_1)
	s_add_nc_u64 s[42:43], s[12:13], s[42:43]
	global_load_b64 v[8:9], v17, s[42:43]
	s_wait_loadcnt 0x0
	v_add_nc_u64_e32 v[32:33], s[14:15], v[8:9]
.LBB339_9:                              ;   in Loop: Header=BB339_4 Depth=1
	v_mov_b64_e32 v[34:35], 0
	s_and_not1_b32 vcc_lo, exec_lo, s41
	s_cbranch_vccnz .LBB339_11
; %bb.10:                               ;   in Loop: Header=BB339_4 Depth=1
	s_wait_xcnt 0x0
	s_lshl_b64 s[42:43], s[6:7], 3
	s_delay_alu instid0(SALU_CYCLE_1)
	s_add_nc_u64 s[42:43], s[24:25], s[42:43]
	global_load_b64 v[8:9], v17, s[42:43]
	s_wait_loadcnt 0x0
	v_add_nc_u64_e32 v[34:35], s[26:27], v[8:9]
.LBB339_11:                             ;   in Loop: Header=BB339_4 Depth=1
	s_wait_xcnt 0x0
	s_lshl_b64 s[42:43], s[6:7], 3
	s_xor_b32 s4, s41, -1
	s_add_nc_u64 s[42:43], s[20:21], s[42:43]
	s_and_not1_b32 vcc_lo, exec_lo, s4
	global_load_b64 v[8:9], v17, s[42:43]
	s_wait_loadcnt 0x0
	v_add_nc_u64_e32 v[30:31], s[22:23], v[8:9]
	s_cbranch_vccnz .LBB339_16
; %bb.12:                               ;   in Loop: Header=BB339_4 Depth=1
	s_wait_xcnt 0x0
	s_mov_b32 s42, 0
	s_mov_b32 s41, 0
                                        ; implicit-def: $vgpr10_vgpr11
	s_and_saveexec_b32 s43, s40
	s_cbranch_execz .LBB339_22
; %bb.13:                               ;   in Loop: Header=BB339_4 Depth=1
	v_cmp_neq_f64_e32 vcc_lo, 0, v[0:1]
	v_cmp_neq_f64_e64 s4, 0, v[2:3]
	v_mov_b64_e32 v[10:11], 0
	v_mov_b64_e32 v[8:9], 0
	s_or_b32 s4, vcc_lo, s4
	s_delay_alu instid0(SALU_CYCLE_1)
	s_and_not1_b32 vcc_lo, exec_lo, s4
	s_cbranch_vccnz .LBB339_15
; %bb.14:                               ;   in Loop: Header=BB339_4 Depth=1
	v_lshl_add_u64 v[8:9], v[20:21], 4, v[30:31]
	flat_load_b128 v[12:15], v[8:9]
	s_wait_loadcnt_dscnt 0x0
	s_wait_xcnt 0x0
	v_mul_f64_e32 v[8:9], v[2:3], v[14:15]
	v_mul_f64_e32 v[10:11], v[0:1], v[14:15]
	s_delay_alu instid0(VALU_DEP_2) | instskip(NEXT) | instid1(VALU_DEP_2)
	v_fma_f64 v[8:9], v[0:1], v[12:13], -v[8:9]
	v_fmac_f64_e32 v[10:11], v[2:3], v[12:13]
.LBB339_15:                             ;   in Loop: Header=BB339_4 Depth=1
	s_mov_b32 s41, exec_lo
	s_or_b32 exec_lo, exec_lo, s43
	s_delay_alu instid0(SALU_CYCLE_1)
	s_and_b32 vcc_lo, exec_lo, s42
	s_cbranch_vccnz .LBB339_17
	s_branch .LBB339_23
.LBB339_16:                             ;   in Loop: Header=BB339_4 Depth=1
	s_wait_xcnt 0x0
	s_mov_b32 s41, 0
                                        ; implicit-def: $vgpr10_vgpr11
	s_cbranch_execz .LBB339_23
.LBB339_17:                             ;   in Loop: Header=BB339_4 Depth=1
	v_mov_b64_e32 v[10:11], 0
	v_mov_b64_e32 v[8:9], 0
	v_mov_b32_e32 v16, v18
	s_and_saveexec_b32 s4, s3
	s_cbranch_execz .LBB339_25
; %bb.18:                               ;   in Loop: Header=BB339_4 Depth=1
	v_mov_b64_e32 v[10:11], 0
	v_add_nc_u64_e32 v[12:13], v[34:35], v[26:27]
	v_add_nc_u64_e32 v[14:15], v[32:33], v[28:29]
	v_mov_b32_e32 v16, v18
	s_mov_b32 s42, 0
	s_delay_alu instid0(VALU_DEP_4)
	v_mov_b64_e32 v[8:9], v[10:11]
	s_branch .LBB339_20
.LBB339_19:                             ;   in Loop: Header=BB339_20 Depth=2
	s_wait_xcnt 0x0
	s_or_b32 exec_lo, exec_lo, s43
	v_add_nc_u32_e32 v16, 4, v16
	v_add_nc_u64_e32 v[12:13], s[34:35], v[12:13]
	v_add_nc_u64_e32 v[14:15], s[36:37], v[14:15]
	s_delay_alu instid0(VALU_DEP_3) | instskip(SKIP_1) | instid1(SALU_CYCLE_1)
	v_cmp_le_i32_e32 vcc_lo, s38, v16
	s_or_b32 s42, vcc_lo, s42
	s_and_not1_b32 exec_lo, exec_lo, s42
	s_cbranch_execz .LBB339_24
.LBB339_20:                             ;   Parent Loop BB339_4 Depth=1
                                        ; =>  This Inner Loop Header: Depth=2
	s_and_saveexec_b32 s43, s1
	s_cbranch_execz .LBB339_19
; %bb.21:                               ;   in Loop: Header=BB339_20 Depth=2
	flat_load_b128 v[36:39], v[12:13] offset:-8
	flat_load_b128 v[40:43], v[14:15] offset:-8
	s_wait_loadcnt_dscnt 0x0
	v_mul_f64_e32 v[44:45], v[38:39], v[42:43]
	v_mul_f64_e32 v[42:43], v[36:37], v[42:43]
	s_delay_alu instid0(VALU_DEP_2) | instskip(NEXT) | instid1(VALU_DEP_2)
	v_fma_f64 v[36:37], v[36:37], v[40:41], -v[44:45]
	v_fmac_f64_e32 v[42:43], v[38:39], v[40:41]
	s_delay_alu instid0(VALU_DEP_2) | instskip(NEXT) | instid1(VALU_DEP_2)
	v_add_f64_e32 v[8:9], v[8:9], v[36:37]
	v_add_f64_e32 v[10:11], v[10:11], v[42:43]
	s_branch .LBB339_19
.LBB339_22:                             ;   in Loop: Header=BB339_4 Depth=1
	s_or_b32 exec_lo, exec_lo, s43
	s_delay_alu instid0(SALU_CYCLE_1)
	s_and_b32 vcc_lo, exec_lo, s42
	s_cbranch_vccnz .LBB339_17
.LBB339_23:                             ;   in Loop: Header=BB339_4 Depth=1
	v_mov_b64_e32 v[0:1], v[20:21]
	s_and_saveexec_b32 s4, s41
	s_cbranch_execz .LBB339_2
	s_branch .LBB339_38
.LBB339_24:                             ;   in Loop: Header=BB339_4 Depth=1
	s_or_b32 exec_lo, exec_lo, s42
.LBB339_25:                             ;   in Loop: Header=BB339_4 Depth=1
	s_delay_alu instid0(SALU_CYCLE_1) | instskip(NEXT) | instid1(SALU_CYCLE_1)
	s_or_b32 exec_lo, exec_lo, s4
	s_and_not1_b32 vcc_lo, exec_lo, s39
	s_cbranch_vccnz .LBB339_31
; %bb.26:                               ;   in Loop: Header=BB339_4 Depth=1
	v_mov_b64_e32 v[12:13], 0
	v_mov_b64_e32 v[14:15], 0
	v_cmp_gt_i32_e32 vcc_lo, s5, v16
	s_and_saveexec_b32 s4, vcc_lo
	s_cbranch_execz .LBB339_28
; %bb.27:                               ;   in Loop: Header=BB339_4 Depth=1
	v_mul_u64_e32 v[12:13], s[28:29], v[16:17]
	s_delay_alu instid0(VALU_DEP_1)
	v_lshl_add_u64 v[12:13], v[12:13], 4, v[34:35]
	flat_load_b128 v[12:15], v[12:13]
.LBB339_28:                             ;   in Loop: Header=BB339_4 Depth=1
	s_wait_xcnt 0x0
	s_or_b32 exec_lo, exec_lo, s4
	s_and_saveexec_b32 s4, s1
	s_cbranch_execz .LBB339_30
; %bb.29:                               ;   in Loop: Header=BB339_4 Depth=1
	v_mul_u64_e32 v[34:35], s[30:31], v[16:17]
	s_delay_alu instid0(VALU_DEP_1) | instskip(NEXT) | instid1(VALU_DEP_1)
	v_dual_cndmask_b32 v35, 0, v35 :: v_dual_cndmask_b32 v34, 0, v34
	v_lshl_add_u64 v[32:33], v[34:35], 4, v[32:33]
	s_delay_alu instid0(VALU_DEP_1) | instskip(SKIP_4) | instid1(VALU_DEP_2)
	v_lshl_add_u64 v[32:33], v[24:25], 4, v[32:33]
	flat_load_b128 v[32:35], v[32:33]
	s_wait_loadcnt_dscnt 0x0
	v_mul_f64_e32 v[36:37], v[14:15], v[34:35]
	v_mul_f64_e32 v[34:35], v[12:13], v[34:35]
	v_fma_f64 v[12:13], v[12:13], v[32:33], -v[36:37]
	s_delay_alu instid0(VALU_DEP_2) | instskip(NEXT) | instid1(VALU_DEP_2)
	v_fmac_f64_e32 v[34:35], v[14:15], v[32:33]
	v_add_f64_e32 v[8:9], v[8:9], v[12:13]
	s_delay_alu instid0(VALU_DEP_2)
	v_add_f64_e32 v[10:11], v[10:11], v[34:35]
.LBB339_30:                             ;   in Loop: Header=BB339_4 Depth=1
	s_wait_xcnt 0x0
	s_or_b32 exec_lo, exec_lo, s4
.LBB339_31:                             ;   in Loop: Header=BB339_4 Depth=1
	ds_store_b128 v19, v[8:11]
	s_wait_loadcnt_dscnt 0x0
	s_barrier_signal -1
	s_barrier_wait -1
                                        ; implicit-def: $vgpr10_vgpr11
	s_and_saveexec_b32 s42, s0
	s_cbranch_execz .LBB339_37
; %bb.32:                               ;   in Loop: Header=BB339_4 Depth=1
	ds_load_b128 v[8:11], v19
	ds_load_b128 v[12:15], v19 offset:1024
	s_mov_b32 s4, s41
	s_wait_dscnt 0x0
	v_add_f64_e32 v[32:33], v[8:9], v[12:13]
	v_add_f64_e32 v[34:35], v[10:11], v[14:15]
	ds_load_b128 v[8:11], v19 offset:2048
	ds_load_b128 v[12:15], v19 offset:3072
	s_wait_dscnt 0x1
	v_add_f64_e32 v[8:9], v[32:33], v[8:9]
	v_add_f64_e32 v[10:11], v[34:35], v[10:11]
	s_wait_dscnt 0x0
	s_delay_alu instid0(VALU_DEP_2) | instskip(NEXT) | instid1(VALU_DEP_2)
	v_add_f64_e32 v[12:13], v[8:9], v[12:13]
	v_add_f64_e32 v[14:15], v[10:11], v[14:15]
                                        ; implicit-def: $vgpr10_vgpr11
	ds_store_b128 v19, v[12:15]
	s_and_saveexec_b32 s43, s2
	s_cbranch_execz .LBB339_36
; %bb.33:                               ;   in Loop: Header=BB339_4 Depth=1
	v_mul_f64_e32 v[8:9], v[6:7], v[14:15]
	v_mul_f64_e32 v[10:11], v[4:5], v[14:15]
	v_cmp_neq_f64_e32 vcc_lo, 0, v[0:1]
	v_cmp_neq_f64_e64 s4, 0, v[2:3]
	s_delay_alu instid0(VALU_DEP_4) | instskip(NEXT) | instid1(VALU_DEP_4)
	v_fma_f64 v[8:9], v[4:5], v[12:13], -v[8:9]
	v_fmac_f64_e32 v[10:11], v[6:7], v[12:13]
	s_or_b32 s4, vcc_lo, s4
	s_delay_alu instid0(SALU_CYCLE_1)
	s_and_not1_b32 vcc_lo, exec_lo, s4
	s_cbranch_vccnz .LBB339_35
; %bb.34:                               ;   in Loop: Header=BB339_4 Depth=1
	v_lshl_add_u64 v[4:5], v[22:23], 4, v[30:31]
	flat_load_b128 v[4:7], v[4:5]
	s_wait_loadcnt_dscnt 0x0
	v_mul_f64_e32 v[12:13], v[2:3], v[6:7]
	v_mul_f64_e32 v[6:7], v[0:1], v[6:7]
	s_delay_alu instid0(VALU_DEP_2) | instskip(NEXT) | instid1(VALU_DEP_2)
	v_fma_f64 v[0:1], v[0:1], v[4:5], -v[12:13]
	v_fmac_f64_e32 v[6:7], v[2:3], v[4:5]
	s_delay_alu instid0(VALU_DEP_2) | instskip(NEXT) | instid1(VALU_DEP_2)
	v_add_f64_e32 v[8:9], v[8:9], v[0:1]
	v_add_f64_e32 v[10:11], v[10:11], v[6:7]
.LBB339_35:                             ;   in Loop: Header=BB339_4 Depth=1
	s_or_b32 s4, s41, exec_lo
.LBB339_36:                             ;   in Loop: Header=BB339_4 Depth=1
	s_wait_xcnt 0x0
	s_or_b32 exec_lo, exec_lo, s43
	s_delay_alu instid0(SALU_CYCLE_1) | instskip(SKIP_1) | instid1(SALU_CYCLE_1)
	s_and_not1_b32 s41, s41, exec_lo
	s_and_b32 s4, s4, exec_lo
	s_or_b32 s41, s41, s4
.LBB339_37:                             ;   in Loop: Header=BB339_4 Depth=1
	s_or_b32 exec_lo, exec_lo, s42
	v_mov_b64_e32 v[0:1], v[22:23]
	s_and_saveexec_b32 s4, s41
	s_cbranch_execz .LBB339_2
.LBB339_38:                             ;   in Loop: Header=BB339_4 Depth=1
	s_delay_alu instid0(VALU_DEP_1)
	v_lshl_add_u64 v[0:1], v[0:1], 4, v[30:31]
	flat_store_b128 v[0:1], v[8:11]
	s_branch .LBB339_2
.LBB339_39:
	s_endpgm
	.section	.rodata,"a",@progbits
	.p2align	6, 0x0
	.amdhsa_kernel _ZL20rocblas_gemvn_kernelILi64ELi4ElPK19rocblas_complex_numIdES3_KPS1_EviiT3_lPKT2_lT1_lS9_lSA_lS6_lPT4_lSA_li
		.amdhsa_group_segment_fixed_size 4096
		.amdhsa_private_segment_fixed_size 0
		.amdhsa_kernarg_size 400
		.amdhsa_user_sgpr_count 2
		.amdhsa_user_sgpr_dispatch_ptr 0
		.amdhsa_user_sgpr_queue_ptr 0
		.amdhsa_user_sgpr_kernarg_segment_ptr 1
		.amdhsa_user_sgpr_dispatch_id 0
		.amdhsa_user_sgpr_kernarg_preload_length 0
		.amdhsa_user_sgpr_kernarg_preload_offset 0
		.amdhsa_user_sgpr_private_segment_size 0
		.amdhsa_wavefront_size32 1
		.amdhsa_uses_dynamic_stack 0
		.amdhsa_enable_private_segment 0
		.amdhsa_system_sgpr_workgroup_id_x 1
		.amdhsa_system_sgpr_workgroup_id_y 0
		.amdhsa_system_sgpr_workgroup_id_z 1
		.amdhsa_system_sgpr_workgroup_info 0
		.amdhsa_system_vgpr_workitem_id 1
		.amdhsa_next_free_vgpr 46
		.amdhsa_next_free_sgpr 44
		.amdhsa_named_barrier_count 0
		.amdhsa_reserve_vcc 1
		.amdhsa_float_round_mode_32 0
		.amdhsa_float_round_mode_16_64 0
		.amdhsa_float_denorm_mode_32 3
		.amdhsa_float_denorm_mode_16_64 3
		.amdhsa_fp16_overflow 0
		.amdhsa_memory_ordered 1
		.amdhsa_forward_progress 1
		.amdhsa_inst_pref_size 13
		.amdhsa_round_robin_scheduling 0
		.amdhsa_exception_fp_ieee_invalid_op 0
		.amdhsa_exception_fp_denorm_src 0
		.amdhsa_exception_fp_ieee_div_zero 0
		.amdhsa_exception_fp_ieee_overflow 0
		.amdhsa_exception_fp_ieee_underflow 0
		.amdhsa_exception_fp_ieee_inexact 0
		.amdhsa_exception_int_div_zero 0
	.end_amdhsa_kernel
	.section	.text._ZL20rocblas_gemvn_kernelILi64ELi4ElPK19rocblas_complex_numIdES3_KPS1_EviiT3_lPKT2_lT1_lS9_lSA_lS6_lPT4_lSA_li,"axG",@progbits,_ZL20rocblas_gemvn_kernelILi64ELi4ElPK19rocblas_complex_numIdES3_KPS1_EviiT3_lPKT2_lT1_lS9_lSA_lS6_lPT4_lSA_li,comdat
.Lfunc_end339:
	.size	_ZL20rocblas_gemvn_kernelILi64ELi4ElPK19rocblas_complex_numIdES3_KPS1_EviiT3_lPKT2_lT1_lS9_lSA_lS6_lPT4_lSA_li, .Lfunc_end339-_ZL20rocblas_gemvn_kernelILi64ELi4ElPK19rocblas_complex_numIdES3_KPS1_EviiT3_lPKT2_lT1_lS9_lSA_lS6_lPT4_lSA_li
                                        ; -- End function
	.set _ZL20rocblas_gemvn_kernelILi64ELi4ElPK19rocblas_complex_numIdES3_KPS1_EviiT3_lPKT2_lT1_lS9_lSA_lS6_lPT4_lSA_li.num_vgpr, 46
	.set _ZL20rocblas_gemvn_kernelILi64ELi4ElPK19rocblas_complex_numIdES3_KPS1_EviiT3_lPKT2_lT1_lS9_lSA_lS6_lPT4_lSA_li.num_agpr, 0
	.set _ZL20rocblas_gemvn_kernelILi64ELi4ElPK19rocblas_complex_numIdES3_KPS1_EviiT3_lPKT2_lT1_lS9_lSA_lS6_lPT4_lSA_li.numbered_sgpr, 44
	.set _ZL20rocblas_gemvn_kernelILi64ELi4ElPK19rocblas_complex_numIdES3_KPS1_EviiT3_lPKT2_lT1_lS9_lSA_lS6_lPT4_lSA_li.num_named_barrier, 0
	.set _ZL20rocblas_gemvn_kernelILi64ELi4ElPK19rocblas_complex_numIdES3_KPS1_EviiT3_lPKT2_lT1_lS9_lSA_lS6_lPT4_lSA_li.private_seg_size, 0
	.set _ZL20rocblas_gemvn_kernelILi64ELi4ElPK19rocblas_complex_numIdES3_KPS1_EviiT3_lPKT2_lT1_lS9_lSA_lS6_lPT4_lSA_li.uses_vcc, 1
	.set _ZL20rocblas_gemvn_kernelILi64ELi4ElPK19rocblas_complex_numIdES3_KPS1_EviiT3_lPKT2_lT1_lS9_lSA_lS6_lPT4_lSA_li.uses_flat_scratch, 0
	.set _ZL20rocblas_gemvn_kernelILi64ELi4ElPK19rocblas_complex_numIdES3_KPS1_EviiT3_lPKT2_lT1_lS9_lSA_lS6_lPT4_lSA_li.has_dyn_sized_stack, 0
	.set _ZL20rocblas_gemvn_kernelILi64ELi4ElPK19rocblas_complex_numIdES3_KPS1_EviiT3_lPKT2_lT1_lS9_lSA_lS6_lPT4_lSA_li.has_recursion, 0
	.set _ZL20rocblas_gemvn_kernelILi64ELi4ElPK19rocblas_complex_numIdES3_KPS1_EviiT3_lPKT2_lT1_lS9_lSA_lS6_lPT4_lSA_li.has_indirect_call, 0
	.section	.AMDGPU.csdata,"",@progbits
; Kernel info:
; codeLenInByte = 1616
; TotalNumSgprs: 46
; NumVgprs: 46
; ScratchSize: 0
; MemoryBound: 1
; FloatMode: 240
; IeeeMode: 1
; LDSByteSize: 4096 bytes/workgroup (compile time only)
; SGPRBlocks: 0
; VGPRBlocks: 2
; NumSGPRsForWavesPerEU: 46
; NumVGPRsForWavesPerEU: 46
; NamedBarCnt: 0
; Occupancy: 16
; WaveLimiterHint : 1
; COMPUTE_PGM_RSRC2:SCRATCH_EN: 0
; COMPUTE_PGM_RSRC2:USER_SGPR: 2
; COMPUTE_PGM_RSRC2:TRAP_HANDLER: 0
; COMPUTE_PGM_RSRC2:TGID_X_EN: 1
; COMPUTE_PGM_RSRC2:TGID_Y_EN: 0
; COMPUTE_PGM_RSRC2:TGID_Z_EN: 1
; COMPUTE_PGM_RSRC2:TIDIG_COMP_CNT: 1
	.section	.text._ZL20rocblas_gemvn_kernelILi64ELi4EiPK19rocblas_complex_numIdES1_KPS1_EviiT3_lPKT2_lT1_lS9_lSA_lS6_lPT4_lSA_li,"axG",@progbits,_ZL20rocblas_gemvn_kernelILi64ELi4EiPK19rocblas_complex_numIdES1_KPS1_EviiT3_lPKT2_lT1_lS9_lSA_lS6_lPT4_lSA_li,comdat
	.globl	_ZL20rocblas_gemvn_kernelILi64ELi4EiPK19rocblas_complex_numIdES1_KPS1_EviiT3_lPKT2_lT1_lS9_lSA_lS6_lPT4_lSA_li ; -- Begin function _ZL20rocblas_gemvn_kernelILi64ELi4EiPK19rocblas_complex_numIdES1_KPS1_EviiT3_lPKT2_lT1_lS9_lSA_lS6_lPT4_lSA_li
	.p2align	8
	.type	_ZL20rocblas_gemvn_kernelILi64ELi4EiPK19rocblas_complex_numIdES1_KPS1_EviiT3_lPKT2_lT1_lS9_lSA_lS6_lPT4_lSA_li,@function
_ZL20rocblas_gemvn_kernelILi64ELi4EiPK19rocblas_complex_numIdES1_KPS1_EviiT3_lPKT2_lT1_lS9_lSA_lS6_lPT4_lSA_li: ; @_ZL20rocblas_gemvn_kernelILi64ELi4EiPK19rocblas_complex_numIdES1_KPS1_EviiT3_lPKT2_lT1_lS9_lSA_lS6_lPT4_lSA_li
; %bb.0:
	s_clause 0x1
	s_load_b64 s[4:5], s[0:1], 0xac
	s_load_b32 s28, s[0:1], 0x98
	s_bfe_u32 s2, ttmp6, 0x40014
	s_lshr_b32 s6, ttmp7, 16
	s_add_co_i32 s2, s2, 1
	s_bfe_u32 s3, ttmp6, 0x40008
	s_mul_i32 s7, s6, s2
	s_getreg_b32 s2, hwreg(HW_REG_IB_STS2, 6, 4)
	s_add_co_i32 s7, s3, s7
	s_mov_b32 s25, 0
	s_wait_kmcnt 0x0
	s_lshr_b32 s8, s4, 16
	s_and_b32 s3, s4, 0xffff
	s_and_b32 s4, s5, 0xffff
	s_mul_i32 s5, s8, s3
	s_cmp_eq_u32 s2, 0
	s_mul_i32 s5, s5, s4
	s_cselect_b32 s24, s6, s7
	s_cmp_lg_u32 s5, 0x100
	s_cselect_b32 s4, -1, 0
	s_cmp_ge_u32 s24, s28
	s_cselect_b32 s5, -1, 0
	s_delay_alu instid0(SALU_CYCLE_1) | instskip(NEXT) | instid1(SALU_CYCLE_1)
	s_or_b32 s4, s4, s5
	s_and_b32 vcc_lo, exec_lo, s4
	s_cbranch_vccnz .LBB340_41
; %bb.1:
	s_clause 0x2
	s_load_b128 s[4:7], s[0:1], 0x8
	s_load_b128 s[8:11], s[0:1], 0x60
	s_load_b32 s36, s[0:1], 0x88
	s_bfe_u32 s19, ttmp6, 0x4000c
	v_and_b32_e32 v1, 0x3ff, v0
	s_add_co_i32 s19, s19, 1
	v_bfe_u32 v0, v0, 10, 10
	s_and_b32 s20, ttmp6, 15
	s_mul_i32 s19, ttmp9, s19
	s_clause 0x1
	s_load_b64 s[26:27], s[0:1], 0x0
	s_load_b128 s[12:15], s[0:1], 0x78
	s_add_co_i32 s20, s20, s19
	v_mad_u32_u24 v0, v0, s3, v1
	s_delay_alu instid0(VALU_DEP_1)
	v_dual_lshlrev_b32 v22, 4, v0 :: v_dual_bitop2_b32 v2, 63, v0 bitop3:0x40
	s_wait_kmcnt 0x0
	v_cmp_neq_f64_e64 s16, s[4:5], 0
	v_cmp_neq_f64_e64 s18, s[6:7], 0
	v_cmp_neq_f64_e64 s17, s[8:9], 1.0
	v_cmp_neq_f64_e64 s34, s[10:11], 0
	s_ashr_i32 s37, s36, 31
	v_cmp_neq_f64_e64 s35, s[8:9], 0
	s_or_b32 s16, s16, s18
	s_or_b32 s29, s17, s34
	s_xor_b32 s30, s16, -1
	s_cmp_eq_u32 s2, 0
	v_cndmask_b32_e64 v20, 0, 1, s16
	s_cselect_b32 s2, ttmp9, s20
	s_clause 0x1
	s_load_b128 s[16:19], s[0:1], 0x20
	s_load_b32 s31, s[0:1], 0x30
	s_lshl_b32 s38, s2, 6
	s_delay_alu instid0(SALU_CYCLE_1)
	v_dual_mov_b32 v9, 0 :: v_dual_add_nc_u32 v8, s38, v0
	s_clause 0x1
	s_load_b128 s[20:23], s[0:1], 0x40
	s_load_b32 s33, s[0:1], 0x50
	s_mov_b32 s2, s26
	s_ashr_i32 s3, s26, 31
	v_or_b32_e32 v1, s38, v0
	v_mul_u64_e32 v[10:11], s[36:37], v[8:9]
	v_cmp_gt_i64_e32 vcc_lo, s[2:3], v[8:9]
	v_lshrrev_b32_e32 v8, 6, v0
	s_wait_xcnt 0x0
	s_ashr_i32 s0, s27, 31
	v_mul_lo_u32 v12, v1, s36
	s_lshr_b32 s0, s0, 30
	v_or_b32_e32 v21, s38, v2
	s_add_co_i32 s0, s27, s0
	s_or_b32 s34, s35, s34
	s_and_b32 s35, s0, -4
	v_cmp_gt_u32_e64 s2, 64, v0
	s_sub_co_i32 s1, s27, s35
	s_wait_kmcnt 0x0
	v_mul_lo_u32 v3, s31, v8
	v_cmp_gt_i32_e64 s0, s35, v8
	s_cmp_gt_i32 s1, 0
	v_cmp_gt_i32_e64 s3, s26, v1
	v_mul_lo_u32 v23, s33, v8
	v_ashrrev_i32_e32 v13, 31, v12
	v_cmp_gt_i32_e64 s1, s26, v21
	s_cselect_b32 s36, -1, 0
	s_and_b32 s26, s2, vcc_lo
	s_lshl_b32 s37, s33, 2
	s_lshl_b64 s[18:19], s[18:19], 4
	v_add3_u32 v24, v3, s38, v2
	s_lshl_b32 s38, s31, 2
	s_lshl_b64 s[22:23], s[22:23], 4
	s_lshl_b64 s[14:15], s[14:15], 4
	s_branch .LBB340_4
.LBB340_2:                              ;   in Loop: Header=BB340_4 Depth=1
	s_wait_xcnt 0x0
	s_or_b32 exec_lo, exec_lo, s40
.LBB340_3:                              ;   in Loop: Header=BB340_4 Depth=1
	s_add_co_i32 s24, s24, 0x10000
	s_delay_alu instid0(SALU_CYCLE_1)
	s_cmp_lt_u32 s24, s28
	s_cbranch_scc0 .LBB340_41
.LBB340_4:                              ; =>This Loop Header: Depth=1
                                        ;     Child Loop BB340_22 Depth 2
	s_and_not1_b32 vcc_lo, exec_lo, s30
	s_cbranch_vccnz .LBB340_7
; %bb.5:                                ;   in Loop: Header=BB340_4 Depth=1
	s_wait_xcnt 0x0
	s_mov_b32 s40, 0
	s_and_b32 vcc_lo, exec_lo, s29
	s_mov_b32 s39, 0
	s_cbranch_vccz .LBB340_8
; %bb.6:                                ;   in Loop: Header=BB340_4 Depth=1
	s_mov_b32 s39, -1
	s_branch .LBB340_8
.LBB340_7:                              ;   in Loop: Header=BB340_4 Depth=1
	s_mov_b32 s39, 0
	s_wait_xcnt 0x0
	s_mov_b32 s40, -1
.LBB340_8:                              ;   in Loop: Header=BB340_4 Depth=1
	v_mov_b64_e32 v[16:17], 0
	s_and_b32 vcc_lo, exec_lo, s40
	s_cbranch_vccnz .LBB340_10
; %bb.9:                                ;   in Loop: Header=BB340_4 Depth=1
	s_and_not1_b32 vcc_lo, exec_lo, s39
	s_cbranch_vccnz .LBB340_3
	s_branch .LBB340_11
.LBB340_10:                             ;   in Loop: Header=BB340_4 Depth=1
	s_lshl_b64 s[40:41], s[24:25], 3
	s_delay_alu instid0(SALU_CYCLE_1)
	s_add_nc_u64 s[40:41], s[16:17], s[40:41]
	global_load_b64 v[0:1], v9, s[40:41]
	s_wait_loadcnt 0x0
	v_add_nc_u64_e32 v[16:17], s[18:19], v[0:1]
.LBB340_11:                             ;   in Loop: Header=BB340_4 Depth=1
	v_cmp_ne_u32_e32 vcc_lo, 1, v20
	v_mov_b64_e32 v[18:19], 0
	s_cbranch_vccnz .LBB340_13
; %bb.12:                               ;   in Loop: Header=BB340_4 Depth=1
	s_wait_xcnt 0x0
	s_lshl_b64 s[40:41], s[24:25], 3
	s_delay_alu instid0(SALU_CYCLE_1)
	s_add_nc_u64 s[40:41], s[20:21], s[40:41]
	global_load_b64 v[0:1], v9, s[40:41]
	s_wait_loadcnt 0x0
	v_add_nc_u64_e32 v[18:19], s[22:23], v[0:1]
.LBB340_13:                             ;   in Loop: Header=BB340_4 Depth=1
	s_wait_xcnt 0x0
	s_lshl_b64 s[40:41], s[24:25], 3
	s_and_not1_b32 vcc_lo, exec_lo, s30
	s_add_nc_u64 s[40:41], s[12:13], s[40:41]
	global_load_b64 v[0:1], v9, s[40:41]
	s_wait_loadcnt 0x0
	v_add_nc_u64_e32 v[14:15], s[14:15], v[0:1]
	s_cbranch_vccnz .LBB340_18
; %bb.14:                               ;   in Loop: Header=BB340_4 Depth=1
	s_wait_xcnt 0x0
	s_mov_b32 s40, 0
	s_mov_b32 s39, 0
                                        ; implicit-def: $vgpr2_vgpr3
	s_and_saveexec_b32 s41, s26
	s_cbranch_execz .LBB340_24
; %bb.15:                               ;   in Loop: Header=BB340_4 Depth=1
	v_mov_b64_e32 v[2:3], 0
	v_mov_b64_e32 v[0:1], 0
	s_and_not1_b32 vcc_lo, exec_lo, s34
	s_cbranch_vccnz .LBB340_17
; %bb.16:                               ;   in Loop: Header=BB340_4 Depth=1
	v_lshl_add_u64 v[0:1], v[10:11], 4, v[14:15]
	flat_load_b128 v[4:7], v[0:1]
	s_wait_loadcnt_dscnt 0x0
	s_wait_xcnt 0x0
	v_mul_f64_e32 v[0:1], s[10:11], v[6:7]
	v_mul_f64_e32 v[2:3], s[8:9], v[6:7]
	s_delay_alu instid0(VALU_DEP_2) | instskip(NEXT) | instid1(VALU_DEP_2)
	v_fma_f64 v[0:1], s[8:9], v[4:5], -v[0:1]
	v_fmac_f64_e32 v[2:3], s[10:11], v[4:5]
.LBB340_17:                             ;   in Loop: Header=BB340_4 Depth=1
	s_mov_b32 s39, exec_lo
	s_or_b32 exec_lo, exec_lo, s41
	s_delay_alu instid0(SALU_CYCLE_1)
	s_and_b32 vcc_lo, exec_lo, s40
	s_cbranch_vccnz .LBB340_19
	s_branch .LBB340_25
.LBB340_18:                             ;   in Loop: Header=BB340_4 Depth=1
	s_wait_xcnt 0x0
	s_mov_b32 s39, 0
                                        ; implicit-def: $vgpr2_vgpr3
	s_cbranch_execz .LBB340_25
.LBB340_19:                             ;   in Loop: Header=BB340_4 Depth=1
	v_mov_b64_e32 v[2:3], 0
	v_mov_b64_e32 v[0:1], 0
	v_mov_b32_e32 v25, v8
	s_and_saveexec_b32 s40, s0
	s_cbranch_execz .LBB340_27
; %bb.20:                               ;   in Loop: Header=BB340_4 Depth=1
	v_mov_b64_e32 v[2:3], 0
	v_dual_mov_b32 v4, v24 :: v_dual_mov_b32 v5, v23
	v_mov_b32_e32 v25, v8
	s_mov_b32 s41, 0
	s_delay_alu instid0(VALU_DEP_3)
	v_mov_b64_e32 v[0:1], v[2:3]
	s_branch .LBB340_22
.LBB340_21:                             ;   in Loop: Header=BB340_22 Depth=2
	s_wait_xcnt 0x0
	s_or_b32 exec_lo, exec_lo, s42
	v_dual_add_nc_u32 v25, 4, v25 :: v_dual_add_nc_u32 v4, s38, v4
	v_add_nc_u32_e32 v5, s37, v5
	s_delay_alu instid0(VALU_DEP_2) | instskip(SKIP_1) | instid1(SALU_CYCLE_1)
	v_cmp_le_i32_e32 vcc_lo, s35, v25
	s_or_b32 s41, vcc_lo, s41
	s_and_not1_b32 exec_lo, exec_lo, s41
	s_cbranch_execz .LBB340_26
.LBB340_22:                             ;   Parent Loop BB340_4 Depth=1
                                        ; =>  This Inner Loop Header: Depth=2
	s_and_saveexec_b32 s42, s1
	s_cbranch_execz .LBB340_21
; %bb.23:                               ;   in Loop: Header=BB340_22 Depth=2
	v_readfirstlane_b32 s44, v18
	v_readfirstlane_b32 s45, v19
	;; [unrolled: 1-line block ×4, first 2 shown]
	flat_load_b128 v[26:29], v5, s[44:45] scale_offset
	flat_load_b128 v[30:33], v4, s[46:47] scale_offset
	s_wait_loadcnt_dscnt 0x0
	v_mul_f64_e32 v[6:7], v[28:29], v[32:33]
	v_mul_f64_e32 v[32:33], v[26:27], v[32:33]
	s_delay_alu instid0(VALU_DEP_2) | instskip(NEXT) | instid1(VALU_DEP_2)
	v_fma_f64 v[6:7], v[26:27], v[30:31], -v[6:7]
	v_fmac_f64_e32 v[32:33], v[28:29], v[30:31]
	s_delay_alu instid0(VALU_DEP_2) | instskip(NEXT) | instid1(VALU_DEP_2)
	v_add_f64_e32 v[0:1], v[0:1], v[6:7]
	v_add_f64_e32 v[2:3], v[2:3], v[32:33]
	s_branch .LBB340_21
.LBB340_24:                             ;   in Loop: Header=BB340_4 Depth=1
	s_or_b32 exec_lo, exec_lo, s41
	s_delay_alu instid0(SALU_CYCLE_1)
	s_and_b32 vcc_lo, exec_lo, s40
	s_cbranch_vccnz .LBB340_19
.LBB340_25:                             ;   in Loop: Header=BB340_4 Depth=1
	v_mov_b64_e32 v[4:5], v[10:11]
	s_and_saveexec_b32 s40, s39
	s_cbranch_execz .LBB340_2
	s_branch .LBB340_40
.LBB340_26:                             ;   in Loop: Header=BB340_4 Depth=1
	s_or_b32 exec_lo, exec_lo, s41
.LBB340_27:                             ;   in Loop: Header=BB340_4 Depth=1
	s_delay_alu instid0(SALU_CYCLE_1) | instskip(NEXT) | instid1(SALU_CYCLE_1)
	s_or_b32 exec_lo, exec_lo, s40
	s_and_not1_b32 vcc_lo, exec_lo, s36
	s_cbranch_vccnz .LBB340_33
; %bb.28:                               ;   in Loop: Header=BB340_4 Depth=1
	v_mov_b64_e32 v[4:5], 0
	v_mov_b64_e32 v[6:7], 0
	v_cmp_gt_i32_e32 vcc_lo, s27, v25
	s_and_saveexec_b32 s40, vcc_lo
	s_cbranch_execz .LBB340_30
; %bb.29:                               ;   in Loop: Header=BB340_4 Depth=1
	v_mul_lo_u32 v4, v25, s33
	v_readfirstlane_b32 s42, v18
	v_readfirstlane_b32 s43, v19
	flat_load_b128 v[4:7], v4, s[42:43] scale_offset
.LBB340_30:                             ;   in Loop: Header=BB340_4 Depth=1
	s_wait_xcnt 0x0
	s_or_b32 exec_lo, exec_lo, s40
	s_and_saveexec_b32 s40, s1
	s_cbranch_execz .LBB340_32
; %bb.31:                               ;   in Loop: Header=BB340_4 Depth=1
	v_mul_lo_u32 v18, v25, s31
	v_readfirstlane_b32 s42, v16
	v_readfirstlane_b32 s43, v17
	s_delay_alu instid0(VALU_DEP_3) | instskip(NEXT) | instid1(VALU_DEP_1)
	v_cndmask_b32_e32 v18, 0, v18, vcc_lo
	v_add_nc_u32_e32 v16, v18, v21
	flat_load_b128 v[16:19], v16, s[42:43] scale_offset
	s_wait_loadcnt_dscnt 0x0
	v_mul_f64_e32 v[26:27], v[6:7], v[18:19]
	v_mul_f64_e32 v[18:19], v[4:5], v[18:19]
	s_delay_alu instid0(VALU_DEP_2) | instskip(NEXT) | instid1(VALU_DEP_2)
	v_fma_f64 v[4:5], v[4:5], v[16:17], -v[26:27]
	v_fmac_f64_e32 v[18:19], v[6:7], v[16:17]
	s_delay_alu instid0(VALU_DEP_2) | instskip(NEXT) | instid1(VALU_DEP_2)
	v_add_f64_e32 v[0:1], v[0:1], v[4:5]
	v_add_f64_e32 v[2:3], v[2:3], v[18:19]
.LBB340_32:                             ;   in Loop: Header=BB340_4 Depth=1
	s_wait_xcnt 0x0
	s_or_b32 exec_lo, exec_lo, s40
.LBB340_33:                             ;   in Loop: Header=BB340_4 Depth=1
	ds_store_b128 v22, v[0:3]
	s_wait_loadcnt_dscnt 0x0
	s_barrier_signal -1
	s_barrier_wait -1
                                        ; implicit-def: $vgpr2_vgpr3
	s_and_saveexec_b32 s40, s2
	s_cbranch_execz .LBB340_39
; %bb.34:                               ;   in Loop: Header=BB340_4 Depth=1
	ds_load_b128 v[0:3], v22
	ds_load_b128 v[4:7], v22 offset:1024
	s_mov_b32 s42, s39
	s_wait_dscnt 0x0
	v_add_f64_e32 v[16:17], v[0:1], v[4:5]
	v_add_f64_e32 v[18:19], v[2:3], v[6:7]
	ds_load_b128 v[0:3], v22 offset:2048
	ds_load_b128 v[4:7], v22 offset:3072
	s_wait_dscnt 0x1
	v_add_f64_e32 v[0:1], v[16:17], v[0:1]
	v_add_f64_e32 v[2:3], v[18:19], v[2:3]
	s_wait_dscnt 0x0
	s_delay_alu instid0(VALU_DEP_2) | instskip(NEXT) | instid1(VALU_DEP_2)
	v_add_f64_e32 v[4:5], v[0:1], v[4:5]
	v_add_f64_e32 v[6:7], v[2:3], v[6:7]
                                        ; implicit-def: $vgpr2_vgpr3
	ds_store_b128 v22, v[4:7]
	s_and_saveexec_b32 s41, s3
	s_cbranch_execz .LBB340_38
; %bb.35:                               ;   in Loop: Header=BB340_4 Depth=1
	v_mul_f64_e32 v[0:1], s[6:7], v[6:7]
	v_mul_f64_e32 v[2:3], s[4:5], v[6:7]
	s_and_not1_b32 vcc_lo, exec_lo, s34
	s_delay_alu instid0(VALU_DEP_2) | instskip(NEXT) | instid1(VALU_DEP_2)
	v_fma_f64 v[0:1], s[4:5], v[4:5], -v[0:1]
	v_fmac_f64_e32 v[2:3], s[6:7], v[4:5]
	s_cbranch_vccnz .LBB340_37
; %bb.36:                               ;   in Loop: Header=BB340_4 Depth=1
	v_lshl_add_u64 v[4:5], v[12:13], 4, v[14:15]
	flat_load_b128 v[4:7], v[4:5]
	s_wait_loadcnt_dscnt 0x0
	v_mul_f64_e32 v[16:17], s[10:11], v[6:7]
	v_mul_f64_e32 v[6:7], s[8:9], v[6:7]
	s_delay_alu instid0(VALU_DEP_2) | instskip(NEXT) | instid1(VALU_DEP_2)
	v_fma_f64 v[16:17], s[8:9], v[4:5], -v[16:17]
	v_fmac_f64_e32 v[6:7], s[10:11], v[4:5]
	s_delay_alu instid0(VALU_DEP_2) | instskip(NEXT) | instid1(VALU_DEP_2)
	v_add_f64_e32 v[0:1], v[0:1], v[16:17]
	v_add_f64_e32 v[2:3], v[2:3], v[6:7]
.LBB340_37:                             ;   in Loop: Header=BB340_4 Depth=1
	s_or_b32 s42, s39, exec_lo
.LBB340_38:                             ;   in Loop: Header=BB340_4 Depth=1
	s_wait_xcnt 0x0
	s_or_b32 exec_lo, exec_lo, s41
	s_delay_alu instid0(SALU_CYCLE_1) | instskip(SKIP_1) | instid1(SALU_CYCLE_1)
	s_and_not1_b32 s39, s39, exec_lo
	s_and_b32 s41, s42, exec_lo
	s_or_b32 s39, s39, s41
.LBB340_39:                             ;   in Loop: Header=BB340_4 Depth=1
	s_or_b32 exec_lo, exec_lo, s40
	v_mov_b64_e32 v[4:5], v[12:13]
	s_and_saveexec_b32 s40, s39
	s_cbranch_execz .LBB340_2
.LBB340_40:                             ;   in Loop: Header=BB340_4 Depth=1
	s_delay_alu instid0(VALU_DEP_1)
	v_lshl_add_u64 v[4:5], v[4:5], 4, v[14:15]
	flat_store_b128 v[4:5], v[0:3]
	s_branch .LBB340_2
.LBB340_41:
	s_endpgm
	.section	.rodata,"a",@progbits
	.p2align	6, 0x0
	.amdhsa_kernel _ZL20rocblas_gemvn_kernelILi64ELi4EiPK19rocblas_complex_numIdES1_KPS1_EviiT3_lPKT2_lT1_lS9_lSA_lS6_lPT4_lSA_li
		.amdhsa_group_segment_fixed_size 4096
		.amdhsa_private_segment_fixed_size 0
		.amdhsa_kernarg_size 416
		.amdhsa_user_sgpr_count 2
		.amdhsa_user_sgpr_dispatch_ptr 0
		.amdhsa_user_sgpr_queue_ptr 0
		.amdhsa_user_sgpr_kernarg_segment_ptr 1
		.amdhsa_user_sgpr_dispatch_id 0
		.amdhsa_user_sgpr_kernarg_preload_length 0
		.amdhsa_user_sgpr_kernarg_preload_offset 0
		.amdhsa_user_sgpr_private_segment_size 0
		.amdhsa_wavefront_size32 1
		.amdhsa_uses_dynamic_stack 0
		.amdhsa_enable_private_segment 0
		.amdhsa_system_sgpr_workgroup_id_x 1
		.amdhsa_system_sgpr_workgroup_id_y 0
		.amdhsa_system_sgpr_workgroup_id_z 1
		.amdhsa_system_sgpr_workgroup_info 0
		.amdhsa_system_vgpr_workitem_id 1
		.amdhsa_next_free_vgpr 34
		.amdhsa_next_free_sgpr 48
		.amdhsa_named_barrier_count 0
		.amdhsa_reserve_vcc 1
		.amdhsa_float_round_mode_32 0
		.amdhsa_float_round_mode_16_64 0
		.amdhsa_float_denorm_mode_32 3
		.amdhsa_float_denorm_mode_16_64 3
		.amdhsa_fp16_overflow 0
		.amdhsa_memory_ordered 1
		.amdhsa_forward_progress 1
		.amdhsa_inst_pref_size 13
		.amdhsa_round_robin_scheduling 0
		.amdhsa_exception_fp_ieee_invalid_op 0
		.amdhsa_exception_fp_denorm_src 0
		.amdhsa_exception_fp_ieee_div_zero 0
		.amdhsa_exception_fp_ieee_overflow 0
		.amdhsa_exception_fp_ieee_underflow 0
		.amdhsa_exception_fp_ieee_inexact 0
		.amdhsa_exception_int_div_zero 0
	.end_amdhsa_kernel
	.section	.text._ZL20rocblas_gemvn_kernelILi64ELi4EiPK19rocblas_complex_numIdES1_KPS1_EviiT3_lPKT2_lT1_lS9_lSA_lS6_lPT4_lSA_li,"axG",@progbits,_ZL20rocblas_gemvn_kernelILi64ELi4EiPK19rocblas_complex_numIdES1_KPS1_EviiT3_lPKT2_lT1_lS9_lSA_lS6_lPT4_lSA_li,comdat
.Lfunc_end340:
	.size	_ZL20rocblas_gemvn_kernelILi64ELi4EiPK19rocblas_complex_numIdES1_KPS1_EviiT3_lPKT2_lT1_lS9_lSA_lS6_lPT4_lSA_li, .Lfunc_end340-_ZL20rocblas_gemvn_kernelILi64ELi4EiPK19rocblas_complex_numIdES1_KPS1_EviiT3_lPKT2_lT1_lS9_lSA_lS6_lPT4_lSA_li
                                        ; -- End function
	.set _ZL20rocblas_gemvn_kernelILi64ELi4EiPK19rocblas_complex_numIdES1_KPS1_EviiT3_lPKT2_lT1_lS9_lSA_lS6_lPT4_lSA_li.num_vgpr, 34
	.set _ZL20rocblas_gemvn_kernelILi64ELi4EiPK19rocblas_complex_numIdES1_KPS1_EviiT3_lPKT2_lT1_lS9_lSA_lS6_lPT4_lSA_li.num_agpr, 0
	.set _ZL20rocblas_gemvn_kernelILi64ELi4EiPK19rocblas_complex_numIdES1_KPS1_EviiT3_lPKT2_lT1_lS9_lSA_lS6_lPT4_lSA_li.numbered_sgpr, 48
	.set _ZL20rocblas_gemvn_kernelILi64ELi4EiPK19rocblas_complex_numIdES1_KPS1_EviiT3_lPKT2_lT1_lS9_lSA_lS6_lPT4_lSA_li.num_named_barrier, 0
	.set _ZL20rocblas_gemvn_kernelILi64ELi4EiPK19rocblas_complex_numIdES1_KPS1_EviiT3_lPKT2_lT1_lS9_lSA_lS6_lPT4_lSA_li.private_seg_size, 0
	.set _ZL20rocblas_gemvn_kernelILi64ELi4EiPK19rocblas_complex_numIdES1_KPS1_EviiT3_lPKT2_lT1_lS9_lSA_lS6_lPT4_lSA_li.uses_vcc, 1
	.set _ZL20rocblas_gemvn_kernelILi64ELi4EiPK19rocblas_complex_numIdES1_KPS1_EviiT3_lPKT2_lT1_lS9_lSA_lS6_lPT4_lSA_li.uses_flat_scratch, 0
	.set _ZL20rocblas_gemvn_kernelILi64ELi4EiPK19rocblas_complex_numIdES1_KPS1_EviiT3_lPKT2_lT1_lS9_lSA_lS6_lPT4_lSA_li.has_dyn_sized_stack, 0
	.set _ZL20rocblas_gemvn_kernelILi64ELi4EiPK19rocblas_complex_numIdES1_KPS1_EviiT3_lPKT2_lT1_lS9_lSA_lS6_lPT4_lSA_li.has_recursion, 0
	.set _ZL20rocblas_gemvn_kernelILi64ELi4EiPK19rocblas_complex_numIdES1_KPS1_EviiT3_lPKT2_lT1_lS9_lSA_lS6_lPT4_lSA_li.has_indirect_call, 0
	.section	.AMDGPU.csdata,"",@progbits
; Kernel info:
; codeLenInByte = 1568
; TotalNumSgprs: 50
; NumVgprs: 34
; ScratchSize: 0
; MemoryBound: 1
; FloatMode: 240
; IeeeMode: 1
; LDSByteSize: 4096 bytes/workgroup (compile time only)
; SGPRBlocks: 0
; VGPRBlocks: 2
; NumSGPRsForWavesPerEU: 50
; NumVGPRsForWavesPerEU: 34
; NamedBarCnt: 0
; Occupancy: 16
; WaveLimiterHint : 1
; COMPUTE_PGM_RSRC2:SCRATCH_EN: 0
; COMPUTE_PGM_RSRC2:USER_SGPR: 2
; COMPUTE_PGM_RSRC2:TRAP_HANDLER: 0
; COMPUTE_PGM_RSRC2:TGID_X_EN: 1
; COMPUTE_PGM_RSRC2:TGID_Y_EN: 0
; COMPUTE_PGM_RSRC2:TGID_Z_EN: 1
; COMPUTE_PGM_RSRC2:TIDIG_COMP_CNT: 1
	.section	.text._ZL20rocblas_gemvn_kernelILi64ELi4ElPK19rocblas_complex_numIdES1_KPS1_EviiT3_lPKT2_lT1_lS9_lSA_lS6_lPT4_lSA_li,"axG",@progbits,_ZL20rocblas_gemvn_kernelILi64ELi4ElPK19rocblas_complex_numIdES1_KPS1_EviiT3_lPKT2_lT1_lS9_lSA_lS6_lPT4_lSA_li,comdat
	.globl	_ZL20rocblas_gemvn_kernelILi64ELi4ElPK19rocblas_complex_numIdES1_KPS1_EviiT3_lPKT2_lT1_lS9_lSA_lS6_lPT4_lSA_li ; -- Begin function _ZL20rocblas_gemvn_kernelILi64ELi4ElPK19rocblas_complex_numIdES1_KPS1_EviiT3_lPKT2_lT1_lS9_lSA_lS6_lPT4_lSA_li
	.p2align	8
	.type	_ZL20rocblas_gemvn_kernelILi64ELi4ElPK19rocblas_complex_numIdES1_KPS1_EviiT3_lPKT2_lT1_lS9_lSA_lS6_lPT4_lSA_li,@function
_ZL20rocblas_gemvn_kernelILi64ELi4ElPK19rocblas_complex_numIdES1_KPS1_EviiT3_lPKT2_lT1_lS9_lSA_lS6_lPT4_lSA_li: ; @_ZL20rocblas_gemvn_kernelILi64ELi4ElPK19rocblas_complex_numIdES1_KPS1_EviiT3_lPKT2_lT1_lS9_lSA_lS6_lPT4_lSA_li
; %bb.0:
	s_clause 0x1
	s_load_b64 s[4:5], s[0:1], 0xac
	s_load_b32 s33, s[0:1], 0x98
	s_bfe_u32 s2, ttmp6, 0x40014
	s_lshr_b32 s6, ttmp7, 16
	s_add_co_i32 s2, s2, 1
	s_bfe_u32 s3, ttmp6, 0x40008
	s_mul_i32 s7, s6, s2
	s_getreg_b32 s2, hwreg(HW_REG_IB_STS2, 6, 4)
	s_add_co_i32 s7, s3, s7
	s_mov_b32 s25, 0
	s_wait_kmcnt 0x0
	s_lshr_b32 s8, s4, 16
	s_and_b32 s3, s4, 0xffff
	s_and_b32 s4, s5, 0xffff
	s_mul_i32 s5, s8, s3
	s_cmp_eq_u32 s2, 0
	s_mul_i32 s5, s5, s4
	s_cselect_b32 s24, s6, s7
	s_cmp_lg_u32 s5, 0x100
	s_cselect_b32 s4, -1, 0
	s_cmp_ge_u32 s24, s33
	s_cselect_b32 s5, -1, 0
	s_delay_alu instid0(SALU_CYCLE_1) | instskip(NEXT) | instid1(SALU_CYCLE_1)
	s_or_b32 s4, s4, s5
	s_and_b32 vcc_lo, exec_lo, s4
	s_cbranch_vccnz .LBB341_41
; %bb.1:
	s_clause 0x6
	s_load_b128 s[4:7], s[0:1], 0x8
	s_load_b128 s[8:11], s[0:1], 0x60
	s_load_b64 s[26:27], s[0:1], 0x0
	s_load_b64 s[28:29], s[0:1], 0x50
	;; [unrolled: 1-line block ×3, first 2 shown]
	s_load_b128 s[12:15], s[0:1], 0x40
	s_load_b64 s[34:35], s[0:1], 0x88
	v_and_b32_e32 v1, 0x3ff, v0
	v_bfe_u32 v0, v0, 10, 10
	s_bfe_u32 s19, ttmp6, 0x4000c
	s_and_b32 s20, ttmp6, 15
	s_add_co_i32 s19, s19, 1
	s_delay_alu instid0(VALU_DEP_1) | instskip(SKIP_3) | instid1(VALU_DEP_2)
	v_mad_u32_u24 v20, v0, s3, v1
	s_mul_i32 s3, ttmp9, s19
	v_mov_b32_e32 v9, 0
	s_add_co_i32 s20, s20, s3
	v_lshrrev_b32_e32 v10, 6, v20
	s_wait_kmcnt 0x0
	v_cmp_neq_f64_e64 s16, s[4:5], 0
	v_cmp_neq_f64_e64 s18, s[6:7], 0
	v_cmp_neq_f64_e64 s17, s[8:9], 1.0
	v_cmp_neq_f64_e64 s36, s[10:11], 0
	v_cmp_neq_f64_e64 s3, s[8:9], 0
	s_or_b32 s16, s16, s18
	s_or_b32 s38, s17, s36
	s_xor_b32 s39, s16, -1
	s_cmp_eq_u32 s2, 0
	v_cndmask_b32_e64 v28, 0, 1, s16
	s_cselect_b32 s2, ttmp9, s20
	s_clause 0x1
	s_load_b128 s[16:19], s[0:1], 0x20
	s_load_b128 s[20:23], s[0:1], 0x78
	s_lshl_b32 s2, s2, 6
	s_delay_alu instid0(SALU_CYCLE_1) | instskip(SKIP_3) | instid1(VALU_DEP_3)
	v_dual_mov_b32 v11, v9 :: v_dual_bitop2_b32 v4, s2, v20 bitop3:0x54
	v_add_nc_u32_e32 v8, s2, v20
	v_and_or_b32 v16, v20, 63, s2
	s_ashr_i32 s2, s27, 31
	v_mul_u64_e32 v[0:1], s[28:29], v[10:11]
	v_mul_u64_e32 v[2:3], s[30:31], v[10:11]
	v_lshlrev_b32_e32 v11, 4, v20
	v_mul_u64_e32 v[12:13], s[34:35], v[8:9]
	v_ashrrev_i32_e32 v17, 31, v16
	s_wait_xcnt 0x0
	s_ashr_i32 s1, s26, 31
	s_mov_b32 s0, s26
	s_lshr_b32 s2, s2, 30
	v_cmp_gt_i64_e32 vcc_lo, s[0:1], v[8:9]
	v_lshlrev_b64_e32 v[6:7], 4, v[16:17]
	s_add_co_i32 s0, s27, s2
	s_or_b32 s41, s3, s36
	s_and_b32 s40, s0, -4
	v_cmp_gt_i32_e64 s1, s26, v16
	s_sub_co_i32 s2, s27, s40
	v_cmp_gt_i32_e64 s0, s40, v10
	s_cmp_gt_i32 s2, 0
	v_cmp_gt_u32_e64 s2, 64, v20
	v_cmp_gt_i32_e64 s3, s26, v4
	s_cselect_b32 s42, -1, 0
	s_lshl_b64 s[36:37], s[30:31], 6
	s_wait_kmcnt 0x0
	s_lshl_b64 s[18:19], s[18:19], 4
	s_and_b32 s26, s2, vcc_lo
	s_lshl_b64 s[14:15], s[14:15], 4
	s_lshl_b64 s[22:23], s[22:23], 4
	v_lshlrev_b64_e32 v[18:19], 4, v[0:1]
	v_ashrrev_i32_e32 v5, 31, v4
	v_lshl_add_u64 v[20:21], v[2:3], 4, v[6:7]
	s_delay_alu instid0(VALU_DEP_1) | instskip(NEXT) | instid1(VALU_DEP_4)
	v_or_b32_e32 v20, 8, v20
	v_or_b32_e32 v18, 8, v18
	s_delay_alu instid0(VALU_DEP_4)
	v_mul_u64_e32 v[14:15], s[34:35], v[4:5]
	s_lshl_b64 s[34:35], s[28:29], 6
	s_branch .LBB341_4
.LBB341_2:                              ;   in Loop: Header=BB341_4 Depth=1
	s_wait_xcnt 0x0
	s_or_b32 exec_lo, exec_lo, s44
.LBB341_3:                              ;   in Loop: Header=BB341_4 Depth=1
	s_add_co_i32 s24, s24, 0x10000
	s_delay_alu instid0(SALU_CYCLE_1)
	s_cmp_lt_u32 s24, s33
	s_cbranch_scc0 .LBB341_41
.LBB341_4:                              ; =>This Loop Header: Depth=1
                                        ;     Child Loop BB341_22 Depth 2
	s_and_not1_b32 vcc_lo, exec_lo, s39
	s_cbranch_vccnz .LBB341_7
; %bb.5:                                ;   in Loop: Header=BB341_4 Depth=1
	s_wait_xcnt 0x0
	s_mov_b32 s44, 0
	s_and_b32 vcc_lo, exec_lo, s38
	s_mov_b32 s43, 0
	s_cbranch_vccz .LBB341_8
; %bb.6:                                ;   in Loop: Header=BB341_4 Depth=1
	s_mov_b32 s43, -1
	s_branch .LBB341_8
.LBB341_7:                              ;   in Loop: Header=BB341_4 Depth=1
	s_mov_b32 s43, 0
	s_wait_xcnt 0x0
	s_mov_b32 s44, -1
.LBB341_8:                              ;   in Loop: Header=BB341_4 Depth=1
	v_mov_b64_e32 v[24:25], 0
	s_and_b32 vcc_lo, exec_lo, s44
	s_cbranch_vccnz .LBB341_10
; %bb.9:                                ;   in Loop: Header=BB341_4 Depth=1
	s_and_not1_b32 vcc_lo, exec_lo, s43
	s_cbranch_vccnz .LBB341_3
	s_branch .LBB341_11
.LBB341_10:                             ;   in Loop: Header=BB341_4 Depth=1
	s_lshl_b64 s[44:45], s[24:25], 3
	s_delay_alu instid0(SALU_CYCLE_1)
	s_add_nc_u64 s[44:45], s[16:17], s[44:45]
	global_load_b64 v[0:1], v9, s[44:45]
	s_wait_loadcnt 0x0
	v_add_nc_u64_e32 v[24:25], s[18:19], v[0:1]
.LBB341_11:                             ;   in Loop: Header=BB341_4 Depth=1
	v_cmp_ne_u32_e32 vcc_lo, 1, v28
	v_mov_b64_e32 v[26:27], 0
	s_cbranch_vccnz .LBB341_13
; %bb.12:                               ;   in Loop: Header=BB341_4 Depth=1
	s_wait_xcnt 0x0
	s_lshl_b64 s[44:45], s[24:25], 3
	s_delay_alu instid0(SALU_CYCLE_1)
	s_add_nc_u64 s[44:45], s[12:13], s[44:45]
	global_load_b64 v[0:1], v9, s[44:45]
	s_wait_loadcnt 0x0
	v_add_nc_u64_e32 v[26:27], s[14:15], v[0:1]
.LBB341_13:                             ;   in Loop: Header=BB341_4 Depth=1
	s_wait_xcnt 0x0
	s_lshl_b64 s[44:45], s[24:25], 3
	s_and_not1_b32 vcc_lo, exec_lo, s39
	s_add_nc_u64 s[44:45], s[20:21], s[44:45]
	global_load_b64 v[0:1], v9, s[44:45]
	s_wait_loadcnt 0x0
	v_add_nc_u64_e32 v[22:23], s[22:23], v[0:1]
	s_cbranch_vccnz .LBB341_18
; %bb.14:                               ;   in Loop: Header=BB341_4 Depth=1
	s_wait_xcnt 0x0
	s_mov_b32 s44, 0
	s_mov_b32 s43, 0
                                        ; implicit-def: $vgpr2_vgpr3
	s_and_saveexec_b32 s45, s26
	s_cbranch_execz .LBB341_24
; %bb.15:                               ;   in Loop: Header=BB341_4 Depth=1
	v_mov_b64_e32 v[2:3], 0
	v_mov_b64_e32 v[0:1], 0
	s_and_not1_b32 vcc_lo, exec_lo, s41
	s_cbranch_vccnz .LBB341_17
; %bb.16:                               ;   in Loop: Header=BB341_4 Depth=1
	v_lshl_add_u64 v[0:1], v[12:13], 4, v[22:23]
	flat_load_b128 v[4:7], v[0:1]
	s_wait_loadcnt_dscnt 0x0
	s_wait_xcnt 0x0
	v_mul_f64_e32 v[0:1], s[10:11], v[6:7]
	v_mul_f64_e32 v[2:3], s[8:9], v[6:7]
	s_delay_alu instid0(VALU_DEP_2) | instskip(NEXT) | instid1(VALU_DEP_2)
	v_fma_f64 v[0:1], s[8:9], v[4:5], -v[0:1]
	v_fmac_f64_e32 v[2:3], s[10:11], v[4:5]
.LBB341_17:                             ;   in Loop: Header=BB341_4 Depth=1
	s_mov_b32 s43, exec_lo
	s_or_b32 exec_lo, exec_lo, s45
	s_delay_alu instid0(SALU_CYCLE_1)
	s_and_b32 vcc_lo, exec_lo, s44
	s_cbranch_vccnz .LBB341_19
	s_branch .LBB341_25
.LBB341_18:                             ;   in Loop: Header=BB341_4 Depth=1
	s_wait_xcnt 0x0
	s_mov_b32 s43, 0
                                        ; implicit-def: $vgpr2_vgpr3
	s_cbranch_execz .LBB341_25
.LBB341_19:                             ;   in Loop: Header=BB341_4 Depth=1
	v_mov_b64_e32 v[2:3], 0
	v_mov_b64_e32 v[0:1], 0
	v_mov_b32_e32 v8, v10
	s_and_saveexec_b32 s44, s0
	s_cbranch_execz .LBB341_27
; %bb.20:                               ;   in Loop: Header=BB341_4 Depth=1
	v_mov_b64_e32 v[2:3], 0
	v_add_nc_u64_e32 v[4:5], v[26:27], v[18:19]
	v_add_nc_u64_e32 v[6:7], v[24:25], v[20:21]
	v_mov_b32_e32 v8, v10
	s_mov_b32 s45, 0
	s_delay_alu instid0(VALU_DEP_4)
	v_mov_b64_e32 v[0:1], v[2:3]
	s_branch .LBB341_22
.LBB341_21:                             ;   in Loop: Header=BB341_22 Depth=2
	s_wait_xcnt 0x0
	s_or_b32 exec_lo, exec_lo, s46
	v_add_nc_u32_e32 v8, 4, v8
	v_add_nc_u64_e32 v[4:5], s[34:35], v[4:5]
	v_add_nc_u64_e32 v[6:7], s[36:37], v[6:7]
	s_delay_alu instid0(VALU_DEP_3) | instskip(SKIP_1) | instid1(SALU_CYCLE_1)
	v_cmp_le_i32_e32 vcc_lo, s40, v8
	s_or_b32 s45, vcc_lo, s45
	s_and_not1_b32 exec_lo, exec_lo, s45
	s_cbranch_execz .LBB341_26
.LBB341_22:                             ;   Parent Loop BB341_4 Depth=1
                                        ; =>  This Inner Loop Header: Depth=2
	s_and_saveexec_b32 s46, s1
	s_cbranch_execz .LBB341_21
; %bb.23:                               ;   in Loop: Header=BB341_22 Depth=2
	flat_load_b128 v[30:33], v[4:5] offset:-8
	flat_load_b128 v[34:37], v[6:7] offset:-8
	s_wait_loadcnt_dscnt 0x0
	v_mul_f64_e32 v[38:39], v[32:33], v[36:37]
	v_mul_f64_e32 v[36:37], v[30:31], v[36:37]
	s_delay_alu instid0(VALU_DEP_2) | instskip(NEXT) | instid1(VALU_DEP_2)
	v_fma_f64 v[30:31], v[30:31], v[34:35], -v[38:39]
	v_fmac_f64_e32 v[36:37], v[32:33], v[34:35]
	s_delay_alu instid0(VALU_DEP_2) | instskip(NEXT) | instid1(VALU_DEP_2)
	v_add_f64_e32 v[0:1], v[0:1], v[30:31]
	v_add_f64_e32 v[2:3], v[2:3], v[36:37]
	s_branch .LBB341_21
.LBB341_24:                             ;   in Loop: Header=BB341_4 Depth=1
	s_or_b32 exec_lo, exec_lo, s45
	s_delay_alu instid0(SALU_CYCLE_1)
	s_and_b32 vcc_lo, exec_lo, s44
	s_cbranch_vccnz .LBB341_19
.LBB341_25:                             ;   in Loop: Header=BB341_4 Depth=1
	v_mov_b64_e32 v[4:5], v[12:13]
	s_and_saveexec_b32 s44, s43
	s_cbranch_execz .LBB341_2
	s_branch .LBB341_40
.LBB341_26:                             ;   in Loop: Header=BB341_4 Depth=1
	s_or_b32 exec_lo, exec_lo, s45
.LBB341_27:                             ;   in Loop: Header=BB341_4 Depth=1
	s_delay_alu instid0(SALU_CYCLE_1) | instskip(NEXT) | instid1(SALU_CYCLE_1)
	s_or_b32 exec_lo, exec_lo, s44
	s_and_not1_b32 vcc_lo, exec_lo, s42
	s_cbranch_vccnz .LBB341_33
; %bb.28:                               ;   in Loop: Header=BB341_4 Depth=1
	v_mov_b64_e32 v[4:5], 0
	v_mov_b64_e32 v[6:7], 0
	v_cmp_gt_i32_e32 vcc_lo, s27, v8
	s_and_saveexec_b32 s44, vcc_lo
	s_cbranch_execz .LBB341_30
; %bb.29:                               ;   in Loop: Header=BB341_4 Depth=1
	v_mul_u64_e32 v[4:5], s[28:29], v[8:9]
	s_delay_alu instid0(VALU_DEP_1)
	v_lshl_add_u64 v[4:5], v[4:5], 4, v[26:27]
	flat_load_b128 v[4:7], v[4:5]
.LBB341_30:                             ;   in Loop: Header=BB341_4 Depth=1
	s_wait_xcnt 0x0
	s_or_b32 exec_lo, exec_lo, s44
	s_and_saveexec_b32 s44, s1
	s_cbranch_execz .LBB341_32
; %bb.31:                               ;   in Loop: Header=BB341_4 Depth=1
	v_mul_u64_e32 v[26:27], s[30:31], v[8:9]
	s_delay_alu instid0(VALU_DEP_1) | instskip(NEXT) | instid1(VALU_DEP_1)
	v_dual_cndmask_b32 v27, 0, v27 :: v_dual_cndmask_b32 v26, 0, v26
	v_lshl_add_u64 v[24:25], v[26:27], 4, v[24:25]
	s_delay_alu instid0(VALU_DEP_1) | instskip(SKIP_4) | instid1(VALU_DEP_2)
	v_lshl_add_u64 v[24:25], v[16:17], 4, v[24:25]
	flat_load_b128 v[24:27], v[24:25]
	s_wait_loadcnt_dscnt 0x0
	v_mul_f64_e32 v[30:31], v[6:7], v[26:27]
	v_mul_f64_e32 v[26:27], v[4:5], v[26:27]
	v_fma_f64 v[4:5], v[4:5], v[24:25], -v[30:31]
	s_delay_alu instid0(VALU_DEP_2) | instskip(NEXT) | instid1(VALU_DEP_2)
	v_fmac_f64_e32 v[26:27], v[6:7], v[24:25]
	v_add_f64_e32 v[0:1], v[0:1], v[4:5]
	s_delay_alu instid0(VALU_DEP_2)
	v_add_f64_e32 v[2:3], v[2:3], v[26:27]
.LBB341_32:                             ;   in Loop: Header=BB341_4 Depth=1
	s_wait_xcnt 0x0
	s_or_b32 exec_lo, exec_lo, s44
.LBB341_33:                             ;   in Loop: Header=BB341_4 Depth=1
	ds_store_b128 v11, v[0:3]
	s_wait_loadcnt_dscnt 0x0
	s_barrier_signal -1
	s_barrier_wait -1
                                        ; implicit-def: $vgpr2_vgpr3
	s_and_saveexec_b32 s44, s2
	s_cbranch_execz .LBB341_39
; %bb.34:                               ;   in Loop: Header=BB341_4 Depth=1
	ds_load_b128 v[0:3], v11
	ds_load_b128 v[4:7], v11 offset:1024
	s_mov_b32 s46, s43
	s_wait_dscnt 0x0
	v_add_f64_e32 v[24:25], v[0:1], v[4:5]
	v_add_f64_e32 v[26:27], v[2:3], v[6:7]
	ds_load_b128 v[0:3], v11 offset:2048
	ds_load_b128 v[4:7], v11 offset:3072
	s_wait_dscnt 0x1
	v_add_f64_e32 v[0:1], v[24:25], v[0:1]
	v_add_f64_e32 v[2:3], v[26:27], v[2:3]
	s_wait_dscnt 0x0
	s_delay_alu instid0(VALU_DEP_2) | instskip(NEXT) | instid1(VALU_DEP_2)
	v_add_f64_e32 v[4:5], v[0:1], v[4:5]
	v_add_f64_e32 v[6:7], v[2:3], v[6:7]
                                        ; implicit-def: $vgpr2_vgpr3
	ds_store_b128 v11, v[4:7]
	s_and_saveexec_b32 s45, s3
	s_cbranch_execz .LBB341_38
; %bb.35:                               ;   in Loop: Header=BB341_4 Depth=1
	v_mul_f64_e32 v[0:1], s[6:7], v[6:7]
	v_mul_f64_e32 v[2:3], s[4:5], v[6:7]
	s_and_not1_b32 vcc_lo, exec_lo, s41
	s_delay_alu instid0(VALU_DEP_2) | instskip(NEXT) | instid1(VALU_DEP_2)
	v_fma_f64 v[0:1], s[4:5], v[4:5], -v[0:1]
	v_fmac_f64_e32 v[2:3], s[6:7], v[4:5]
	s_cbranch_vccnz .LBB341_37
; %bb.36:                               ;   in Loop: Header=BB341_4 Depth=1
	v_lshl_add_u64 v[4:5], v[14:15], 4, v[22:23]
	flat_load_b128 v[4:7], v[4:5]
	s_wait_loadcnt_dscnt 0x0
	v_mul_f64_e32 v[24:25], s[10:11], v[6:7]
	v_mul_f64_e32 v[6:7], s[8:9], v[6:7]
	s_delay_alu instid0(VALU_DEP_2) | instskip(NEXT) | instid1(VALU_DEP_2)
	v_fma_f64 v[24:25], s[8:9], v[4:5], -v[24:25]
	v_fmac_f64_e32 v[6:7], s[10:11], v[4:5]
	s_delay_alu instid0(VALU_DEP_2) | instskip(NEXT) | instid1(VALU_DEP_2)
	v_add_f64_e32 v[0:1], v[0:1], v[24:25]
	v_add_f64_e32 v[2:3], v[2:3], v[6:7]
.LBB341_37:                             ;   in Loop: Header=BB341_4 Depth=1
	s_or_b32 s46, s43, exec_lo
.LBB341_38:                             ;   in Loop: Header=BB341_4 Depth=1
	s_wait_xcnt 0x0
	s_or_b32 exec_lo, exec_lo, s45
	s_delay_alu instid0(SALU_CYCLE_1) | instskip(SKIP_1) | instid1(SALU_CYCLE_1)
	s_and_not1_b32 s43, s43, exec_lo
	s_and_b32 s45, s46, exec_lo
	s_or_b32 s43, s43, s45
.LBB341_39:                             ;   in Loop: Header=BB341_4 Depth=1
	s_or_b32 exec_lo, exec_lo, s44
	v_mov_b64_e32 v[4:5], v[14:15]
	s_and_saveexec_b32 s44, s43
	s_cbranch_execz .LBB341_2
.LBB341_40:                             ;   in Loop: Header=BB341_4 Depth=1
	s_delay_alu instid0(VALU_DEP_1)
	v_lshl_add_u64 v[4:5], v[4:5], 4, v[22:23]
	flat_store_b128 v[4:5], v[0:3]
	s_branch .LBB341_2
.LBB341_41:
	s_endpgm
	.section	.rodata,"a",@progbits
	.p2align	6, 0x0
	.amdhsa_kernel _ZL20rocblas_gemvn_kernelILi64ELi4ElPK19rocblas_complex_numIdES1_KPS1_EviiT3_lPKT2_lT1_lS9_lSA_lS6_lPT4_lSA_li
		.amdhsa_group_segment_fixed_size 4096
		.amdhsa_private_segment_fixed_size 0
		.amdhsa_kernarg_size 416
		.amdhsa_user_sgpr_count 2
		.amdhsa_user_sgpr_dispatch_ptr 0
		.amdhsa_user_sgpr_queue_ptr 0
		.amdhsa_user_sgpr_kernarg_segment_ptr 1
		.amdhsa_user_sgpr_dispatch_id 0
		.amdhsa_user_sgpr_kernarg_preload_length 0
		.amdhsa_user_sgpr_kernarg_preload_offset 0
		.amdhsa_user_sgpr_private_segment_size 0
		.amdhsa_wavefront_size32 1
		.amdhsa_uses_dynamic_stack 0
		.amdhsa_enable_private_segment 0
		.amdhsa_system_sgpr_workgroup_id_x 1
		.amdhsa_system_sgpr_workgroup_id_y 0
		.amdhsa_system_sgpr_workgroup_id_z 1
		.amdhsa_system_sgpr_workgroup_info 0
		.amdhsa_system_vgpr_workitem_id 1
		.amdhsa_next_free_vgpr 40
		.amdhsa_next_free_sgpr 47
		.amdhsa_named_barrier_count 0
		.amdhsa_reserve_vcc 1
		.amdhsa_float_round_mode_32 0
		.amdhsa_float_round_mode_16_64 0
		.amdhsa_float_denorm_mode_32 3
		.amdhsa_float_denorm_mode_16_64 3
		.amdhsa_fp16_overflow 0
		.amdhsa_memory_ordered 1
		.amdhsa_forward_progress 1
		.amdhsa_inst_pref_size 13
		.amdhsa_round_robin_scheduling 0
		.amdhsa_exception_fp_ieee_invalid_op 0
		.amdhsa_exception_fp_denorm_src 0
		.amdhsa_exception_fp_ieee_div_zero 0
		.amdhsa_exception_fp_ieee_overflow 0
		.amdhsa_exception_fp_ieee_underflow 0
		.amdhsa_exception_fp_ieee_inexact 0
		.amdhsa_exception_int_div_zero 0
	.end_amdhsa_kernel
	.section	.text._ZL20rocblas_gemvn_kernelILi64ELi4ElPK19rocblas_complex_numIdES1_KPS1_EviiT3_lPKT2_lT1_lS9_lSA_lS6_lPT4_lSA_li,"axG",@progbits,_ZL20rocblas_gemvn_kernelILi64ELi4ElPK19rocblas_complex_numIdES1_KPS1_EviiT3_lPKT2_lT1_lS9_lSA_lS6_lPT4_lSA_li,comdat
.Lfunc_end341:
	.size	_ZL20rocblas_gemvn_kernelILi64ELi4ElPK19rocblas_complex_numIdES1_KPS1_EviiT3_lPKT2_lT1_lS9_lSA_lS6_lPT4_lSA_li, .Lfunc_end341-_ZL20rocblas_gemvn_kernelILi64ELi4ElPK19rocblas_complex_numIdES1_KPS1_EviiT3_lPKT2_lT1_lS9_lSA_lS6_lPT4_lSA_li
                                        ; -- End function
	.set _ZL20rocblas_gemvn_kernelILi64ELi4ElPK19rocblas_complex_numIdES1_KPS1_EviiT3_lPKT2_lT1_lS9_lSA_lS6_lPT4_lSA_li.num_vgpr, 40
	.set _ZL20rocblas_gemvn_kernelILi64ELi4ElPK19rocblas_complex_numIdES1_KPS1_EviiT3_lPKT2_lT1_lS9_lSA_lS6_lPT4_lSA_li.num_agpr, 0
	.set _ZL20rocblas_gemvn_kernelILi64ELi4ElPK19rocblas_complex_numIdES1_KPS1_EviiT3_lPKT2_lT1_lS9_lSA_lS6_lPT4_lSA_li.numbered_sgpr, 47
	.set _ZL20rocblas_gemvn_kernelILi64ELi4ElPK19rocblas_complex_numIdES1_KPS1_EviiT3_lPKT2_lT1_lS9_lSA_lS6_lPT4_lSA_li.num_named_barrier, 0
	.set _ZL20rocblas_gemvn_kernelILi64ELi4ElPK19rocblas_complex_numIdES1_KPS1_EviiT3_lPKT2_lT1_lS9_lSA_lS6_lPT4_lSA_li.private_seg_size, 0
	.set _ZL20rocblas_gemvn_kernelILi64ELi4ElPK19rocblas_complex_numIdES1_KPS1_EviiT3_lPKT2_lT1_lS9_lSA_lS6_lPT4_lSA_li.uses_vcc, 1
	.set _ZL20rocblas_gemvn_kernelILi64ELi4ElPK19rocblas_complex_numIdES1_KPS1_EviiT3_lPKT2_lT1_lS9_lSA_lS6_lPT4_lSA_li.uses_flat_scratch, 0
	.set _ZL20rocblas_gemvn_kernelILi64ELi4ElPK19rocblas_complex_numIdES1_KPS1_EviiT3_lPKT2_lT1_lS9_lSA_lS6_lPT4_lSA_li.has_dyn_sized_stack, 0
	.set _ZL20rocblas_gemvn_kernelILi64ELi4ElPK19rocblas_complex_numIdES1_KPS1_EviiT3_lPKT2_lT1_lS9_lSA_lS6_lPT4_lSA_li.has_recursion, 0
	.set _ZL20rocblas_gemvn_kernelILi64ELi4ElPK19rocblas_complex_numIdES1_KPS1_EviiT3_lPKT2_lT1_lS9_lSA_lS6_lPT4_lSA_li.has_indirect_call, 0
	.section	.AMDGPU.csdata,"",@progbits
; Kernel info:
; codeLenInByte = 1564
; TotalNumSgprs: 49
; NumVgprs: 40
; ScratchSize: 0
; MemoryBound: 1
; FloatMode: 240
; IeeeMode: 1
; LDSByteSize: 4096 bytes/workgroup (compile time only)
; SGPRBlocks: 0
; VGPRBlocks: 2
; NumSGPRsForWavesPerEU: 49
; NumVGPRsForWavesPerEU: 40
; NamedBarCnt: 0
; Occupancy: 16
; WaveLimiterHint : 1
; COMPUTE_PGM_RSRC2:SCRATCH_EN: 0
; COMPUTE_PGM_RSRC2:USER_SGPR: 2
; COMPUTE_PGM_RSRC2:TRAP_HANDLER: 0
; COMPUTE_PGM_RSRC2:TGID_X_EN: 1
; COMPUTE_PGM_RSRC2:TGID_Y_EN: 0
; COMPUTE_PGM_RSRC2:TGID_Z_EN: 1
; COMPUTE_PGM_RSRC2:TIDIG_COMP_CNT: 1
	.section	.text._ZL20rocblas_gemvn_kernelILi32ELi16EiPK19rocblas_complex_numIdES3_KPS1_EviiT3_lPKT2_lT1_lS9_lSA_lS6_lPT4_lSA_li,"axG",@progbits,_ZL20rocblas_gemvn_kernelILi32ELi16EiPK19rocblas_complex_numIdES3_KPS1_EviiT3_lPKT2_lT1_lS9_lSA_lS6_lPT4_lSA_li,comdat
	.globl	_ZL20rocblas_gemvn_kernelILi32ELi16EiPK19rocblas_complex_numIdES3_KPS1_EviiT3_lPKT2_lT1_lS9_lSA_lS6_lPT4_lSA_li ; -- Begin function _ZL20rocblas_gemvn_kernelILi32ELi16EiPK19rocblas_complex_numIdES3_KPS1_EviiT3_lPKT2_lT1_lS9_lSA_lS6_lPT4_lSA_li
	.p2align	8
	.type	_ZL20rocblas_gemvn_kernelILi32ELi16EiPK19rocblas_complex_numIdES3_KPS1_EviiT3_lPKT2_lT1_lS9_lSA_lS6_lPT4_lSA_li,@function
_ZL20rocblas_gemvn_kernelILi32ELi16EiPK19rocblas_complex_numIdES3_KPS1_EviiT3_lPKT2_lT1_lS9_lSA_lS6_lPT4_lSA_li: ; @_ZL20rocblas_gemvn_kernelILi32ELi16EiPK19rocblas_complex_numIdES3_KPS1_EviiT3_lPKT2_lT1_lS9_lSA_lS6_lPT4_lSA_li
; %bb.0:
	s_clause 0x1
	s_load_b64 s[4:5], s[0:1], 0x9c
	s_load_b32 s28, s[0:1], 0x88
	s_bfe_u32 s2, ttmp6, 0x40014
	s_lshr_b32 s6, ttmp7, 16
	s_add_co_i32 s2, s2, 1
	s_bfe_u32 s3, ttmp6, 0x40008
	s_mul_i32 s7, s6, s2
	s_getreg_b32 s2, hwreg(HW_REG_IB_STS2, 6, 4)
	s_add_co_i32 s7, s3, s7
	s_wait_kmcnt 0x0
	s_lshr_b32 s8, s4, 16
	s_and_b32 s3, s4, 0xffff
	s_and_b32 s4, s5, 0xffff
	s_mul_i32 s5, s8, s3
	s_cmp_eq_u32 s2, 0
	s_mul_i32 s5, s5, s4
	s_cselect_b32 s6, s6, s7
	s_cmp_lg_u32 s5, 0x200
	s_mov_b32 s7, 0
	s_cselect_b32 s4, -1, 0
	s_cmp_ge_u32 s6, s28
	s_cselect_b32 s5, -1, 0
	s_delay_alu instid0(SALU_CYCLE_1) | instskip(NEXT) | instid1(SALU_CYCLE_1)
	s_or_b32 s4, s4, s5
	s_and_b32 vcc_lo, exec_lo, s4
	s_cbranch_vccnz .LBB342_39
; %bb.1:
	s_clause 0x1
	s_load_b32 s34, s[0:1], 0x78
	s_load_b64 s[4:5], s[0:1], 0x0
	s_bfe_u32 s8, ttmp6, 0x4000c
	v_and_b32_e32 v1, 0x3ff, v0
	s_add_co_i32 s8, s8, 1
	v_bfe_u32 v0, v0, 10, 10
	s_and_b32 s9, ttmp6, 15
	s_mul_i32 s8, ttmp9, s8
	s_load_b32 s29, s[0:1], 0x28
	s_add_co_i32 s9, s9, s8
	v_mad_u32_u24 v0, v0, s3, v1
	s_load_b256 s[16:23], s[0:1], 0x58
	s_delay_alu instid0(VALU_DEP_1)
	v_dual_mov_b32 v17, 0 :: v_dual_bitop2_b32 v1, 31, v0 bitop3:0x40
	v_lshlrev_b32_e32 v29, 4, v0
	s_wait_kmcnt 0x0
	s_ashr_i32 s35, s34, 31
	s_cmp_eq_u32 s2, 0
	s_cselect_b32 s2, ttmp9, s9
	s_clause 0x2
	s_load_b256 s[8:15], s[0:1], 0x8
	s_load_b128 s[24:27], s[0:1], 0x38
	s_load_b32 s30, s[0:1], 0x48
	s_lshl_b32 s36, s2, 5
	s_ashr_i32 s3, s4, 31
	v_add_nc_u32_e32 v16, s36, v0
	s_mov_b32 s2, s4
	v_or_b32_e32 v2, s36, v0
	s_wait_xcnt 0x0
	s_ashr_i32 s0, s5, 31
	s_delay_alu instid0(SALU_CYCLE_1)
	s_lshr_b32 s0, s0, 28
	v_mul_u64_e32 v[18:19], s[34:35], v[16:17]
	v_cmp_gt_i64_e32 vcc_lo, s[2:3], v[16:17]
	v_lshrrev_b32_e32 v16, 5, v0
	v_mul_lo_u32 v20, v2, s34
	s_add_co_i32 s0, s5, s0
	v_or_b32_e32 v28, s36, v1
	s_and_b32 s31, s0, -16
	v_mul_lo_u32 v3, s29, v16
	s_sub_co_i32 s1, s5, s31
	v_cmp_gt_u32_e64 s2, 32, v0
	v_cmp_gt_i32_e64 s0, s31, v16
	s_wait_kmcnt 0x0
	v_mul_lo_u32 v30, s30, v16
	s_cmp_gt_i32 s1, 0
	v_cmp_gt_i32_e64 s3, s4, v2
	v_ashrrev_i32_e32 v21, 31, v20
	v_cmp_gt_i32_e64 s1, s4, v28
	s_cselect_b32 s33, -1, 0
	s_and_b32 s34, s2, vcc_lo
	v_add3_u32 v31, v3, s36, v1
	s_lshl_b32 s35, s30, 4
	s_lshl_b32 s36, s29, 4
	s_lshl_b64 s[14:15], s[14:15], 4
	s_lshl_b64 s[26:27], s[26:27], 4
	;; [unrolled: 1-line block ×3, first 2 shown]
	s_branch .LBB342_4
.LBB342_2:                              ;   in Loop: Header=BB342_4 Depth=1
	s_wait_xcnt 0x0
	s_or_b32 exec_lo, exec_lo, s4
.LBB342_3:                              ;   in Loop: Header=BB342_4 Depth=1
	s_add_co_i32 s6, s6, 0x10000
	s_delay_alu instid0(SALU_CYCLE_1)
	s_cmp_lt_u32 s6, s28
	s_cbranch_scc0 .LBB342_39
.LBB342_4:                              ; =>This Loop Header: Depth=1
                                        ;     Child Loop BB342_20 Depth 2
	s_wait_xcnt 0x0
	s_mul_u64 s[38:39], s[10:11], s[6:7]
	s_delay_alu instid0(SALU_CYCLE_1) | instskip(NEXT) | instid1(SALU_CYCLE_1)
	s_lshl_b64 s[38:39], s[38:39], 4
	s_add_nc_u64 s[38:39], s[8:9], s[38:39]
	global_load_b128 v[4:7], v17, s[38:39]
	s_wait_xcnt 0x0
	s_mul_u64 s[38:39], s[18:19], s[6:7]
	s_delay_alu instid0(SALU_CYCLE_1) | instskip(NEXT) | instid1(SALU_CYCLE_1)
	s_lshl_b64 s[38:39], s[38:39], 4
	s_add_nc_u64 s[38:39], s[16:17], s[38:39]
	s_wait_loadcnt 0x1
	global_load_b128 v[0:3], v17, s[38:39]
	s_wait_xcnt 0x0
	s_mov_b32 s38, -1
	s_wait_loadcnt 0x1
	v_cmp_neq_f64_e32 vcc_lo, 0, v[4:5]
	v_cmp_neq_f64_e64 s4, 0, v[6:7]
	s_or_b32 s37, vcc_lo, s4
	s_mov_b32 s4, 0
	s_and_b32 vcc_lo, exec_lo, s37
	s_cbranch_vccz .LBB342_7
; %bb.5:                                ;   in Loop: Header=BB342_4 Depth=1
	v_mov_b64_e32 v[24:25], 0
	s_and_not1_b32 vcc_lo, exec_lo, s38
	s_cbranch_vccz .LBB342_8
.LBB342_6:                              ;   in Loop: Header=BB342_4 Depth=1
	s_and_not1_b32 vcc_lo, exec_lo, s4
	s_cbranch_vccnz .LBB342_3
	s_branch .LBB342_9
.LBB342_7:                              ;   in Loop: Header=BB342_4 Depth=1
	s_wait_loadcnt 0x0
	v_cmp_neq_f64_e32 vcc_lo, 1.0, v[0:1]
	v_cmp_neq_f64_e64 s4, 0, v[2:3]
	s_or_b32 s4, vcc_lo, s4
	v_mov_b64_e32 v[24:25], 0
	s_cbranch_execnz .LBB342_6
.LBB342_8:                              ;   in Loop: Header=BB342_4 Depth=1
	s_lshl_b64 s[38:39], s[6:7], 3
	s_delay_alu instid0(SALU_CYCLE_1)
	s_add_nc_u64 s[38:39], s[12:13], s[38:39]
	global_load_b64 v[8:9], v17, s[38:39]
	s_wait_loadcnt 0x0
	v_add_nc_u64_e32 v[24:25], s[14:15], v[8:9]
.LBB342_9:                              ;   in Loop: Header=BB342_4 Depth=1
	v_mov_b64_e32 v[26:27], 0
	s_and_not1_b32 vcc_lo, exec_lo, s37
	s_cbranch_vccnz .LBB342_11
; %bb.10:                               ;   in Loop: Header=BB342_4 Depth=1
	s_wait_xcnt 0x0
	s_lshl_b64 s[38:39], s[6:7], 3
	s_delay_alu instid0(SALU_CYCLE_1)
	s_add_nc_u64 s[38:39], s[24:25], s[38:39]
	global_load_b64 v[8:9], v17, s[38:39]
	s_wait_loadcnt 0x0
	v_add_nc_u64_e32 v[26:27], s[26:27], v[8:9]
.LBB342_11:                             ;   in Loop: Header=BB342_4 Depth=1
	s_wait_xcnt 0x0
	s_lshl_b64 s[38:39], s[6:7], 3
	s_xor_b32 s4, s37, -1
	s_add_nc_u64 s[38:39], s[20:21], s[38:39]
	s_and_not1_b32 vcc_lo, exec_lo, s4
	global_load_b64 v[8:9], v17, s[38:39]
	s_wait_loadcnt 0x0
	v_add_nc_u64_e32 v[22:23], s[22:23], v[8:9]
	s_cbranch_vccnz .LBB342_16
; %bb.12:                               ;   in Loop: Header=BB342_4 Depth=1
	s_wait_xcnt 0x0
	s_mov_b32 s38, 0
	s_mov_b32 s37, 0
                                        ; implicit-def: $vgpr10_vgpr11
	s_and_saveexec_b32 s39, s34
	s_cbranch_execz .LBB342_22
; %bb.13:                               ;   in Loop: Header=BB342_4 Depth=1
	v_cmp_neq_f64_e32 vcc_lo, 0, v[0:1]
	v_cmp_neq_f64_e64 s4, 0, v[2:3]
	v_mov_b64_e32 v[10:11], 0
	v_mov_b64_e32 v[8:9], 0
	s_or_b32 s4, vcc_lo, s4
	s_delay_alu instid0(SALU_CYCLE_1)
	s_and_not1_b32 vcc_lo, exec_lo, s4
	s_cbranch_vccnz .LBB342_15
; %bb.14:                               ;   in Loop: Header=BB342_4 Depth=1
	v_lshl_add_u64 v[8:9], v[18:19], 4, v[22:23]
	flat_load_b128 v[12:15], v[8:9]
	s_wait_loadcnt_dscnt 0x0
	s_wait_xcnt 0x0
	v_mul_f64_e32 v[8:9], v[2:3], v[14:15]
	v_mul_f64_e32 v[10:11], v[0:1], v[14:15]
	s_delay_alu instid0(VALU_DEP_2) | instskip(NEXT) | instid1(VALU_DEP_2)
	v_fma_f64 v[8:9], v[0:1], v[12:13], -v[8:9]
	v_fmac_f64_e32 v[10:11], v[2:3], v[12:13]
.LBB342_15:                             ;   in Loop: Header=BB342_4 Depth=1
	s_mov_b32 s37, exec_lo
	s_or_b32 exec_lo, exec_lo, s39
	s_delay_alu instid0(SALU_CYCLE_1)
	s_and_b32 vcc_lo, exec_lo, s38
	s_cbranch_vccnz .LBB342_17
	s_branch .LBB342_23
.LBB342_16:                             ;   in Loop: Header=BB342_4 Depth=1
	s_wait_xcnt 0x0
	s_mov_b32 s37, 0
                                        ; implicit-def: $vgpr10_vgpr11
	s_cbranch_execz .LBB342_23
.LBB342_17:                             ;   in Loop: Header=BB342_4 Depth=1
	v_mov_b64_e32 v[10:11], 0
	v_mov_b64_e32 v[8:9], 0
	v_mov_b32_e32 v32, v16
	s_and_saveexec_b32 s4, s0
	s_cbranch_execz .LBB342_25
; %bb.18:                               ;   in Loop: Header=BB342_4 Depth=1
	v_mov_b64_e32 v[10:11], 0
	v_dual_mov_b32 v12, v31 :: v_dual_mov_b32 v13, v30
	v_mov_b32_e32 v32, v16
	s_mov_b32 s38, 0
	s_delay_alu instid0(VALU_DEP_3)
	v_mov_b64_e32 v[8:9], v[10:11]
	s_branch .LBB342_20
.LBB342_19:                             ;   in Loop: Header=BB342_20 Depth=2
	s_wait_xcnt 0x0
	s_or_b32 exec_lo, exec_lo, s39
	v_dual_add_nc_u32 v32, 16, v32 :: v_dual_add_nc_u32 v13, s35, v13
	v_add_nc_u32_e32 v12, s36, v12
	s_delay_alu instid0(VALU_DEP_2) | instskip(SKIP_1) | instid1(SALU_CYCLE_1)
	v_cmp_le_i32_e32 vcc_lo, s31, v32
	s_or_b32 s38, vcc_lo, s38
	s_and_not1_b32 exec_lo, exec_lo, s38
	s_cbranch_execz .LBB342_24
.LBB342_20:                             ;   Parent Loop BB342_4 Depth=1
                                        ; =>  This Inner Loop Header: Depth=2
	s_and_saveexec_b32 s39, s1
	s_cbranch_execz .LBB342_19
; %bb.21:                               ;   in Loop: Header=BB342_20 Depth=2
	v_readfirstlane_b32 s40, v26
	v_readfirstlane_b32 s41, v27
	;; [unrolled: 1-line block ×4, first 2 shown]
	flat_load_b128 v[34:37], v13, s[40:41] scale_offset
	flat_load_b128 v[38:41], v12, s[42:43] scale_offset
	s_wait_loadcnt_dscnt 0x0
	v_mul_f64_e32 v[14:15], v[36:37], v[40:41]
	v_mul_f64_e32 v[40:41], v[34:35], v[40:41]
	s_delay_alu instid0(VALU_DEP_2) | instskip(NEXT) | instid1(VALU_DEP_2)
	v_fma_f64 v[14:15], v[34:35], v[38:39], -v[14:15]
	v_fmac_f64_e32 v[40:41], v[36:37], v[38:39]
	s_delay_alu instid0(VALU_DEP_2) | instskip(NEXT) | instid1(VALU_DEP_2)
	v_add_f64_e32 v[8:9], v[8:9], v[14:15]
	v_add_f64_e32 v[10:11], v[10:11], v[40:41]
	s_branch .LBB342_19
.LBB342_22:                             ;   in Loop: Header=BB342_4 Depth=1
	s_or_b32 exec_lo, exec_lo, s39
	s_delay_alu instid0(SALU_CYCLE_1)
	s_and_b32 vcc_lo, exec_lo, s38
	s_cbranch_vccnz .LBB342_17
.LBB342_23:                             ;   in Loop: Header=BB342_4 Depth=1
	v_mov_b64_e32 v[0:1], v[18:19]
	s_and_saveexec_b32 s4, s37
	s_cbranch_execz .LBB342_2
	s_branch .LBB342_38
.LBB342_24:                             ;   in Loop: Header=BB342_4 Depth=1
	s_or_b32 exec_lo, exec_lo, s38
.LBB342_25:                             ;   in Loop: Header=BB342_4 Depth=1
	s_delay_alu instid0(SALU_CYCLE_1) | instskip(NEXT) | instid1(SALU_CYCLE_1)
	s_or_b32 exec_lo, exec_lo, s4
	s_and_not1_b32 vcc_lo, exec_lo, s33
	s_cbranch_vccnz .LBB342_31
; %bb.26:                               ;   in Loop: Header=BB342_4 Depth=1
	v_mov_b64_e32 v[12:13], 0
	v_mov_b64_e32 v[14:15], 0
	v_cmp_gt_i32_e32 vcc_lo, s5, v32
	s_and_saveexec_b32 s4, vcc_lo
	s_cbranch_execz .LBB342_28
; %bb.27:                               ;   in Loop: Header=BB342_4 Depth=1
	v_mul_lo_u32 v12, v32, s30
	v_readfirstlane_b32 s38, v26
	v_readfirstlane_b32 s39, v27
	flat_load_b128 v[12:15], v12, s[38:39] scale_offset
.LBB342_28:                             ;   in Loop: Header=BB342_4 Depth=1
	s_wait_xcnt 0x0
	s_or_b32 exec_lo, exec_lo, s4
	s_and_saveexec_b32 s4, s1
	s_cbranch_execz .LBB342_30
; %bb.29:                               ;   in Loop: Header=BB342_4 Depth=1
	v_mul_lo_u32 v26, v32, s29
	v_readfirstlane_b32 s38, v24
	v_readfirstlane_b32 s39, v25
	s_delay_alu instid0(VALU_DEP_3) | instskip(NEXT) | instid1(VALU_DEP_1)
	v_cndmask_b32_e32 v26, 0, v26, vcc_lo
	v_add_nc_u32_e32 v24, v26, v28
	flat_load_b128 v[24:27], v24, s[38:39] scale_offset
	s_wait_loadcnt_dscnt 0x0
	v_mul_f64_e32 v[32:33], v[14:15], v[26:27]
	v_mul_f64_e32 v[26:27], v[12:13], v[26:27]
	s_delay_alu instid0(VALU_DEP_2) | instskip(NEXT) | instid1(VALU_DEP_2)
	v_fma_f64 v[12:13], v[12:13], v[24:25], -v[32:33]
	v_fmac_f64_e32 v[26:27], v[14:15], v[24:25]
	s_delay_alu instid0(VALU_DEP_2) | instskip(NEXT) | instid1(VALU_DEP_2)
	v_add_f64_e32 v[8:9], v[8:9], v[12:13]
	v_add_f64_e32 v[10:11], v[10:11], v[26:27]
.LBB342_30:                             ;   in Loop: Header=BB342_4 Depth=1
	s_wait_xcnt 0x0
	s_or_b32 exec_lo, exec_lo, s4
.LBB342_31:                             ;   in Loop: Header=BB342_4 Depth=1
	ds_store_b128 v29, v[8:11]
	s_wait_loadcnt_dscnt 0x0
	s_barrier_signal -1
	s_barrier_wait -1
                                        ; implicit-def: $vgpr10_vgpr11
	s_and_saveexec_b32 s38, s2
	s_cbranch_execz .LBB342_37
; %bb.32:                               ;   in Loop: Header=BB342_4 Depth=1
	ds_load_b128 v[8:11], v29
	ds_load_b128 v[12:15], v29 offset:512
	s_mov_b32 s4, s37
	s_wait_dscnt 0x0
	v_add_f64_e32 v[24:25], v[8:9], v[12:13]
	v_add_f64_e32 v[26:27], v[10:11], v[14:15]
	ds_load_b128 v[8:11], v29 offset:1024
	ds_load_b128 v[12:15], v29 offset:1536
	s_wait_dscnt 0x1
	v_add_f64_e32 v[8:9], v[24:25], v[8:9]
	v_add_f64_e32 v[10:11], v[26:27], v[10:11]
	s_wait_dscnt 0x0
	s_delay_alu instid0(VALU_DEP_2) | instskip(NEXT) | instid1(VALU_DEP_2)
	v_add_f64_e32 v[24:25], v[8:9], v[12:13]
	v_add_f64_e32 v[26:27], v[10:11], v[14:15]
	ds_load_b128 v[8:11], v29 offset:2048
	ds_load_b128 v[12:15], v29 offset:2560
	s_wait_dscnt 0x1
	v_add_f64_e32 v[8:9], v[24:25], v[8:9]
	v_add_f64_e32 v[10:11], v[26:27], v[10:11]
	s_wait_dscnt 0x0
	s_delay_alu instid0(VALU_DEP_2) | instskip(NEXT) | instid1(VALU_DEP_2)
	;; [unrolled: 9-line block ×7, first 2 shown]
	v_add_f64_e32 v[12:13], v[8:9], v[12:13]
	v_add_f64_e32 v[14:15], v[10:11], v[14:15]
                                        ; implicit-def: $vgpr10_vgpr11
	ds_store_b128 v29, v[12:15]
	s_and_saveexec_b32 s39, s3
	s_cbranch_execz .LBB342_36
; %bb.33:                               ;   in Loop: Header=BB342_4 Depth=1
	v_mul_f64_e32 v[8:9], v[6:7], v[14:15]
	v_mul_f64_e32 v[10:11], v[4:5], v[14:15]
	v_cmp_neq_f64_e32 vcc_lo, 0, v[0:1]
	v_cmp_neq_f64_e64 s4, 0, v[2:3]
	s_delay_alu instid0(VALU_DEP_4) | instskip(NEXT) | instid1(VALU_DEP_4)
	v_fma_f64 v[8:9], v[4:5], v[12:13], -v[8:9]
	v_fmac_f64_e32 v[10:11], v[6:7], v[12:13]
	s_or_b32 s4, vcc_lo, s4
	s_delay_alu instid0(SALU_CYCLE_1)
	s_and_not1_b32 vcc_lo, exec_lo, s4
	s_cbranch_vccnz .LBB342_35
; %bb.34:                               ;   in Loop: Header=BB342_4 Depth=1
	v_lshl_add_u64 v[4:5], v[20:21], 4, v[22:23]
	flat_load_b128 v[4:7], v[4:5]
	s_wait_loadcnt_dscnt 0x0
	v_mul_f64_e32 v[12:13], v[2:3], v[6:7]
	v_mul_f64_e32 v[6:7], v[0:1], v[6:7]
	s_delay_alu instid0(VALU_DEP_2) | instskip(NEXT) | instid1(VALU_DEP_2)
	v_fma_f64 v[0:1], v[0:1], v[4:5], -v[12:13]
	v_fmac_f64_e32 v[6:7], v[2:3], v[4:5]
	s_delay_alu instid0(VALU_DEP_2) | instskip(NEXT) | instid1(VALU_DEP_2)
	v_add_f64_e32 v[8:9], v[8:9], v[0:1]
	v_add_f64_e32 v[10:11], v[10:11], v[6:7]
.LBB342_35:                             ;   in Loop: Header=BB342_4 Depth=1
	s_or_b32 s4, s37, exec_lo
.LBB342_36:                             ;   in Loop: Header=BB342_4 Depth=1
	s_wait_xcnt 0x0
	s_or_b32 exec_lo, exec_lo, s39
	s_delay_alu instid0(SALU_CYCLE_1) | instskip(SKIP_1) | instid1(SALU_CYCLE_1)
	s_and_not1_b32 s37, s37, exec_lo
	s_and_b32 s4, s4, exec_lo
	s_or_b32 s37, s37, s4
.LBB342_37:                             ;   in Loop: Header=BB342_4 Depth=1
	s_or_b32 exec_lo, exec_lo, s38
	v_mov_b64_e32 v[0:1], v[20:21]
	s_and_saveexec_b32 s4, s37
	s_cbranch_execz .LBB342_2
.LBB342_38:                             ;   in Loop: Header=BB342_4 Depth=1
	s_delay_alu instid0(VALU_DEP_1)
	v_lshl_add_u64 v[0:1], v[0:1], 4, v[22:23]
	flat_store_b128 v[0:1], v[8:11]
	s_branch .LBB342_2
.LBB342_39:
	s_endpgm
	.section	.rodata,"a",@progbits
	.p2align	6, 0x0
	.amdhsa_kernel _ZL20rocblas_gemvn_kernelILi32ELi16EiPK19rocblas_complex_numIdES3_KPS1_EviiT3_lPKT2_lT1_lS9_lSA_lS6_lPT4_lSA_li
		.amdhsa_group_segment_fixed_size 8192
		.amdhsa_private_segment_fixed_size 0
		.amdhsa_kernarg_size 400
		.amdhsa_user_sgpr_count 2
		.amdhsa_user_sgpr_dispatch_ptr 0
		.amdhsa_user_sgpr_queue_ptr 0
		.amdhsa_user_sgpr_kernarg_segment_ptr 1
		.amdhsa_user_sgpr_dispatch_id 0
		.amdhsa_user_sgpr_kernarg_preload_length 0
		.amdhsa_user_sgpr_kernarg_preload_offset 0
		.amdhsa_user_sgpr_private_segment_size 0
		.amdhsa_wavefront_size32 1
		.amdhsa_uses_dynamic_stack 0
		.amdhsa_enable_private_segment 0
		.amdhsa_system_sgpr_workgroup_id_x 1
		.amdhsa_system_sgpr_workgroup_id_y 0
		.amdhsa_system_sgpr_workgroup_id_z 1
		.amdhsa_system_sgpr_workgroup_info 0
		.amdhsa_system_vgpr_workitem_id 1
		.amdhsa_next_free_vgpr 42
		.amdhsa_next_free_sgpr 44
		.amdhsa_named_barrier_count 0
		.amdhsa_reserve_vcc 1
		.amdhsa_float_round_mode_32 0
		.amdhsa_float_round_mode_16_64 0
		.amdhsa_float_denorm_mode_32 3
		.amdhsa_float_denorm_mode_16_64 3
		.amdhsa_fp16_overflow 0
		.amdhsa_memory_ordered 1
		.amdhsa_forward_progress 1
		.amdhsa_inst_pref_size 15
		.amdhsa_round_robin_scheduling 0
		.amdhsa_exception_fp_ieee_invalid_op 0
		.amdhsa_exception_fp_denorm_src 0
		.amdhsa_exception_fp_ieee_div_zero 0
		.amdhsa_exception_fp_ieee_overflow 0
		.amdhsa_exception_fp_ieee_underflow 0
		.amdhsa_exception_fp_ieee_inexact 0
		.amdhsa_exception_int_div_zero 0
	.end_amdhsa_kernel
	.section	.text._ZL20rocblas_gemvn_kernelILi32ELi16EiPK19rocblas_complex_numIdES3_KPS1_EviiT3_lPKT2_lT1_lS9_lSA_lS6_lPT4_lSA_li,"axG",@progbits,_ZL20rocblas_gemvn_kernelILi32ELi16EiPK19rocblas_complex_numIdES3_KPS1_EviiT3_lPKT2_lT1_lS9_lSA_lS6_lPT4_lSA_li,comdat
.Lfunc_end342:
	.size	_ZL20rocblas_gemvn_kernelILi32ELi16EiPK19rocblas_complex_numIdES3_KPS1_EviiT3_lPKT2_lT1_lS9_lSA_lS6_lPT4_lSA_li, .Lfunc_end342-_ZL20rocblas_gemvn_kernelILi32ELi16EiPK19rocblas_complex_numIdES3_KPS1_EviiT3_lPKT2_lT1_lS9_lSA_lS6_lPT4_lSA_li
                                        ; -- End function
	.set _ZL20rocblas_gemvn_kernelILi32ELi16EiPK19rocblas_complex_numIdES3_KPS1_EviiT3_lPKT2_lT1_lS9_lSA_lS6_lPT4_lSA_li.num_vgpr, 42
	.set _ZL20rocblas_gemvn_kernelILi32ELi16EiPK19rocblas_complex_numIdES3_KPS1_EviiT3_lPKT2_lT1_lS9_lSA_lS6_lPT4_lSA_li.num_agpr, 0
	.set _ZL20rocblas_gemvn_kernelILi32ELi16EiPK19rocblas_complex_numIdES3_KPS1_EviiT3_lPKT2_lT1_lS9_lSA_lS6_lPT4_lSA_li.numbered_sgpr, 44
	.set _ZL20rocblas_gemvn_kernelILi32ELi16EiPK19rocblas_complex_numIdES3_KPS1_EviiT3_lPKT2_lT1_lS9_lSA_lS6_lPT4_lSA_li.num_named_barrier, 0
	.set _ZL20rocblas_gemvn_kernelILi32ELi16EiPK19rocblas_complex_numIdES3_KPS1_EviiT3_lPKT2_lT1_lS9_lSA_lS6_lPT4_lSA_li.private_seg_size, 0
	.set _ZL20rocblas_gemvn_kernelILi32ELi16EiPK19rocblas_complex_numIdES3_KPS1_EviiT3_lPKT2_lT1_lS9_lSA_lS6_lPT4_lSA_li.uses_vcc, 1
	.set _ZL20rocblas_gemvn_kernelILi32ELi16EiPK19rocblas_complex_numIdES3_KPS1_EviiT3_lPKT2_lT1_lS9_lSA_lS6_lPT4_lSA_li.uses_flat_scratch, 0
	.set _ZL20rocblas_gemvn_kernelILi32ELi16EiPK19rocblas_complex_numIdES3_KPS1_EviiT3_lPKT2_lT1_lS9_lSA_lS6_lPT4_lSA_li.has_dyn_sized_stack, 0
	.set _ZL20rocblas_gemvn_kernelILi32ELi16EiPK19rocblas_complex_numIdES3_KPS1_EviiT3_lPKT2_lT1_lS9_lSA_lS6_lPT4_lSA_li.has_recursion, 0
	.set _ZL20rocblas_gemvn_kernelILi32ELi16EiPK19rocblas_complex_numIdES3_KPS1_EviiT3_lPKT2_lT1_lS9_lSA_lS6_lPT4_lSA_li.has_indirect_call, 0
	.section	.AMDGPU.csdata,"",@progbits
; Kernel info:
; codeLenInByte = 1876
; TotalNumSgprs: 46
; NumVgprs: 42
; ScratchSize: 0
; MemoryBound: 1
; FloatMode: 240
; IeeeMode: 1
; LDSByteSize: 8192 bytes/workgroup (compile time only)
; SGPRBlocks: 0
; VGPRBlocks: 2
; NumSGPRsForWavesPerEU: 46
; NumVGPRsForWavesPerEU: 42
; NamedBarCnt: 0
; Occupancy: 16
; WaveLimiterHint : 1
; COMPUTE_PGM_RSRC2:SCRATCH_EN: 0
; COMPUTE_PGM_RSRC2:USER_SGPR: 2
; COMPUTE_PGM_RSRC2:TRAP_HANDLER: 0
; COMPUTE_PGM_RSRC2:TGID_X_EN: 1
; COMPUTE_PGM_RSRC2:TGID_Y_EN: 0
; COMPUTE_PGM_RSRC2:TGID_Z_EN: 1
; COMPUTE_PGM_RSRC2:TIDIG_COMP_CNT: 1
	.section	.text._ZL20rocblas_gemvn_kernelILi32ELi16ElPK19rocblas_complex_numIdES3_KPS1_EviiT3_lPKT2_lT1_lS9_lSA_lS6_lPT4_lSA_li,"axG",@progbits,_ZL20rocblas_gemvn_kernelILi32ELi16ElPK19rocblas_complex_numIdES3_KPS1_EviiT3_lPKT2_lT1_lS9_lSA_lS6_lPT4_lSA_li,comdat
	.globl	_ZL20rocblas_gemvn_kernelILi32ELi16ElPK19rocblas_complex_numIdES3_KPS1_EviiT3_lPKT2_lT1_lS9_lSA_lS6_lPT4_lSA_li ; -- Begin function _ZL20rocblas_gemvn_kernelILi32ELi16ElPK19rocblas_complex_numIdES3_KPS1_EviiT3_lPKT2_lT1_lS9_lSA_lS6_lPT4_lSA_li
	.p2align	8
	.type	_ZL20rocblas_gemvn_kernelILi32ELi16ElPK19rocblas_complex_numIdES3_KPS1_EviiT3_lPKT2_lT1_lS9_lSA_lS6_lPT4_lSA_li,@function
_ZL20rocblas_gemvn_kernelILi32ELi16ElPK19rocblas_complex_numIdES3_KPS1_EviiT3_lPKT2_lT1_lS9_lSA_lS6_lPT4_lSA_li: ; @_ZL20rocblas_gemvn_kernelILi32ELi16ElPK19rocblas_complex_numIdES3_KPS1_EviiT3_lPKT2_lT1_lS9_lSA_lS6_lPT4_lSA_li
; %bb.0:
	s_clause 0x1
	s_load_b64 s[4:5], s[0:1], 0x9c
	s_load_b32 s33, s[0:1], 0x88
	s_bfe_u32 s2, ttmp6, 0x40014
	s_lshr_b32 s6, ttmp7, 16
	s_add_co_i32 s2, s2, 1
	s_bfe_u32 s3, ttmp6, 0x40008
	s_mul_i32 s7, s6, s2
	s_getreg_b32 s2, hwreg(HW_REG_IB_STS2, 6, 4)
	s_add_co_i32 s7, s3, s7
	s_wait_kmcnt 0x0
	s_lshr_b32 s8, s4, 16
	s_and_b32 s3, s4, 0xffff
	s_and_b32 s4, s5, 0xffff
	s_mul_i32 s5, s8, s3
	s_cmp_eq_u32 s2, 0
	s_mul_i32 s5, s5, s4
	s_cselect_b32 s6, s6, s7
	s_cmp_lg_u32 s5, 0x200
	s_mov_b32 s7, 0
	s_cselect_b32 s4, -1, 0
	s_cmp_ge_u32 s6, s33
	s_cselect_b32 s5, -1, 0
	s_delay_alu instid0(SALU_CYCLE_1) | instskip(NEXT) | instid1(SALU_CYCLE_1)
	s_or_b32 s4, s4, s5
	s_and_b32 vcc_lo, exec_lo, s4
	s_cbranch_vccnz .LBB343_39
; %bb.1:
	s_clause 0x2
	s_load_b64 s[28:29], s[0:1], 0x48
	s_load_b64 s[30:31], s[0:1], 0x28
	s_load_b64 s[8:9], s[0:1], 0x78
	v_and_b32_e32 v1, 0x3ff, v0
	v_bfe_u32 v0, v0, 10, 10
	s_bfe_u32 s4, ttmp6, 0x4000c
	s_and_b32 s5, ttmp6, 15
	s_add_co_i32 s4, s4, 1
	s_load_b128 s[24:27], s[0:1], 0x38
	v_mad_u32_u24 v6, v0, s3, v1
	s_mul_i32 s3, ttmp9, s4
	v_mov_b32_e32 v17, 0
	s_add_co_i32 s3, s5, s3
	s_cmp_eq_u32 s2, 0
	v_lshrrev_b32_e32 v18, 5, v6
	s_cselect_b32 s2, ttmp9, s3
	s_load_b64 s[4:5], s[0:1], 0x0
	s_lshl_b32 s2, s2, 5
	s_delay_alu instid0(SALU_CYCLE_1) | instskip(SKIP_3) | instid1(VALU_DEP_3)
	v_dual_mov_b32 v19, v17 :: v_dual_bitop2_b32 v4, s2, v6 bitop3:0x54
	v_add_nc_u32_e32 v16, s2, v6
	v_and_or_b32 v24, v6, 31, s2
	s_wait_kmcnt 0x0
	v_mul_u64_e32 v[0:1], s[28:29], v[18:19]
	v_mul_u64_e32 v[2:3], s[30:31], v[18:19]
	v_ashrrev_i32_e32 v5, 31, v4
	v_mul_u64_e32 v[20:21], s[8:9], v[16:17]
	v_dual_lshlrev_b32 v19, 4, v6 :: v_dual_ashrrev_i32 v25, 31, v24
	s_delay_alu instid0(VALU_DEP_3)
	v_mul_u64_e32 v[22:23], s[8:9], v[4:5]
	s_clause 0x1
	s_load_b256 s[8:15], s[0:1], 0x8
	s_load_b256 s[16:23], s[0:1], 0x58
	s_wait_xcnt 0x0
	v_cmp_gt_u32_e64 s0, 32, v6
	v_lshlrev_b64_e32 v[6:7], 4, v[24:25]
	s_ashr_i32 s1, s5, 31
	s_ashr_i32 s3, s4, 31
	s_lshr_b32 s34, s1, 28
	s_mov_b32 s2, s4
	s_add_co_i32 s34, s5, s34
	v_cmp_gt_i64_e32 vcc_lo, s[2:3], v[16:17]
	s_and_b32 s38, s34, -16
	v_cmp_gt_i32_e64 s1, s4, v24
	s_sub_co_i32 s3, s5, s38
	v_cmp_gt_i32_e64 s2, s4, v4
	s_cmp_gt_i32 s3, 0
	v_cmp_gt_i32_e64 s3, s38, v18
	s_cselect_b32 s39, -1, 0
	s_and_b32 s40, s0, vcc_lo
	s_lshl_b64 s[34:35], s[28:29], 8
	s_lshl_b64 s[36:37], s[30:31], 8
	s_wait_kmcnt 0x0
	s_lshl_b64 s[14:15], s[14:15], 4
	s_lshl_b64 s[26:27], s[26:27], 4
	s_lshl_b64 s[22:23], s[22:23], 4
	v_lshlrev_b64_e32 v[26:27], 4, v[0:1]
	v_lshl_add_u64 v[28:29], v[2:3], 4, v[6:7]
	s_delay_alu instid0(VALU_DEP_1) | instskip(NEXT) | instid1(VALU_DEP_3)
	v_or_b32_e32 v28, 8, v28
	v_or_b32_e32 v26, 8, v26
	s_branch .LBB343_4
.LBB343_2:                              ;   in Loop: Header=BB343_4 Depth=1
	s_wait_xcnt 0x0
	s_or_b32 exec_lo, exec_lo, s4
.LBB343_3:                              ;   in Loop: Header=BB343_4 Depth=1
	s_add_co_i32 s6, s6, 0x10000
	s_delay_alu instid0(SALU_CYCLE_1)
	s_cmp_lt_u32 s6, s33
	s_cbranch_scc0 .LBB343_39
.LBB343_4:                              ; =>This Loop Header: Depth=1
                                        ;     Child Loop BB343_20 Depth 2
	s_wait_xcnt 0x0
	s_mul_u64 s[42:43], s[10:11], s[6:7]
	s_delay_alu instid0(SALU_CYCLE_1) | instskip(NEXT) | instid1(SALU_CYCLE_1)
	s_lshl_b64 s[42:43], s[42:43], 4
	s_add_nc_u64 s[42:43], s[8:9], s[42:43]
	global_load_b128 v[4:7], v17, s[42:43]
	s_wait_xcnt 0x0
	s_mul_u64 s[42:43], s[18:19], s[6:7]
	s_delay_alu instid0(SALU_CYCLE_1) | instskip(NEXT) | instid1(SALU_CYCLE_1)
	s_lshl_b64 s[42:43], s[42:43], 4
	s_add_nc_u64 s[42:43], s[16:17], s[42:43]
	s_wait_loadcnt 0x1
	global_load_b128 v[0:3], v17, s[42:43]
	s_wait_xcnt 0x0
	s_mov_b32 s42, -1
	s_wait_loadcnt 0x1
	v_cmp_neq_f64_e32 vcc_lo, 0, v[4:5]
	v_cmp_neq_f64_e64 s4, 0, v[6:7]
	s_or_b32 s41, vcc_lo, s4
	s_mov_b32 s4, 0
	s_and_b32 vcc_lo, exec_lo, s41
	s_cbranch_vccz .LBB343_7
; %bb.5:                                ;   in Loop: Header=BB343_4 Depth=1
	v_mov_b64_e32 v[32:33], 0
	s_and_not1_b32 vcc_lo, exec_lo, s42
	s_cbranch_vccz .LBB343_8
.LBB343_6:                              ;   in Loop: Header=BB343_4 Depth=1
	s_and_not1_b32 vcc_lo, exec_lo, s4
	s_cbranch_vccnz .LBB343_3
	s_branch .LBB343_9
.LBB343_7:                              ;   in Loop: Header=BB343_4 Depth=1
	s_wait_loadcnt 0x0
	v_cmp_neq_f64_e32 vcc_lo, 1.0, v[0:1]
	v_cmp_neq_f64_e64 s4, 0, v[2:3]
	s_or_b32 s4, vcc_lo, s4
	v_mov_b64_e32 v[32:33], 0
	s_cbranch_execnz .LBB343_6
.LBB343_8:                              ;   in Loop: Header=BB343_4 Depth=1
	s_lshl_b64 s[42:43], s[6:7], 3
	s_delay_alu instid0(SALU_CYCLE_1)
	s_add_nc_u64 s[42:43], s[12:13], s[42:43]
	global_load_b64 v[8:9], v17, s[42:43]
	s_wait_loadcnt 0x0
	v_add_nc_u64_e32 v[32:33], s[14:15], v[8:9]
.LBB343_9:                              ;   in Loop: Header=BB343_4 Depth=1
	v_mov_b64_e32 v[34:35], 0
	s_and_not1_b32 vcc_lo, exec_lo, s41
	s_cbranch_vccnz .LBB343_11
; %bb.10:                               ;   in Loop: Header=BB343_4 Depth=1
	s_wait_xcnt 0x0
	s_lshl_b64 s[42:43], s[6:7], 3
	s_delay_alu instid0(SALU_CYCLE_1)
	s_add_nc_u64 s[42:43], s[24:25], s[42:43]
	global_load_b64 v[8:9], v17, s[42:43]
	s_wait_loadcnt 0x0
	v_add_nc_u64_e32 v[34:35], s[26:27], v[8:9]
.LBB343_11:                             ;   in Loop: Header=BB343_4 Depth=1
	s_wait_xcnt 0x0
	s_lshl_b64 s[42:43], s[6:7], 3
	s_xor_b32 s4, s41, -1
	s_add_nc_u64 s[42:43], s[20:21], s[42:43]
	s_and_not1_b32 vcc_lo, exec_lo, s4
	global_load_b64 v[8:9], v17, s[42:43]
	s_wait_loadcnt 0x0
	v_add_nc_u64_e32 v[30:31], s[22:23], v[8:9]
	s_cbranch_vccnz .LBB343_16
; %bb.12:                               ;   in Loop: Header=BB343_4 Depth=1
	s_wait_xcnt 0x0
	s_mov_b32 s42, 0
	s_mov_b32 s41, 0
                                        ; implicit-def: $vgpr10_vgpr11
	s_and_saveexec_b32 s43, s40
	s_cbranch_execz .LBB343_22
; %bb.13:                               ;   in Loop: Header=BB343_4 Depth=1
	v_cmp_neq_f64_e32 vcc_lo, 0, v[0:1]
	v_cmp_neq_f64_e64 s4, 0, v[2:3]
	v_mov_b64_e32 v[10:11], 0
	v_mov_b64_e32 v[8:9], 0
	s_or_b32 s4, vcc_lo, s4
	s_delay_alu instid0(SALU_CYCLE_1)
	s_and_not1_b32 vcc_lo, exec_lo, s4
	s_cbranch_vccnz .LBB343_15
; %bb.14:                               ;   in Loop: Header=BB343_4 Depth=1
	v_lshl_add_u64 v[8:9], v[20:21], 4, v[30:31]
	flat_load_b128 v[12:15], v[8:9]
	s_wait_loadcnt_dscnt 0x0
	s_wait_xcnt 0x0
	v_mul_f64_e32 v[8:9], v[2:3], v[14:15]
	v_mul_f64_e32 v[10:11], v[0:1], v[14:15]
	s_delay_alu instid0(VALU_DEP_2) | instskip(NEXT) | instid1(VALU_DEP_2)
	v_fma_f64 v[8:9], v[0:1], v[12:13], -v[8:9]
	v_fmac_f64_e32 v[10:11], v[2:3], v[12:13]
.LBB343_15:                             ;   in Loop: Header=BB343_4 Depth=1
	s_mov_b32 s41, exec_lo
	s_or_b32 exec_lo, exec_lo, s43
	s_delay_alu instid0(SALU_CYCLE_1)
	s_and_b32 vcc_lo, exec_lo, s42
	s_cbranch_vccnz .LBB343_17
	s_branch .LBB343_23
.LBB343_16:                             ;   in Loop: Header=BB343_4 Depth=1
	s_wait_xcnt 0x0
	s_mov_b32 s41, 0
                                        ; implicit-def: $vgpr10_vgpr11
	s_cbranch_execz .LBB343_23
.LBB343_17:                             ;   in Loop: Header=BB343_4 Depth=1
	v_mov_b64_e32 v[10:11], 0
	v_mov_b64_e32 v[8:9], 0
	v_mov_b32_e32 v16, v18
	s_and_saveexec_b32 s4, s3
	s_cbranch_execz .LBB343_25
; %bb.18:                               ;   in Loop: Header=BB343_4 Depth=1
	v_mov_b64_e32 v[10:11], 0
	v_add_nc_u64_e32 v[12:13], v[34:35], v[26:27]
	v_add_nc_u64_e32 v[14:15], v[32:33], v[28:29]
	v_mov_b32_e32 v16, v18
	s_mov_b32 s42, 0
	s_delay_alu instid0(VALU_DEP_4)
	v_mov_b64_e32 v[8:9], v[10:11]
	s_branch .LBB343_20
.LBB343_19:                             ;   in Loop: Header=BB343_20 Depth=2
	s_wait_xcnt 0x0
	s_or_b32 exec_lo, exec_lo, s43
	v_add_nc_u32_e32 v16, 16, v16
	v_add_nc_u64_e32 v[12:13], s[34:35], v[12:13]
	v_add_nc_u64_e32 v[14:15], s[36:37], v[14:15]
	s_delay_alu instid0(VALU_DEP_3) | instskip(SKIP_1) | instid1(SALU_CYCLE_1)
	v_cmp_le_i32_e32 vcc_lo, s38, v16
	s_or_b32 s42, vcc_lo, s42
	s_and_not1_b32 exec_lo, exec_lo, s42
	s_cbranch_execz .LBB343_24
.LBB343_20:                             ;   Parent Loop BB343_4 Depth=1
                                        ; =>  This Inner Loop Header: Depth=2
	s_and_saveexec_b32 s43, s1
	s_cbranch_execz .LBB343_19
; %bb.21:                               ;   in Loop: Header=BB343_20 Depth=2
	flat_load_b128 v[36:39], v[12:13] offset:-8
	flat_load_b128 v[40:43], v[14:15] offset:-8
	s_wait_loadcnt_dscnt 0x0
	v_mul_f64_e32 v[44:45], v[38:39], v[42:43]
	v_mul_f64_e32 v[42:43], v[36:37], v[42:43]
	s_delay_alu instid0(VALU_DEP_2) | instskip(NEXT) | instid1(VALU_DEP_2)
	v_fma_f64 v[36:37], v[36:37], v[40:41], -v[44:45]
	v_fmac_f64_e32 v[42:43], v[38:39], v[40:41]
	s_delay_alu instid0(VALU_DEP_2) | instskip(NEXT) | instid1(VALU_DEP_2)
	v_add_f64_e32 v[8:9], v[8:9], v[36:37]
	v_add_f64_e32 v[10:11], v[10:11], v[42:43]
	s_branch .LBB343_19
.LBB343_22:                             ;   in Loop: Header=BB343_4 Depth=1
	s_or_b32 exec_lo, exec_lo, s43
	s_delay_alu instid0(SALU_CYCLE_1)
	s_and_b32 vcc_lo, exec_lo, s42
	s_cbranch_vccnz .LBB343_17
.LBB343_23:                             ;   in Loop: Header=BB343_4 Depth=1
	v_mov_b64_e32 v[0:1], v[20:21]
	s_and_saveexec_b32 s4, s41
	s_cbranch_execz .LBB343_2
	s_branch .LBB343_38
.LBB343_24:                             ;   in Loop: Header=BB343_4 Depth=1
	s_or_b32 exec_lo, exec_lo, s42
.LBB343_25:                             ;   in Loop: Header=BB343_4 Depth=1
	s_delay_alu instid0(SALU_CYCLE_1) | instskip(NEXT) | instid1(SALU_CYCLE_1)
	s_or_b32 exec_lo, exec_lo, s4
	s_and_not1_b32 vcc_lo, exec_lo, s39
	s_cbranch_vccnz .LBB343_31
; %bb.26:                               ;   in Loop: Header=BB343_4 Depth=1
	v_mov_b64_e32 v[12:13], 0
	v_mov_b64_e32 v[14:15], 0
	v_cmp_gt_i32_e32 vcc_lo, s5, v16
	s_and_saveexec_b32 s4, vcc_lo
	s_cbranch_execz .LBB343_28
; %bb.27:                               ;   in Loop: Header=BB343_4 Depth=1
	v_mul_u64_e32 v[12:13], s[28:29], v[16:17]
	s_delay_alu instid0(VALU_DEP_1)
	v_lshl_add_u64 v[12:13], v[12:13], 4, v[34:35]
	flat_load_b128 v[12:15], v[12:13]
.LBB343_28:                             ;   in Loop: Header=BB343_4 Depth=1
	s_wait_xcnt 0x0
	s_or_b32 exec_lo, exec_lo, s4
	s_and_saveexec_b32 s4, s1
	s_cbranch_execz .LBB343_30
; %bb.29:                               ;   in Loop: Header=BB343_4 Depth=1
	v_mul_u64_e32 v[34:35], s[30:31], v[16:17]
	s_delay_alu instid0(VALU_DEP_1) | instskip(NEXT) | instid1(VALU_DEP_1)
	v_dual_cndmask_b32 v35, 0, v35 :: v_dual_cndmask_b32 v34, 0, v34
	v_lshl_add_u64 v[32:33], v[34:35], 4, v[32:33]
	s_delay_alu instid0(VALU_DEP_1) | instskip(SKIP_4) | instid1(VALU_DEP_2)
	v_lshl_add_u64 v[32:33], v[24:25], 4, v[32:33]
	flat_load_b128 v[32:35], v[32:33]
	s_wait_loadcnt_dscnt 0x0
	v_mul_f64_e32 v[36:37], v[14:15], v[34:35]
	v_mul_f64_e32 v[34:35], v[12:13], v[34:35]
	v_fma_f64 v[12:13], v[12:13], v[32:33], -v[36:37]
	s_delay_alu instid0(VALU_DEP_2) | instskip(NEXT) | instid1(VALU_DEP_2)
	v_fmac_f64_e32 v[34:35], v[14:15], v[32:33]
	v_add_f64_e32 v[8:9], v[8:9], v[12:13]
	s_delay_alu instid0(VALU_DEP_2)
	v_add_f64_e32 v[10:11], v[10:11], v[34:35]
.LBB343_30:                             ;   in Loop: Header=BB343_4 Depth=1
	s_wait_xcnt 0x0
	s_or_b32 exec_lo, exec_lo, s4
.LBB343_31:                             ;   in Loop: Header=BB343_4 Depth=1
	ds_store_b128 v19, v[8:11]
	s_wait_loadcnt_dscnt 0x0
	s_barrier_signal -1
	s_barrier_wait -1
                                        ; implicit-def: $vgpr10_vgpr11
	s_and_saveexec_b32 s42, s0
	s_cbranch_execz .LBB343_37
; %bb.32:                               ;   in Loop: Header=BB343_4 Depth=1
	ds_load_b128 v[8:11], v19
	ds_load_b128 v[12:15], v19 offset:512
	s_mov_b32 s4, s41
	s_wait_dscnt 0x0
	v_add_f64_e32 v[32:33], v[8:9], v[12:13]
	v_add_f64_e32 v[34:35], v[10:11], v[14:15]
	ds_load_b128 v[8:11], v19 offset:1024
	ds_load_b128 v[12:15], v19 offset:1536
	s_wait_dscnt 0x1
	v_add_f64_e32 v[8:9], v[32:33], v[8:9]
	v_add_f64_e32 v[10:11], v[34:35], v[10:11]
	s_wait_dscnt 0x0
	s_delay_alu instid0(VALU_DEP_2) | instskip(NEXT) | instid1(VALU_DEP_2)
	v_add_f64_e32 v[32:33], v[8:9], v[12:13]
	v_add_f64_e32 v[34:35], v[10:11], v[14:15]
	ds_load_b128 v[8:11], v19 offset:2048
	ds_load_b128 v[12:15], v19 offset:2560
	s_wait_dscnt 0x1
	v_add_f64_e32 v[8:9], v[32:33], v[8:9]
	v_add_f64_e32 v[10:11], v[34:35], v[10:11]
	s_wait_dscnt 0x0
	s_delay_alu instid0(VALU_DEP_2) | instskip(NEXT) | instid1(VALU_DEP_2)
	;; [unrolled: 9-line block ×7, first 2 shown]
	v_add_f64_e32 v[12:13], v[8:9], v[12:13]
	v_add_f64_e32 v[14:15], v[10:11], v[14:15]
                                        ; implicit-def: $vgpr10_vgpr11
	ds_store_b128 v19, v[12:15]
	s_and_saveexec_b32 s43, s2
	s_cbranch_execz .LBB343_36
; %bb.33:                               ;   in Loop: Header=BB343_4 Depth=1
	v_mul_f64_e32 v[8:9], v[6:7], v[14:15]
	v_mul_f64_e32 v[10:11], v[4:5], v[14:15]
	v_cmp_neq_f64_e32 vcc_lo, 0, v[0:1]
	v_cmp_neq_f64_e64 s4, 0, v[2:3]
	s_delay_alu instid0(VALU_DEP_4) | instskip(NEXT) | instid1(VALU_DEP_4)
	v_fma_f64 v[8:9], v[4:5], v[12:13], -v[8:9]
	v_fmac_f64_e32 v[10:11], v[6:7], v[12:13]
	s_or_b32 s4, vcc_lo, s4
	s_delay_alu instid0(SALU_CYCLE_1)
	s_and_not1_b32 vcc_lo, exec_lo, s4
	s_cbranch_vccnz .LBB343_35
; %bb.34:                               ;   in Loop: Header=BB343_4 Depth=1
	v_lshl_add_u64 v[4:5], v[22:23], 4, v[30:31]
	flat_load_b128 v[4:7], v[4:5]
	s_wait_loadcnt_dscnt 0x0
	v_mul_f64_e32 v[12:13], v[2:3], v[6:7]
	v_mul_f64_e32 v[6:7], v[0:1], v[6:7]
	s_delay_alu instid0(VALU_DEP_2) | instskip(NEXT) | instid1(VALU_DEP_2)
	v_fma_f64 v[0:1], v[0:1], v[4:5], -v[12:13]
	v_fmac_f64_e32 v[6:7], v[2:3], v[4:5]
	s_delay_alu instid0(VALU_DEP_2) | instskip(NEXT) | instid1(VALU_DEP_2)
	v_add_f64_e32 v[8:9], v[8:9], v[0:1]
	v_add_f64_e32 v[10:11], v[10:11], v[6:7]
.LBB343_35:                             ;   in Loop: Header=BB343_4 Depth=1
	s_or_b32 s4, s41, exec_lo
.LBB343_36:                             ;   in Loop: Header=BB343_4 Depth=1
	s_wait_xcnt 0x0
	s_or_b32 exec_lo, exec_lo, s43
	s_delay_alu instid0(SALU_CYCLE_1) | instskip(SKIP_1) | instid1(SALU_CYCLE_1)
	s_and_not1_b32 s41, s41, exec_lo
	s_and_b32 s4, s4, exec_lo
	s_or_b32 s41, s41, s4
.LBB343_37:                             ;   in Loop: Header=BB343_4 Depth=1
	s_or_b32 exec_lo, exec_lo, s42
	v_mov_b64_e32 v[0:1], v[22:23]
	s_and_saveexec_b32 s4, s41
	s_cbranch_execz .LBB343_2
.LBB343_38:                             ;   in Loop: Header=BB343_4 Depth=1
	s_delay_alu instid0(VALU_DEP_1)
	v_lshl_add_u64 v[0:1], v[0:1], 4, v[30:31]
	flat_store_b128 v[0:1], v[8:11]
	s_branch .LBB343_2
.LBB343_39:
	s_endpgm
	.section	.rodata,"a",@progbits
	.p2align	6, 0x0
	.amdhsa_kernel _ZL20rocblas_gemvn_kernelILi32ELi16ElPK19rocblas_complex_numIdES3_KPS1_EviiT3_lPKT2_lT1_lS9_lSA_lS6_lPT4_lSA_li
		.amdhsa_group_segment_fixed_size 8192
		.amdhsa_private_segment_fixed_size 0
		.amdhsa_kernarg_size 400
		.amdhsa_user_sgpr_count 2
		.amdhsa_user_sgpr_dispatch_ptr 0
		.amdhsa_user_sgpr_queue_ptr 0
		.amdhsa_user_sgpr_kernarg_segment_ptr 1
		.amdhsa_user_sgpr_dispatch_id 0
		.amdhsa_user_sgpr_kernarg_preload_length 0
		.amdhsa_user_sgpr_kernarg_preload_offset 0
		.amdhsa_user_sgpr_private_segment_size 0
		.amdhsa_wavefront_size32 1
		.amdhsa_uses_dynamic_stack 0
		.amdhsa_enable_private_segment 0
		.amdhsa_system_sgpr_workgroup_id_x 1
		.amdhsa_system_sgpr_workgroup_id_y 0
		.amdhsa_system_sgpr_workgroup_id_z 1
		.amdhsa_system_sgpr_workgroup_info 0
		.amdhsa_system_vgpr_workitem_id 1
		.amdhsa_next_free_vgpr 46
		.amdhsa_next_free_sgpr 44
		.amdhsa_named_barrier_count 0
		.amdhsa_reserve_vcc 1
		.amdhsa_float_round_mode_32 0
		.amdhsa_float_round_mode_16_64 0
		.amdhsa_float_denorm_mode_32 3
		.amdhsa_float_denorm_mode_16_64 3
		.amdhsa_fp16_overflow 0
		.amdhsa_memory_ordered 1
		.amdhsa_forward_progress 1
		.amdhsa_inst_pref_size 15
		.amdhsa_round_robin_scheduling 0
		.amdhsa_exception_fp_ieee_invalid_op 0
		.amdhsa_exception_fp_denorm_src 0
		.amdhsa_exception_fp_ieee_div_zero 0
		.amdhsa_exception_fp_ieee_overflow 0
		.amdhsa_exception_fp_ieee_underflow 0
		.amdhsa_exception_fp_ieee_inexact 0
		.amdhsa_exception_int_div_zero 0
	.end_amdhsa_kernel
	.section	.text._ZL20rocblas_gemvn_kernelILi32ELi16ElPK19rocblas_complex_numIdES3_KPS1_EviiT3_lPKT2_lT1_lS9_lSA_lS6_lPT4_lSA_li,"axG",@progbits,_ZL20rocblas_gemvn_kernelILi32ELi16ElPK19rocblas_complex_numIdES3_KPS1_EviiT3_lPKT2_lT1_lS9_lSA_lS6_lPT4_lSA_li,comdat
.Lfunc_end343:
	.size	_ZL20rocblas_gemvn_kernelILi32ELi16ElPK19rocblas_complex_numIdES3_KPS1_EviiT3_lPKT2_lT1_lS9_lSA_lS6_lPT4_lSA_li, .Lfunc_end343-_ZL20rocblas_gemvn_kernelILi32ELi16ElPK19rocblas_complex_numIdES3_KPS1_EviiT3_lPKT2_lT1_lS9_lSA_lS6_lPT4_lSA_li
                                        ; -- End function
	.set _ZL20rocblas_gemvn_kernelILi32ELi16ElPK19rocblas_complex_numIdES3_KPS1_EviiT3_lPKT2_lT1_lS9_lSA_lS6_lPT4_lSA_li.num_vgpr, 46
	.set _ZL20rocblas_gemvn_kernelILi32ELi16ElPK19rocblas_complex_numIdES3_KPS1_EviiT3_lPKT2_lT1_lS9_lSA_lS6_lPT4_lSA_li.num_agpr, 0
	.set _ZL20rocblas_gemvn_kernelILi32ELi16ElPK19rocblas_complex_numIdES3_KPS1_EviiT3_lPKT2_lT1_lS9_lSA_lS6_lPT4_lSA_li.numbered_sgpr, 44
	.set _ZL20rocblas_gemvn_kernelILi32ELi16ElPK19rocblas_complex_numIdES3_KPS1_EviiT3_lPKT2_lT1_lS9_lSA_lS6_lPT4_lSA_li.num_named_barrier, 0
	.set _ZL20rocblas_gemvn_kernelILi32ELi16ElPK19rocblas_complex_numIdES3_KPS1_EviiT3_lPKT2_lT1_lS9_lSA_lS6_lPT4_lSA_li.private_seg_size, 0
	.set _ZL20rocblas_gemvn_kernelILi32ELi16ElPK19rocblas_complex_numIdES3_KPS1_EviiT3_lPKT2_lT1_lS9_lSA_lS6_lPT4_lSA_li.uses_vcc, 1
	.set _ZL20rocblas_gemvn_kernelILi32ELi16ElPK19rocblas_complex_numIdES3_KPS1_EviiT3_lPKT2_lT1_lS9_lSA_lS6_lPT4_lSA_li.uses_flat_scratch, 0
	.set _ZL20rocblas_gemvn_kernelILi32ELi16ElPK19rocblas_complex_numIdES3_KPS1_EviiT3_lPKT2_lT1_lS9_lSA_lS6_lPT4_lSA_li.has_dyn_sized_stack, 0
	.set _ZL20rocblas_gemvn_kernelILi32ELi16ElPK19rocblas_complex_numIdES3_KPS1_EviiT3_lPKT2_lT1_lS9_lSA_lS6_lPT4_lSA_li.has_recursion, 0
	.set _ZL20rocblas_gemvn_kernelILi32ELi16ElPK19rocblas_complex_numIdES3_KPS1_EviiT3_lPKT2_lT1_lS9_lSA_lS6_lPT4_lSA_li.has_indirect_call, 0
	.section	.AMDGPU.csdata,"",@progbits
; Kernel info:
; codeLenInByte = 1880
; TotalNumSgprs: 46
; NumVgprs: 46
; ScratchSize: 0
; MemoryBound: 1
; FloatMode: 240
; IeeeMode: 1
; LDSByteSize: 8192 bytes/workgroup (compile time only)
; SGPRBlocks: 0
; VGPRBlocks: 2
; NumSGPRsForWavesPerEU: 46
; NumVGPRsForWavesPerEU: 46
; NamedBarCnt: 0
; Occupancy: 16
; WaveLimiterHint : 1
; COMPUTE_PGM_RSRC2:SCRATCH_EN: 0
; COMPUTE_PGM_RSRC2:USER_SGPR: 2
; COMPUTE_PGM_RSRC2:TRAP_HANDLER: 0
; COMPUTE_PGM_RSRC2:TGID_X_EN: 1
; COMPUTE_PGM_RSRC2:TGID_Y_EN: 0
; COMPUTE_PGM_RSRC2:TGID_Z_EN: 1
; COMPUTE_PGM_RSRC2:TIDIG_COMP_CNT: 1
	.section	.text._ZL20rocblas_gemvn_kernelILi32ELi16EiPK19rocblas_complex_numIdES1_KPS1_EviiT3_lPKT2_lT1_lS9_lSA_lS6_lPT4_lSA_li,"axG",@progbits,_ZL20rocblas_gemvn_kernelILi32ELi16EiPK19rocblas_complex_numIdES1_KPS1_EviiT3_lPKT2_lT1_lS9_lSA_lS6_lPT4_lSA_li,comdat
	.globl	_ZL20rocblas_gemvn_kernelILi32ELi16EiPK19rocblas_complex_numIdES1_KPS1_EviiT3_lPKT2_lT1_lS9_lSA_lS6_lPT4_lSA_li ; -- Begin function _ZL20rocblas_gemvn_kernelILi32ELi16EiPK19rocblas_complex_numIdES1_KPS1_EviiT3_lPKT2_lT1_lS9_lSA_lS6_lPT4_lSA_li
	.p2align	8
	.type	_ZL20rocblas_gemvn_kernelILi32ELi16EiPK19rocblas_complex_numIdES1_KPS1_EviiT3_lPKT2_lT1_lS9_lSA_lS6_lPT4_lSA_li,@function
_ZL20rocblas_gemvn_kernelILi32ELi16EiPK19rocblas_complex_numIdES1_KPS1_EviiT3_lPKT2_lT1_lS9_lSA_lS6_lPT4_lSA_li: ; @_ZL20rocblas_gemvn_kernelILi32ELi16EiPK19rocblas_complex_numIdES1_KPS1_EviiT3_lPKT2_lT1_lS9_lSA_lS6_lPT4_lSA_li
; %bb.0:
	s_clause 0x1
	s_load_b64 s[4:5], s[0:1], 0xac
	s_load_b32 s28, s[0:1], 0x98
	s_bfe_u32 s2, ttmp6, 0x40014
	s_lshr_b32 s6, ttmp7, 16
	s_add_co_i32 s2, s2, 1
	s_bfe_u32 s3, ttmp6, 0x40008
	s_mul_i32 s7, s6, s2
	s_getreg_b32 s2, hwreg(HW_REG_IB_STS2, 6, 4)
	s_add_co_i32 s7, s3, s7
	s_mov_b32 s25, 0
	s_wait_kmcnt 0x0
	s_lshr_b32 s8, s4, 16
	s_and_b32 s3, s4, 0xffff
	s_and_b32 s4, s5, 0xffff
	s_mul_i32 s5, s8, s3
	s_cmp_eq_u32 s2, 0
	s_mul_i32 s5, s5, s4
	s_cselect_b32 s24, s6, s7
	s_cmp_lg_u32 s5, 0x200
	s_cselect_b32 s4, -1, 0
	s_cmp_ge_u32 s24, s28
	s_cselect_b32 s5, -1, 0
	s_delay_alu instid0(SALU_CYCLE_1) | instskip(NEXT) | instid1(SALU_CYCLE_1)
	s_or_b32 s4, s4, s5
	s_and_b32 vcc_lo, exec_lo, s4
	s_cbranch_vccnz .LBB344_41
; %bb.1:
	s_clause 0x2
	s_load_b128 s[4:7], s[0:1], 0x8
	s_load_b128 s[8:11], s[0:1], 0x60
	s_load_b32 s36, s[0:1], 0x88
	s_bfe_u32 s19, ttmp6, 0x4000c
	v_and_b32_e32 v1, 0x3ff, v0
	s_add_co_i32 s19, s19, 1
	v_bfe_u32 v0, v0, 10, 10
	s_and_b32 s20, ttmp6, 15
	s_mul_i32 s19, ttmp9, s19
	s_clause 0x1
	s_load_b64 s[26:27], s[0:1], 0x0
	s_load_b128 s[12:15], s[0:1], 0x78
	s_add_co_i32 s20, s20, s19
	v_mad_u32_u24 v0, v0, s3, v1
	s_delay_alu instid0(VALU_DEP_1)
	v_dual_lshlrev_b32 v22, 4, v0 :: v_dual_bitop2_b32 v2, 31, v0 bitop3:0x40
	s_wait_kmcnt 0x0
	v_cmp_neq_f64_e64 s16, s[4:5], 0
	v_cmp_neq_f64_e64 s18, s[6:7], 0
	v_cmp_neq_f64_e64 s17, s[8:9], 1.0
	v_cmp_neq_f64_e64 s34, s[10:11], 0
	s_ashr_i32 s37, s36, 31
	v_cmp_neq_f64_e64 s35, s[8:9], 0
	s_or_b32 s16, s16, s18
	s_or_b32 s29, s17, s34
	s_xor_b32 s30, s16, -1
	s_cmp_eq_u32 s2, 0
	v_cndmask_b32_e64 v20, 0, 1, s16
	s_cselect_b32 s2, ttmp9, s20
	s_clause 0x1
	s_load_b128 s[16:19], s[0:1], 0x20
	s_load_b32 s31, s[0:1], 0x30
	s_lshl_b32 s38, s2, 5
	s_delay_alu instid0(SALU_CYCLE_1)
	v_dual_mov_b32 v9, 0 :: v_dual_add_nc_u32 v8, s38, v0
	s_clause 0x1
	s_load_b128 s[20:23], s[0:1], 0x40
	s_load_b32 s33, s[0:1], 0x50
	s_mov_b32 s2, s26
	s_ashr_i32 s3, s26, 31
	v_or_b32_e32 v1, s38, v0
	v_mul_u64_e32 v[10:11], s[36:37], v[8:9]
	v_cmp_gt_i64_e32 vcc_lo, s[2:3], v[8:9]
	v_lshrrev_b32_e32 v8, 5, v0
	s_wait_xcnt 0x0
	s_ashr_i32 s0, s27, 31
	v_mul_lo_u32 v12, v1, s36
	s_lshr_b32 s0, s0, 28
	v_or_b32_e32 v21, s38, v2
	s_add_co_i32 s0, s27, s0
	s_or_b32 s34, s35, s34
	s_and_b32 s35, s0, -16
	v_cmp_gt_u32_e64 s2, 32, v0
	s_sub_co_i32 s1, s27, s35
	s_wait_kmcnt 0x0
	v_mul_lo_u32 v3, s31, v8
	v_cmp_gt_i32_e64 s0, s35, v8
	s_cmp_gt_i32 s1, 0
	v_cmp_gt_i32_e64 s3, s26, v1
	v_mul_lo_u32 v23, s33, v8
	v_ashrrev_i32_e32 v13, 31, v12
	v_cmp_gt_i32_e64 s1, s26, v21
	s_cselect_b32 s36, -1, 0
	s_and_b32 s26, s2, vcc_lo
	s_lshl_b32 s37, s33, 4
	s_lshl_b64 s[18:19], s[18:19], 4
	v_add3_u32 v24, v3, s38, v2
	s_lshl_b32 s38, s31, 4
	s_lshl_b64 s[22:23], s[22:23], 4
	s_lshl_b64 s[14:15], s[14:15], 4
	s_branch .LBB344_4
.LBB344_2:                              ;   in Loop: Header=BB344_4 Depth=1
	s_wait_xcnt 0x0
	s_or_b32 exec_lo, exec_lo, s40
.LBB344_3:                              ;   in Loop: Header=BB344_4 Depth=1
	s_add_co_i32 s24, s24, 0x10000
	s_delay_alu instid0(SALU_CYCLE_1)
	s_cmp_lt_u32 s24, s28
	s_cbranch_scc0 .LBB344_41
.LBB344_4:                              ; =>This Loop Header: Depth=1
                                        ;     Child Loop BB344_22 Depth 2
	s_and_not1_b32 vcc_lo, exec_lo, s30
	s_cbranch_vccnz .LBB344_7
; %bb.5:                                ;   in Loop: Header=BB344_4 Depth=1
	s_wait_xcnt 0x0
	s_mov_b32 s40, 0
	s_and_b32 vcc_lo, exec_lo, s29
	s_mov_b32 s39, 0
	s_cbranch_vccz .LBB344_8
; %bb.6:                                ;   in Loop: Header=BB344_4 Depth=1
	s_mov_b32 s39, -1
	s_branch .LBB344_8
.LBB344_7:                              ;   in Loop: Header=BB344_4 Depth=1
	s_mov_b32 s39, 0
	s_wait_xcnt 0x0
	s_mov_b32 s40, -1
.LBB344_8:                              ;   in Loop: Header=BB344_4 Depth=1
	v_mov_b64_e32 v[16:17], 0
	s_and_b32 vcc_lo, exec_lo, s40
	s_cbranch_vccnz .LBB344_10
; %bb.9:                                ;   in Loop: Header=BB344_4 Depth=1
	s_and_not1_b32 vcc_lo, exec_lo, s39
	s_cbranch_vccnz .LBB344_3
	s_branch .LBB344_11
.LBB344_10:                             ;   in Loop: Header=BB344_4 Depth=1
	s_lshl_b64 s[40:41], s[24:25], 3
	s_delay_alu instid0(SALU_CYCLE_1)
	s_add_nc_u64 s[40:41], s[16:17], s[40:41]
	global_load_b64 v[0:1], v9, s[40:41]
	s_wait_loadcnt 0x0
	v_add_nc_u64_e32 v[16:17], s[18:19], v[0:1]
.LBB344_11:                             ;   in Loop: Header=BB344_4 Depth=1
	v_cmp_ne_u32_e32 vcc_lo, 1, v20
	v_mov_b64_e32 v[18:19], 0
	s_cbranch_vccnz .LBB344_13
; %bb.12:                               ;   in Loop: Header=BB344_4 Depth=1
	s_wait_xcnt 0x0
	s_lshl_b64 s[40:41], s[24:25], 3
	s_delay_alu instid0(SALU_CYCLE_1)
	s_add_nc_u64 s[40:41], s[20:21], s[40:41]
	global_load_b64 v[0:1], v9, s[40:41]
	s_wait_loadcnt 0x0
	v_add_nc_u64_e32 v[18:19], s[22:23], v[0:1]
.LBB344_13:                             ;   in Loop: Header=BB344_4 Depth=1
	s_wait_xcnt 0x0
	s_lshl_b64 s[40:41], s[24:25], 3
	s_and_not1_b32 vcc_lo, exec_lo, s30
	s_add_nc_u64 s[40:41], s[12:13], s[40:41]
	global_load_b64 v[0:1], v9, s[40:41]
	s_wait_loadcnt 0x0
	v_add_nc_u64_e32 v[14:15], s[14:15], v[0:1]
	s_cbranch_vccnz .LBB344_18
; %bb.14:                               ;   in Loop: Header=BB344_4 Depth=1
	s_wait_xcnt 0x0
	s_mov_b32 s40, 0
	s_mov_b32 s39, 0
                                        ; implicit-def: $vgpr2_vgpr3
	s_and_saveexec_b32 s41, s26
	s_cbranch_execz .LBB344_24
; %bb.15:                               ;   in Loop: Header=BB344_4 Depth=1
	v_mov_b64_e32 v[2:3], 0
	v_mov_b64_e32 v[0:1], 0
	s_and_not1_b32 vcc_lo, exec_lo, s34
	s_cbranch_vccnz .LBB344_17
; %bb.16:                               ;   in Loop: Header=BB344_4 Depth=1
	v_lshl_add_u64 v[0:1], v[10:11], 4, v[14:15]
	flat_load_b128 v[4:7], v[0:1]
	s_wait_loadcnt_dscnt 0x0
	s_wait_xcnt 0x0
	v_mul_f64_e32 v[0:1], s[10:11], v[6:7]
	v_mul_f64_e32 v[2:3], s[8:9], v[6:7]
	s_delay_alu instid0(VALU_DEP_2) | instskip(NEXT) | instid1(VALU_DEP_2)
	v_fma_f64 v[0:1], s[8:9], v[4:5], -v[0:1]
	v_fmac_f64_e32 v[2:3], s[10:11], v[4:5]
.LBB344_17:                             ;   in Loop: Header=BB344_4 Depth=1
	s_mov_b32 s39, exec_lo
	s_or_b32 exec_lo, exec_lo, s41
	s_delay_alu instid0(SALU_CYCLE_1)
	s_and_b32 vcc_lo, exec_lo, s40
	s_cbranch_vccnz .LBB344_19
	s_branch .LBB344_25
.LBB344_18:                             ;   in Loop: Header=BB344_4 Depth=1
	s_wait_xcnt 0x0
	s_mov_b32 s39, 0
                                        ; implicit-def: $vgpr2_vgpr3
	s_cbranch_execz .LBB344_25
.LBB344_19:                             ;   in Loop: Header=BB344_4 Depth=1
	v_mov_b64_e32 v[2:3], 0
	v_mov_b64_e32 v[0:1], 0
	v_mov_b32_e32 v25, v8
	s_and_saveexec_b32 s40, s0
	s_cbranch_execz .LBB344_27
; %bb.20:                               ;   in Loop: Header=BB344_4 Depth=1
	v_mov_b64_e32 v[2:3], 0
	v_dual_mov_b32 v4, v24 :: v_dual_mov_b32 v5, v23
	v_mov_b32_e32 v25, v8
	s_mov_b32 s41, 0
	s_delay_alu instid0(VALU_DEP_3)
	v_mov_b64_e32 v[0:1], v[2:3]
	s_branch .LBB344_22
.LBB344_21:                             ;   in Loop: Header=BB344_22 Depth=2
	s_wait_xcnt 0x0
	s_or_b32 exec_lo, exec_lo, s42
	v_dual_add_nc_u32 v25, 16, v25 :: v_dual_add_nc_u32 v4, s38, v4
	v_add_nc_u32_e32 v5, s37, v5
	s_delay_alu instid0(VALU_DEP_2) | instskip(SKIP_1) | instid1(SALU_CYCLE_1)
	v_cmp_le_i32_e32 vcc_lo, s35, v25
	s_or_b32 s41, vcc_lo, s41
	s_and_not1_b32 exec_lo, exec_lo, s41
	s_cbranch_execz .LBB344_26
.LBB344_22:                             ;   Parent Loop BB344_4 Depth=1
                                        ; =>  This Inner Loop Header: Depth=2
	s_and_saveexec_b32 s42, s1
	s_cbranch_execz .LBB344_21
; %bb.23:                               ;   in Loop: Header=BB344_22 Depth=2
	v_readfirstlane_b32 s44, v18
	v_readfirstlane_b32 s45, v19
	;; [unrolled: 1-line block ×4, first 2 shown]
	flat_load_b128 v[26:29], v5, s[44:45] scale_offset
	flat_load_b128 v[30:33], v4, s[46:47] scale_offset
	s_wait_loadcnt_dscnt 0x0
	v_mul_f64_e32 v[6:7], v[28:29], v[32:33]
	v_mul_f64_e32 v[32:33], v[26:27], v[32:33]
	s_delay_alu instid0(VALU_DEP_2) | instskip(NEXT) | instid1(VALU_DEP_2)
	v_fma_f64 v[6:7], v[26:27], v[30:31], -v[6:7]
	v_fmac_f64_e32 v[32:33], v[28:29], v[30:31]
	s_delay_alu instid0(VALU_DEP_2) | instskip(NEXT) | instid1(VALU_DEP_2)
	v_add_f64_e32 v[0:1], v[0:1], v[6:7]
	v_add_f64_e32 v[2:3], v[2:3], v[32:33]
	s_branch .LBB344_21
.LBB344_24:                             ;   in Loop: Header=BB344_4 Depth=1
	s_or_b32 exec_lo, exec_lo, s41
	s_delay_alu instid0(SALU_CYCLE_1)
	s_and_b32 vcc_lo, exec_lo, s40
	s_cbranch_vccnz .LBB344_19
.LBB344_25:                             ;   in Loop: Header=BB344_4 Depth=1
	v_mov_b64_e32 v[4:5], v[10:11]
	s_and_saveexec_b32 s40, s39
	s_cbranch_execz .LBB344_2
	s_branch .LBB344_40
.LBB344_26:                             ;   in Loop: Header=BB344_4 Depth=1
	s_or_b32 exec_lo, exec_lo, s41
.LBB344_27:                             ;   in Loop: Header=BB344_4 Depth=1
	s_delay_alu instid0(SALU_CYCLE_1) | instskip(NEXT) | instid1(SALU_CYCLE_1)
	s_or_b32 exec_lo, exec_lo, s40
	s_and_not1_b32 vcc_lo, exec_lo, s36
	s_cbranch_vccnz .LBB344_33
; %bb.28:                               ;   in Loop: Header=BB344_4 Depth=1
	v_mov_b64_e32 v[4:5], 0
	v_mov_b64_e32 v[6:7], 0
	v_cmp_gt_i32_e32 vcc_lo, s27, v25
	s_and_saveexec_b32 s40, vcc_lo
	s_cbranch_execz .LBB344_30
; %bb.29:                               ;   in Loop: Header=BB344_4 Depth=1
	v_mul_lo_u32 v4, v25, s33
	v_readfirstlane_b32 s42, v18
	v_readfirstlane_b32 s43, v19
	flat_load_b128 v[4:7], v4, s[42:43] scale_offset
.LBB344_30:                             ;   in Loop: Header=BB344_4 Depth=1
	s_wait_xcnt 0x0
	s_or_b32 exec_lo, exec_lo, s40
	s_and_saveexec_b32 s40, s1
	s_cbranch_execz .LBB344_32
; %bb.31:                               ;   in Loop: Header=BB344_4 Depth=1
	v_mul_lo_u32 v18, v25, s31
	v_readfirstlane_b32 s42, v16
	v_readfirstlane_b32 s43, v17
	s_delay_alu instid0(VALU_DEP_3) | instskip(NEXT) | instid1(VALU_DEP_1)
	v_cndmask_b32_e32 v18, 0, v18, vcc_lo
	v_add_nc_u32_e32 v16, v18, v21
	flat_load_b128 v[16:19], v16, s[42:43] scale_offset
	s_wait_loadcnt_dscnt 0x0
	v_mul_f64_e32 v[26:27], v[6:7], v[18:19]
	v_mul_f64_e32 v[18:19], v[4:5], v[18:19]
	s_delay_alu instid0(VALU_DEP_2) | instskip(NEXT) | instid1(VALU_DEP_2)
	v_fma_f64 v[4:5], v[4:5], v[16:17], -v[26:27]
	v_fmac_f64_e32 v[18:19], v[6:7], v[16:17]
	s_delay_alu instid0(VALU_DEP_2) | instskip(NEXT) | instid1(VALU_DEP_2)
	v_add_f64_e32 v[0:1], v[0:1], v[4:5]
	v_add_f64_e32 v[2:3], v[2:3], v[18:19]
.LBB344_32:                             ;   in Loop: Header=BB344_4 Depth=1
	s_wait_xcnt 0x0
	s_or_b32 exec_lo, exec_lo, s40
.LBB344_33:                             ;   in Loop: Header=BB344_4 Depth=1
	ds_store_b128 v22, v[0:3]
	s_wait_loadcnt_dscnt 0x0
	s_barrier_signal -1
	s_barrier_wait -1
                                        ; implicit-def: $vgpr2_vgpr3
	s_and_saveexec_b32 s40, s2
	s_cbranch_execz .LBB344_39
; %bb.34:                               ;   in Loop: Header=BB344_4 Depth=1
	ds_load_b128 v[0:3], v22
	ds_load_b128 v[4:7], v22 offset:512
	s_mov_b32 s42, s39
	s_wait_dscnt 0x0
	v_add_f64_e32 v[16:17], v[0:1], v[4:5]
	v_add_f64_e32 v[18:19], v[2:3], v[6:7]
	ds_load_b128 v[0:3], v22 offset:1024
	ds_load_b128 v[4:7], v22 offset:1536
	s_wait_dscnt 0x1
	v_add_f64_e32 v[0:1], v[16:17], v[0:1]
	v_add_f64_e32 v[2:3], v[18:19], v[2:3]
	s_wait_dscnt 0x0
	s_delay_alu instid0(VALU_DEP_2) | instskip(NEXT) | instid1(VALU_DEP_2)
	v_add_f64_e32 v[16:17], v[0:1], v[4:5]
	v_add_f64_e32 v[18:19], v[2:3], v[6:7]
	ds_load_b128 v[0:3], v22 offset:2048
	ds_load_b128 v[4:7], v22 offset:2560
	s_wait_dscnt 0x1
	v_add_f64_e32 v[0:1], v[16:17], v[0:1]
	v_add_f64_e32 v[2:3], v[18:19], v[2:3]
	s_wait_dscnt 0x0
	s_delay_alu instid0(VALU_DEP_2) | instskip(NEXT) | instid1(VALU_DEP_2)
	;; [unrolled: 9-line block ×7, first 2 shown]
	v_add_f64_e32 v[4:5], v[0:1], v[4:5]
	v_add_f64_e32 v[6:7], v[2:3], v[6:7]
                                        ; implicit-def: $vgpr2_vgpr3
	ds_store_b128 v22, v[4:7]
	s_and_saveexec_b32 s41, s3
	s_cbranch_execz .LBB344_38
; %bb.35:                               ;   in Loop: Header=BB344_4 Depth=1
	v_mul_f64_e32 v[0:1], s[6:7], v[6:7]
	v_mul_f64_e32 v[2:3], s[4:5], v[6:7]
	s_and_not1_b32 vcc_lo, exec_lo, s34
	s_delay_alu instid0(VALU_DEP_2) | instskip(NEXT) | instid1(VALU_DEP_2)
	v_fma_f64 v[0:1], s[4:5], v[4:5], -v[0:1]
	v_fmac_f64_e32 v[2:3], s[6:7], v[4:5]
	s_cbranch_vccnz .LBB344_37
; %bb.36:                               ;   in Loop: Header=BB344_4 Depth=1
	v_lshl_add_u64 v[4:5], v[12:13], 4, v[14:15]
	flat_load_b128 v[4:7], v[4:5]
	s_wait_loadcnt_dscnt 0x0
	v_mul_f64_e32 v[16:17], s[10:11], v[6:7]
	v_mul_f64_e32 v[6:7], s[8:9], v[6:7]
	s_delay_alu instid0(VALU_DEP_2) | instskip(NEXT) | instid1(VALU_DEP_2)
	v_fma_f64 v[16:17], s[8:9], v[4:5], -v[16:17]
	v_fmac_f64_e32 v[6:7], s[10:11], v[4:5]
	s_delay_alu instid0(VALU_DEP_2) | instskip(NEXT) | instid1(VALU_DEP_2)
	v_add_f64_e32 v[0:1], v[0:1], v[16:17]
	v_add_f64_e32 v[2:3], v[2:3], v[6:7]
.LBB344_37:                             ;   in Loop: Header=BB344_4 Depth=1
	s_or_b32 s42, s39, exec_lo
.LBB344_38:                             ;   in Loop: Header=BB344_4 Depth=1
	s_wait_xcnt 0x0
	s_or_b32 exec_lo, exec_lo, s41
	s_delay_alu instid0(SALU_CYCLE_1) | instskip(SKIP_1) | instid1(SALU_CYCLE_1)
	s_and_not1_b32 s39, s39, exec_lo
	s_and_b32 s41, s42, exec_lo
	s_or_b32 s39, s39, s41
.LBB344_39:                             ;   in Loop: Header=BB344_4 Depth=1
	s_or_b32 exec_lo, exec_lo, s40
	v_mov_b64_e32 v[4:5], v[12:13]
	s_and_saveexec_b32 s40, s39
	s_cbranch_execz .LBB344_2
.LBB344_40:                             ;   in Loop: Header=BB344_4 Depth=1
	s_delay_alu instid0(VALU_DEP_1)
	v_lshl_add_u64 v[4:5], v[4:5], 4, v[14:15]
	flat_store_b128 v[4:5], v[0:3]
	s_branch .LBB344_2
.LBB344_41:
	s_endpgm
	.section	.rodata,"a",@progbits
	.p2align	6, 0x0
	.amdhsa_kernel _ZL20rocblas_gemvn_kernelILi32ELi16EiPK19rocblas_complex_numIdES1_KPS1_EviiT3_lPKT2_lT1_lS9_lSA_lS6_lPT4_lSA_li
		.amdhsa_group_segment_fixed_size 8192
		.amdhsa_private_segment_fixed_size 0
		.amdhsa_kernarg_size 416
		.amdhsa_user_sgpr_count 2
		.amdhsa_user_sgpr_dispatch_ptr 0
		.amdhsa_user_sgpr_queue_ptr 0
		.amdhsa_user_sgpr_kernarg_segment_ptr 1
		.amdhsa_user_sgpr_dispatch_id 0
		.amdhsa_user_sgpr_kernarg_preload_length 0
		.amdhsa_user_sgpr_kernarg_preload_offset 0
		.amdhsa_user_sgpr_private_segment_size 0
		.amdhsa_wavefront_size32 1
		.amdhsa_uses_dynamic_stack 0
		.amdhsa_enable_private_segment 0
		.amdhsa_system_sgpr_workgroup_id_x 1
		.amdhsa_system_sgpr_workgroup_id_y 0
		.amdhsa_system_sgpr_workgroup_id_z 1
		.amdhsa_system_sgpr_workgroup_info 0
		.amdhsa_system_vgpr_workitem_id 1
		.amdhsa_next_free_vgpr 34
		.amdhsa_next_free_sgpr 48
		.amdhsa_named_barrier_count 0
		.amdhsa_reserve_vcc 1
		.amdhsa_float_round_mode_32 0
		.amdhsa_float_round_mode_16_64 0
		.amdhsa_float_denorm_mode_32 3
		.amdhsa_float_denorm_mode_16_64 3
		.amdhsa_fp16_overflow 0
		.amdhsa_memory_ordered 1
		.amdhsa_forward_progress 1
		.amdhsa_inst_pref_size 15
		.amdhsa_round_robin_scheduling 0
		.amdhsa_exception_fp_ieee_invalid_op 0
		.amdhsa_exception_fp_denorm_src 0
		.amdhsa_exception_fp_ieee_div_zero 0
		.amdhsa_exception_fp_ieee_overflow 0
		.amdhsa_exception_fp_ieee_underflow 0
		.amdhsa_exception_fp_ieee_inexact 0
		.amdhsa_exception_int_div_zero 0
	.end_amdhsa_kernel
	.section	.text._ZL20rocblas_gemvn_kernelILi32ELi16EiPK19rocblas_complex_numIdES1_KPS1_EviiT3_lPKT2_lT1_lS9_lSA_lS6_lPT4_lSA_li,"axG",@progbits,_ZL20rocblas_gemvn_kernelILi32ELi16EiPK19rocblas_complex_numIdES1_KPS1_EviiT3_lPKT2_lT1_lS9_lSA_lS6_lPT4_lSA_li,comdat
.Lfunc_end344:
	.size	_ZL20rocblas_gemvn_kernelILi32ELi16EiPK19rocblas_complex_numIdES1_KPS1_EviiT3_lPKT2_lT1_lS9_lSA_lS6_lPT4_lSA_li, .Lfunc_end344-_ZL20rocblas_gemvn_kernelILi32ELi16EiPK19rocblas_complex_numIdES1_KPS1_EviiT3_lPKT2_lT1_lS9_lSA_lS6_lPT4_lSA_li
                                        ; -- End function
	.set _ZL20rocblas_gemvn_kernelILi32ELi16EiPK19rocblas_complex_numIdES1_KPS1_EviiT3_lPKT2_lT1_lS9_lSA_lS6_lPT4_lSA_li.num_vgpr, 34
	.set _ZL20rocblas_gemvn_kernelILi32ELi16EiPK19rocblas_complex_numIdES1_KPS1_EviiT3_lPKT2_lT1_lS9_lSA_lS6_lPT4_lSA_li.num_agpr, 0
	.set _ZL20rocblas_gemvn_kernelILi32ELi16EiPK19rocblas_complex_numIdES1_KPS1_EviiT3_lPKT2_lT1_lS9_lSA_lS6_lPT4_lSA_li.numbered_sgpr, 48
	.set _ZL20rocblas_gemvn_kernelILi32ELi16EiPK19rocblas_complex_numIdES1_KPS1_EviiT3_lPKT2_lT1_lS9_lSA_lS6_lPT4_lSA_li.num_named_barrier, 0
	.set _ZL20rocblas_gemvn_kernelILi32ELi16EiPK19rocblas_complex_numIdES1_KPS1_EviiT3_lPKT2_lT1_lS9_lSA_lS6_lPT4_lSA_li.private_seg_size, 0
	.set _ZL20rocblas_gemvn_kernelILi32ELi16EiPK19rocblas_complex_numIdES1_KPS1_EviiT3_lPKT2_lT1_lS9_lSA_lS6_lPT4_lSA_li.uses_vcc, 1
	.set _ZL20rocblas_gemvn_kernelILi32ELi16EiPK19rocblas_complex_numIdES1_KPS1_EviiT3_lPKT2_lT1_lS9_lSA_lS6_lPT4_lSA_li.uses_flat_scratch, 0
	.set _ZL20rocblas_gemvn_kernelILi32ELi16EiPK19rocblas_complex_numIdES1_KPS1_EviiT3_lPKT2_lT1_lS9_lSA_lS6_lPT4_lSA_li.has_dyn_sized_stack, 0
	.set _ZL20rocblas_gemvn_kernelILi32ELi16EiPK19rocblas_complex_numIdES1_KPS1_EviiT3_lPKT2_lT1_lS9_lSA_lS6_lPT4_lSA_li.has_recursion, 0
	.set _ZL20rocblas_gemvn_kernelILi32ELi16EiPK19rocblas_complex_numIdES1_KPS1_EviiT3_lPKT2_lT1_lS9_lSA_lS6_lPT4_lSA_li.has_indirect_call, 0
	.section	.AMDGPU.csdata,"",@progbits
; Kernel info:
; codeLenInByte = 1832
; TotalNumSgprs: 50
; NumVgprs: 34
; ScratchSize: 0
; MemoryBound: 1
; FloatMode: 240
; IeeeMode: 1
; LDSByteSize: 8192 bytes/workgroup (compile time only)
; SGPRBlocks: 0
; VGPRBlocks: 2
; NumSGPRsForWavesPerEU: 50
; NumVGPRsForWavesPerEU: 34
; NamedBarCnt: 0
; Occupancy: 16
; WaveLimiterHint : 1
; COMPUTE_PGM_RSRC2:SCRATCH_EN: 0
; COMPUTE_PGM_RSRC2:USER_SGPR: 2
; COMPUTE_PGM_RSRC2:TRAP_HANDLER: 0
; COMPUTE_PGM_RSRC2:TGID_X_EN: 1
; COMPUTE_PGM_RSRC2:TGID_Y_EN: 0
; COMPUTE_PGM_RSRC2:TGID_Z_EN: 1
; COMPUTE_PGM_RSRC2:TIDIG_COMP_CNT: 1
	.section	.text._ZL20rocblas_gemvn_kernelILi32ELi16ElPK19rocblas_complex_numIdES1_KPS1_EviiT3_lPKT2_lT1_lS9_lSA_lS6_lPT4_lSA_li,"axG",@progbits,_ZL20rocblas_gemvn_kernelILi32ELi16ElPK19rocblas_complex_numIdES1_KPS1_EviiT3_lPKT2_lT1_lS9_lSA_lS6_lPT4_lSA_li,comdat
	.globl	_ZL20rocblas_gemvn_kernelILi32ELi16ElPK19rocblas_complex_numIdES1_KPS1_EviiT3_lPKT2_lT1_lS9_lSA_lS6_lPT4_lSA_li ; -- Begin function _ZL20rocblas_gemvn_kernelILi32ELi16ElPK19rocblas_complex_numIdES1_KPS1_EviiT3_lPKT2_lT1_lS9_lSA_lS6_lPT4_lSA_li
	.p2align	8
	.type	_ZL20rocblas_gemvn_kernelILi32ELi16ElPK19rocblas_complex_numIdES1_KPS1_EviiT3_lPKT2_lT1_lS9_lSA_lS6_lPT4_lSA_li,@function
_ZL20rocblas_gemvn_kernelILi32ELi16ElPK19rocblas_complex_numIdES1_KPS1_EviiT3_lPKT2_lT1_lS9_lSA_lS6_lPT4_lSA_li: ; @_ZL20rocblas_gemvn_kernelILi32ELi16ElPK19rocblas_complex_numIdES1_KPS1_EviiT3_lPKT2_lT1_lS9_lSA_lS6_lPT4_lSA_li
; %bb.0:
	s_clause 0x1
	s_load_b64 s[4:5], s[0:1], 0xac
	s_load_b32 s33, s[0:1], 0x98
	s_bfe_u32 s2, ttmp6, 0x40014
	s_lshr_b32 s6, ttmp7, 16
	s_add_co_i32 s2, s2, 1
	s_bfe_u32 s3, ttmp6, 0x40008
	s_mul_i32 s7, s6, s2
	s_getreg_b32 s2, hwreg(HW_REG_IB_STS2, 6, 4)
	s_add_co_i32 s7, s3, s7
	s_mov_b32 s25, 0
	s_wait_kmcnt 0x0
	s_lshr_b32 s8, s4, 16
	s_and_b32 s3, s4, 0xffff
	s_and_b32 s4, s5, 0xffff
	s_mul_i32 s5, s8, s3
	s_cmp_eq_u32 s2, 0
	s_mul_i32 s5, s5, s4
	s_cselect_b32 s24, s6, s7
	s_cmp_lg_u32 s5, 0x200
	s_cselect_b32 s4, -1, 0
	s_cmp_ge_u32 s24, s33
	s_cselect_b32 s5, -1, 0
	s_delay_alu instid0(SALU_CYCLE_1) | instskip(NEXT) | instid1(SALU_CYCLE_1)
	s_or_b32 s4, s4, s5
	s_and_b32 vcc_lo, exec_lo, s4
	s_cbranch_vccnz .LBB345_41
; %bb.1:
	s_clause 0x6
	s_load_b128 s[4:7], s[0:1], 0x8
	s_load_b128 s[8:11], s[0:1], 0x60
	s_load_b64 s[26:27], s[0:1], 0x0
	s_load_b64 s[28:29], s[0:1], 0x50
	;; [unrolled: 1-line block ×3, first 2 shown]
	s_load_b128 s[12:15], s[0:1], 0x40
	s_load_b64 s[34:35], s[0:1], 0x88
	v_and_b32_e32 v1, 0x3ff, v0
	v_bfe_u32 v0, v0, 10, 10
	s_bfe_u32 s19, ttmp6, 0x4000c
	s_and_b32 s20, ttmp6, 15
	s_add_co_i32 s19, s19, 1
	s_delay_alu instid0(VALU_DEP_1) | instskip(SKIP_3) | instid1(VALU_DEP_2)
	v_mad_u32_u24 v20, v0, s3, v1
	s_mul_i32 s3, ttmp9, s19
	v_mov_b32_e32 v9, 0
	s_add_co_i32 s20, s20, s3
	v_lshrrev_b32_e32 v10, 5, v20
	s_wait_kmcnt 0x0
	v_cmp_neq_f64_e64 s16, s[4:5], 0
	v_cmp_neq_f64_e64 s18, s[6:7], 0
	v_cmp_neq_f64_e64 s17, s[8:9], 1.0
	v_cmp_neq_f64_e64 s36, s[10:11], 0
	v_cmp_neq_f64_e64 s3, s[8:9], 0
	s_or_b32 s16, s16, s18
	s_or_b32 s38, s17, s36
	s_xor_b32 s39, s16, -1
	s_cmp_eq_u32 s2, 0
	v_cndmask_b32_e64 v28, 0, 1, s16
	s_cselect_b32 s2, ttmp9, s20
	s_clause 0x1
	s_load_b128 s[16:19], s[0:1], 0x20
	s_load_b128 s[20:23], s[0:1], 0x78
	s_lshl_b32 s2, s2, 5
	s_delay_alu instid0(SALU_CYCLE_1) | instskip(SKIP_3) | instid1(VALU_DEP_3)
	v_dual_mov_b32 v11, v9 :: v_dual_bitop2_b32 v4, s2, v20 bitop3:0x54
	v_add_nc_u32_e32 v8, s2, v20
	v_and_or_b32 v16, v20, 31, s2
	s_ashr_i32 s2, s27, 31
	v_mul_u64_e32 v[0:1], s[28:29], v[10:11]
	v_mul_u64_e32 v[2:3], s[30:31], v[10:11]
	v_lshlrev_b32_e32 v11, 4, v20
	v_mul_u64_e32 v[12:13], s[34:35], v[8:9]
	v_ashrrev_i32_e32 v17, 31, v16
	s_wait_xcnt 0x0
	s_ashr_i32 s1, s26, 31
	s_mov_b32 s0, s26
	s_lshr_b32 s2, s2, 28
	v_cmp_gt_i64_e32 vcc_lo, s[0:1], v[8:9]
	v_lshlrev_b64_e32 v[6:7], 4, v[16:17]
	s_add_co_i32 s0, s27, s2
	s_or_b32 s41, s3, s36
	s_and_b32 s40, s0, -16
	v_cmp_gt_i32_e64 s1, s26, v16
	s_sub_co_i32 s2, s27, s40
	v_cmp_gt_i32_e64 s0, s40, v10
	s_cmp_gt_i32 s2, 0
	v_cmp_gt_u32_e64 s2, 32, v20
	v_cmp_gt_i32_e64 s3, s26, v4
	s_cselect_b32 s42, -1, 0
	s_lshl_b64 s[36:37], s[30:31], 8
	s_wait_kmcnt 0x0
	s_lshl_b64 s[18:19], s[18:19], 4
	s_and_b32 s26, s2, vcc_lo
	s_lshl_b64 s[14:15], s[14:15], 4
	s_lshl_b64 s[22:23], s[22:23], 4
	v_lshlrev_b64_e32 v[18:19], 4, v[0:1]
	v_ashrrev_i32_e32 v5, 31, v4
	v_lshl_add_u64 v[20:21], v[2:3], 4, v[6:7]
	s_delay_alu instid0(VALU_DEP_1) | instskip(NEXT) | instid1(VALU_DEP_4)
	v_or_b32_e32 v20, 8, v20
	v_or_b32_e32 v18, 8, v18
	s_delay_alu instid0(VALU_DEP_4)
	v_mul_u64_e32 v[14:15], s[34:35], v[4:5]
	s_lshl_b64 s[34:35], s[28:29], 8
	s_branch .LBB345_4
.LBB345_2:                              ;   in Loop: Header=BB345_4 Depth=1
	s_wait_xcnt 0x0
	s_or_b32 exec_lo, exec_lo, s44
.LBB345_3:                              ;   in Loop: Header=BB345_4 Depth=1
	s_add_co_i32 s24, s24, 0x10000
	s_delay_alu instid0(SALU_CYCLE_1)
	s_cmp_lt_u32 s24, s33
	s_cbranch_scc0 .LBB345_41
.LBB345_4:                              ; =>This Loop Header: Depth=1
                                        ;     Child Loop BB345_22 Depth 2
	s_and_not1_b32 vcc_lo, exec_lo, s39
	s_cbranch_vccnz .LBB345_7
; %bb.5:                                ;   in Loop: Header=BB345_4 Depth=1
	s_wait_xcnt 0x0
	s_mov_b32 s44, 0
	s_and_b32 vcc_lo, exec_lo, s38
	s_mov_b32 s43, 0
	s_cbranch_vccz .LBB345_8
; %bb.6:                                ;   in Loop: Header=BB345_4 Depth=1
	s_mov_b32 s43, -1
	s_branch .LBB345_8
.LBB345_7:                              ;   in Loop: Header=BB345_4 Depth=1
	s_mov_b32 s43, 0
	s_wait_xcnt 0x0
	s_mov_b32 s44, -1
.LBB345_8:                              ;   in Loop: Header=BB345_4 Depth=1
	v_mov_b64_e32 v[24:25], 0
	s_and_b32 vcc_lo, exec_lo, s44
	s_cbranch_vccnz .LBB345_10
; %bb.9:                                ;   in Loop: Header=BB345_4 Depth=1
	s_and_not1_b32 vcc_lo, exec_lo, s43
	s_cbranch_vccnz .LBB345_3
	s_branch .LBB345_11
.LBB345_10:                             ;   in Loop: Header=BB345_4 Depth=1
	s_lshl_b64 s[44:45], s[24:25], 3
	s_delay_alu instid0(SALU_CYCLE_1)
	s_add_nc_u64 s[44:45], s[16:17], s[44:45]
	global_load_b64 v[0:1], v9, s[44:45]
	s_wait_loadcnt 0x0
	v_add_nc_u64_e32 v[24:25], s[18:19], v[0:1]
.LBB345_11:                             ;   in Loop: Header=BB345_4 Depth=1
	v_cmp_ne_u32_e32 vcc_lo, 1, v28
	v_mov_b64_e32 v[26:27], 0
	s_cbranch_vccnz .LBB345_13
; %bb.12:                               ;   in Loop: Header=BB345_4 Depth=1
	s_wait_xcnt 0x0
	s_lshl_b64 s[44:45], s[24:25], 3
	s_delay_alu instid0(SALU_CYCLE_1)
	s_add_nc_u64 s[44:45], s[12:13], s[44:45]
	global_load_b64 v[0:1], v9, s[44:45]
	s_wait_loadcnt 0x0
	v_add_nc_u64_e32 v[26:27], s[14:15], v[0:1]
.LBB345_13:                             ;   in Loop: Header=BB345_4 Depth=1
	s_wait_xcnt 0x0
	s_lshl_b64 s[44:45], s[24:25], 3
	s_and_not1_b32 vcc_lo, exec_lo, s39
	s_add_nc_u64 s[44:45], s[20:21], s[44:45]
	global_load_b64 v[0:1], v9, s[44:45]
	s_wait_loadcnt 0x0
	v_add_nc_u64_e32 v[22:23], s[22:23], v[0:1]
	s_cbranch_vccnz .LBB345_18
; %bb.14:                               ;   in Loop: Header=BB345_4 Depth=1
	s_wait_xcnt 0x0
	s_mov_b32 s44, 0
	s_mov_b32 s43, 0
                                        ; implicit-def: $vgpr2_vgpr3
	s_and_saveexec_b32 s45, s26
	s_cbranch_execz .LBB345_24
; %bb.15:                               ;   in Loop: Header=BB345_4 Depth=1
	v_mov_b64_e32 v[2:3], 0
	v_mov_b64_e32 v[0:1], 0
	s_and_not1_b32 vcc_lo, exec_lo, s41
	s_cbranch_vccnz .LBB345_17
; %bb.16:                               ;   in Loop: Header=BB345_4 Depth=1
	v_lshl_add_u64 v[0:1], v[12:13], 4, v[22:23]
	flat_load_b128 v[4:7], v[0:1]
	s_wait_loadcnt_dscnt 0x0
	s_wait_xcnt 0x0
	v_mul_f64_e32 v[0:1], s[10:11], v[6:7]
	v_mul_f64_e32 v[2:3], s[8:9], v[6:7]
	s_delay_alu instid0(VALU_DEP_2) | instskip(NEXT) | instid1(VALU_DEP_2)
	v_fma_f64 v[0:1], s[8:9], v[4:5], -v[0:1]
	v_fmac_f64_e32 v[2:3], s[10:11], v[4:5]
.LBB345_17:                             ;   in Loop: Header=BB345_4 Depth=1
	s_mov_b32 s43, exec_lo
	s_or_b32 exec_lo, exec_lo, s45
	s_delay_alu instid0(SALU_CYCLE_1)
	s_and_b32 vcc_lo, exec_lo, s44
	s_cbranch_vccnz .LBB345_19
	s_branch .LBB345_25
.LBB345_18:                             ;   in Loop: Header=BB345_4 Depth=1
	s_wait_xcnt 0x0
	s_mov_b32 s43, 0
                                        ; implicit-def: $vgpr2_vgpr3
	s_cbranch_execz .LBB345_25
.LBB345_19:                             ;   in Loop: Header=BB345_4 Depth=1
	v_mov_b64_e32 v[2:3], 0
	v_mov_b64_e32 v[0:1], 0
	v_mov_b32_e32 v8, v10
	s_and_saveexec_b32 s44, s0
	s_cbranch_execz .LBB345_27
; %bb.20:                               ;   in Loop: Header=BB345_4 Depth=1
	v_mov_b64_e32 v[2:3], 0
	v_add_nc_u64_e32 v[4:5], v[26:27], v[18:19]
	v_add_nc_u64_e32 v[6:7], v[24:25], v[20:21]
	v_mov_b32_e32 v8, v10
	s_mov_b32 s45, 0
	s_delay_alu instid0(VALU_DEP_4)
	v_mov_b64_e32 v[0:1], v[2:3]
	s_branch .LBB345_22
.LBB345_21:                             ;   in Loop: Header=BB345_22 Depth=2
	s_wait_xcnt 0x0
	s_or_b32 exec_lo, exec_lo, s46
	v_add_nc_u32_e32 v8, 16, v8
	v_add_nc_u64_e32 v[4:5], s[34:35], v[4:5]
	v_add_nc_u64_e32 v[6:7], s[36:37], v[6:7]
	s_delay_alu instid0(VALU_DEP_3) | instskip(SKIP_1) | instid1(SALU_CYCLE_1)
	v_cmp_le_i32_e32 vcc_lo, s40, v8
	s_or_b32 s45, vcc_lo, s45
	s_and_not1_b32 exec_lo, exec_lo, s45
	s_cbranch_execz .LBB345_26
.LBB345_22:                             ;   Parent Loop BB345_4 Depth=1
                                        ; =>  This Inner Loop Header: Depth=2
	s_and_saveexec_b32 s46, s1
	s_cbranch_execz .LBB345_21
; %bb.23:                               ;   in Loop: Header=BB345_22 Depth=2
	flat_load_b128 v[30:33], v[4:5] offset:-8
	flat_load_b128 v[34:37], v[6:7] offset:-8
	s_wait_loadcnt_dscnt 0x0
	v_mul_f64_e32 v[38:39], v[32:33], v[36:37]
	v_mul_f64_e32 v[36:37], v[30:31], v[36:37]
	s_delay_alu instid0(VALU_DEP_2) | instskip(NEXT) | instid1(VALU_DEP_2)
	v_fma_f64 v[30:31], v[30:31], v[34:35], -v[38:39]
	v_fmac_f64_e32 v[36:37], v[32:33], v[34:35]
	s_delay_alu instid0(VALU_DEP_2) | instskip(NEXT) | instid1(VALU_DEP_2)
	v_add_f64_e32 v[0:1], v[0:1], v[30:31]
	v_add_f64_e32 v[2:3], v[2:3], v[36:37]
	s_branch .LBB345_21
.LBB345_24:                             ;   in Loop: Header=BB345_4 Depth=1
	s_or_b32 exec_lo, exec_lo, s45
	s_delay_alu instid0(SALU_CYCLE_1)
	s_and_b32 vcc_lo, exec_lo, s44
	s_cbranch_vccnz .LBB345_19
.LBB345_25:                             ;   in Loop: Header=BB345_4 Depth=1
	v_mov_b64_e32 v[4:5], v[12:13]
	s_and_saveexec_b32 s44, s43
	s_cbranch_execz .LBB345_2
	s_branch .LBB345_40
.LBB345_26:                             ;   in Loop: Header=BB345_4 Depth=1
	s_or_b32 exec_lo, exec_lo, s45
.LBB345_27:                             ;   in Loop: Header=BB345_4 Depth=1
	s_delay_alu instid0(SALU_CYCLE_1) | instskip(NEXT) | instid1(SALU_CYCLE_1)
	s_or_b32 exec_lo, exec_lo, s44
	s_and_not1_b32 vcc_lo, exec_lo, s42
	s_cbranch_vccnz .LBB345_33
; %bb.28:                               ;   in Loop: Header=BB345_4 Depth=1
	v_mov_b64_e32 v[4:5], 0
	v_mov_b64_e32 v[6:7], 0
	v_cmp_gt_i32_e32 vcc_lo, s27, v8
	s_and_saveexec_b32 s44, vcc_lo
	s_cbranch_execz .LBB345_30
; %bb.29:                               ;   in Loop: Header=BB345_4 Depth=1
	v_mul_u64_e32 v[4:5], s[28:29], v[8:9]
	s_delay_alu instid0(VALU_DEP_1)
	v_lshl_add_u64 v[4:5], v[4:5], 4, v[26:27]
	flat_load_b128 v[4:7], v[4:5]
.LBB345_30:                             ;   in Loop: Header=BB345_4 Depth=1
	s_wait_xcnt 0x0
	s_or_b32 exec_lo, exec_lo, s44
	s_and_saveexec_b32 s44, s1
	s_cbranch_execz .LBB345_32
; %bb.31:                               ;   in Loop: Header=BB345_4 Depth=1
	v_mul_u64_e32 v[26:27], s[30:31], v[8:9]
	s_delay_alu instid0(VALU_DEP_1) | instskip(NEXT) | instid1(VALU_DEP_1)
	v_dual_cndmask_b32 v27, 0, v27 :: v_dual_cndmask_b32 v26, 0, v26
	v_lshl_add_u64 v[24:25], v[26:27], 4, v[24:25]
	s_delay_alu instid0(VALU_DEP_1) | instskip(SKIP_4) | instid1(VALU_DEP_2)
	v_lshl_add_u64 v[24:25], v[16:17], 4, v[24:25]
	flat_load_b128 v[24:27], v[24:25]
	s_wait_loadcnt_dscnt 0x0
	v_mul_f64_e32 v[30:31], v[6:7], v[26:27]
	v_mul_f64_e32 v[26:27], v[4:5], v[26:27]
	v_fma_f64 v[4:5], v[4:5], v[24:25], -v[30:31]
	s_delay_alu instid0(VALU_DEP_2) | instskip(NEXT) | instid1(VALU_DEP_2)
	v_fmac_f64_e32 v[26:27], v[6:7], v[24:25]
	v_add_f64_e32 v[0:1], v[0:1], v[4:5]
	s_delay_alu instid0(VALU_DEP_2)
	v_add_f64_e32 v[2:3], v[2:3], v[26:27]
.LBB345_32:                             ;   in Loop: Header=BB345_4 Depth=1
	s_wait_xcnt 0x0
	s_or_b32 exec_lo, exec_lo, s44
.LBB345_33:                             ;   in Loop: Header=BB345_4 Depth=1
	ds_store_b128 v11, v[0:3]
	s_wait_loadcnt_dscnt 0x0
	s_barrier_signal -1
	s_barrier_wait -1
                                        ; implicit-def: $vgpr2_vgpr3
	s_and_saveexec_b32 s44, s2
	s_cbranch_execz .LBB345_39
; %bb.34:                               ;   in Loop: Header=BB345_4 Depth=1
	ds_load_b128 v[0:3], v11
	ds_load_b128 v[4:7], v11 offset:512
	s_mov_b32 s46, s43
	s_wait_dscnt 0x0
	v_add_f64_e32 v[24:25], v[0:1], v[4:5]
	v_add_f64_e32 v[26:27], v[2:3], v[6:7]
	ds_load_b128 v[0:3], v11 offset:1024
	ds_load_b128 v[4:7], v11 offset:1536
	s_wait_dscnt 0x1
	v_add_f64_e32 v[0:1], v[24:25], v[0:1]
	v_add_f64_e32 v[2:3], v[26:27], v[2:3]
	s_wait_dscnt 0x0
	s_delay_alu instid0(VALU_DEP_2) | instskip(NEXT) | instid1(VALU_DEP_2)
	v_add_f64_e32 v[24:25], v[0:1], v[4:5]
	v_add_f64_e32 v[26:27], v[2:3], v[6:7]
	ds_load_b128 v[0:3], v11 offset:2048
	ds_load_b128 v[4:7], v11 offset:2560
	s_wait_dscnt 0x1
	v_add_f64_e32 v[0:1], v[24:25], v[0:1]
	v_add_f64_e32 v[2:3], v[26:27], v[2:3]
	s_wait_dscnt 0x0
	s_delay_alu instid0(VALU_DEP_2) | instskip(NEXT) | instid1(VALU_DEP_2)
	;; [unrolled: 9-line block ×7, first 2 shown]
	v_add_f64_e32 v[4:5], v[0:1], v[4:5]
	v_add_f64_e32 v[6:7], v[2:3], v[6:7]
                                        ; implicit-def: $vgpr2_vgpr3
	ds_store_b128 v11, v[4:7]
	s_and_saveexec_b32 s45, s3
	s_cbranch_execz .LBB345_38
; %bb.35:                               ;   in Loop: Header=BB345_4 Depth=1
	v_mul_f64_e32 v[0:1], s[6:7], v[6:7]
	v_mul_f64_e32 v[2:3], s[4:5], v[6:7]
	s_and_not1_b32 vcc_lo, exec_lo, s41
	s_delay_alu instid0(VALU_DEP_2) | instskip(NEXT) | instid1(VALU_DEP_2)
	v_fma_f64 v[0:1], s[4:5], v[4:5], -v[0:1]
	v_fmac_f64_e32 v[2:3], s[6:7], v[4:5]
	s_cbranch_vccnz .LBB345_37
; %bb.36:                               ;   in Loop: Header=BB345_4 Depth=1
	v_lshl_add_u64 v[4:5], v[14:15], 4, v[22:23]
	flat_load_b128 v[4:7], v[4:5]
	s_wait_loadcnt_dscnt 0x0
	v_mul_f64_e32 v[24:25], s[10:11], v[6:7]
	v_mul_f64_e32 v[6:7], s[8:9], v[6:7]
	s_delay_alu instid0(VALU_DEP_2) | instskip(NEXT) | instid1(VALU_DEP_2)
	v_fma_f64 v[24:25], s[8:9], v[4:5], -v[24:25]
	v_fmac_f64_e32 v[6:7], s[10:11], v[4:5]
	s_delay_alu instid0(VALU_DEP_2) | instskip(NEXT) | instid1(VALU_DEP_2)
	v_add_f64_e32 v[0:1], v[0:1], v[24:25]
	v_add_f64_e32 v[2:3], v[2:3], v[6:7]
.LBB345_37:                             ;   in Loop: Header=BB345_4 Depth=1
	s_or_b32 s46, s43, exec_lo
.LBB345_38:                             ;   in Loop: Header=BB345_4 Depth=1
	s_wait_xcnt 0x0
	s_or_b32 exec_lo, exec_lo, s45
	s_delay_alu instid0(SALU_CYCLE_1) | instskip(SKIP_1) | instid1(SALU_CYCLE_1)
	s_and_not1_b32 s43, s43, exec_lo
	s_and_b32 s45, s46, exec_lo
	s_or_b32 s43, s43, s45
.LBB345_39:                             ;   in Loop: Header=BB345_4 Depth=1
	s_or_b32 exec_lo, exec_lo, s44
	v_mov_b64_e32 v[4:5], v[14:15]
	s_and_saveexec_b32 s44, s43
	s_cbranch_execz .LBB345_2
.LBB345_40:                             ;   in Loop: Header=BB345_4 Depth=1
	s_delay_alu instid0(VALU_DEP_1)
	v_lshl_add_u64 v[4:5], v[4:5], 4, v[22:23]
	flat_store_b128 v[4:5], v[0:3]
	s_branch .LBB345_2
.LBB345_41:
	s_endpgm
	.section	.rodata,"a",@progbits
	.p2align	6, 0x0
	.amdhsa_kernel _ZL20rocblas_gemvn_kernelILi32ELi16ElPK19rocblas_complex_numIdES1_KPS1_EviiT3_lPKT2_lT1_lS9_lSA_lS6_lPT4_lSA_li
		.amdhsa_group_segment_fixed_size 8192
		.amdhsa_private_segment_fixed_size 0
		.amdhsa_kernarg_size 416
		.amdhsa_user_sgpr_count 2
		.amdhsa_user_sgpr_dispatch_ptr 0
		.amdhsa_user_sgpr_queue_ptr 0
		.amdhsa_user_sgpr_kernarg_segment_ptr 1
		.amdhsa_user_sgpr_dispatch_id 0
		.amdhsa_user_sgpr_kernarg_preload_length 0
		.amdhsa_user_sgpr_kernarg_preload_offset 0
		.amdhsa_user_sgpr_private_segment_size 0
		.amdhsa_wavefront_size32 1
		.amdhsa_uses_dynamic_stack 0
		.amdhsa_enable_private_segment 0
		.amdhsa_system_sgpr_workgroup_id_x 1
		.amdhsa_system_sgpr_workgroup_id_y 0
		.amdhsa_system_sgpr_workgroup_id_z 1
		.amdhsa_system_sgpr_workgroup_info 0
		.amdhsa_system_vgpr_workitem_id 1
		.amdhsa_next_free_vgpr 40
		.amdhsa_next_free_sgpr 47
		.amdhsa_named_barrier_count 0
		.amdhsa_reserve_vcc 1
		.amdhsa_float_round_mode_32 0
		.amdhsa_float_round_mode_16_64 0
		.amdhsa_float_denorm_mode_32 3
		.amdhsa_float_denorm_mode_16_64 3
		.amdhsa_fp16_overflow 0
		.amdhsa_memory_ordered 1
		.amdhsa_forward_progress 1
		.amdhsa_inst_pref_size 15
		.amdhsa_round_robin_scheduling 0
		.amdhsa_exception_fp_ieee_invalid_op 0
		.amdhsa_exception_fp_denorm_src 0
		.amdhsa_exception_fp_ieee_div_zero 0
		.amdhsa_exception_fp_ieee_overflow 0
		.amdhsa_exception_fp_ieee_underflow 0
		.amdhsa_exception_fp_ieee_inexact 0
		.amdhsa_exception_int_div_zero 0
	.end_amdhsa_kernel
	.section	.text._ZL20rocblas_gemvn_kernelILi32ELi16ElPK19rocblas_complex_numIdES1_KPS1_EviiT3_lPKT2_lT1_lS9_lSA_lS6_lPT4_lSA_li,"axG",@progbits,_ZL20rocblas_gemvn_kernelILi32ELi16ElPK19rocblas_complex_numIdES1_KPS1_EviiT3_lPKT2_lT1_lS9_lSA_lS6_lPT4_lSA_li,comdat
.Lfunc_end345:
	.size	_ZL20rocblas_gemvn_kernelILi32ELi16ElPK19rocblas_complex_numIdES1_KPS1_EviiT3_lPKT2_lT1_lS9_lSA_lS6_lPT4_lSA_li, .Lfunc_end345-_ZL20rocblas_gemvn_kernelILi32ELi16ElPK19rocblas_complex_numIdES1_KPS1_EviiT3_lPKT2_lT1_lS9_lSA_lS6_lPT4_lSA_li
                                        ; -- End function
	.set _ZL20rocblas_gemvn_kernelILi32ELi16ElPK19rocblas_complex_numIdES1_KPS1_EviiT3_lPKT2_lT1_lS9_lSA_lS6_lPT4_lSA_li.num_vgpr, 40
	.set _ZL20rocblas_gemvn_kernelILi32ELi16ElPK19rocblas_complex_numIdES1_KPS1_EviiT3_lPKT2_lT1_lS9_lSA_lS6_lPT4_lSA_li.num_agpr, 0
	.set _ZL20rocblas_gemvn_kernelILi32ELi16ElPK19rocblas_complex_numIdES1_KPS1_EviiT3_lPKT2_lT1_lS9_lSA_lS6_lPT4_lSA_li.numbered_sgpr, 47
	.set _ZL20rocblas_gemvn_kernelILi32ELi16ElPK19rocblas_complex_numIdES1_KPS1_EviiT3_lPKT2_lT1_lS9_lSA_lS6_lPT4_lSA_li.num_named_barrier, 0
	.set _ZL20rocblas_gemvn_kernelILi32ELi16ElPK19rocblas_complex_numIdES1_KPS1_EviiT3_lPKT2_lT1_lS9_lSA_lS6_lPT4_lSA_li.private_seg_size, 0
	.set _ZL20rocblas_gemvn_kernelILi32ELi16ElPK19rocblas_complex_numIdES1_KPS1_EviiT3_lPKT2_lT1_lS9_lSA_lS6_lPT4_lSA_li.uses_vcc, 1
	.set _ZL20rocblas_gemvn_kernelILi32ELi16ElPK19rocblas_complex_numIdES1_KPS1_EviiT3_lPKT2_lT1_lS9_lSA_lS6_lPT4_lSA_li.uses_flat_scratch, 0
	.set _ZL20rocblas_gemvn_kernelILi32ELi16ElPK19rocblas_complex_numIdES1_KPS1_EviiT3_lPKT2_lT1_lS9_lSA_lS6_lPT4_lSA_li.has_dyn_sized_stack, 0
	.set _ZL20rocblas_gemvn_kernelILi32ELi16ElPK19rocblas_complex_numIdES1_KPS1_EviiT3_lPKT2_lT1_lS9_lSA_lS6_lPT4_lSA_li.has_recursion, 0
	.set _ZL20rocblas_gemvn_kernelILi32ELi16ElPK19rocblas_complex_numIdES1_KPS1_EviiT3_lPKT2_lT1_lS9_lSA_lS6_lPT4_lSA_li.has_indirect_call, 0
	.section	.AMDGPU.csdata,"",@progbits
; Kernel info:
; codeLenInByte = 1828
; TotalNumSgprs: 49
; NumVgprs: 40
; ScratchSize: 0
; MemoryBound: 1
; FloatMode: 240
; IeeeMode: 1
; LDSByteSize: 8192 bytes/workgroup (compile time only)
; SGPRBlocks: 0
; VGPRBlocks: 2
; NumSGPRsForWavesPerEU: 49
; NumVGPRsForWavesPerEU: 40
; NamedBarCnt: 0
; Occupancy: 16
; WaveLimiterHint : 1
; COMPUTE_PGM_RSRC2:SCRATCH_EN: 0
; COMPUTE_PGM_RSRC2:USER_SGPR: 2
; COMPUTE_PGM_RSRC2:TRAP_HANDLER: 0
; COMPUTE_PGM_RSRC2:TGID_X_EN: 1
; COMPUTE_PGM_RSRC2:TGID_Y_EN: 0
; COMPUTE_PGM_RSRC2:TGID_Z_EN: 1
; COMPUTE_PGM_RSRC2:TIDIG_COMP_CNT: 1
	.section	.text._ZL20rocblas_gemvn_kernelILi64ELi16EiPK19rocblas_complex_numIdES3_KPS1_EviiT3_lPKT2_lT1_lS9_lSA_lS6_lPT4_lSA_li,"axG",@progbits,_ZL20rocblas_gemvn_kernelILi64ELi16EiPK19rocblas_complex_numIdES3_KPS1_EviiT3_lPKT2_lT1_lS9_lSA_lS6_lPT4_lSA_li,comdat
	.globl	_ZL20rocblas_gemvn_kernelILi64ELi16EiPK19rocblas_complex_numIdES3_KPS1_EviiT3_lPKT2_lT1_lS9_lSA_lS6_lPT4_lSA_li ; -- Begin function _ZL20rocblas_gemvn_kernelILi64ELi16EiPK19rocblas_complex_numIdES3_KPS1_EviiT3_lPKT2_lT1_lS9_lSA_lS6_lPT4_lSA_li
	.p2align	8
	.type	_ZL20rocblas_gemvn_kernelILi64ELi16EiPK19rocblas_complex_numIdES3_KPS1_EviiT3_lPKT2_lT1_lS9_lSA_lS6_lPT4_lSA_li,@function
_ZL20rocblas_gemvn_kernelILi64ELi16EiPK19rocblas_complex_numIdES3_KPS1_EviiT3_lPKT2_lT1_lS9_lSA_lS6_lPT4_lSA_li: ; @_ZL20rocblas_gemvn_kernelILi64ELi16EiPK19rocblas_complex_numIdES3_KPS1_EviiT3_lPKT2_lT1_lS9_lSA_lS6_lPT4_lSA_li
; %bb.0:
	s_clause 0x1
	s_load_b64 s[4:5], s[0:1], 0x9c
	s_load_b32 s28, s[0:1], 0x88
	s_bfe_u32 s2, ttmp6, 0x40014
	s_lshr_b32 s6, ttmp7, 16
	s_add_co_i32 s2, s2, 1
	s_bfe_u32 s3, ttmp6, 0x40008
	s_mul_i32 s7, s6, s2
	s_getreg_b32 s2, hwreg(HW_REG_IB_STS2, 6, 4)
	s_add_co_i32 s7, s3, s7
	s_wait_kmcnt 0x0
	s_lshr_b32 s8, s4, 16
	s_and_b32 s3, s4, 0xffff
	s_and_b32 s4, s5, 0xffff
	s_mul_i32 s5, s8, s3
	s_cmp_eq_u32 s2, 0
	s_mul_i32 s5, s5, s4
	s_cselect_b32 s6, s6, s7
	s_cmp_lg_u32 s5, 0x400
	s_mov_b32 s7, 0
	s_cselect_b32 s4, -1, 0
	s_cmp_ge_u32 s6, s28
	s_cselect_b32 s5, -1, 0
	s_delay_alu instid0(SALU_CYCLE_1) | instskip(NEXT) | instid1(SALU_CYCLE_1)
	s_or_b32 s4, s4, s5
	s_and_b32 vcc_lo, exec_lo, s4
	s_cbranch_vccnz .LBB346_39
; %bb.1:
	s_clause 0x1
	s_load_b32 s34, s[0:1], 0x78
	s_load_b64 s[4:5], s[0:1], 0x0
	s_bfe_u32 s8, ttmp6, 0x4000c
	v_and_b32_e32 v1, 0x3ff, v0
	s_add_co_i32 s8, s8, 1
	v_bfe_u32 v0, v0, 10, 10
	s_and_b32 s9, ttmp6, 15
	s_mul_i32 s8, ttmp9, s8
	s_load_b32 s29, s[0:1], 0x28
	s_add_co_i32 s9, s9, s8
	v_mad_u32_u24 v0, v0, s3, v1
	s_clause 0x2
	s_load_b128 s[24:27], s[0:1], 0x38
	s_load_b32 s30, s[0:1], 0x48
	s_load_b256 s[16:23], s[0:1], 0x58
	v_dual_mov_b32 v17, 0 :: v_dual_bitop2_b32 v1, 63, v0 bitop3:0x40
	v_lshlrev_b32_e32 v29, 4, v0
	s_wait_kmcnt 0x0
	s_ashr_i32 s35, s34, 31
	s_cmp_eq_u32 s2, 0
	s_cselect_b32 s2, ttmp9, s9
	s_ashr_i32 s3, s4, 31
	s_lshl_b32 s36, s2, 6
	s_mov_b32 s2, s4
	v_add_nc_u32_e32 v16, s36, v0
	s_load_b256 s[8:15], s[0:1], 0x8
	v_or_b32_e32 v2, s36, v0
	s_wait_xcnt 0x0
	s_ashr_i32 s0, s5, 31
	s_delay_alu instid0(SALU_CYCLE_1)
	s_lshr_b32 s0, s0, 28
	v_mul_u64_e32 v[18:19], s[34:35], v[16:17]
	v_cmp_gt_i64_e32 vcc_lo, s[2:3], v[16:17]
	v_lshrrev_b32_e32 v16, 6, v0
	v_mul_lo_u32 v20, v2, s34
	s_add_co_i32 s0, s5, s0
	v_or_b32_e32 v28, s36, v1
	s_and_b32 s31, s0, -16
	v_mul_lo_u32 v3, s29, v16
	v_mul_lo_u32 v30, s30, v16
	s_sub_co_i32 s1, s5, s31
	v_cmp_gt_u32_e64 s2, 64, v0
	v_cmp_gt_i32_e64 s0, s31, v16
	s_cmp_gt_i32 s1, 0
	v_cmp_gt_i32_e64 s3, s4, v2
	v_ashrrev_i32_e32 v21, 31, v20
	v_cmp_gt_i32_e64 s1, s4, v28
	s_cselect_b32 s33, -1, 0
	s_and_b32 s34, s2, vcc_lo
	v_add3_u32 v31, v3, s36, v1
	s_lshl_b32 s35, s30, 4
	s_lshl_b32 s36, s29, 4
	s_wait_kmcnt 0x0
	s_lshl_b64 s[14:15], s[14:15], 4
	s_lshl_b64 s[26:27], s[26:27], 4
	;; [unrolled: 1-line block ×3, first 2 shown]
	s_branch .LBB346_4
.LBB346_2:                              ;   in Loop: Header=BB346_4 Depth=1
	s_wait_xcnt 0x0
	s_or_b32 exec_lo, exec_lo, s4
.LBB346_3:                              ;   in Loop: Header=BB346_4 Depth=1
	s_add_co_i32 s6, s6, 0x10000
	s_delay_alu instid0(SALU_CYCLE_1)
	s_cmp_lt_u32 s6, s28
	s_cbranch_scc0 .LBB346_39
.LBB346_4:                              ; =>This Loop Header: Depth=1
                                        ;     Child Loop BB346_20 Depth 2
	s_wait_xcnt 0x0
	s_mul_u64 s[38:39], s[10:11], s[6:7]
	s_delay_alu instid0(SALU_CYCLE_1) | instskip(NEXT) | instid1(SALU_CYCLE_1)
	s_lshl_b64 s[38:39], s[38:39], 4
	s_add_nc_u64 s[38:39], s[8:9], s[38:39]
	global_load_b128 v[4:7], v17, s[38:39]
	s_wait_xcnt 0x0
	s_mul_u64 s[38:39], s[18:19], s[6:7]
	s_delay_alu instid0(SALU_CYCLE_1) | instskip(NEXT) | instid1(SALU_CYCLE_1)
	s_lshl_b64 s[38:39], s[38:39], 4
	s_add_nc_u64 s[38:39], s[16:17], s[38:39]
	s_wait_loadcnt 0x1
	global_load_b128 v[0:3], v17, s[38:39]
	s_wait_xcnt 0x0
	s_mov_b32 s38, -1
	s_wait_loadcnt 0x1
	v_cmp_neq_f64_e32 vcc_lo, 0, v[4:5]
	v_cmp_neq_f64_e64 s4, 0, v[6:7]
	s_or_b32 s37, vcc_lo, s4
	s_mov_b32 s4, 0
	s_and_b32 vcc_lo, exec_lo, s37
	s_cbranch_vccz .LBB346_7
; %bb.5:                                ;   in Loop: Header=BB346_4 Depth=1
	v_mov_b64_e32 v[24:25], 0
	s_and_not1_b32 vcc_lo, exec_lo, s38
	s_cbranch_vccz .LBB346_8
.LBB346_6:                              ;   in Loop: Header=BB346_4 Depth=1
	s_and_not1_b32 vcc_lo, exec_lo, s4
	s_cbranch_vccnz .LBB346_3
	s_branch .LBB346_9
.LBB346_7:                              ;   in Loop: Header=BB346_4 Depth=1
	s_wait_loadcnt 0x0
	v_cmp_neq_f64_e32 vcc_lo, 1.0, v[0:1]
	v_cmp_neq_f64_e64 s4, 0, v[2:3]
	s_or_b32 s4, vcc_lo, s4
	v_mov_b64_e32 v[24:25], 0
	s_cbranch_execnz .LBB346_6
.LBB346_8:                              ;   in Loop: Header=BB346_4 Depth=1
	s_lshl_b64 s[38:39], s[6:7], 3
	s_delay_alu instid0(SALU_CYCLE_1)
	s_add_nc_u64 s[38:39], s[12:13], s[38:39]
	global_load_b64 v[8:9], v17, s[38:39]
	s_wait_loadcnt 0x0
	v_add_nc_u64_e32 v[24:25], s[14:15], v[8:9]
.LBB346_9:                              ;   in Loop: Header=BB346_4 Depth=1
	v_mov_b64_e32 v[26:27], 0
	s_and_not1_b32 vcc_lo, exec_lo, s37
	s_cbranch_vccnz .LBB346_11
; %bb.10:                               ;   in Loop: Header=BB346_4 Depth=1
	s_wait_xcnt 0x0
	s_lshl_b64 s[38:39], s[6:7], 3
	s_delay_alu instid0(SALU_CYCLE_1)
	s_add_nc_u64 s[38:39], s[24:25], s[38:39]
	global_load_b64 v[8:9], v17, s[38:39]
	s_wait_loadcnt 0x0
	v_add_nc_u64_e32 v[26:27], s[26:27], v[8:9]
.LBB346_11:                             ;   in Loop: Header=BB346_4 Depth=1
	s_wait_xcnt 0x0
	s_lshl_b64 s[38:39], s[6:7], 3
	s_xor_b32 s4, s37, -1
	s_add_nc_u64 s[38:39], s[20:21], s[38:39]
	s_and_not1_b32 vcc_lo, exec_lo, s4
	global_load_b64 v[8:9], v17, s[38:39]
	s_wait_loadcnt 0x0
	v_add_nc_u64_e32 v[22:23], s[22:23], v[8:9]
	s_cbranch_vccnz .LBB346_16
; %bb.12:                               ;   in Loop: Header=BB346_4 Depth=1
	s_wait_xcnt 0x0
	s_mov_b32 s38, 0
	s_mov_b32 s37, 0
                                        ; implicit-def: $vgpr10_vgpr11
	s_and_saveexec_b32 s39, s34
	s_cbranch_execz .LBB346_22
; %bb.13:                               ;   in Loop: Header=BB346_4 Depth=1
	v_cmp_neq_f64_e32 vcc_lo, 0, v[0:1]
	v_cmp_neq_f64_e64 s4, 0, v[2:3]
	v_mov_b64_e32 v[10:11], 0
	v_mov_b64_e32 v[8:9], 0
	s_or_b32 s4, vcc_lo, s4
	s_delay_alu instid0(SALU_CYCLE_1)
	s_and_not1_b32 vcc_lo, exec_lo, s4
	s_cbranch_vccnz .LBB346_15
; %bb.14:                               ;   in Loop: Header=BB346_4 Depth=1
	v_lshl_add_u64 v[8:9], v[18:19], 4, v[22:23]
	flat_load_b128 v[12:15], v[8:9]
	s_wait_loadcnt_dscnt 0x0
	s_wait_xcnt 0x0
	v_mul_f64_e32 v[8:9], v[2:3], v[14:15]
	v_mul_f64_e32 v[10:11], v[0:1], v[14:15]
	s_delay_alu instid0(VALU_DEP_2) | instskip(NEXT) | instid1(VALU_DEP_2)
	v_fma_f64 v[8:9], v[0:1], v[12:13], -v[8:9]
	v_fmac_f64_e32 v[10:11], v[2:3], v[12:13]
.LBB346_15:                             ;   in Loop: Header=BB346_4 Depth=1
	s_mov_b32 s37, exec_lo
	s_or_b32 exec_lo, exec_lo, s39
	s_delay_alu instid0(SALU_CYCLE_1)
	s_and_b32 vcc_lo, exec_lo, s38
	s_cbranch_vccnz .LBB346_17
	s_branch .LBB346_23
.LBB346_16:                             ;   in Loop: Header=BB346_4 Depth=1
	s_wait_xcnt 0x0
	s_mov_b32 s37, 0
                                        ; implicit-def: $vgpr10_vgpr11
	s_cbranch_execz .LBB346_23
.LBB346_17:                             ;   in Loop: Header=BB346_4 Depth=1
	v_mov_b64_e32 v[10:11], 0
	v_mov_b64_e32 v[8:9], 0
	v_mov_b32_e32 v32, v16
	s_and_saveexec_b32 s4, s0
	s_cbranch_execz .LBB346_25
; %bb.18:                               ;   in Loop: Header=BB346_4 Depth=1
	v_mov_b64_e32 v[10:11], 0
	v_dual_mov_b32 v12, v31 :: v_dual_mov_b32 v13, v30
	v_mov_b32_e32 v32, v16
	s_mov_b32 s38, 0
	s_delay_alu instid0(VALU_DEP_3)
	v_mov_b64_e32 v[8:9], v[10:11]
	s_branch .LBB346_20
.LBB346_19:                             ;   in Loop: Header=BB346_20 Depth=2
	s_wait_xcnt 0x0
	s_or_b32 exec_lo, exec_lo, s39
	v_dual_add_nc_u32 v32, 16, v32 :: v_dual_add_nc_u32 v13, s35, v13
	v_add_nc_u32_e32 v12, s36, v12
	s_delay_alu instid0(VALU_DEP_2) | instskip(SKIP_1) | instid1(SALU_CYCLE_1)
	v_cmp_le_i32_e32 vcc_lo, s31, v32
	s_or_b32 s38, vcc_lo, s38
	s_and_not1_b32 exec_lo, exec_lo, s38
	s_cbranch_execz .LBB346_24
.LBB346_20:                             ;   Parent Loop BB346_4 Depth=1
                                        ; =>  This Inner Loop Header: Depth=2
	s_and_saveexec_b32 s39, s1
	s_cbranch_execz .LBB346_19
; %bb.21:                               ;   in Loop: Header=BB346_20 Depth=2
	v_readfirstlane_b32 s40, v26
	v_readfirstlane_b32 s41, v27
	;; [unrolled: 1-line block ×4, first 2 shown]
	flat_load_b128 v[34:37], v13, s[40:41] scale_offset
	flat_load_b128 v[38:41], v12, s[42:43] scale_offset
	s_wait_loadcnt_dscnt 0x0
	v_mul_f64_e32 v[14:15], v[36:37], v[40:41]
	v_mul_f64_e32 v[40:41], v[34:35], v[40:41]
	s_delay_alu instid0(VALU_DEP_2) | instskip(NEXT) | instid1(VALU_DEP_2)
	v_fma_f64 v[14:15], v[34:35], v[38:39], -v[14:15]
	v_fmac_f64_e32 v[40:41], v[36:37], v[38:39]
	s_delay_alu instid0(VALU_DEP_2) | instskip(NEXT) | instid1(VALU_DEP_2)
	v_add_f64_e32 v[8:9], v[8:9], v[14:15]
	v_add_f64_e32 v[10:11], v[10:11], v[40:41]
	s_branch .LBB346_19
.LBB346_22:                             ;   in Loop: Header=BB346_4 Depth=1
	s_or_b32 exec_lo, exec_lo, s39
	s_delay_alu instid0(SALU_CYCLE_1)
	s_and_b32 vcc_lo, exec_lo, s38
	s_cbranch_vccnz .LBB346_17
.LBB346_23:                             ;   in Loop: Header=BB346_4 Depth=1
	v_mov_b64_e32 v[0:1], v[18:19]
	s_and_saveexec_b32 s4, s37
	s_cbranch_execz .LBB346_2
	s_branch .LBB346_38
.LBB346_24:                             ;   in Loop: Header=BB346_4 Depth=1
	s_or_b32 exec_lo, exec_lo, s38
.LBB346_25:                             ;   in Loop: Header=BB346_4 Depth=1
	s_delay_alu instid0(SALU_CYCLE_1) | instskip(NEXT) | instid1(SALU_CYCLE_1)
	s_or_b32 exec_lo, exec_lo, s4
	s_and_not1_b32 vcc_lo, exec_lo, s33
	s_cbranch_vccnz .LBB346_31
; %bb.26:                               ;   in Loop: Header=BB346_4 Depth=1
	v_mov_b64_e32 v[12:13], 0
	v_mov_b64_e32 v[14:15], 0
	v_cmp_gt_i32_e32 vcc_lo, s5, v32
	s_and_saveexec_b32 s4, vcc_lo
	s_cbranch_execz .LBB346_28
; %bb.27:                               ;   in Loop: Header=BB346_4 Depth=1
	v_mul_lo_u32 v12, v32, s30
	v_readfirstlane_b32 s38, v26
	v_readfirstlane_b32 s39, v27
	flat_load_b128 v[12:15], v12, s[38:39] scale_offset
.LBB346_28:                             ;   in Loop: Header=BB346_4 Depth=1
	s_wait_xcnt 0x0
	s_or_b32 exec_lo, exec_lo, s4
	s_and_saveexec_b32 s4, s1
	s_cbranch_execz .LBB346_30
; %bb.29:                               ;   in Loop: Header=BB346_4 Depth=1
	v_mul_lo_u32 v26, v32, s29
	v_readfirstlane_b32 s38, v24
	v_readfirstlane_b32 s39, v25
	s_delay_alu instid0(VALU_DEP_3) | instskip(NEXT) | instid1(VALU_DEP_1)
	v_cndmask_b32_e32 v26, 0, v26, vcc_lo
	v_add_nc_u32_e32 v24, v26, v28
	flat_load_b128 v[24:27], v24, s[38:39] scale_offset
	s_wait_loadcnt_dscnt 0x0
	v_mul_f64_e32 v[32:33], v[14:15], v[26:27]
	v_mul_f64_e32 v[26:27], v[12:13], v[26:27]
	s_delay_alu instid0(VALU_DEP_2) | instskip(NEXT) | instid1(VALU_DEP_2)
	v_fma_f64 v[12:13], v[12:13], v[24:25], -v[32:33]
	v_fmac_f64_e32 v[26:27], v[14:15], v[24:25]
	s_delay_alu instid0(VALU_DEP_2) | instskip(NEXT) | instid1(VALU_DEP_2)
	v_add_f64_e32 v[8:9], v[8:9], v[12:13]
	v_add_f64_e32 v[10:11], v[10:11], v[26:27]
.LBB346_30:                             ;   in Loop: Header=BB346_4 Depth=1
	s_wait_xcnt 0x0
	s_or_b32 exec_lo, exec_lo, s4
.LBB346_31:                             ;   in Loop: Header=BB346_4 Depth=1
	ds_store_b128 v29, v[8:11]
	s_wait_loadcnt_dscnt 0x0
	s_barrier_signal -1
	s_barrier_wait -1
                                        ; implicit-def: $vgpr10_vgpr11
	s_and_saveexec_b32 s38, s2
	s_cbranch_execz .LBB346_37
; %bb.32:                               ;   in Loop: Header=BB346_4 Depth=1
	ds_load_b128 v[8:11], v29
	ds_load_b128 v[12:15], v29 offset:1024
	s_mov_b32 s4, s37
	s_wait_dscnt 0x0
	v_add_f64_e32 v[24:25], v[8:9], v[12:13]
	v_add_f64_e32 v[26:27], v[10:11], v[14:15]
	ds_load_b128 v[8:11], v29 offset:2048
	ds_load_b128 v[12:15], v29 offset:3072
	s_wait_dscnt 0x1
	v_add_f64_e32 v[8:9], v[24:25], v[8:9]
	v_add_f64_e32 v[10:11], v[26:27], v[10:11]
	s_wait_dscnt 0x0
	s_delay_alu instid0(VALU_DEP_2) | instskip(NEXT) | instid1(VALU_DEP_2)
	v_add_f64_e32 v[24:25], v[8:9], v[12:13]
	v_add_f64_e32 v[26:27], v[10:11], v[14:15]
	ds_load_b128 v[8:11], v29 offset:4096
	ds_load_b128 v[12:15], v29 offset:5120
	s_wait_dscnt 0x1
	v_add_f64_e32 v[8:9], v[24:25], v[8:9]
	v_add_f64_e32 v[10:11], v[26:27], v[10:11]
	s_wait_dscnt 0x0
	s_delay_alu instid0(VALU_DEP_2) | instskip(NEXT) | instid1(VALU_DEP_2)
	v_add_f64_e32 v[24:25], v[8:9], v[12:13]
	v_add_f64_e32 v[26:27], v[10:11], v[14:15]
	ds_load_b128 v[8:11], v29 offset:6144
	ds_load_b128 v[12:15], v29 offset:7168
	s_wait_dscnt 0x1
	v_add_f64_e32 v[8:9], v[24:25], v[8:9]
	v_add_f64_e32 v[10:11], v[26:27], v[10:11]
	s_wait_dscnt 0x0
	s_delay_alu instid0(VALU_DEP_2) | instskip(NEXT) | instid1(VALU_DEP_2)
	v_add_f64_e32 v[24:25], v[8:9], v[12:13]
	v_add_f64_e32 v[26:27], v[10:11], v[14:15]
	ds_load_b128 v[8:11], v29 offset:8192
	ds_load_b128 v[12:15], v29 offset:9216
	s_wait_dscnt 0x1
	v_add_f64_e32 v[8:9], v[24:25], v[8:9]
	v_add_f64_e32 v[10:11], v[26:27], v[10:11]
	s_wait_dscnt 0x0
	s_delay_alu instid0(VALU_DEP_2) | instskip(NEXT) | instid1(VALU_DEP_2)
	v_add_f64_e32 v[24:25], v[8:9], v[12:13]
	v_add_f64_e32 v[26:27], v[10:11], v[14:15]
	ds_load_b128 v[8:11], v29 offset:10240
	ds_load_b128 v[12:15], v29 offset:11264
	s_wait_dscnt 0x1
	v_add_f64_e32 v[8:9], v[24:25], v[8:9]
	v_add_f64_e32 v[10:11], v[26:27], v[10:11]
	s_wait_dscnt 0x0
	s_delay_alu instid0(VALU_DEP_2) | instskip(NEXT) | instid1(VALU_DEP_2)
	v_add_f64_e32 v[24:25], v[8:9], v[12:13]
	v_add_f64_e32 v[26:27], v[10:11], v[14:15]
	ds_load_b128 v[8:11], v29 offset:12288
	ds_load_b128 v[12:15], v29 offset:13312
	s_wait_dscnt 0x1
	v_add_f64_e32 v[8:9], v[24:25], v[8:9]
	v_add_f64_e32 v[10:11], v[26:27], v[10:11]
	s_wait_dscnt 0x0
	s_delay_alu instid0(VALU_DEP_2) | instskip(NEXT) | instid1(VALU_DEP_2)
	v_add_f64_e32 v[24:25], v[8:9], v[12:13]
	v_add_f64_e32 v[26:27], v[10:11], v[14:15]
	ds_load_b128 v[8:11], v29 offset:14336
	ds_load_b128 v[12:15], v29 offset:15360
	s_wait_dscnt 0x1
	v_add_f64_e32 v[8:9], v[24:25], v[8:9]
	v_add_f64_e32 v[10:11], v[26:27], v[10:11]
	s_wait_dscnt 0x0
	s_delay_alu instid0(VALU_DEP_2) | instskip(NEXT) | instid1(VALU_DEP_2)
	v_add_f64_e32 v[12:13], v[8:9], v[12:13]
	v_add_f64_e32 v[14:15], v[10:11], v[14:15]
                                        ; implicit-def: $vgpr10_vgpr11
	ds_store_b128 v29, v[12:15]
	s_and_saveexec_b32 s39, s3
	s_cbranch_execz .LBB346_36
; %bb.33:                               ;   in Loop: Header=BB346_4 Depth=1
	v_mul_f64_e32 v[8:9], v[6:7], v[14:15]
	v_mul_f64_e32 v[10:11], v[4:5], v[14:15]
	v_cmp_neq_f64_e32 vcc_lo, 0, v[0:1]
	v_cmp_neq_f64_e64 s4, 0, v[2:3]
	s_delay_alu instid0(VALU_DEP_4) | instskip(NEXT) | instid1(VALU_DEP_4)
	v_fma_f64 v[8:9], v[4:5], v[12:13], -v[8:9]
	v_fmac_f64_e32 v[10:11], v[6:7], v[12:13]
	s_or_b32 s4, vcc_lo, s4
	s_delay_alu instid0(SALU_CYCLE_1)
	s_and_not1_b32 vcc_lo, exec_lo, s4
	s_cbranch_vccnz .LBB346_35
; %bb.34:                               ;   in Loop: Header=BB346_4 Depth=1
	v_lshl_add_u64 v[4:5], v[20:21], 4, v[22:23]
	flat_load_b128 v[4:7], v[4:5]
	s_wait_loadcnt_dscnt 0x0
	v_mul_f64_e32 v[12:13], v[2:3], v[6:7]
	v_mul_f64_e32 v[6:7], v[0:1], v[6:7]
	s_delay_alu instid0(VALU_DEP_2) | instskip(NEXT) | instid1(VALU_DEP_2)
	v_fma_f64 v[0:1], v[0:1], v[4:5], -v[12:13]
	v_fmac_f64_e32 v[6:7], v[2:3], v[4:5]
	s_delay_alu instid0(VALU_DEP_2) | instskip(NEXT) | instid1(VALU_DEP_2)
	v_add_f64_e32 v[8:9], v[8:9], v[0:1]
	v_add_f64_e32 v[10:11], v[10:11], v[6:7]
.LBB346_35:                             ;   in Loop: Header=BB346_4 Depth=1
	s_or_b32 s4, s37, exec_lo
.LBB346_36:                             ;   in Loop: Header=BB346_4 Depth=1
	s_wait_xcnt 0x0
	s_or_b32 exec_lo, exec_lo, s39
	s_delay_alu instid0(SALU_CYCLE_1) | instskip(SKIP_1) | instid1(SALU_CYCLE_1)
	s_and_not1_b32 s37, s37, exec_lo
	s_and_b32 s4, s4, exec_lo
	s_or_b32 s37, s37, s4
.LBB346_37:                             ;   in Loop: Header=BB346_4 Depth=1
	s_or_b32 exec_lo, exec_lo, s38
	v_mov_b64_e32 v[0:1], v[20:21]
	s_and_saveexec_b32 s4, s37
	s_cbranch_execz .LBB346_2
.LBB346_38:                             ;   in Loop: Header=BB346_4 Depth=1
	s_delay_alu instid0(VALU_DEP_1)
	v_lshl_add_u64 v[0:1], v[0:1], 4, v[22:23]
	flat_store_b128 v[0:1], v[8:11]
	s_branch .LBB346_2
.LBB346_39:
	s_endpgm
	.section	.rodata,"a",@progbits
	.p2align	6, 0x0
	.amdhsa_kernel _ZL20rocblas_gemvn_kernelILi64ELi16EiPK19rocblas_complex_numIdES3_KPS1_EviiT3_lPKT2_lT1_lS9_lSA_lS6_lPT4_lSA_li
		.amdhsa_group_segment_fixed_size 16384
		.amdhsa_private_segment_fixed_size 0
		.amdhsa_kernarg_size 400
		.amdhsa_user_sgpr_count 2
		.amdhsa_user_sgpr_dispatch_ptr 0
		.amdhsa_user_sgpr_queue_ptr 0
		.amdhsa_user_sgpr_kernarg_segment_ptr 1
		.amdhsa_user_sgpr_dispatch_id 0
		.amdhsa_user_sgpr_kernarg_preload_length 0
		.amdhsa_user_sgpr_kernarg_preload_offset 0
		.amdhsa_user_sgpr_private_segment_size 0
		.amdhsa_wavefront_size32 1
		.amdhsa_uses_dynamic_stack 0
		.amdhsa_enable_private_segment 0
		.amdhsa_system_sgpr_workgroup_id_x 1
		.amdhsa_system_sgpr_workgroup_id_y 0
		.amdhsa_system_sgpr_workgroup_id_z 1
		.amdhsa_system_sgpr_workgroup_info 0
		.amdhsa_system_vgpr_workitem_id 1
		.amdhsa_next_free_vgpr 42
		.amdhsa_next_free_sgpr 44
		.amdhsa_named_barrier_count 0
		.amdhsa_reserve_vcc 1
		.amdhsa_float_round_mode_32 0
		.amdhsa_float_round_mode_16_64 0
		.amdhsa_float_denorm_mode_32 3
		.amdhsa_float_denorm_mode_16_64 3
		.amdhsa_fp16_overflow 0
		.amdhsa_memory_ordered 1
		.amdhsa_forward_progress 1
		.amdhsa_inst_pref_size 15
		.amdhsa_round_robin_scheduling 0
		.amdhsa_exception_fp_ieee_invalid_op 0
		.amdhsa_exception_fp_denorm_src 0
		.amdhsa_exception_fp_ieee_div_zero 0
		.amdhsa_exception_fp_ieee_overflow 0
		.amdhsa_exception_fp_ieee_underflow 0
		.amdhsa_exception_fp_ieee_inexact 0
		.amdhsa_exception_int_div_zero 0
	.end_amdhsa_kernel
	.section	.text._ZL20rocblas_gemvn_kernelILi64ELi16EiPK19rocblas_complex_numIdES3_KPS1_EviiT3_lPKT2_lT1_lS9_lSA_lS6_lPT4_lSA_li,"axG",@progbits,_ZL20rocblas_gemvn_kernelILi64ELi16EiPK19rocblas_complex_numIdES3_KPS1_EviiT3_lPKT2_lT1_lS9_lSA_lS6_lPT4_lSA_li,comdat
.Lfunc_end346:
	.size	_ZL20rocblas_gemvn_kernelILi64ELi16EiPK19rocblas_complex_numIdES3_KPS1_EviiT3_lPKT2_lT1_lS9_lSA_lS6_lPT4_lSA_li, .Lfunc_end346-_ZL20rocblas_gemvn_kernelILi64ELi16EiPK19rocblas_complex_numIdES3_KPS1_EviiT3_lPKT2_lT1_lS9_lSA_lS6_lPT4_lSA_li
                                        ; -- End function
	.set _ZL20rocblas_gemvn_kernelILi64ELi16EiPK19rocblas_complex_numIdES3_KPS1_EviiT3_lPKT2_lT1_lS9_lSA_lS6_lPT4_lSA_li.num_vgpr, 42
	.set _ZL20rocblas_gemvn_kernelILi64ELi16EiPK19rocblas_complex_numIdES3_KPS1_EviiT3_lPKT2_lT1_lS9_lSA_lS6_lPT4_lSA_li.num_agpr, 0
	.set _ZL20rocblas_gemvn_kernelILi64ELi16EiPK19rocblas_complex_numIdES3_KPS1_EviiT3_lPKT2_lT1_lS9_lSA_lS6_lPT4_lSA_li.numbered_sgpr, 44
	.set _ZL20rocblas_gemvn_kernelILi64ELi16EiPK19rocblas_complex_numIdES3_KPS1_EviiT3_lPKT2_lT1_lS9_lSA_lS6_lPT4_lSA_li.num_named_barrier, 0
	.set _ZL20rocblas_gemvn_kernelILi64ELi16EiPK19rocblas_complex_numIdES3_KPS1_EviiT3_lPKT2_lT1_lS9_lSA_lS6_lPT4_lSA_li.private_seg_size, 0
	.set _ZL20rocblas_gemvn_kernelILi64ELi16EiPK19rocblas_complex_numIdES3_KPS1_EviiT3_lPKT2_lT1_lS9_lSA_lS6_lPT4_lSA_li.uses_vcc, 1
	.set _ZL20rocblas_gemvn_kernelILi64ELi16EiPK19rocblas_complex_numIdES3_KPS1_EviiT3_lPKT2_lT1_lS9_lSA_lS6_lPT4_lSA_li.uses_flat_scratch, 0
	.set _ZL20rocblas_gemvn_kernelILi64ELi16EiPK19rocblas_complex_numIdES3_KPS1_EviiT3_lPKT2_lT1_lS9_lSA_lS6_lPT4_lSA_li.has_dyn_sized_stack, 0
	.set _ZL20rocblas_gemvn_kernelILi64ELi16EiPK19rocblas_complex_numIdES3_KPS1_EviiT3_lPKT2_lT1_lS9_lSA_lS6_lPT4_lSA_li.has_recursion, 0
	.set _ZL20rocblas_gemvn_kernelILi64ELi16EiPK19rocblas_complex_numIdES3_KPS1_EviiT3_lPKT2_lT1_lS9_lSA_lS6_lPT4_lSA_li.has_indirect_call, 0
	.section	.AMDGPU.csdata,"",@progbits
; Kernel info:
; codeLenInByte = 1872
; TotalNumSgprs: 46
; NumVgprs: 42
; ScratchSize: 0
; MemoryBound: 1
; FloatMode: 240
; IeeeMode: 1
; LDSByteSize: 16384 bytes/workgroup (compile time only)
; SGPRBlocks: 0
; VGPRBlocks: 2
; NumSGPRsForWavesPerEU: 46
; NumVGPRsForWavesPerEU: 42
; NamedBarCnt: 0
; Occupancy: 16
; WaveLimiterHint : 1
; COMPUTE_PGM_RSRC2:SCRATCH_EN: 0
; COMPUTE_PGM_RSRC2:USER_SGPR: 2
; COMPUTE_PGM_RSRC2:TRAP_HANDLER: 0
; COMPUTE_PGM_RSRC2:TGID_X_EN: 1
; COMPUTE_PGM_RSRC2:TGID_Y_EN: 0
; COMPUTE_PGM_RSRC2:TGID_Z_EN: 1
; COMPUTE_PGM_RSRC2:TIDIG_COMP_CNT: 1
	.section	.text._ZL20rocblas_gemvn_kernelILi64ELi16ElPK19rocblas_complex_numIdES3_KPS1_EviiT3_lPKT2_lT1_lS9_lSA_lS6_lPT4_lSA_li,"axG",@progbits,_ZL20rocblas_gemvn_kernelILi64ELi16ElPK19rocblas_complex_numIdES3_KPS1_EviiT3_lPKT2_lT1_lS9_lSA_lS6_lPT4_lSA_li,comdat
	.globl	_ZL20rocblas_gemvn_kernelILi64ELi16ElPK19rocblas_complex_numIdES3_KPS1_EviiT3_lPKT2_lT1_lS9_lSA_lS6_lPT4_lSA_li ; -- Begin function _ZL20rocblas_gemvn_kernelILi64ELi16ElPK19rocblas_complex_numIdES3_KPS1_EviiT3_lPKT2_lT1_lS9_lSA_lS6_lPT4_lSA_li
	.p2align	8
	.type	_ZL20rocblas_gemvn_kernelILi64ELi16ElPK19rocblas_complex_numIdES3_KPS1_EviiT3_lPKT2_lT1_lS9_lSA_lS6_lPT4_lSA_li,@function
_ZL20rocblas_gemvn_kernelILi64ELi16ElPK19rocblas_complex_numIdES3_KPS1_EviiT3_lPKT2_lT1_lS9_lSA_lS6_lPT4_lSA_li: ; @_ZL20rocblas_gemvn_kernelILi64ELi16ElPK19rocblas_complex_numIdES3_KPS1_EviiT3_lPKT2_lT1_lS9_lSA_lS6_lPT4_lSA_li
; %bb.0:
	s_clause 0x1
	s_load_b64 s[4:5], s[0:1], 0x9c
	s_load_b32 s33, s[0:1], 0x88
	s_bfe_u32 s2, ttmp6, 0x40014
	s_lshr_b32 s6, ttmp7, 16
	s_add_co_i32 s2, s2, 1
	s_bfe_u32 s3, ttmp6, 0x40008
	s_mul_i32 s7, s6, s2
	s_getreg_b32 s2, hwreg(HW_REG_IB_STS2, 6, 4)
	s_add_co_i32 s7, s3, s7
	s_wait_kmcnt 0x0
	s_lshr_b32 s8, s4, 16
	s_and_b32 s3, s4, 0xffff
	s_and_b32 s4, s5, 0xffff
	s_mul_i32 s5, s8, s3
	s_cmp_eq_u32 s2, 0
	s_mul_i32 s5, s5, s4
	s_cselect_b32 s6, s6, s7
	s_cmp_lg_u32 s5, 0x400
	s_mov_b32 s7, 0
	s_cselect_b32 s4, -1, 0
	s_cmp_ge_u32 s6, s33
	s_cselect_b32 s5, -1, 0
	s_delay_alu instid0(SALU_CYCLE_1) | instskip(NEXT) | instid1(SALU_CYCLE_1)
	s_or_b32 s4, s4, s5
	s_and_b32 vcc_lo, exec_lo, s4
	s_cbranch_vccnz .LBB347_39
; %bb.1:
	s_clause 0x2
	s_load_b64 s[28:29], s[0:1], 0x48
	s_load_b64 s[30:31], s[0:1], 0x28
	;; [unrolled: 1-line block ×3, first 2 shown]
	v_and_b32_e32 v1, 0x3ff, v0
	v_bfe_u32 v0, v0, 10, 10
	s_bfe_u32 s4, ttmp6, 0x4000c
	s_and_b32 s5, ttmp6, 15
	s_add_co_i32 s4, s4, 1
	s_load_b128 s[24:27], s[0:1], 0x38
	v_mad_u32_u24 v6, v0, s3, v1
	s_mul_i32 s3, ttmp9, s4
	v_mov_b32_e32 v17, 0
	s_add_co_i32 s3, s5, s3
	s_cmp_eq_u32 s2, 0
	v_lshrrev_b32_e32 v18, 6, v6
	s_cselect_b32 s2, ttmp9, s3
	s_load_b64 s[4:5], s[0:1], 0x0
	s_lshl_b32 s2, s2, 6
	s_delay_alu instid0(SALU_CYCLE_1) | instskip(SKIP_3) | instid1(VALU_DEP_3)
	v_dual_mov_b32 v19, v17 :: v_dual_bitop2_b32 v4, s2, v6 bitop3:0x54
	v_add_nc_u32_e32 v16, s2, v6
	v_and_or_b32 v24, v6, 63, s2
	s_wait_kmcnt 0x0
	v_mul_u64_e32 v[0:1], s[28:29], v[18:19]
	v_mul_u64_e32 v[2:3], s[30:31], v[18:19]
	v_ashrrev_i32_e32 v5, 31, v4
	v_mul_u64_e32 v[20:21], s[8:9], v[16:17]
	v_dual_lshlrev_b32 v19, 4, v6 :: v_dual_ashrrev_i32 v25, 31, v24
	s_delay_alu instid0(VALU_DEP_3)
	v_mul_u64_e32 v[22:23], s[8:9], v[4:5]
	s_clause 0x1
	s_load_b256 s[8:15], s[0:1], 0x8
	s_load_b256 s[16:23], s[0:1], 0x58
	s_wait_xcnt 0x0
	v_cmp_gt_u32_e64 s0, 64, v6
	v_lshlrev_b64_e32 v[6:7], 4, v[24:25]
	s_ashr_i32 s1, s5, 31
	s_ashr_i32 s3, s4, 31
	s_lshr_b32 s34, s1, 28
	s_mov_b32 s2, s4
	s_add_co_i32 s34, s5, s34
	v_cmp_gt_i64_e32 vcc_lo, s[2:3], v[16:17]
	s_and_b32 s38, s34, -16
	v_cmp_gt_i32_e64 s1, s4, v24
	s_sub_co_i32 s3, s5, s38
	v_cmp_gt_i32_e64 s2, s4, v4
	s_cmp_gt_i32 s3, 0
	v_cmp_gt_i32_e64 s3, s38, v18
	s_cselect_b32 s39, -1, 0
	s_and_b32 s40, s0, vcc_lo
	s_lshl_b64 s[34:35], s[28:29], 8
	s_lshl_b64 s[36:37], s[30:31], 8
	s_wait_kmcnt 0x0
	s_lshl_b64 s[14:15], s[14:15], 4
	s_lshl_b64 s[26:27], s[26:27], 4
	;; [unrolled: 1-line block ×3, first 2 shown]
	v_lshlrev_b64_e32 v[26:27], 4, v[0:1]
	v_lshl_add_u64 v[28:29], v[2:3], 4, v[6:7]
	s_delay_alu instid0(VALU_DEP_1) | instskip(NEXT) | instid1(VALU_DEP_3)
	v_or_b32_e32 v28, 8, v28
	v_or_b32_e32 v26, 8, v26
	s_branch .LBB347_4
.LBB347_2:                              ;   in Loop: Header=BB347_4 Depth=1
	s_wait_xcnt 0x0
	s_or_b32 exec_lo, exec_lo, s4
.LBB347_3:                              ;   in Loop: Header=BB347_4 Depth=1
	s_add_co_i32 s6, s6, 0x10000
	s_delay_alu instid0(SALU_CYCLE_1)
	s_cmp_lt_u32 s6, s33
	s_cbranch_scc0 .LBB347_39
.LBB347_4:                              ; =>This Loop Header: Depth=1
                                        ;     Child Loop BB347_20 Depth 2
	s_wait_xcnt 0x0
	s_mul_u64 s[42:43], s[10:11], s[6:7]
	s_delay_alu instid0(SALU_CYCLE_1) | instskip(NEXT) | instid1(SALU_CYCLE_1)
	s_lshl_b64 s[42:43], s[42:43], 4
	s_add_nc_u64 s[42:43], s[8:9], s[42:43]
	global_load_b128 v[4:7], v17, s[42:43]
	s_wait_xcnt 0x0
	s_mul_u64 s[42:43], s[18:19], s[6:7]
	s_delay_alu instid0(SALU_CYCLE_1) | instskip(NEXT) | instid1(SALU_CYCLE_1)
	s_lshl_b64 s[42:43], s[42:43], 4
	s_add_nc_u64 s[42:43], s[16:17], s[42:43]
	s_wait_loadcnt 0x1
	global_load_b128 v[0:3], v17, s[42:43]
	s_wait_xcnt 0x0
	s_mov_b32 s42, -1
	s_wait_loadcnt 0x1
	v_cmp_neq_f64_e32 vcc_lo, 0, v[4:5]
	v_cmp_neq_f64_e64 s4, 0, v[6:7]
	s_or_b32 s41, vcc_lo, s4
	s_mov_b32 s4, 0
	s_and_b32 vcc_lo, exec_lo, s41
	s_cbranch_vccz .LBB347_7
; %bb.5:                                ;   in Loop: Header=BB347_4 Depth=1
	v_mov_b64_e32 v[32:33], 0
	s_and_not1_b32 vcc_lo, exec_lo, s42
	s_cbranch_vccz .LBB347_8
.LBB347_6:                              ;   in Loop: Header=BB347_4 Depth=1
	s_and_not1_b32 vcc_lo, exec_lo, s4
	s_cbranch_vccnz .LBB347_3
	s_branch .LBB347_9
.LBB347_7:                              ;   in Loop: Header=BB347_4 Depth=1
	s_wait_loadcnt 0x0
	v_cmp_neq_f64_e32 vcc_lo, 1.0, v[0:1]
	v_cmp_neq_f64_e64 s4, 0, v[2:3]
	s_or_b32 s4, vcc_lo, s4
	v_mov_b64_e32 v[32:33], 0
	s_cbranch_execnz .LBB347_6
.LBB347_8:                              ;   in Loop: Header=BB347_4 Depth=1
	s_lshl_b64 s[42:43], s[6:7], 3
	s_delay_alu instid0(SALU_CYCLE_1)
	s_add_nc_u64 s[42:43], s[12:13], s[42:43]
	global_load_b64 v[8:9], v17, s[42:43]
	s_wait_loadcnt 0x0
	v_add_nc_u64_e32 v[32:33], s[14:15], v[8:9]
.LBB347_9:                              ;   in Loop: Header=BB347_4 Depth=1
	v_mov_b64_e32 v[34:35], 0
	s_and_not1_b32 vcc_lo, exec_lo, s41
	s_cbranch_vccnz .LBB347_11
; %bb.10:                               ;   in Loop: Header=BB347_4 Depth=1
	s_wait_xcnt 0x0
	s_lshl_b64 s[42:43], s[6:7], 3
	s_delay_alu instid0(SALU_CYCLE_1)
	s_add_nc_u64 s[42:43], s[24:25], s[42:43]
	global_load_b64 v[8:9], v17, s[42:43]
	s_wait_loadcnt 0x0
	v_add_nc_u64_e32 v[34:35], s[26:27], v[8:9]
.LBB347_11:                             ;   in Loop: Header=BB347_4 Depth=1
	s_wait_xcnt 0x0
	s_lshl_b64 s[42:43], s[6:7], 3
	s_xor_b32 s4, s41, -1
	s_add_nc_u64 s[42:43], s[20:21], s[42:43]
	s_and_not1_b32 vcc_lo, exec_lo, s4
	global_load_b64 v[8:9], v17, s[42:43]
	s_wait_loadcnt 0x0
	v_add_nc_u64_e32 v[30:31], s[22:23], v[8:9]
	s_cbranch_vccnz .LBB347_16
; %bb.12:                               ;   in Loop: Header=BB347_4 Depth=1
	s_wait_xcnt 0x0
	s_mov_b32 s42, 0
	s_mov_b32 s41, 0
                                        ; implicit-def: $vgpr10_vgpr11
	s_and_saveexec_b32 s43, s40
	s_cbranch_execz .LBB347_22
; %bb.13:                               ;   in Loop: Header=BB347_4 Depth=1
	v_cmp_neq_f64_e32 vcc_lo, 0, v[0:1]
	v_cmp_neq_f64_e64 s4, 0, v[2:3]
	v_mov_b64_e32 v[10:11], 0
	v_mov_b64_e32 v[8:9], 0
	s_or_b32 s4, vcc_lo, s4
	s_delay_alu instid0(SALU_CYCLE_1)
	s_and_not1_b32 vcc_lo, exec_lo, s4
	s_cbranch_vccnz .LBB347_15
; %bb.14:                               ;   in Loop: Header=BB347_4 Depth=1
	v_lshl_add_u64 v[8:9], v[20:21], 4, v[30:31]
	flat_load_b128 v[12:15], v[8:9]
	s_wait_loadcnt_dscnt 0x0
	s_wait_xcnt 0x0
	v_mul_f64_e32 v[8:9], v[2:3], v[14:15]
	v_mul_f64_e32 v[10:11], v[0:1], v[14:15]
	s_delay_alu instid0(VALU_DEP_2) | instskip(NEXT) | instid1(VALU_DEP_2)
	v_fma_f64 v[8:9], v[0:1], v[12:13], -v[8:9]
	v_fmac_f64_e32 v[10:11], v[2:3], v[12:13]
.LBB347_15:                             ;   in Loop: Header=BB347_4 Depth=1
	s_mov_b32 s41, exec_lo
	s_or_b32 exec_lo, exec_lo, s43
	s_delay_alu instid0(SALU_CYCLE_1)
	s_and_b32 vcc_lo, exec_lo, s42
	s_cbranch_vccnz .LBB347_17
	s_branch .LBB347_23
.LBB347_16:                             ;   in Loop: Header=BB347_4 Depth=1
	s_wait_xcnt 0x0
	s_mov_b32 s41, 0
                                        ; implicit-def: $vgpr10_vgpr11
	s_cbranch_execz .LBB347_23
.LBB347_17:                             ;   in Loop: Header=BB347_4 Depth=1
	v_mov_b64_e32 v[10:11], 0
	v_mov_b64_e32 v[8:9], 0
	v_mov_b32_e32 v16, v18
	s_and_saveexec_b32 s4, s3
	s_cbranch_execz .LBB347_25
; %bb.18:                               ;   in Loop: Header=BB347_4 Depth=1
	v_mov_b64_e32 v[10:11], 0
	v_add_nc_u64_e32 v[12:13], v[34:35], v[26:27]
	v_add_nc_u64_e32 v[14:15], v[32:33], v[28:29]
	v_mov_b32_e32 v16, v18
	s_mov_b32 s42, 0
	s_delay_alu instid0(VALU_DEP_4)
	v_mov_b64_e32 v[8:9], v[10:11]
	s_branch .LBB347_20
.LBB347_19:                             ;   in Loop: Header=BB347_20 Depth=2
	s_wait_xcnt 0x0
	s_or_b32 exec_lo, exec_lo, s43
	v_add_nc_u32_e32 v16, 16, v16
	v_add_nc_u64_e32 v[12:13], s[34:35], v[12:13]
	v_add_nc_u64_e32 v[14:15], s[36:37], v[14:15]
	s_delay_alu instid0(VALU_DEP_3) | instskip(SKIP_1) | instid1(SALU_CYCLE_1)
	v_cmp_le_i32_e32 vcc_lo, s38, v16
	s_or_b32 s42, vcc_lo, s42
	s_and_not1_b32 exec_lo, exec_lo, s42
	s_cbranch_execz .LBB347_24
.LBB347_20:                             ;   Parent Loop BB347_4 Depth=1
                                        ; =>  This Inner Loop Header: Depth=2
	s_and_saveexec_b32 s43, s1
	s_cbranch_execz .LBB347_19
; %bb.21:                               ;   in Loop: Header=BB347_20 Depth=2
	flat_load_b128 v[36:39], v[12:13] offset:-8
	flat_load_b128 v[40:43], v[14:15] offset:-8
	s_wait_loadcnt_dscnt 0x0
	v_mul_f64_e32 v[44:45], v[38:39], v[42:43]
	v_mul_f64_e32 v[42:43], v[36:37], v[42:43]
	s_delay_alu instid0(VALU_DEP_2) | instskip(NEXT) | instid1(VALU_DEP_2)
	v_fma_f64 v[36:37], v[36:37], v[40:41], -v[44:45]
	v_fmac_f64_e32 v[42:43], v[38:39], v[40:41]
	s_delay_alu instid0(VALU_DEP_2) | instskip(NEXT) | instid1(VALU_DEP_2)
	v_add_f64_e32 v[8:9], v[8:9], v[36:37]
	v_add_f64_e32 v[10:11], v[10:11], v[42:43]
	s_branch .LBB347_19
.LBB347_22:                             ;   in Loop: Header=BB347_4 Depth=1
	s_or_b32 exec_lo, exec_lo, s43
	s_delay_alu instid0(SALU_CYCLE_1)
	s_and_b32 vcc_lo, exec_lo, s42
	s_cbranch_vccnz .LBB347_17
.LBB347_23:                             ;   in Loop: Header=BB347_4 Depth=1
	v_mov_b64_e32 v[0:1], v[20:21]
	s_and_saveexec_b32 s4, s41
	s_cbranch_execz .LBB347_2
	s_branch .LBB347_38
.LBB347_24:                             ;   in Loop: Header=BB347_4 Depth=1
	s_or_b32 exec_lo, exec_lo, s42
.LBB347_25:                             ;   in Loop: Header=BB347_4 Depth=1
	s_delay_alu instid0(SALU_CYCLE_1) | instskip(NEXT) | instid1(SALU_CYCLE_1)
	s_or_b32 exec_lo, exec_lo, s4
	s_and_not1_b32 vcc_lo, exec_lo, s39
	s_cbranch_vccnz .LBB347_31
; %bb.26:                               ;   in Loop: Header=BB347_4 Depth=1
	v_mov_b64_e32 v[12:13], 0
	v_mov_b64_e32 v[14:15], 0
	v_cmp_gt_i32_e32 vcc_lo, s5, v16
	s_and_saveexec_b32 s4, vcc_lo
	s_cbranch_execz .LBB347_28
; %bb.27:                               ;   in Loop: Header=BB347_4 Depth=1
	v_mul_u64_e32 v[12:13], s[28:29], v[16:17]
	s_delay_alu instid0(VALU_DEP_1)
	v_lshl_add_u64 v[12:13], v[12:13], 4, v[34:35]
	flat_load_b128 v[12:15], v[12:13]
.LBB347_28:                             ;   in Loop: Header=BB347_4 Depth=1
	s_wait_xcnt 0x0
	s_or_b32 exec_lo, exec_lo, s4
	s_and_saveexec_b32 s4, s1
	s_cbranch_execz .LBB347_30
; %bb.29:                               ;   in Loop: Header=BB347_4 Depth=1
	v_mul_u64_e32 v[34:35], s[30:31], v[16:17]
	s_delay_alu instid0(VALU_DEP_1) | instskip(NEXT) | instid1(VALU_DEP_1)
	v_dual_cndmask_b32 v35, 0, v35 :: v_dual_cndmask_b32 v34, 0, v34
	v_lshl_add_u64 v[32:33], v[34:35], 4, v[32:33]
	s_delay_alu instid0(VALU_DEP_1) | instskip(SKIP_4) | instid1(VALU_DEP_2)
	v_lshl_add_u64 v[32:33], v[24:25], 4, v[32:33]
	flat_load_b128 v[32:35], v[32:33]
	s_wait_loadcnt_dscnt 0x0
	v_mul_f64_e32 v[36:37], v[14:15], v[34:35]
	v_mul_f64_e32 v[34:35], v[12:13], v[34:35]
	v_fma_f64 v[12:13], v[12:13], v[32:33], -v[36:37]
	s_delay_alu instid0(VALU_DEP_2) | instskip(NEXT) | instid1(VALU_DEP_2)
	v_fmac_f64_e32 v[34:35], v[14:15], v[32:33]
	v_add_f64_e32 v[8:9], v[8:9], v[12:13]
	s_delay_alu instid0(VALU_DEP_2)
	v_add_f64_e32 v[10:11], v[10:11], v[34:35]
.LBB347_30:                             ;   in Loop: Header=BB347_4 Depth=1
	s_wait_xcnt 0x0
	s_or_b32 exec_lo, exec_lo, s4
.LBB347_31:                             ;   in Loop: Header=BB347_4 Depth=1
	ds_store_b128 v19, v[8:11]
	s_wait_loadcnt_dscnt 0x0
	s_barrier_signal -1
	s_barrier_wait -1
                                        ; implicit-def: $vgpr10_vgpr11
	s_and_saveexec_b32 s42, s0
	s_cbranch_execz .LBB347_37
; %bb.32:                               ;   in Loop: Header=BB347_4 Depth=1
	ds_load_b128 v[8:11], v19
	ds_load_b128 v[12:15], v19 offset:1024
	s_mov_b32 s4, s41
	s_wait_dscnt 0x0
	v_add_f64_e32 v[32:33], v[8:9], v[12:13]
	v_add_f64_e32 v[34:35], v[10:11], v[14:15]
	ds_load_b128 v[8:11], v19 offset:2048
	ds_load_b128 v[12:15], v19 offset:3072
	s_wait_dscnt 0x1
	v_add_f64_e32 v[8:9], v[32:33], v[8:9]
	v_add_f64_e32 v[10:11], v[34:35], v[10:11]
	s_wait_dscnt 0x0
	s_delay_alu instid0(VALU_DEP_2) | instskip(NEXT) | instid1(VALU_DEP_2)
	v_add_f64_e32 v[32:33], v[8:9], v[12:13]
	v_add_f64_e32 v[34:35], v[10:11], v[14:15]
	ds_load_b128 v[8:11], v19 offset:4096
	ds_load_b128 v[12:15], v19 offset:5120
	s_wait_dscnt 0x1
	v_add_f64_e32 v[8:9], v[32:33], v[8:9]
	v_add_f64_e32 v[10:11], v[34:35], v[10:11]
	s_wait_dscnt 0x0
	s_delay_alu instid0(VALU_DEP_2) | instskip(NEXT) | instid1(VALU_DEP_2)
	;; [unrolled: 9-line block ×7, first 2 shown]
	v_add_f64_e32 v[12:13], v[8:9], v[12:13]
	v_add_f64_e32 v[14:15], v[10:11], v[14:15]
                                        ; implicit-def: $vgpr10_vgpr11
	ds_store_b128 v19, v[12:15]
	s_and_saveexec_b32 s43, s2
	s_cbranch_execz .LBB347_36
; %bb.33:                               ;   in Loop: Header=BB347_4 Depth=1
	v_mul_f64_e32 v[8:9], v[6:7], v[14:15]
	v_mul_f64_e32 v[10:11], v[4:5], v[14:15]
	v_cmp_neq_f64_e32 vcc_lo, 0, v[0:1]
	v_cmp_neq_f64_e64 s4, 0, v[2:3]
	s_delay_alu instid0(VALU_DEP_4) | instskip(NEXT) | instid1(VALU_DEP_4)
	v_fma_f64 v[8:9], v[4:5], v[12:13], -v[8:9]
	v_fmac_f64_e32 v[10:11], v[6:7], v[12:13]
	s_or_b32 s4, vcc_lo, s4
	s_delay_alu instid0(SALU_CYCLE_1)
	s_and_not1_b32 vcc_lo, exec_lo, s4
	s_cbranch_vccnz .LBB347_35
; %bb.34:                               ;   in Loop: Header=BB347_4 Depth=1
	v_lshl_add_u64 v[4:5], v[22:23], 4, v[30:31]
	flat_load_b128 v[4:7], v[4:5]
	s_wait_loadcnt_dscnt 0x0
	v_mul_f64_e32 v[12:13], v[2:3], v[6:7]
	v_mul_f64_e32 v[6:7], v[0:1], v[6:7]
	s_delay_alu instid0(VALU_DEP_2) | instskip(NEXT) | instid1(VALU_DEP_2)
	v_fma_f64 v[0:1], v[0:1], v[4:5], -v[12:13]
	v_fmac_f64_e32 v[6:7], v[2:3], v[4:5]
	s_delay_alu instid0(VALU_DEP_2) | instskip(NEXT) | instid1(VALU_DEP_2)
	v_add_f64_e32 v[8:9], v[8:9], v[0:1]
	v_add_f64_e32 v[10:11], v[10:11], v[6:7]
.LBB347_35:                             ;   in Loop: Header=BB347_4 Depth=1
	s_or_b32 s4, s41, exec_lo
.LBB347_36:                             ;   in Loop: Header=BB347_4 Depth=1
	s_wait_xcnt 0x0
	s_or_b32 exec_lo, exec_lo, s43
	s_delay_alu instid0(SALU_CYCLE_1) | instskip(SKIP_1) | instid1(SALU_CYCLE_1)
	s_and_not1_b32 s41, s41, exec_lo
	s_and_b32 s4, s4, exec_lo
	s_or_b32 s41, s41, s4
.LBB347_37:                             ;   in Loop: Header=BB347_4 Depth=1
	s_or_b32 exec_lo, exec_lo, s42
	v_mov_b64_e32 v[0:1], v[22:23]
	s_and_saveexec_b32 s4, s41
	s_cbranch_execz .LBB347_2
.LBB347_38:                             ;   in Loop: Header=BB347_4 Depth=1
	s_delay_alu instid0(VALU_DEP_1)
	v_lshl_add_u64 v[0:1], v[0:1], 4, v[30:31]
	flat_store_b128 v[0:1], v[8:11]
	s_branch .LBB347_2
.LBB347_39:
	s_endpgm
	.section	.rodata,"a",@progbits
	.p2align	6, 0x0
	.amdhsa_kernel _ZL20rocblas_gemvn_kernelILi64ELi16ElPK19rocblas_complex_numIdES3_KPS1_EviiT3_lPKT2_lT1_lS9_lSA_lS6_lPT4_lSA_li
		.amdhsa_group_segment_fixed_size 16384
		.amdhsa_private_segment_fixed_size 0
		.amdhsa_kernarg_size 400
		.amdhsa_user_sgpr_count 2
		.amdhsa_user_sgpr_dispatch_ptr 0
		.amdhsa_user_sgpr_queue_ptr 0
		.amdhsa_user_sgpr_kernarg_segment_ptr 1
		.amdhsa_user_sgpr_dispatch_id 0
		.amdhsa_user_sgpr_kernarg_preload_length 0
		.amdhsa_user_sgpr_kernarg_preload_offset 0
		.amdhsa_user_sgpr_private_segment_size 0
		.amdhsa_wavefront_size32 1
		.amdhsa_uses_dynamic_stack 0
		.amdhsa_enable_private_segment 0
		.amdhsa_system_sgpr_workgroup_id_x 1
		.amdhsa_system_sgpr_workgroup_id_y 0
		.amdhsa_system_sgpr_workgroup_id_z 1
		.amdhsa_system_sgpr_workgroup_info 0
		.amdhsa_system_vgpr_workitem_id 1
		.amdhsa_next_free_vgpr 46
		.amdhsa_next_free_sgpr 44
		.amdhsa_named_barrier_count 0
		.amdhsa_reserve_vcc 1
		.amdhsa_float_round_mode_32 0
		.amdhsa_float_round_mode_16_64 0
		.amdhsa_float_denorm_mode_32 3
		.amdhsa_float_denorm_mode_16_64 3
		.amdhsa_fp16_overflow 0
		.amdhsa_memory_ordered 1
		.amdhsa_forward_progress 1
		.amdhsa_inst_pref_size 15
		.amdhsa_round_robin_scheduling 0
		.amdhsa_exception_fp_ieee_invalid_op 0
		.amdhsa_exception_fp_denorm_src 0
		.amdhsa_exception_fp_ieee_div_zero 0
		.amdhsa_exception_fp_ieee_overflow 0
		.amdhsa_exception_fp_ieee_underflow 0
		.amdhsa_exception_fp_ieee_inexact 0
		.amdhsa_exception_int_div_zero 0
	.end_amdhsa_kernel
	.section	.text._ZL20rocblas_gemvn_kernelILi64ELi16ElPK19rocblas_complex_numIdES3_KPS1_EviiT3_lPKT2_lT1_lS9_lSA_lS6_lPT4_lSA_li,"axG",@progbits,_ZL20rocblas_gemvn_kernelILi64ELi16ElPK19rocblas_complex_numIdES3_KPS1_EviiT3_lPKT2_lT1_lS9_lSA_lS6_lPT4_lSA_li,comdat
.Lfunc_end347:
	.size	_ZL20rocblas_gemvn_kernelILi64ELi16ElPK19rocblas_complex_numIdES3_KPS1_EviiT3_lPKT2_lT1_lS9_lSA_lS6_lPT4_lSA_li, .Lfunc_end347-_ZL20rocblas_gemvn_kernelILi64ELi16ElPK19rocblas_complex_numIdES3_KPS1_EviiT3_lPKT2_lT1_lS9_lSA_lS6_lPT4_lSA_li
                                        ; -- End function
	.set _ZL20rocblas_gemvn_kernelILi64ELi16ElPK19rocblas_complex_numIdES3_KPS1_EviiT3_lPKT2_lT1_lS9_lSA_lS6_lPT4_lSA_li.num_vgpr, 46
	.set _ZL20rocblas_gemvn_kernelILi64ELi16ElPK19rocblas_complex_numIdES3_KPS1_EviiT3_lPKT2_lT1_lS9_lSA_lS6_lPT4_lSA_li.num_agpr, 0
	.set _ZL20rocblas_gemvn_kernelILi64ELi16ElPK19rocblas_complex_numIdES3_KPS1_EviiT3_lPKT2_lT1_lS9_lSA_lS6_lPT4_lSA_li.numbered_sgpr, 44
	.set _ZL20rocblas_gemvn_kernelILi64ELi16ElPK19rocblas_complex_numIdES3_KPS1_EviiT3_lPKT2_lT1_lS9_lSA_lS6_lPT4_lSA_li.num_named_barrier, 0
	.set _ZL20rocblas_gemvn_kernelILi64ELi16ElPK19rocblas_complex_numIdES3_KPS1_EviiT3_lPKT2_lT1_lS9_lSA_lS6_lPT4_lSA_li.private_seg_size, 0
	.set _ZL20rocblas_gemvn_kernelILi64ELi16ElPK19rocblas_complex_numIdES3_KPS1_EviiT3_lPKT2_lT1_lS9_lSA_lS6_lPT4_lSA_li.uses_vcc, 1
	.set _ZL20rocblas_gemvn_kernelILi64ELi16ElPK19rocblas_complex_numIdES3_KPS1_EviiT3_lPKT2_lT1_lS9_lSA_lS6_lPT4_lSA_li.uses_flat_scratch, 0
	.set _ZL20rocblas_gemvn_kernelILi64ELi16ElPK19rocblas_complex_numIdES3_KPS1_EviiT3_lPKT2_lT1_lS9_lSA_lS6_lPT4_lSA_li.has_dyn_sized_stack, 0
	.set _ZL20rocblas_gemvn_kernelILi64ELi16ElPK19rocblas_complex_numIdES3_KPS1_EviiT3_lPKT2_lT1_lS9_lSA_lS6_lPT4_lSA_li.has_recursion, 0
	.set _ZL20rocblas_gemvn_kernelILi64ELi16ElPK19rocblas_complex_numIdES3_KPS1_EviiT3_lPKT2_lT1_lS9_lSA_lS6_lPT4_lSA_li.has_indirect_call, 0
	.section	.AMDGPU.csdata,"",@progbits
; Kernel info:
; codeLenInByte = 1880
; TotalNumSgprs: 46
; NumVgprs: 46
; ScratchSize: 0
; MemoryBound: 1
; FloatMode: 240
; IeeeMode: 1
; LDSByteSize: 16384 bytes/workgroup (compile time only)
; SGPRBlocks: 0
; VGPRBlocks: 2
; NumSGPRsForWavesPerEU: 46
; NumVGPRsForWavesPerEU: 46
; NamedBarCnt: 0
; Occupancy: 16
; WaveLimiterHint : 1
; COMPUTE_PGM_RSRC2:SCRATCH_EN: 0
; COMPUTE_PGM_RSRC2:USER_SGPR: 2
; COMPUTE_PGM_RSRC2:TRAP_HANDLER: 0
; COMPUTE_PGM_RSRC2:TGID_X_EN: 1
; COMPUTE_PGM_RSRC2:TGID_Y_EN: 0
; COMPUTE_PGM_RSRC2:TGID_Z_EN: 1
; COMPUTE_PGM_RSRC2:TIDIG_COMP_CNT: 1
	.section	.text._ZL20rocblas_gemvn_kernelILi64ELi16EiPK19rocblas_complex_numIdES1_KPS1_EviiT3_lPKT2_lT1_lS9_lSA_lS6_lPT4_lSA_li,"axG",@progbits,_ZL20rocblas_gemvn_kernelILi64ELi16EiPK19rocblas_complex_numIdES1_KPS1_EviiT3_lPKT2_lT1_lS9_lSA_lS6_lPT4_lSA_li,comdat
	.globl	_ZL20rocblas_gemvn_kernelILi64ELi16EiPK19rocblas_complex_numIdES1_KPS1_EviiT3_lPKT2_lT1_lS9_lSA_lS6_lPT4_lSA_li ; -- Begin function _ZL20rocblas_gemvn_kernelILi64ELi16EiPK19rocblas_complex_numIdES1_KPS1_EviiT3_lPKT2_lT1_lS9_lSA_lS6_lPT4_lSA_li
	.p2align	8
	.type	_ZL20rocblas_gemvn_kernelILi64ELi16EiPK19rocblas_complex_numIdES1_KPS1_EviiT3_lPKT2_lT1_lS9_lSA_lS6_lPT4_lSA_li,@function
_ZL20rocblas_gemvn_kernelILi64ELi16EiPK19rocblas_complex_numIdES1_KPS1_EviiT3_lPKT2_lT1_lS9_lSA_lS6_lPT4_lSA_li: ; @_ZL20rocblas_gemvn_kernelILi64ELi16EiPK19rocblas_complex_numIdES1_KPS1_EviiT3_lPKT2_lT1_lS9_lSA_lS6_lPT4_lSA_li
; %bb.0:
	s_clause 0x1
	s_load_b64 s[4:5], s[0:1], 0xac
	s_load_b32 s28, s[0:1], 0x98
	s_bfe_u32 s2, ttmp6, 0x40014
	s_lshr_b32 s6, ttmp7, 16
	s_add_co_i32 s2, s2, 1
	s_bfe_u32 s3, ttmp6, 0x40008
	s_mul_i32 s7, s6, s2
	s_getreg_b32 s2, hwreg(HW_REG_IB_STS2, 6, 4)
	s_add_co_i32 s7, s3, s7
	s_mov_b32 s25, 0
	s_wait_kmcnt 0x0
	s_lshr_b32 s8, s4, 16
	s_and_b32 s3, s4, 0xffff
	s_and_b32 s4, s5, 0xffff
	s_mul_i32 s5, s8, s3
	s_cmp_eq_u32 s2, 0
	s_mul_i32 s5, s5, s4
	s_cselect_b32 s24, s6, s7
	s_cmp_lg_u32 s5, 0x400
	s_cselect_b32 s4, -1, 0
	s_cmp_ge_u32 s24, s28
	s_cselect_b32 s5, -1, 0
	s_delay_alu instid0(SALU_CYCLE_1) | instskip(NEXT) | instid1(SALU_CYCLE_1)
	s_or_b32 s4, s4, s5
	s_and_b32 vcc_lo, exec_lo, s4
	s_cbranch_vccnz .LBB348_41
; %bb.1:
	s_clause 0x4
	s_load_b128 s[4:7], s[0:1], 0x8
	s_load_b128 s[8:11], s[0:1], 0x60
	s_load_b32 s36, s[0:1], 0x88
	s_load_b64 s[26:27], s[0:1], 0x0
	s_load_b128 s[12:15], s[0:1], 0x78
	s_bfe_u32 s19, ttmp6, 0x4000c
	v_and_b32_e32 v1, 0x3ff, v0
	s_add_co_i32 s19, s19, 1
	v_bfe_u32 v0, v0, 10, 10
	s_and_b32 s20, ttmp6, 15
	s_mul_i32 s19, ttmp9, s19
	s_delay_alu instid0(SALU_CYCLE_1) | instskip(NEXT) | instid1(VALU_DEP_1)
	s_add_co_i32 s20, s20, s19
	v_mad_u32_u24 v0, v0, s3, v1
	s_delay_alu instid0(VALU_DEP_1)
	v_dual_lshlrev_b32 v22, 4, v0 :: v_dual_bitop2_b32 v1, 63, v0 bitop3:0x40
	s_wait_kmcnt 0x0
	v_cmp_neq_f64_e64 s16, s[4:5], 0
	v_cmp_neq_f64_e64 s18, s[6:7], 0
	v_cmp_neq_f64_e64 s17, s[8:9], 1.0
	v_cmp_neq_f64_e64 s35, s[10:11], 0
	s_ashr_i32 s37, s36, 31
	v_cmp_neq_f64_e64 s38, s[8:9], 0
	s_or_b32 s16, s16, s18
	s_or_b32 s29, s17, s35
	s_xor_b32 s30, s16, -1
	s_cmp_eq_u32 s2, 0
	v_cndmask_b32_e64 v20, 0, 1, s16
	s_cselect_b32 s2, ttmp9, s20
	s_clause 0x1
	s_load_b128 s[16:19], s[0:1], 0x20
	s_load_b32 s31, s[0:1], 0x30
	s_lshl_b32 s39, s2, 6
	s_delay_alu instid0(SALU_CYCLE_1)
	v_dual_mov_b32 v9, 0 :: v_dual_add_nc_u32 v8, s39, v0
	s_clause 0x1
	s_load_b128 s[20:23], s[0:1], 0x40
	s_load_b32 s33, s[0:1], 0x50
	s_mov_b32 s2, s26
	s_ashr_i32 s3, s26, 31
	v_or_b32_e32 v2, s39, v0
	v_mul_u64_e32 v[10:11], s[36:37], v[8:9]
	v_cmp_gt_i64_e32 vcc_lo, s[2:3], v[8:9]
	v_lshrrev_b32_e32 v8, 6, v0
	s_wait_xcnt 0x0
	s_ashr_i32 s0, s27, 31
	v_mul_lo_u32 v12, v2, s36
	s_lshr_b32 s0, s0, 28
	v_or_b32_e32 v21, s39, v1
	s_add_co_i32 s0, s27, s0
	s_or_b32 s35, s38, s35
	s_and_b32 s34, s0, -16
	v_cmp_gt_i32_e64 s3, s26, v2
	s_sub_co_i32 s2, s27, s34
	s_wait_kmcnt 0x0
	v_mul_lo_u32 v3, s31, v8
	s_cmp_gt_i32 s2, 0
	v_cmp_gt_u32_e64 s2, 64, v0
	v_cmp_gt_i32_e64 s0, s34, v8
	v_mul_lo_u32 v23, s33, v8
	v_ashrrev_i32_e32 v13, 31, v12
	v_cmp_gt_i32_e64 s1, s26, v21
	s_cselect_b32 s36, -1, 0
	s_and_b32 s26, s2, vcc_lo
	s_lshl_b32 s37, s33, 4
	s_lshl_b32 s38, s31, 4
	v_add3_u32 v24, v3, s39, v1
	s_lshl_b64 s[18:19], s[18:19], 4
	s_lshl_b64 s[22:23], s[22:23], 4
	;; [unrolled: 1-line block ×3, first 2 shown]
	s_branch .LBB348_4
.LBB348_2:                              ;   in Loop: Header=BB348_4 Depth=1
	s_wait_xcnt 0x0
	s_or_b32 exec_lo, exec_lo, s40
.LBB348_3:                              ;   in Loop: Header=BB348_4 Depth=1
	s_add_co_i32 s24, s24, 0x10000
	s_delay_alu instid0(SALU_CYCLE_1)
	s_cmp_lt_u32 s24, s28
	s_cbranch_scc0 .LBB348_41
.LBB348_4:                              ; =>This Loop Header: Depth=1
                                        ;     Child Loop BB348_22 Depth 2
	s_and_not1_b32 vcc_lo, exec_lo, s30
	s_cbranch_vccnz .LBB348_7
; %bb.5:                                ;   in Loop: Header=BB348_4 Depth=1
	s_wait_xcnt 0x0
	s_mov_b32 s40, 0
	s_and_b32 vcc_lo, exec_lo, s29
	s_mov_b32 s39, 0
	s_cbranch_vccz .LBB348_8
; %bb.6:                                ;   in Loop: Header=BB348_4 Depth=1
	s_mov_b32 s39, -1
	s_branch .LBB348_8
.LBB348_7:                              ;   in Loop: Header=BB348_4 Depth=1
	s_mov_b32 s39, 0
	s_wait_xcnt 0x0
	s_mov_b32 s40, -1
.LBB348_8:                              ;   in Loop: Header=BB348_4 Depth=1
	v_mov_b64_e32 v[16:17], 0
	s_and_b32 vcc_lo, exec_lo, s40
	s_cbranch_vccnz .LBB348_10
; %bb.9:                                ;   in Loop: Header=BB348_4 Depth=1
	s_and_not1_b32 vcc_lo, exec_lo, s39
	s_cbranch_vccnz .LBB348_3
	s_branch .LBB348_11
.LBB348_10:                             ;   in Loop: Header=BB348_4 Depth=1
	s_lshl_b64 s[40:41], s[24:25], 3
	s_delay_alu instid0(SALU_CYCLE_1)
	s_add_nc_u64 s[40:41], s[16:17], s[40:41]
	global_load_b64 v[0:1], v9, s[40:41]
	s_wait_loadcnt 0x0
	v_add_nc_u64_e32 v[16:17], s[18:19], v[0:1]
.LBB348_11:                             ;   in Loop: Header=BB348_4 Depth=1
	v_cmp_ne_u32_e32 vcc_lo, 1, v20
	v_mov_b64_e32 v[18:19], 0
	s_cbranch_vccnz .LBB348_13
; %bb.12:                               ;   in Loop: Header=BB348_4 Depth=1
	s_wait_xcnt 0x0
	s_lshl_b64 s[40:41], s[24:25], 3
	s_delay_alu instid0(SALU_CYCLE_1)
	s_add_nc_u64 s[40:41], s[20:21], s[40:41]
	global_load_b64 v[0:1], v9, s[40:41]
	s_wait_loadcnt 0x0
	v_add_nc_u64_e32 v[18:19], s[22:23], v[0:1]
.LBB348_13:                             ;   in Loop: Header=BB348_4 Depth=1
	s_wait_xcnt 0x0
	s_lshl_b64 s[40:41], s[24:25], 3
	s_and_not1_b32 vcc_lo, exec_lo, s30
	s_add_nc_u64 s[40:41], s[12:13], s[40:41]
	global_load_b64 v[0:1], v9, s[40:41]
	s_wait_loadcnt 0x0
	v_add_nc_u64_e32 v[14:15], s[14:15], v[0:1]
	s_cbranch_vccnz .LBB348_18
; %bb.14:                               ;   in Loop: Header=BB348_4 Depth=1
	s_wait_xcnt 0x0
	s_mov_b32 s40, 0
	s_mov_b32 s39, 0
                                        ; implicit-def: $vgpr2_vgpr3
	s_and_saveexec_b32 s41, s26
	s_cbranch_execz .LBB348_24
; %bb.15:                               ;   in Loop: Header=BB348_4 Depth=1
	v_mov_b64_e32 v[2:3], 0
	v_mov_b64_e32 v[0:1], 0
	s_and_not1_b32 vcc_lo, exec_lo, s35
	s_cbranch_vccnz .LBB348_17
; %bb.16:                               ;   in Loop: Header=BB348_4 Depth=1
	v_lshl_add_u64 v[0:1], v[10:11], 4, v[14:15]
	flat_load_b128 v[4:7], v[0:1]
	s_wait_loadcnt_dscnt 0x0
	s_wait_xcnt 0x0
	v_mul_f64_e32 v[0:1], s[10:11], v[6:7]
	v_mul_f64_e32 v[2:3], s[8:9], v[6:7]
	s_delay_alu instid0(VALU_DEP_2) | instskip(NEXT) | instid1(VALU_DEP_2)
	v_fma_f64 v[0:1], s[8:9], v[4:5], -v[0:1]
	v_fmac_f64_e32 v[2:3], s[10:11], v[4:5]
.LBB348_17:                             ;   in Loop: Header=BB348_4 Depth=1
	s_mov_b32 s39, exec_lo
	s_or_b32 exec_lo, exec_lo, s41
	s_delay_alu instid0(SALU_CYCLE_1)
	s_and_b32 vcc_lo, exec_lo, s40
	s_cbranch_vccnz .LBB348_19
	s_branch .LBB348_25
.LBB348_18:                             ;   in Loop: Header=BB348_4 Depth=1
	s_wait_xcnt 0x0
	s_mov_b32 s39, 0
                                        ; implicit-def: $vgpr2_vgpr3
	s_cbranch_execz .LBB348_25
.LBB348_19:                             ;   in Loop: Header=BB348_4 Depth=1
	v_mov_b64_e32 v[2:3], 0
	v_mov_b64_e32 v[0:1], 0
	v_mov_b32_e32 v25, v8
	s_and_saveexec_b32 s40, s0
	s_cbranch_execz .LBB348_27
; %bb.20:                               ;   in Loop: Header=BB348_4 Depth=1
	v_mov_b64_e32 v[2:3], 0
	v_dual_mov_b32 v4, v24 :: v_dual_mov_b32 v5, v23
	v_mov_b32_e32 v25, v8
	s_mov_b32 s41, 0
	s_delay_alu instid0(VALU_DEP_3)
	v_mov_b64_e32 v[0:1], v[2:3]
	s_branch .LBB348_22
.LBB348_21:                             ;   in Loop: Header=BB348_22 Depth=2
	s_wait_xcnt 0x0
	s_or_b32 exec_lo, exec_lo, s42
	v_dual_add_nc_u32 v25, 16, v25 :: v_dual_add_nc_u32 v4, s38, v4
	v_add_nc_u32_e32 v5, s37, v5
	s_delay_alu instid0(VALU_DEP_2) | instskip(SKIP_1) | instid1(SALU_CYCLE_1)
	v_cmp_le_i32_e32 vcc_lo, s34, v25
	s_or_b32 s41, vcc_lo, s41
	s_and_not1_b32 exec_lo, exec_lo, s41
	s_cbranch_execz .LBB348_26
.LBB348_22:                             ;   Parent Loop BB348_4 Depth=1
                                        ; =>  This Inner Loop Header: Depth=2
	s_and_saveexec_b32 s42, s1
	s_cbranch_execz .LBB348_21
; %bb.23:                               ;   in Loop: Header=BB348_22 Depth=2
	v_readfirstlane_b32 s44, v18
	v_readfirstlane_b32 s45, v19
	v_readfirstlane_b32 s46, v16
	v_readfirstlane_b32 s47, v17
	flat_load_b128 v[26:29], v5, s[44:45] scale_offset
	flat_load_b128 v[30:33], v4, s[46:47] scale_offset
	s_wait_loadcnt_dscnt 0x0
	v_mul_f64_e32 v[6:7], v[28:29], v[32:33]
	v_mul_f64_e32 v[32:33], v[26:27], v[32:33]
	s_delay_alu instid0(VALU_DEP_2) | instskip(NEXT) | instid1(VALU_DEP_2)
	v_fma_f64 v[6:7], v[26:27], v[30:31], -v[6:7]
	v_fmac_f64_e32 v[32:33], v[28:29], v[30:31]
	s_delay_alu instid0(VALU_DEP_2) | instskip(NEXT) | instid1(VALU_DEP_2)
	v_add_f64_e32 v[0:1], v[0:1], v[6:7]
	v_add_f64_e32 v[2:3], v[2:3], v[32:33]
	s_branch .LBB348_21
.LBB348_24:                             ;   in Loop: Header=BB348_4 Depth=1
	s_or_b32 exec_lo, exec_lo, s41
	s_delay_alu instid0(SALU_CYCLE_1)
	s_and_b32 vcc_lo, exec_lo, s40
	s_cbranch_vccnz .LBB348_19
.LBB348_25:                             ;   in Loop: Header=BB348_4 Depth=1
	v_mov_b64_e32 v[4:5], v[10:11]
	s_and_saveexec_b32 s40, s39
	s_cbranch_execz .LBB348_2
	s_branch .LBB348_40
.LBB348_26:                             ;   in Loop: Header=BB348_4 Depth=1
	s_or_b32 exec_lo, exec_lo, s41
.LBB348_27:                             ;   in Loop: Header=BB348_4 Depth=1
	s_delay_alu instid0(SALU_CYCLE_1) | instskip(NEXT) | instid1(SALU_CYCLE_1)
	s_or_b32 exec_lo, exec_lo, s40
	s_and_not1_b32 vcc_lo, exec_lo, s36
	s_cbranch_vccnz .LBB348_33
; %bb.28:                               ;   in Loop: Header=BB348_4 Depth=1
	v_mov_b64_e32 v[4:5], 0
	v_mov_b64_e32 v[6:7], 0
	v_cmp_gt_i32_e32 vcc_lo, s27, v25
	s_and_saveexec_b32 s40, vcc_lo
	s_cbranch_execz .LBB348_30
; %bb.29:                               ;   in Loop: Header=BB348_4 Depth=1
	v_mul_lo_u32 v4, v25, s33
	v_readfirstlane_b32 s42, v18
	v_readfirstlane_b32 s43, v19
	flat_load_b128 v[4:7], v4, s[42:43] scale_offset
.LBB348_30:                             ;   in Loop: Header=BB348_4 Depth=1
	s_wait_xcnt 0x0
	s_or_b32 exec_lo, exec_lo, s40
	s_and_saveexec_b32 s40, s1
	s_cbranch_execz .LBB348_32
; %bb.31:                               ;   in Loop: Header=BB348_4 Depth=1
	v_mul_lo_u32 v18, v25, s31
	v_readfirstlane_b32 s42, v16
	v_readfirstlane_b32 s43, v17
	s_delay_alu instid0(VALU_DEP_3) | instskip(NEXT) | instid1(VALU_DEP_1)
	v_cndmask_b32_e32 v18, 0, v18, vcc_lo
	v_add_nc_u32_e32 v16, v18, v21
	flat_load_b128 v[16:19], v16, s[42:43] scale_offset
	s_wait_loadcnt_dscnt 0x0
	v_mul_f64_e32 v[26:27], v[6:7], v[18:19]
	v_mul_f64_e32 v[18:19], v[4:5], v[18:19]
	s_delay_alu instid0(VALU_DEP_2) | instskip(NEXT) | instid1(VALU_DEP_2)
	v_fma_f64 v[4:5], v[4:5], v[16:17], -v[26:27]
	v_fmac_f64_e32 v[18:19], v[6:7], v[16:17]
	s_delay_alu instid0(VALU_DEP_2) | instskip(NEXT) | instid1(VALU_DEP_2)
	v_add_f64_e32 v[0:1], v[0:1], v[4:5]
	v_add_f64_e32 v[2:3], v[2:3], v[18:19]
.LBB348_32:                             ;   in Loop: Header=BB348_4 Depth=1
	s_wait_xcnt 0x0
	s_or_b32 exec_lo, exec_lo, s40
.LBB348_33:                             ;   in Loop: Header=BB348_4 Depth=1
	ds_store_b128 v22, v[0:3]
	s_wait_loadcnt_dscnt 0x0
	s_barrier_signal -1
	s_barrier_wait -1
                                        ; implicit-def: $vgpr2_vgpr3
	s_and_saveexec_b32 s40, s2
	s_cbranch_execz .LBB348_39
; %bb.34:                               ;   in Loop: Header=BB348_4 Depth=1
	ds_load_b128 v[0:3], v22
	ds_load_b128 v[4:7], v22 offset:1024
	s_mov_b32 s42, s39
	s_wait_dscnt 0x0
	v_add_f64_e32 v[16:17], v[0:1], v[4:5]
	v_add_f64_e32 v[18:19], v[2:3], v[6:7]
	ds_load_b128 v[0:3], v22 offset:2048
	ds_load_b128 v[4:7], v22 offset:3072
	s_wait_dscnt 0x1
	v_add_f64_e32 v[0:1], v[16:17], v[0:1]
	v_add_f64_e32 v[2:3], v[18:19], v[2:3]
	s_wait_dscnt 0x0
	s_delay_alu instid0(VALU_DEP_2) | instskip(NEXT) | instid1(VALU_DEP_2)
	v_add_f64_e32 v[16:17], v[0:1], v[4:5]
	v_add_f64_e32 v[18:19], v[2:3], v[6:7]
	ds_load_b128 v[0:3], v22 offset:4096
	ds_load_b128 v[4:7], v22 offset:5120
	s_wait_dscnt 0x1
	v_add_f64_e32 v[0:1], v[16:17], v[0:1]
	v_add_f64_e32 v[2:3], v[18:19], v[2:3]
	s_wait_dscnt 0x0
	s_delay_alu instid0(VALU_DEP_2) | instskip(NEXT) | instid1(VALU_DEP_2)
	;; [unrolled: 9-line block ×7, first 2 shown]
	v_add_f64_e32 v[4:5], v[0:1], v[4:5]
	v_add_f64_e32 v[6:7], v[2:3], v[6:7]
                                        ; implicit-def: $vgpr2_vgpr3
	ds_store_b128 v22, v[4:7]
	s_and_saveexec_b32 s41, s3
	s_cbranch_execz .LBB348_38
; %bb.35:                               ;   in Loop: Header=BB348_4 Depth=1
	v_mul_f64_e32 v[0:1], s[6:7], v[6:7]
	v_mul_f64_e32 v[2:3], s[4:5], v[6:7]
	s_and_not1_b32 vcc_lo, exec_lo, s35
	s_delay_alu instid0(VALU_DEP_2) | instskip(NEXT) | instid1(VALU_DEP_2)
	v_fma_f64 v[0:1], s[4:5], v[4:5], -v[0:1]
	v_fmac_f64_e32 v[2:3], s[6:7], v[4:5]
	s_cbranch_vccnz .LBB348_37
; %bb.36:                               ;   in Loop: Header=BB348_4 Depth=1
	v_lshl_add_u64 v[4:5], v[12:13], 4, v[14:15]
	flat_load_b128 v[4:7], v[4:5]
	s_wait_loadcnt_dscnt 0x0
	v_mul_f64_e32 v[16:17], s[10:11], v[6:7]
	v_mul_f64_e32 v[6:7], s[8:9], v[6:7]
	s_delay_alu instid0(VALU_DEP_2) | instskip(NEXT) | instid1(VALU_DEP_2)
	v_fma_f64 v[16:17], s[8:9], v[4:5], -v[16:17]
	v_fmac_f64_e32 v[6:7], s[10:11], v[4:5]
	s_delay_alu instid0(VALU_DEP_2) | instskip(NEXT) | instid1(VALU_DEP_2)
	v_add_f64_e32 v[0:1], v[0:1], v[16:17]
	v_add_f64_e32 v[2:3], v[2:3], v[6:7]
.LBB348_37:                             ;   in Loop: Header=BB348_4 Depth=1
	s_or_b32 s42, s39, exec_lo
.LBB348_38:                             ;   in Loop: Header=BB348_4 Depth=1
	s_wait_xcnt 0x0
	s_or_b32 exec_lo, exec_lo, s41
	s_delay_alu instid0(SALU_CYCLE_1) | instskip(SKIP_1) | instid1(SALU_CYCLE_1)
	s_and_not1_b32 s39, s39, exec_lo
	s_and_b32 s41, s42, exec_lo
	s_or_b32 s39, s39, s41
.LBB348_39:                             ;   in Loop: Header=BB348_4 Depth=1
	s_or_b32 exec_lo, exec_lo, s40
	v_mov_b64_e32 v[4:5], v[12:13]
	s_and_saveexec_b32 s40, s39
	s_cbranch_execz .LBB348_2
.LBB348_40:                             ;   in Loop: Header=BB348_4 Depth=1
	s_delay_alu instid0(VALU_DEP_1)
	v_lshl_add_u64 v[4:5], v[4:5], 4, v[14:15]
	flat_store_b128 v[4:5], v[0:3]
	s_branch .LBB348_2
.LBB348_41:
	s_endpgm
	.section	.rodata,"a",@progbits
	.p2align	6, 0x0
	.amdhsa_kernel _ZL20rocblas_gemvn_kernelILi64ELi16EiPK19rocblas_complex_numIdES1_KPS1_EviiT3_lPKT2_lT1_lS9_lSA_lS6_lPT4_lSA_li
		.amdhsa_group_segment_fixed_size 16384
		.amdhsa_private_segment_fixed_size 0
		.amdhsa_kernarg_size 416
		.amdhsa_user_sgpr_count 2
		.amdhsa_user_sgpr_dispatch_ptr 0
		.amdhsa_user_sgpr_queue_ptr 0
		.amdhsa_user_sgpr_kernarg_segment_ptr 1
		.amdhsa_user_sgpr_dispatch_id 0
		.amdhsa_user_sgpr_kernarg_preload_length 0
		.amdhsa_user_sgpr_kernarg_preload_offset 0
		.amdhsa_user_sgpr_private_segment_size 0
		.amdhsa_wavefront_size32 1
		.amdhsa_uses_dynamic_stack 0
		.amdhsa_enable_private_segment 0
		.amdhsa_system_sgpr_workgroup_id_x 1
		.amdhsa_system_sgpr_workgroup_id_y 0
		.amdhsa_system_sgpr_workgroup_id_z 1
		.amdhsa_system_sgpr_workgroup_info 0
		.amdhsa_system_vgpr_workitem_id 1
		.amdhsa_next_free_vgpr 34
		.amdhsa_next_free_sgpr 48
		.amdhsa_named_barrier_count 0
		.amdhsa_reserve_vcc 1
		.amdhsa_float_round_mode_32 0
		.amdhsa_float_round_mode_16_64 0
		.amdhsa_float_denorm_mode_32 3
		.amdhsa_float_denorm_mode_16_64 3
		.amdhsa_fp16_overflow 0
		.amdhsa_memory_ordered 1
		.amdhsa_forward_progress 1
		.amdhsa_inst_pref_size 15
		.amdhsa_round_robin_scheduling 0
		.amdhsa_exception_fp_ieee_invalid_op 0
		.amdhsa_exception_fp_denorm_src 0
		.amdhsa_exception_fp_ieee_div_zero 0
		.amdhsa_exception_fp_ieee_overflow 0
		.amdhsa_exception_fp_ieee_underflow 0
		.amdhsa_exception_fp_ieee_inexact 0
		.amdhsa_exception_int_div_zero 0
	.end_amdhsa_kernel
	.section	.text._ZL20rocblas_gemvn_kernelILi64ELi16EiPK19rocblas_complex_numIdES1_KPS1_EviiT3_lPKT2_lT1_lS9_lSA_lS6_lPT4_lSA_li,"axG",@progbits,_ZL20rocblas_gemvn_kernelILi64ELi16EiPK19rocblas_complex_numIdES1_KPS1_EviiT3_lPKT2_lT1_lS9_lSA_lS6_lPT4_lSA_li,comdat
.Lfunc_end348:
	.size	_ZL20rocblas_gemvn_kernelILi64ELi16EiPK19rocblas_complex_numIdES1_KPS1_EviiT3_lPKT2_lT1_lS9_lSA_lS6_lPT4_lSA_li, .Lfunc_end348-_ZL20rocblas_gemvn_kernelILi64ELi16EiPK19rocblas_complex_numIdES1_KPS1_EviiT3_lPKT2_lT1_lS9_lSA_lS6_lPT4_lSA_li
                                        ; -- End function
	.set _ZL20rocblas_gemvn_kernelILi64ELi16EiPK19rocblas_complex_numIdES1_KPS1_EviiT3_lPKT2_lT1_lS9_lSA_lS6_lPT4_lSA_li.num_vgpr, 34
	.set _ZL20rocblas_gemvn_kernelILi64ELi16EiPK19rocblas_complex_numIdES1_KPS1_EviiT3_lPKT2_lT1_lS9_lSA_lS6_lPT4_lSA_li.num_agpr, 0
	.set _ZL20rocblas_gemvn_kernelILi64ELi16EiPK19rocblas_complex_numIdES1_KPS1_EviiT3_lPKT2_lT1_lS9_lSA_lS6_lPT4_lSA_li.numbered_sgpr, 48
	.set _ZL20rocblas_gemvn_kernelILi64ELi16EiPK19rocblas_complex_numIdES1_KPS1_EviiT3_lPKT2_lT1_lS9_lSA_lS6_lPT4_lSA_li.num_named_barrier, 0
	.set _ZL20rocblas_gemvn_kernelILi64ELi16EiPK19rocblas_complex_numIdES1_KPS1_EviiT3_lPKT2_lT1_lS9_lSA_lS6_lPT4_lSA_li.private_seg_size, 0
	.set _ZL20rocblas_gemvn_kernelILi64ELi16EiPK19rocblas_complex_numIdES1_KPS1_EviiT3_lPKT2_lT1_lS9_lSA_lS6_lPT4_lSA_li.uses_vcc, 1
	.set _ZL20rocblas_gemvn_kernelILi64ELi16EiPK19rocblas_complex_numIdES1_KPS1_EviiT3_lPKT2_lT1_lS9_lSA_lS6_lPT4_lSA_li.uses_flat_scratch, 0
	.set _ZL20rocblas_gemvn_kernelILi64ELi16EiPK19rocblas_complex_numIdES1_KPS1_EviiT3_lPKT2_lT1_lS9_lSA_lS6_lPT4_lSA_li.has_dyn_sized_stack, 0
	.set _ZL20rocblas_gemvn_kernelILi64ELi16EiPK19rocblas_complex_numIdES1_KPS1_EviiT3_lPKT2_lT1_lS9_lSA_lS6_lPT4_lSA_li.has_recursion, 0
	.set _ZL20rocblas_gemvn_kernelILi64ELi16EiPK19rocblas_complex_numIdES1_KPS1_EviiT3_lPKT2_lT1_lS9_lSA_lS6_lPT4_lSA_li.has_indirect_call, 0
	.section	.AMDGPU.csdata,"",@progbits
; Kernel info:
; codeLenInByte = 1832
; TotalNumSgprs: 50
; NumVgprs: 34
; ScratchSize: 0
; MemoryBound: 1
; FloatMode: 240
; IeeeMode: 1
; LDSByteSize: 16384 bytes/workgroup (compile time only)
; SGPRBlocks: 0
; VGPRBlocks: 2
; NumSGPRsForWavesPerEU: 50
; NumVGPRsForWavesPerEU: 34
; NamedBarCnt: 0
; Occupancy: 16
; WaveLimiterHint : 1
; COMPUTE_PGM_RSRC2:SCRATCH_EN: 0
; COMPUTE_PGM_RSRC2:USER_SGPR: 2
; COMPUTE_PGM_RSRC2:TRAP_HANDLER: 0
; COMPUTE_PGM_RSRC2:TGID_X_EN: 1
; COMPUTE_PGM_RSRC2:TGID_Y_EN: 0
; COMPUTE_PGM_RSRC2:TGID_Z_EN: 1
; COMPUTE_PGM_RSRC2:TIDIG_COMP_CNT: 1
	.section	.text._ZL20rocblas_gemvn_kernelILi64ELi16ElPK19rocblas_complex_numIdES1_KPS1_EviiT3_lPKT2_lT1_lS9_lSA_lS6_lPT4_lSA_li,"axG",@progbits,_ZL20rocblas_gemvn_kernelILi64ELi16ElPK19rocblas_complex_numIdES1_KPS1_EviiT3_lPKT2_lT1_lS9_lSA_lS6_lPT4_lSA_li,comdat
	.globl	_ZL20rocblas_gemvn_kernelILi64ELi16ElPK19rocblas_complex_numIdES1_KPS1_EviiT3_lPKT2_lT1_lS9_lSA_lS6_lPT4_lSA_li ; -- Begin function _ZL20rocblas_gemvn_kernelILi64ELi16ElPK19rocblas_complex_numIdES1_KPS1_EviiT3_lPKT2_lT1_lS9_lSA_lS6_lPT4_lSA_li
	.p2align	8
	.type	_ZL20rocblas_gemvn_kernelILi64ELi16ElPK19rocblas_complex_numIdES1_KPS1_EviiT3_lPKT2_lT1_lS9_lSA_lS6_lPT4_lSA_li,@function
_ZL20rocblas_gemvn_kernelILi64ELi16ElPK19rocblas_complex_numIdES1_KPS1_EviiT3_lPKT2_lT1_lS9_lSA_lS6_lPT4_lSA_li: ; @_ZL20rocblas_gemvn_kernelILi64ELi16ElPK19rocblas_complex_numIdES1_KPS1_EviiT3_lPKT2_lT1_lS9_lSA_lS6_lPT4_lSA_li
; %bb.0:
	s_clause 0x1
	s_load_b64 s[4:5], s[0:1], 0xac
	s_load_b32 s33, s[0:1], 0x98
	s_bfe_u32 s2, ttmp6, 0x40014
	s_lshr_b32 s6, ttmp7, 16
	s_add_co_i32 s2, s2, 1
	s_bfe_u32 s3, ttmp6, 0x40008
	s_mul_i32 s7, s6, s2
	s_getreg_b32 s2, hwreg(HW_REG_IB_STS2, 6, 4)
	s_add_co_i32 s7, s3, s7
	s_mov_b32 s25, 0
	s_wait_kmcnt 0x0
	s_lshr_b32 s8, s4, 16
	s_and_b32 s3, s4, 0xffff
	s_and_b32 s4, s5, 0xffff
	s_mul_i32 s5, s8, s3
	s_cmp_eq_u32 s2, 0
	s_mul_i32 s5, s5, s4
	s_cselect_b32 s24, s6, s7
	s_cmp_lg_u32 s5, 0x400
	s_cselect_b32 s4, -1, 0
	s_cmp_ge_u32 s24, s33
	s_cselect_b32 s5, -1, 0
	s_delay_alu instid0(SALU_CYCLE_1) | instskip(NEXT) | instid1(SALU_CYCLE_1)
	s_or_b32 s4, s4, s5
	s_and_b32 vcc_lo, exec_lo, s4
	s_cbranch_vccnz .LBB349_41
; %bb.1:
	s_clause 0x1
	s_load_b128 s[4:7], s[0:1], 0x8
	s_load_b128 s[8:11], s[0:1], 0x60
	v_and_b32_e32 v1, 0x3ff, v0
	v_bfe_u32 v0, v0, 10, 10
	s_load_b64 s[26:27], s[0:1], 0x50
	s_and_b32 s19, ttmp6, 15
	s_clause 0x4
	s_load_b64 s[28:29], s[0:1], 0x0
	s_load_b64 s[30:31], s[0:1], 0x30
	s_load_b128 s[12:15], s[0:1], 0x40
	s_load_b64 s[34:35], s[0:1], 0x88
	s_load_b128 s[20:23], s[0:1], 0x78
	v_mad_u32_u24 v20, v0, s3, v1
	s_bfe_u32 s3, ttmp6, 0x4000c
	v_mov_b32_e32 v9, 0
	s_add_co_i32 s3, s3, 1
	s_delay_alu instid0(SALU_CYCLE_1)
	s_mul_i32 s3, ttmp9, s3
	v_lshrrev_b32_e32 v10, 6, v20
	s_add_co_i32 s19, s19, s3
	s_wait_kmcnt 0x0
	v_cmp_neq_f64_e64 s16, s[4:5], 0
	v_cmp_neq_f64_e64 s18, s[6:7], 0
	v_cmp_neq_f64_e64 s17, s[8:9], 1.0
	v_cmp_neq_f64_e64 s36, s[10:11], 0
	v_cmp_neq_f64_e64 s37, s[8:9], 0
	s_or_b32 s3, s16, s18
	s_or_b32 s38, s17, s36
	s_xor_b32 s39, s3, -1
	s_cmp_eq_u32 s2, 0
	v_cndmask_b32_e64 v28, 0, 1, s3
	s_cselect_b32 s2, ttmp9, s19
	s_load_b128 s[16:19], s[0:1], 0x20
	s_lshl_b32 s2, s2, 6
	s_delay_alu instid0(SALU_CYCLE_1) | instskip(SKIP_3) | instid1(VALU_DEP_3)
	v_dual_mov_b32 v11, v9 :: v_dual_bitop2_b32 v4, s2, v20 bitop3:0x54
	v_and_or_b32 v14, v20, 63, s2
	v_add_nc_u32_e32 v8, s2, v20
	s_ashr_i32 s2, s29, 31
	v_mul_u64_e32 v[0:1], s[26:27], v[10:11]
	v_mul_u64_e32 v[2:3], s[30:31], v[10:11]
	v_ashrrev_i32_e32 v15, 31, v14
	v_mul_u64_e32 v[12:13], s[34:35], v[8:9]
	s_wait_xcnt 0x0
	s_ashr_i32 s1, s28, 31
	s_mov_b32 s0, s28
	s_lshr_b32 s2, s2, 28
	v_lshlrev_b64_e32 v[6:7], 4, v[14:15]
	v_cmp_gt_i64_e32 vcc_lo, s[0:1], v[8:9]
	s_add_co_i32 s0, s29, s2
	s_or_b32 s41, s37, s36
	s_and_b32 s40, s0, -16
	v_lshlrev_b32_e32 v11, 4, v20
	s_sub_co_i32 s2, s29, s40
	v_cmp_gt_i32_e64 s0, s40, v10
	s_cmp_gt_i32 s2, 0
	v_cmp_gt_u32_e64 s2, 64, v20
	v_cmp_gt_i32_e64 s1, s28, v14
	v_cmp_gt_i32_e64 s3, s28, v4
	s_cselect_b32 s42, -1, 0
	s_lshl_b64 s[36:37], s[30:31], 8
	s_and_b32 s28, s2, vcc_lo
	s_wait_kmcnt 0x0
	s_lshl_b64 s[18:19], s[18:19], 4
	s_lshl_b64 s[14:15], s[14:15], 4
	;; [unrolled: 1-line block ×3, first 2 shown]
	v_lshlrev_b64_e32 v[18:19], 4, v[0:1]
	v_ashrrev_i32_e32 v5, 31, v4
	v_lshl_add_u64 v[20:21], v[2:3], 4, v[6:7]
	s_delay_alu instid0(VALU_DEP_1) | instskip(NEXT) | instid1(VALU_DEP_4)
	v_or_b32_e32 v20, 8, v20
	v_or_b32_e32 v18, 8, v18
	s_delay_alu instid0(VALU_DEP_4)
	v_mul_u64_e32 v[16:17], s[34:35], v[4:5]
	s_lshl_b64 s[34:35], s[26:27], 8
	s_branch .LBB349_4
.LBB349_2:                              ;   in Loop: Header=BB349_4 Depth=1
	s_wait_xcnt 0x0
	s_or_b32 exec_lo, exec_lo, s44
.LBB349_3:                              ;   in Loop: Header=BB349_4 Depth=1
	s_add_co_i32 s24, s24, 0x10000
	s_delay_alu instid0(SALU_CYCLE_1)
	s_cmp_lt_u32 s24, s33
	s_cbranch_scc0 .LBB349_41
.LBB349_4:                              ; =>This Loop Header: Depth=1
                                        ;     Child Loop BB349_22 Depth 2
	s_and_not1_b32 vcc_lo, exec_lo, s39
	s_cbranch_vccnz .LBB349_7
; %bb.5:                                ;   in Loop: Header=BB349_4 Depth=1
	s_wait_xcnt 0x0
	s_mov_b32 s44, 0
	s_and_b32 vcc_lo, exec_lo, s38
	s_mov_b32 s43, 0
	s_cbranch_vccz .LBB349_8
; %bb.6:                                ;   in Loop: Header=BB349_4 Depth=1
	s_mov_b32 s43, -1
	s_branch .LBB349_8
.LBB349_7:                              ;   in Loop: Header=BB349_4 Depth=1
	s_mov_b32 s43, 0
	s_wait_xcnt 0x0
	s_mov_b32 s44, -1
.LBB349_8:                              ;   in Loop: Header=BB349_4 Depth=1
	v_mov_b64_e32 v[24:25], 0
	s_and_b32 vcc_lo, exec_lo, s44
	s_cbranch_vccnz .LBB349_10
; %bb.9:                                ;   in Loop: Header=BB349_4 Depth=1
	s_and_not1_b32 vcc_lo, exec_lo, s43
	s_cbranch_vccnz .LBB349_3
	s_branch .LBB349_11
.LBB349_10:                             ;   in Loop: Header=BB349_4 Depth=1
	s_lshl_b64 s[44:45], s[24:25], 3
	s_delay_alu instid0(SALU_CYCLE_1)
	s_add_nc_u64 s[44:45], s[16:17], s[44:45]
	global_load_b64 v[0:1], v9, s[44:45]
	s_wait_loadcnt 0x0
	v_add_nc_u64_e32 v[24:25], s[18:19], v[0:1]
.LBB349_11:                             ;   in Loop: Header=BB349_4 Depth=1
	v_cmp_ne_u32_e32 vcc_lo, 1, v28
	v_mov_b64_e32 v[26:27], 0
	s_cbranch_vccnz .LBB349_13
; %bb.12:                               ;   in Loop: Header=BB349_4 Depth=1
	s_wait_xcnt 0x0
	s_lshl_b64 s[44:45], s[24:25], 3
	s_delay_alu instid0(SALU_CYCLE_1)
	s_add_nc_u64 s[44:45], s[12:13], s[44:45]
	global_load_b64 v[0:1], v9, s[44:45]
	s_wait_loadcnt 0x0
	v_add_nc_u64_e32 v[26:27], s[14:15], v[0:1]
.LBB349_13:                             ;   in Loop: Header=BB349_4 Depth=1
	s_wait_xcnt 0x0
	s_lshl_b64 s[44:45], s[24:25], 3
	s_and_not1_b32 vcc_lo, exec_lo, s39
	s_add_nc_u64 s[44:45], s[20:21], s[44:45]
	global_load_b64 v[0:1], v9, s[44:45]
	s_wait_loadcnt 0x0
	v_add_nc_u64_e32 v[22:23], s[22:23], v[0:1]
	s_cbranch_vccnz .LBB349_18
; %bb.14:                               ;   in Loop: Header=BB349_4 Depth=1
	s_wait_xcnt 0x0
	s_mov_b32 s44, 0
	s_mov_b32 s43, 0
                                        ; implicit-def: $vgpr2_vgpr3
	s_and_saveexec_b32 s45, s28
	s_cbranch_execz .LBB349_24
; %bb.15:                               ;   in Loop: Header=BB349_4 Depth=1
	v_mov_b64_e32 v[2:3], 0
	v_mov_b64_e32 v[0:1], 0
	s_and_not1_b32 vcc_lo, exec_lo, s41
	s_cbranch_vccnz .LBB349_17
; %bb.16:                               ;   in Loop: Header=BB349_4 Depth=1
	v_lshl_add_u64 v[0:1], v[12:13], 4, v[22:23]
	flat_load_b128 v[4:7], v[0:1]
	s_wait_loadcnt_dscnt 0x0
	s_wait_xcnt 0x0
	v_mul_f64_e32 v[0:1], s[10:11], v[6:7]
	v_mul_f64_e32 v[2:3], s[8:9], v[6:7]
	s_delay_alu instid0(VALU_DEP_2) | instskip(NEXT) | instid1(VALU_DEP_2)
	v_fma_f64 v[0:1], s[8:9], v[4:5], -v[0:1]
	v_fmac_f64_e32 v[2:3], s[10:11], v[4:5]
.LBB349_17:                             ;   in Loop: Header=BB349_4 Depth=1
	s_mov_b32 s43, exec_lo
	s_or_b32 exec_lo, exec_lo, s45
	s_delay_alu instid0(SALU_CYCLE_1)
	s_and_b32 vcc_lo, exec_lo, s44
	s_cbranch_vccnz .LBB349_19
	s_branch .LBB349_25
.LBB349_18:                             ;   in Loop: Header=BB349_4 Depth=1
	s_wait_xcnt 0x0
	s_mov_b32 s43, 0
                                        ; implicit-def: $vgpr2_vgpr3
	s_cbranch_execz .LBB349_25
.LBB349_19:                             ;   in Loop: Header=BB349_4 Depth=1
	v_mov_b64_e32 v[2:3], 0
	v_mov_b64_e32 v[0:1], 0
	v_mov_b32_e32 v8, v10
	s_and_saveexec_b32 s44, s0
	s_cbranch_execz .LBB349_27
; %bb.20:                               ;   in Loop: Header=BB349_4 Depth=1
	v_mov_b64_e32 v[2:3], 0
	v_add_nc_u64_e32 v[4:5], v[26:27], v[18:19]
	v_add_nc_u64_e32 v[6:7], v[24:25], v[20:21]
	v_mov_b32_e32 v8, v10
	s_mov_b32 s45, 0
	s_delay_alu instid0(VALU_DEP_4)
	v_mov_b64_e32 v[0:1], v[2:3]
	s_branch .LBB349_22
.LBB349_21:                             ;   in Loop: Header=BB349_22 Depth=2
	s_wait_xcnt 0x0
	s_or_b32 exec_lo, exec_lo, s46
	v_add_nc_u32_e32 v8, 16, v8
	v_add_nc_u64_e32 v[4:5], s[34:35], v[4:5]
	v_add_nc_u64_e32 v[6:7], s[36:37], v[6:7]
	s_delay_alu instid0(VALU_DEP_3) | instskip(SKIP_1) | instid1(SALU_CYCLE_1)
	v_cmp_le_i32_e32 vcc_lo, s40, v8
	s_or_b32 s45, vcc_lo, s45
	s_and_not1_b32 exec_lo, exec_lo, s45
	s_cbranch_execz .LBB349_26
.LBB349_22:                             ;   Parent Loop BB349_4 Depth=1
                                        ; =>  This Inner Loop Header: Depth=2
	s_and_saveexec_b32 s46, s1
	s_cbranch_execz .LBB349_21
; %bb.23:                               ;   in Loop: Header=BB349_22 Depth=2
	flat_load_b128 v[30:33], v[4:5] offset:-8
	flat_load_b128 v[34:37], v[6:7] offset:-8
	s_wait_loadcnt_dscnt 0x0
	v_mul_f64_e32 v[38:39], v[32:33], v[36:37]
	v_mul_f64_e32 v[36:37], v[30:31], v[36:37]
	s_delay_alu instid0(VALU_DEP_2) | instskip(NEXT) | instid1(VALU_DEP_2)
	v_fma_f64 v[30:31], v[30:31], v[34:35], -v[38:39]
	v_fmac_f64_e32 v[36:37], v[32:33], v[34:35]
	s_delay_alu instid0(VALU_DEP_2) | instskip(NEXT) | instid1(VALU_DEP_2)
	v_add_f64_e32 v[0:1], v[0:1], v[30:31]
	v_add_f64_e32 v[2:3], v[2:3], v[36:37]
	s_branch .LBB349_21
.LBB349_24:                             ;   in Loop: Header=BB349_4 Depth=1
	s_or_b32 exec_lo, exec_lo, s45
	s_delay_alu instid0(SALU_CYCLE_1)
	s_and_b32 vcc_lo, exec_lo, s44
	s_cbranch_vccnz .LBB349_19
.LBB349_25:                             ;   in Loop: Header=BB349_4 Depth=1
	v_mov_b64_e32 v[4:5], v[12:13]
	s_and_saveexec_b32 s44, s43
	s_cbranch_execz .LBB349_2
	s_branch .LBB349_40
.LBB349_26:                             ;   in Loop: Header=BB349_4 Depth=1
	s_or_b32 exec_lo, exec_lo, s45
.LBB349_27:                             ;   in Loop: Header=BB349_4 Depth=1
	s_delay_alu instid0(SALU_CYCLE_1) | instskip(NEXT) | instid1(SALU_CYCLE_1)
	s_or_b32 exec_lo, exec_lo, s44
	s_and_not1_b32 vcc_lo, exec_lo, s42
	s_cbranch_vccnz .LBB349_33
; %bb.28:                               ;   in Loop: Header=BB349_4 Depth=1
	v_mov_b64_e32 v[4:5], 0
	v_mov_b64_e32 v[6:7], 0
	v_cmp_gt_i32_e32 vcc_lo, s29, v8
	s_and_saveexec_b32 s44, vcc_lo
	s_cbranch_execz .LBB349_30
; %bb.29:                               ;   in Loop: Header=BB349_4 Depth=1
	v_mul_u64_e32 v[4:5], s[26:27], v[8:9]
	s_delay_alu instid0(VALU_DEP_1)
	v_lshl_add_u64 v[4:5], v[4:5], 4, v[26:27]
	flat_load_b128 v[4:7], v[4:5]
.LBB349_30:                             ;   in Loop: Header=BB349_4 Depth=1
	s_wait_xcnt 0x0
	s_or_b32 exec_lo, exec_lo, s44
	s_and_saveexec_b32 s44, s1
	s_cbranch_execz .LBB349_32
; %bb.31:                               ;   in Loop: Header=BB349_4 Depth=1
	v_mul_u64_e32 v[26:27], s[30:31], v[8:9]
	s_delay_alu instid0(VALU_DEP_1) | instskip(NEXT) | instid1(VALU_DEP_1)
	v_dual_cndmask_b32 v27, 0, v27 :: v_dual_cndmask_b32 v26, 0, v26
	v_lshl_add_u64 v[24:25], v[26:27], 4, v[24:25]
	s_delay_alu instid0(VALU_DEP_1) | instskip(SKIP_4) | instid1(VALU_DEP_2)
	v_lshl_add_u64 v[24:25], v[14:15], 4, v[24:25]
	flat_load_b128 v[24:27], v[24:25]
	s_wait_loadcnt_dscnt 0x0
	v_mul_f64_e32 v[30:31], v[6:7], v[26:27]
	v_mul_f64_e32 v[26:27], v[4:5], v[26:27]
	v_fma_f64 v[4:5], v[4:5], v[24:25], -v[30:31]
	s_delay_alu instid0(VALU_DEP_2) | instskip(NEXT) | instid1(VALU_DEP_2)
	v_fmac_f64_e32 v[26:27], v[6:7], v[24:25]
	v_add_f64_e32 v[0:1], v[0:1], v[4:5]
	s_delay_alu instid0(VALU_DEP_2)
	v_add_f64_e32 v[2:3], v[2:3], v[26:27]
.LBB349_32:                             ;   in Loop: Header=BB349_4 Depth=1
	s_wait_xcnt 0x0
	s_or_b32 exec_lo, exec_lo, s44
.LBB349_33:                             ;   in Loop: Header=BB349_4 Depth=1
	ds_store_b128 v11, v[0:3]
	s_wait_loadcnt_dscnt 0x0
	s_barrier_signal -1
	s_barrier_wait -1
                                        ; implicit-def: $vgpr2_vgpr3
	s_and_saveexec_b32 s44, s2
	s_cbranch_execz .LBB349_39
; %bb.34:                               ;   in Loop: Header=BB349_4 Depth=1
	ds_load_b128 v[0:3], v11
	ds_load_b128 v[4:7], v11 offset:1024
	s_mov_b32 s46, s43
	s_wait_dscnt 0x0
	v_add_f64_e32 v[24:25], v[0:1], v[4:5]
	v_add_f64_e32 v[26:27], v[2:3], v[6:7]
	ds_load_b128 v[0:3], v11 offset:2048
	ds_load_b128 v[4:7], v11 offset:3072
	s_wait_dscnt 0x1
	v_add_f64_e32 v[0:1], v[24:25], v[0:1]
	v_add_f64_e32 v[2:3], v[26:27], v[2:3]
	s_wait_dscnt 0x0
	s_delay_alu instid0(VALU_DEP_2) | instskip(NEXT) | instid1(VALU_DEP_2)
	v_add_f64_e32 v[24:25], v[0:1], v[4:5]
	v_add_f64_e32 v[26:27], v[2:3], v[6:7]
	ds_load_b128 v[0:3], v11 offset:4096
	ds_load_b128 v[4:7], v11 offset:5120
	s_wait_dscnt 0x1
	v_add_f64_e32 v[0:1], v[24:25], v[0:1]
	v_add_f64_e32 v[2:3], v[26:27], v[2:3]
	s_wait_dscnt 0x0
	s_delay_alu instid0(VALU_DEP_2) | instskip(NEXT) | instid1(VALU_DEP_2)
	;; [unrolled: 9-line block ×7, first 2 shown]
	v_add_f64_e32 v[4:5], v[0:1], v[4:5]
	v_add_f64_e32 v[6:7], v[2:3], v[6:7]
                                        ; implicit-def: $vgpr2_vgpr3
	ds_store_b128 v11, v[4:7]
	s_and_saveexec_b32 s45, s3
	s_cbranch_execz .LBB349_38
; %bb.35:                               ;   in Loop: Header=BB349_4 Depth=1
	v_mul_f64_e32 v[0:1], s[6:7], v[6:7]
	v_mul_f64_e32 v[2:3], s[4:5], v[6:7]
	s_and_not1_b32 vcc_lo, exec_lo, s41
	s_delay_alu instid0(VALU_DEP_2) | instskip(NEXT) | instid1(VALU_DEP_2)
	v_fma_f64 v[0:1], s[4:5], v[4:5], -v[0:1]
	v_fmac_f64_e32 v[2:3], s[6:7], v[4:5]
	s_cbranch_vccnz .LBB349_37
; %bb.36:                               ;   in Loop: Header=BB349_4 Depth=1
	v_lshl_add_u64 v[4:5], v[16:17], 4, v[22:23]
	flat_load_b128 v[4:7], v[4:5]
	s_wait_loadcnt_dscnt 0x0
	v_mul_f64_e32 v[24:25], s[10:11], v[6:7]
	v_mul_f64_e32 v[6:7], s[8:9], v[6:7]
	s_delay_alu instid0(VALU_DEP_2) | instskip(NEXT) | instid1(VALU_DEP_2)
	v_fma_f64 v[24:25], s[8:9], v[4:5], -v[24:25]
	v_fmac_f64_e32 v[6:7], s[10:11], v[4:5]
	s_delay_alu instid0(VALU_DEP_2) | instskip(NEXT) | instid1(VALU_DEP_2)
	v_add_f64_e32 v[0:1], v[0:1], v[24:25]
	v_add_f64_e32 v[2:3], v[2:3], v[6:7]
.LBB349_37:                             ;   in Loop: Header=BB349_4 Depth=1
	s_or_b32 s46, s43, exec_lo
.LBB349_38:                             ;   in Loop: Header=BB349_4 Depth=1
	s_wait_xcnt 0x0
	s_or_b32 exec_lo, exec_lo, s45
	s_delay_alu instid0(SALU_CYCLE_1) | instskip(SKIP_1) | instid1(SALU_CYCLE_1)
	s_and_not1_b32 s43, s43, exec_lo
	s_and_b32 s45, s46, exec_lo
	s_or_b32 s43, s43, s45
.LBB349_39:                             ;   in Loop: Header=BB349_4 Depth=1
	s_or_b32 exec_lo, exec_lo, s44
	v_mov_b64_e32 v[4:5], v[16:17]
	s_and_saveexec_b32 s44, s43
	s_cbranch_execz .LBB349_2
.LBB349_40:                             ;   in Loop: Header=BB349_4 Depth=1
	s_delay_alu instid0(VALU_DEP_1)
	v_lshl_add_u64 v[4:5], v[4:5], 4, v[22:23]
	flat_store_b128 v[4:5], v[0:3]
	s_branch .LBB349_2
.LBB349_41:
	s_endpgm
	.section	.rodata,"a",@progbits
	.p2align	6, 0x0
	.amdhsa_kernel _ZL20rocblas_gemvn_kernelILi64ELi16ElPK19rocblas_complex_numIdES1_KPS1_EviiT3_lPKT2_lT1_lS9_lSA_lS6_lPT4_lSA_li
		.amdhsa_group_segment_fixed_size 16384
		.amdhsa_private_segment_fixed_size 0
		.amdhsa_kernarg_size 416
		.amdhsa_user_sgpr_count 2
		.amdhsa_user_sgpr_dispatch_ptr 0
		.amdhsa_user_sgpr_queue_ptr 0
		.amdhsa_user_sgpr_kernarg_segment_ptr 1
		.amdhsa_user_sgpr_dispatch_id 0
		.amdhsa_user_sgpr_kernarg_preload_length 0
		.amdhsa_user_sgpr_kernarg_preload_offset 0
		.amdhsa_user_sgpr_private_segment_size 0
		.amdhsa_wavefront_size32 1
		.amdhsa_uses_dynamic_stack 0
		.amdhsa_enable_private_segment 0
		.amdhsa_system_sgpr_workgroup_id_x 1
		.amdhsa_system_sgpr_workgroup_id_y 0
		.amdhsa_system_sgpr_workgroup_id_z 1
		.amdhsa_system_sgpr_workgroup_info 0
		.amdhsa_system_vgpr_workitem_id 1
		.amdhsa_next_free_vgpr 40
		.amdhsa_next_free_sgpr 47
		.amdhsa_named_barrier_count 0
		.amdhsa_reserve_vcc 1
		.amdhsa_float_round_mode_32 0
		.amdhsa_float_round_mode_16_64 0
		.amdhsa_float_denorm_mode_32 3
		.amdhsa_float_denorm_mode_16_64 3
		.amdhsa_fp16_overflow 0
		.amdhsa_memory_ordered 1
		.amdhsa_forward_progress 1
		.amdhsa_inst_pref_size 15
		.amdhsa_round_robin_scheduling 0
		.amdhsa_exception_fp_ieee_invalid_op 0
		.amdhsa_exception_fp_denorm_src 0
		.amdhsa_exception_fp_ieee_div_zero 0
		.amdhsa_exception_fp_ieee_overflow 0
		.amdhsa_exception_fp_ieee_underflow 0
		.amdhsa_exception_fp_ieee_inexact 0
		.amdhsa_exception_int_div_zero 0
	.end_amdhsa_kernel
	.section	.text._ZL20rocblas_gemvn_kernelILi64ELi16ElPK19rocblas_complex_numIdES1_KPS1_EviiT3_lPKT2_lT1_lS9_lSA_lS6_lPT4_lSA_li,"axG",@progbits,_ZL20rocblas_gemvn_kernelILi64ELi16ElPK19rocblas_complex_numIdES1_KPS1_EviiT3_lPKT2_lT1_lS9_lSA_lS6_lPT4_lSA_li,comdat
.Lfunc_end349:
	.size	_ZL20rocblas_gemvn_kernelILi64ELi16ElPK19rocblas_complex_numIdES1_KPS1_EviiT3_lPKT2_lT1_lS9_lSA_lS6_lPT4_lSA_li, .Lfunc_end349-_ZL20rocblas_gemvn_kernelILi64ELi16ElPK19rocblas_complex_numIdES1_KPS1_EviiT3_lPKT2_lT1_lS9_lSA_lS6_lPT4_lSA_li
                                        ; -- End function
	.set _ZL20rocblas_gemvn_kernelILi64ELi16ElPK19rocblas_complex_numIdES1_KPS1_EviiT3_lPKT2_lT1_lS9_lSA_lS6_lPT4_lSA_li.num_vgpr, 40
	.set _ZL20rocblas_gemvn_kernelILi64ELi16ElPK19rocblas_complex_numIdES1_KPS1_EviiT3_lPKT2_lT1_lS9_lSA_lS6_lPT4_lSA_li.num_agpr, 0
	.set _ZL20rocblas_gemvn_kernelILi64ELi16ElPK19rocblas_complex_numIdES1_KPS1_EviiT3_lPKT2_lT1_lS9_lSA_lS6_lPT4_lSA_li.numbered_sgpr, 47
	.set _ZL20rocblas_gemvn_kernelILi64ELi16ElPK19rocblas_complex_numIdES1_KPS1_EviiT3_lPKT2_lT1_lS9_lSA_lS6_lPT4_lSA_li.num_named_barrier, 0
	.set _ZL20rocblas_gemvn_kernelILi64ELi16ElPK19rocblas_complex_numIdES1_KPS1_EviiT3_lPKT2_lT1_lS9_lSA_lS6_lPT4_lSA_li.private_seg_size, 0
	.set _ZL20rocblas_gemvn_kernelILi64ELi16ElPK19rocblas_complex_numIdES1_KPS1_EviiT3_lPKT2_lT1_lS9_lSA_lS6_lPT4_lSA_li.uses_vcc, 1
	.set _ZL20rocblas_gemvn_kernelILi64ELi16ElPK19rocblas_complex_numIdES1_KPS1_EviiT3_lPKT2_lT1_lS9_lSA_lS6_lPT4_lSA_li.uses_flat_scratch, 0
	.set _ZL20rocblas_gemvn_kernelILi64ELi16ElPK19rocblas_complex_numIdES1_KPS1_EviiT3_lPKT2_lT1_lS9_lSA_lS6_lPT4_lSA_li.has_dyn_sized_stack, 0
	.set _ZL20rocblas_gemvn_kernelILi64ELi16ElPK19rocblas_complex_numIdES1_KPS1_EviiT3_lPKT2_lT1_lS9_lSA_lS6_lPT4_lSA_li.has_recursion, 0
	.set _ZL20rocblas_gemvn_kernelILi64ELi16ElPK19rocblas_complex_numIdES1_KPS1_EviiT3_lPKT2_lT1_lS9_lSA_lS6_lPT4_lSA_li.has_indirect_call, 0
	.section	.AMDGPU.csdata,"",@progbits
; Kernel info:
; codeLenInByte = 1828
; TotalNumSgprs: 49
; NumVgprs: 40
; ScratchSize: 0
; MemoryBound: 1
; FloatMode: 240
; IeeeMode: 1
; LDSByteSize: 16384 bytes/workgroup (compile time only)
; SGPRBlocks: 0
; VGPRBlocks: 2
; NumSGPRsForWavesPerEU: 49
; NumVGPRsForWavesPerEU: 40
; NamedBarCnt: 0
; Occupancy: 16
; WaveLimiterHint : 1
; COMPUTE_PGM_RSRC2:SCRATCH_EN: 0
; COMPUTE_PGM_RSRC2:USER_SGPR: 2
; COMPUTE_PGM_RSRC2:TRAP_HANDLER: 0
; COMPUTE_PGM_RSRC2:TGID_X_EN: 1
; COMPUTE_PGM_RSRC2:TGID_Y_EN: 0
; COMPUTE_PGM_RSRC2:TGID_Z_EN: 1
; COMPUTE_PGM_RSRC2:TIDIG_COMP_CNT: 1
	.section	.text._ZL22rocblas_gemvtsm_kernelILb0ELi256EPK19rocblas_complex_numIdES3_KPS1_EviiT2_lPKT1_lilS9_lilS6_lPT3_lil,"axG",@progbits,_ZL22rocblas_gemvtsm_kernelILb0ELi256EPK19rocblas_complex_numIdES3_KPS1_EviiT2_lPKT1_lilS9_lilS6_lPT3_lil,comdat
	.globl	_ZL22rocblas_gemvtsm_kernelILb0ELi256EPK19rocblas_complex_numIdES3_KPS1_EviiT2_lPKT1_lilS9_lilS6_lPT3_lil ; -- Begin function _ZL22rocblas_gemvtsm_kernelILb0ELi256EPK19rocblas_complex_numIdES3_KPS1_EviiT2_lPKT1_lilS9_lilS6_lPT3_lil
	.p2align	8
	.type	_ZL22rocblas_gemvtsm_kernelILb0ELi256EPK19rocblas_complex_numIdES3_KPS1_EviiT2_lPKT1_lilS9_lilS6_lPT3_lil,@function
_ZL22rocblas_gemvtsm_kernelILb0ELi256EPK19rocblas_complex_numIdES3_KPS1_EviiT2_lPKT1_lilS9_lilS6_lPT3_lil: ; @_ZL22rocblas_gemvtsm_kernelILb0ELi256EPK19rocblas_complex_numIdES3_KPS1_EviiT2_lPKT1_lilS9_lilS6_lPT3_lil
; %bb.0:
	s_load_b256 s[8:15], s[0:1], 0x8
	s_bfe_u32 s2, ttmp6, 0x4000c
	s_and_b32 s3, ttmp6, 15
	s_add_co_i32 s2, s2, 1
	s_getreg_b32 s4, hwreg(HW_REG_IB_STS2, 6, 4)
	s_mul_i32 s2, ttmp9, s2
	s_mov_b32 s24, -1
	s_add_co_i32 s2, s3, s2
	s_cmp_eq_u32 s4, 0
	s_mov_b32 s3, 0
	s_cselect_b32 s2, ttmp9, s2
	s_wait_kmcnt 0x0
	s_mul_u64 s[4:5], s[10:11], s[2:3]
	s_delay_alu instid0(SALU_CYCLE_1) | instskip(NEXT) | instid1(SALU_CYCLE_1)
	s_lshl_b64 s[4:5], s[4:5], 4
	s_add_nc_u64 s[20:21], s[8:9], s[4:5]
	s_load_b128 s[16:19], s[20:21], 0x0
	s_load_b256 s[4:11], s[0:1], 0x58
	s_wait_kmcnt 0x0
	v_cmp_neq_f64_e64 s22, s[16:17], 0
	v_cmp_neq_f64_e64 s23, s[18:19], 0
	s_mul_u64 s[6:7], s[6:7], s[2:3]
	s_delay_alu instid0(SALU_CYCLE_1) | instskip(NEXT) | instid1(SALU_CYCLE_1)
	s_lshl_b64 s[6:7], s[6:7], 4
	s_add_nc_u64 s[20:21], s[4:5], s[6:7]
	s_load_b128 s[4:7], s[20:21], 0x0
	s_wait_xcnt 0x0
	s_mov_b64 s[20:21], 0
	s_or_b32 s22, s22, s23
	s_mov_b32 s23, s3
	s_and_b32 vcc_lo, exec_lo, s22
	s_cbranch_vccz .LBB350_3
; %bb.1:
	s_and_not1_b32 vcc_lo, exec_lo, s24
	s_cbranch_vccz .LBB350_4
.LBB350_2:
	s_and_not1_b32 vcc_lo, exec_lo, s23
	s_cbranch_vccz .LBB350_5
	s_branch .LBB350_40
.LBB350_3:
	s_wait_kmcnt 0x0
	v_cmp_neq_f64_e64 s23, s[4:5], 1.0
	v_cmp_neq_f64_e64 s24, s[6:7], 0
	s_or_b32 s23, s23, s24
	s_cbranch_execnz .LBB350_2
.LBB350_4:
	s_lshl_b64 s[20:21], s[2:3], 3
	s_lshl_b64 s[14:15], s[14:15], 4
	s_add_nc_u64 s[12:13], s[12:13], s[20:21]
	s_load_b64 s[12:13], s[12:13], 0x0
	s_wait_kmcnt 0x0
	s_add_nc_u64 s[20:21], s[12:13], s[14:15]
.LBB350_5:
	v_cndmask_b32_e64 v1, 0, 1, s22
	s_xor_b32 s22, s22, -1
	s_mov_b64 s[14:15], 0
	s_delay_alu instid0(VALU_DEP_1)
	v_cmp_ne_u32_e32 vcc_lo, 1, v1
	s_cbranch_vccnz .LBB350_7
; %bb.6:
	s_load_b128 s[12:15], s[0:1], 0x38
	s_lshl_b64 s[24:25], s[2:3], 3
	s_wait_kmcnt 0x0
	s_add_nc_u64 s[12:13], s[12:13], s[24:25]
	s_lshl_b64 s[14:15], s[14:15], 4
	s_load_b64 s[12:13], s[12:13], 0x0
	s_wait_kmcnt 0x0
	s_add_nc_u64 s[14:15], s[12:13], s[14:15]
.LBB350_7:
	s_lshl_b64 s[2:3], s[2:3], 3
	s_and_not1_b32 vcc_lo, exec_lo, s22
	s_add_nc_u64 s[24:25], s[8:9], s[2:3]
	s_clause 0x1
	s_load_b64 s[2:3], s[0:1], 0x0
	s_load_b32 s8, s[0:1], 0x78
	s_load_b64 s[12:13], s[24:25], 0x0
	s_mov_b32 s9, -1
	s_cbranch_vccnz .LBB350_22
; %bb.8:
	s_wait_kmcnt 0x0
	v_cmp_neq_f64_e64 s9, s[4:5], 0
	v_cmp_neq_f64_e64 s22, s[6:7], 0
	s_or_b32 s9, s9, s22
	s_cmp_gt_i32 s3, 0
	s_cselect_b32 s24, -1, 0
	s_and_b32 vcc_lo, exec_lo, s9
	s_mov_b32 s9, -1
	s_cbranch_vccnz .LBB350_15
; %bb.9:
	s_and_not1_b32 vcc_lo, exec_lo, s24
	s_cbranch_vccnz .LBB350_14
; %bb.10:
	v_mov_b32_e32 v2, 0
	s_ashr_i32 s9, s8, 31
	s_lshl_b64 s[22:23], s[10:11], 4
	s_delay_alu instid0(SALU_CYCLE_1) | instskip(NEXT) | instid1(VALU_DEP_1)
	s_add_nc_u64 s[22:23], s[12:13], s[22:23]
	v_mov_b32_e32 v1, v2
	s_delay_alu instid0(VALU_DEP_1) | instskip(NEXT) | instid1(VALU_DEP_1)
	v_mul_u64_e32 v[4:5], s[8:9], v[0:1]
	v_lshl_add_u64 v[4:5], v[4:5], 4, s[22:23]
	s_lshl_b64 s[22:23], s[8:9], 12
	s_mov_b32 s9, 0
	s_delay_alu instid0(VALU_DEP_1)
	v_add_nc_u64_e32 v[6:7], 8, v[4:5]
	s_branch .LBB350_12
.LBB350_11:                             ;   in Loop: Header=BB350_12 Depth=1
	s_wait_xcnt 0x0
	s_or_b32 exec_lo, exec_lo, s25
	v_add_nc_u64_e32 v[6:7], s[22:23], v[6:7]
	s_addk_co_i32 s9, 0x100
	s_delay_alu instid0(SALU_CYCLE_1)
	s_cmp_ge_i32 s9, s3
	s_cbranch_scc1 .LBB350_14
.LBB350_12:                             ; =>This Inner Loop Header: Depth=1
	v_add_nc_u32_e32 v1, s9, v0
	s_mov_b32 s25, exec_lo
	s_delay_alu instid0(VALU_DEP_1)
	v_cmpx_gt_i32_e64 s3, v1
	s_cbranch_execz .LBB350_11
; %bb.13:                               ;   in Loop: Header=BB350_12 Depth=1
	v_dual_mov_b32 v3, v2 :: v_dual_mov_b32 v4, v2
	v_mov_b32_e32 v5, v2
	flat_store_b128 v[6:7], v[2:5] offset:-8
	s_branch .LBB350_11
.LBB350_14:
	s_mov_b32 s9, 0
.LBB350_15:
	s_delay_alu instid0(SALU_CYCLE_1)
	s_and_not1_b32 vcc_lo, exec_lo, s9
	s_cbranch_vccnz .LBB350_21
; %bb.16:
	s_and_not1_b32 vcc_lo, exec_lo, s24
	s_cbranch_vccnz .LBB350_21
; %bb.17:
	v_mov_b32_e32 v1, 0
	s_ashr_i32 s9, s8, 31
	s_lshl_b64 s[22:23], s[10:11], 4
	s_delay_alu instid0(SALU_CYCLE_1) | instskip(NEXT) | instid1(VALU_DEP_1)
	s_add_nc_u64 s[22:23], s[12:13], s[22:23]
	v_mul_u64_e32 v[2:3], s[8:9], v[0:1]
	s_delay_alu instid0(VALU_DEP_1) | instskip(SKIP_2) | instid1(VALU_DEP_1)
	v_lshl_add_u64 v[2:3], v[2:3], 4, s[22:23]
	s_lshl_b64 s[22:23], s[8:9], 12
	s_mov_b32 s9, 0
	v_add_nc_u64_e32 v[2:3], 8, v[2:3]
	s_branch .LBB350_19
.LBB350_18:                             ;   in Loop: Header=BB350_19 Depth=1
	s_wait_xcnt 0x0
	s_or_b32 exec_lo, exec_lo, s24
	v_add_nc_u64_e32 v[2:3], s[22:23], v[2:3]
	s_addk_co_i32 s9, 0x100
	s_delay_alu instid0(SALU_CYCLE_1)
	s_cmp_ge_i32 s9, s3
	s_cbranch_scc1 .LBB350_21
.LBB350_19:                             ; =>This Inner Loop Header: Depth=1
	v_add_nc_u32_e32 v1, s9, v0
	s_mov_b32 s24, exec_lo
	s_delay_alu instid0(VALU_DEP_1)
	v_cmpx_gt_i32_e64 s3, v1
	s_cbranch_execz .LBB350_18
; %bb.20:                               ;   in Loop: Header=BB350_19 Depth=1
	flat_load_b128 v[4:7], v[2:3] offset:-8
	s_wait_loadcnt_dscnt 0x0
	v_mul_f64_e32 v[10:11], s[6:7], v[6:7]
	v_mul_f64_e32 v[8:9], s[4:5], v[6:7]
	s_delay_alu instid0(VALU_DEP_2) | instskip(NEXT) | instid1(VALU_DEP_2)
	v_fma_f64 v[6:7], s[4:5], v[4:5], -v[10:11]
	v_fmac_f64_e32 v[8:9], s[6:7], v[4:5]
	flat_store_b128 v[2:3], v[6:9] offset:-8
	s_branch .LBB350_18
.LBB350_21:
	s_mov_b32 s9, 0
.LBB350_22:
	s_delay_alu instid0(SALU_CYCLE_1)
	s_and_not1_b32 vcc_lo, exec_lo, s9
	s_cbranch_vccnz .LBB350_40
; %bb.23:
	s_mov_b32 s9, exec_lo
	s_wait_kmcnt 0x0
	v_cmpx_gt_i32_e64 s2, v0
	s_cbranch_execz .LBB350_25
; %bb.24:
	s_load_b32 s22, s[0:1], 0x48
	v_mov_b32_e32 v1, 0
	s_wait_kmcnt 0x0
	s_ashr_i32 s23, s22, 31
	s_delay_alu instid0(VALU_DEP_1) | instid1(SALU_CYCLE_1)
	v_mul_u64_e32 v[2:3], s[22:23], v[0:1]
	v_lshlrev_b32_e32 v1, 4, v0
	s_delay_alu instid0(VALU_DEP_2) | instskip(SKIP_4) | instid1(VALU_DEP_2)
	v_lshl_add_u64 v[2:3], v[2:3], 4, s[14:15]
	flat_load_b128 v[2:5], v[2:3]
	s_wait_loadcnt_dscnt 0x0
	v_mul_f64_e32 v[8:9], s[18:19], v[4:5]
	v_mul_f64_e32 v[6:7], s[16:17], v[4:5]
	v_fma_f64 v[4:5], s[16:17], v[2:3], -v[8:9]
	s_delay_alu instid0(VALU_DEP_2)
	v_fmac_f64_e32 v[6:7], s[18:19], v[2:3]
	ds_store_b128 v1, v[4:7]
.LBB350_25:
	s_wait_xcnt 0x0
	s_or_b32 exec_lo, exec_lo, s9
	s_cmp_lt_i32 s3, 1
	s_wait_storecnt_dscnt 0x0
	s_barrier_signal -1
	s_barrier_wait -1
	s_cbranch_scc1 .LBB350_40
; %bb.26:
	s_load_b32 s14, s[0:1], 0x28
	v_mov_b32_e32 v7, 0
	s_wait_xcnt 0x0
	v_cmp_neq_f64_e64 s0, s[4:5], 0
	v_cmp_neq_f64_e64 s1, s[6:7], 0
	s_lshl_b64 s[10:11], s[10:11], 4
	s_ashr_i32 s9, s8, 31
	v_mov_b32_e32 v1, v7
	s_add_nc_u64 s[10:11], s[12:13], s[10:11]
	s_wait_kmcnt 0x0
	s_ashr_i32 s15, s14, 31
	s_delay_alu instid0(VALU_DEP_1) | instid1(SALU_CYCLE_1)
	v_mul_u64_e32 v[2:3], s[14:15], v[0:1]
	s_or_b32 s16, s0, s1
	s_cmp_gt_i32 s2, 0
	s_mov_b32 s1, 0
	s_cselect_b32 s17, -1, 0
	s_and_b32 s0, s2, 7
	s_cmp_gt_u32 s2, 7
	s_cselect_b32 s18, -1, 0
	s_and_b32 s2, s2, 0x7ffffff8
	s_cmp_lg_u32 s0, 0
	s_cselect_b32 s19, -1, 0
	s_lshl_b64 s[12:13], s[14:15], 12
	s_delay_alu instid0(VALU_DEP_1) | instskip(SKIP_2) | instid1(VALU_DEP_1)
	v_lshl_add_u64 v[8:9], v[2:3], 4, s[20:21]
	s_lshl_b32 s20, s0, 4
	s_mov_b32 s21, 0
	v_add_nc_u64_e32 v[10:11], 0x78, v[8:9]
	s_branch .LBB350_29
.LBB350_27:                             ;   in Loop: Header=BB350_29 Depth=1
	flat_store_b128 v[12:13], v[2:5]
.LBB350_28:                             ;   in Loop: Header=BB350_29 Depth=1
	s_wait_xcnt 0x0
	s_or_b32 exec_lo, exec_lo, s22
	v_add_nc_u64_e32 v[10:11], s[12:13], v[10:11]
	v_add_nc_u64_e32 v[8:9], s[12:13], v[8:9]
	s_addk_co_i32 s21, 0x100
	s_delay_alu instid0(SALU_CYCLE_1)
	s_cmp_ge_i32 s21, s3
	s_cbranch_scc1 .LBB350_40
.LBB350_29:                             ; =>This Loop Header: Depth=1
                                        ;     Child Loop BB350_35 Depth 2
                                        ;     Child Loop BB350_39 Depth 2
	v_add_nc_u32_e32 v6, s21, v0
	s_mov_b32 s22, exec_lo
	s_delay_alu instid0(VALU_DEP_1)
	v_cmpx_gt_i32_e64 s3, v6
	s_cbranch_execz .LBB350_28
; %bb.30:                               ;   in Loop: Header=BB350_29 Depth=1
	v_mul_u64_e32 v[12:13], s[8:9], v[6:7]
	v_mov_b64_e32 v[2:3], 0
	v_mov_b64_e32 v[4:5], 0
	s_and_not1_b32 vcc_lo, exec_lo, s16
	s_delay_alu instid0(VALU_DEP_3)
	v_lshl_add_u64 v[12:13], v[12:13], 4, s[10:11]
	s_cbranch_vccnz .LBB350_32
; %bb.31:                               ;   in Loop: Header=BB350_29 Depth=1
	flat_load_b128 v[14:17], v[12:13]
	s_wait_loadcnt_dscnt 0x0
	v_mul_f64_e32 v[2:3], s[6:7], v[16:17]
	v_mul_f64_e32 v[4:5], s[4:5], v[16:17]
	s_delay_alu instid0(VALU_DEP_2) | instskip(NEXT) | instid1(VALU_DEP_2)
	v_fma_f64 v[2:3], s[4:5], v[14:15], -v[2:3]
	v_fmac_f64_e32 v[4:5], s[6:7], v[14:15]
.LBB350_32:                             ;   in Loop: Header=BB350_29 Depth=1
	s_and_not1_b32 vcc_lo, exec_lo, s17
	s_cbranch_vccnz .LBB350_27
; %bb.33:                               ;   in Loop: Header=BB350_29 Depth=1
	s_and_not1_b32 vcc_lo, exec_lo, s18
	s_mov_b32 s0, 0
	s_cbranch_vccnz .LBB350_37
; %bb.34:                               ;   in Loop: Header=BB350_29 Depth=1
	v_mov_b64_e32 v[14:15], v[10:11]
	s_mov_b32 s14, 0
.LBB350_35:                             ;   Parent Loop BB350_29 Depth=1
                                        ; =>  This Inner Loop Header: Depth=2
	s_clause 0x7
	flat_load_b128 v[16:19], v[14:15] offset:-120
	flat_load_b128 v[20:23], v[14:15] offset:-104
	;; [unrolled: 1-line block ×8, first 2 shown]
	v_mov_b32_e32 v1, s0
	s_wait_xcnt 0x0
	v_add_nc_u64_e32 v[14:15], 0x80, v[14:15]
	s_add_co_i32 s14, s14, 8
	s_addk_co_i32 s0, 0x80
	ds_load_b128 v[48:51], v1
	ds_load_b128 v[52:55], v1 offset:16
	s_cmp_eq_u32 s2, s14
	s_wait_loadcnt_dscnt 0x701
	v_mul_f64_e32 v[56:57], v[18:19], v[50:51]
	v_mul_f64_e32 v[58:59], v[16:17], v[50:51]
	s_wait_loadcnt_dscnt 0x600
	v_mul_f64_e32 v[60:61], v[22:23], v[54:55]
	v_mul_f64_e32 v[54:55], v[20:21], v[54:55]
	s_delay_alu instid0(VALU_DEP_4) | instskip(NEXT) | instid1(VALU_DEP_4)
	v_fma_f64 v[56:57], v[16:17], v[48:49], -v[56:57]
	v_fmac_f64_e32 v[58:59], v[18:19], v[48:49]
	ds_load_b128 v[16:19], v1 offset:32
	ds_load_b128 v[48:51], v1 offset:48
	v_fmac_f64_e32 v[54:55], v[22:23], v[52:53]
	s_wait_loadcnt_dscnt 0x501
	v_mul_f64_e32 v[62:63], v[26:27], v[18:19]
	v_mul_f64_e32 v[64:65], v[24:25], v[18:19]
	v_fma_f64 v[18:19], v[20:21], v[52:53], -v[60:61]
	s_wait_loadcnt_dscnt 0x400
	v_mul_f64_e32 v[20:21], v[30:31], v[50:51]
	v_mul_f64_e32 v[22:23], v[28:29], v[50:51]
	v_add_f64_e32 v[2:3], v[2:3], v[56:57]
	v_add_f64_e32 v[4:5], v[4:5], v[58:59]
	v_fma_f64 v[24:25], v[24:25], v[16:17], -v[62:63]
	v_fmac_f64_e32 v[64:65], v[26:27], v[16:17]
	v_fmac_f64_e32 v[22:23], v[30:31], v[48:49]
	v_add_f64_e32 v[26:27], v[2:3], v[18:19]
	v_add_f64_e32 v[50:51], v[4:5], v[54:55]
	ds_load_b128 v[2:5], v1 offset:64
	ds_load_b128 v[16:19], v1 offset:80
	s_wait_loadcnt_dscnt 0x301
	v_mul_f64_e32 v[52:53], v[34:35], v[4:5]
	v_mul_f64_e32 v[54:55], v[32:33], v[4:5]
	v_fma_f64 v[4:5], v[28:29], v[48:49], -v[20:21]
	s_wait_loadcnt_dscnt 0x200
	v_mul_f64_e32 v[28:29], v[36:37], v[18:19]
	v_add_f64_e32 v[20:21], v[26:27], v[24:25]
	v_add_f64_e32 v[24:25], v[50:51], v[64:65]
	v_mul_f64_e32 v[26:27], v[38:39], v[18:19]
	v_fma_f64 v[30:31], v[32:33], v[2:3], -v[52:53]
	v_fmac_f64_e32 v[54:55], v[34:35], v[2:3]
	v_fmac_f64_e32 v[28:29], v[38:39], v[16:17]
	v_add_f64_e32 v[32:33], v[20:21], v[4:5]
	v_add_f64_e32 v[22:23], v[24:25], v[22:23]
	ds_load_b128 v[2:5], v1 offset:96
	ds_load_b128 v[18:21], v1 offset:112
	v_fma_f64 v[26:27], v[36:37], v[16:17], -v[26:27]
	s_wait_loadcnt_dscnt 0x101
	v_mul_f64_e32 v[24:25], v[42:43], v[4:5]
	v_mul_f64_e32 v[4:5], v[40:41], v[4:5]
	v_add_f64_e32 v[16:17], v[32:33], v[30:31]
	v_add_f64_e32 v[22:23], v[22:23], v[54:55]
	s_wait_loadcnt_dscnt 0x0
	v_mul_f64_e32 v[30:31], v[46:47], v[20:21]
	v_mul_f64_e32 v[20:21], v[44:45], v[20:21]
	v_fma_f64 v[24:25], v[40:41], v[2:3], -v[24:25]
	v_fmac_f64_e32 v[4:5], v[42:43], v[2:3]
	v_add_f64_e32 v[2:3], v[16:17], v[26:27]
	v_add_f64_e32 v[16:17], v[22:23], v[28:29]
	v_fma_f64 v[22:23], v[44:45], v[18:19], -v[30:31]
	v_fmac_f64_e32 v[20:21], v[46:47], v[18:19]
	s_delay_alu instid0(VALU_DEP_4) | instskip(NEXT) | instid1(VALU_DEP_4)
	v_add_f64_e32 v[2:3], v[2:3], v[24:25]
	v_add_f64_e32 v[4:5], v[16:17], v[4:5]
	s_delay_alu instid0(VALU_DEP_2) | instskip(NEXT) | instid1(VALU_DEP_2)
	v_add_f64_e32 v[2:3], v[2:3], v[22:23]
	v_add_f64_e32 v[4:5], v[4:5], v[20:21]
	s_cbranch_scc0 .LBB350_35
; %bb.36:                               ;   in Loop: Header=BB350_29 Depth=1
	s_mov_b32 s0, s2
.LBB350_37:                             ;   in Loop: Header=BB350_29 Depth=1
	s_and_not1_b32 vcc_lo, exec_lo, s19
	s_cbranch_vccnz .LBB350_27
; %bb.38:                               ;   in Loop: Header=BB350_29 Depth=1
	v_lshl_add_u64 v[14:15], s[0:1], 4, v[8:9]
	s_lshl_b32 s0, s0, 4
	s_mov_b64 s[14:15], 0
.LBB350_39:                             ;   Parent Loop BB350_29 Depth=1
                                        ; =>  This Inner Loop Header: Depth=2
	s_delay_alu instid0(VALU_DEP_1) | instid1(SALU_CYCLE_1)
	v_add_nc_u64_e32 v[16:17], s[14:15], v[14:15]
	s_add_nc_u64 s[14:15], s[14:15], 16
	flat_load_b128 v[16:19], v[16:17]
	v_mov_b32_e32 v1, s0
	s_add_co_i32 s0, s0, 16
	s_cmp_lg_u32 s20, s14
	ds_load_b128 v[20:23], v1
	s_wait_loadcnt_dscnt 0x0
	v_mul_f64_e32 v[24:25], v[18:19], v[22:23]
	v_mul_f64_e32 v[22:23], v[16:17], v[22:23]
	s_wait_xcnt 0x0
	s_delay_alu instid0(VALU_DEP_2) | instskip(NEXT) | instid1(VALU_DEP_2)
	v_fma_f64 v[16:17], v[16:17], v[20:21], -v[24:25]
	v_fmac_f64_e32 v[22:23], v[18:19], v[20:21]
	s_delay_alu instid0(VALU_DEP_2) | instskip(NEXT) | instid1(VALU_DEP_2)
	v_add_f64_e32 v[2:3], v[2:3], v[16:17]
	v_add_f64_e32 v[4:5], v[4:5], v[22:23]
	s_cbranch_scc1 .LBB350_39
	s_branch .LBB350_27
.LBB350_40:
	s_sendmsg sendmsg(MSG_DEALLOC_VGPRS)
	s_endpgm
	.section	.rodata,"a",@progbits
	.p2align	6, 0x0
	.amdhsa_kernel _ZL22rocblas_gemvtsm_kernelILb0ELi256EPK19rocblas_complex_numIdES3_KPS1_EviiT2_lPKT1_lilS9_lilS6_lPT3_lil
		.amdhsa_group_segment_fixed_size 1024
		.amdhsa_private_segment_fixed_size 0
		.amdhsa_kernarg_size 136
		.amdhsa_user_sgpr_count 2
		.amdhsa_user_sgpr_dispatch_ptr 0
		.amdhsa_user_sgpr_queue_ptr 0
		.amdhsa_user_sgpr_kernarg_segment_ptr 1
		.amdhsa_user_sgpr_dispatch_id 0
		.amdhsa_user_sgpr_kernarg_preload_length 0
		.amdhsa_user_sgpr_kernarg_preload_offset 0
		.amdhsa_user_sgpr_private_segment_size 0
		.amdhsa_wavefront_size32 1
		.amdhsa_uses_dynamic_stack 0
		.amdhsa_enable_private_segment 0
		.amdhsa_system_sgpr_workgroup_id_x 1
		.amdhsa_system_sgpr_workgroup_id_y 0
		.amdhsa_system_sgpr_workgroup_id_z 0
		.amdhsa_system_sgpr_workgroup_info 0
		.amdhsa_system_vgpr_workitem_id 0
		.amdhsa_next_free_vgpr 66
		.amdhsa_next_free_sgpr 26
		.amdhsa_named_barrier_count 0
		.amdhsa_reserve_vcc 1
		.amdhsa_float_round_mode_32 0
		.amdhsa_float_round_mode_16_64 0
		.amdhsa_float_denorm_mode_32 3
		.amdhsa_float_denorm_mode_16_64 3
		.amdhsa_fp16_overflow 0
		.amdhsa_memory_ordered 1
		.amdhsa_forward_progress 1
		.amdhsa_inst_pref_size 14
		.amdhsa_round_robin_scheduling 0
		.amdhsa_exception_fp_ieee_invalid_op 0
		.amdhsa_exception_fp_denorm_src 0
		.amdhsa_exception_fp_ieee_div_zero 0
		.amdhsa_exception_fp_ieee_overflow 0
		.amdhsa_exception_fp_ieee_underflow 0
		.amdhsa_exception_fp_ieee_inexact 0
		.amdhsa_exception_int_div_zero 0
	.end_amdhsa_kernel
	.section	.text._ZL22rocblas_gemvtsm_kernelILb0ELi256EPK19rocblas_complex_numIdES3_KPS1_EviiT2_lPKT1_lilS9_lilS6_lPT3_lil,"axG",@progbits,_ZL22rocblas_gemvtsm_kernelILb0ELi256EPK19rocblas_complex_numIdES3_KPS1_EviiT2_lPKT1_lilS9_lilS6_lPT3_lil,comdat
.Lfunc_end350:
	.size	_ZL22rocblas_gemvtsm_kernelILb0ELi256EPK19rocblas_complex_numIdES3_KPS1_EviiT2_lPKT1_lilS9_lilS6_lPT3_lil, .Lfunc_end350-_ZL22rocblas_gemvtsm_kernelILb0ELi256EPK19rocblas_complex_numIdES3_KPS1_EviiT2_lPKT1_lilS9_lilS6_lPT3_lil
                                        ; -- End function
	.set _ZL22rocblas_gemvtsm_kernelILb0ELi256EPK19rocblas_complex_numIdES3_KPS1_EviiT2_lPKT1_lilS9_lilS6_lPT3_lil.num_vgpr, 66
	.set _ZL22rocblas_gemvtsm_kernelILb0ELi256EPK19rocblas_complex_numIdES3_KPS1_EviiT2_lPKT1_lilS9_lilS6_lPT3_lil.num_agpr, 0
	.set _ZL22rocblas_gemvtsm_kernelILb0ELi256EPK19rocblas_complex_numIdES3_KPS1_EviiT2_lPKT1_lilS9_lilS6_lPT3_lil.numbered_sgpr, 26
	.set _ZL22rocblas_gemvtsm_kernelILb0ELi256EPK19rocblas_complex_numIdES3_KPS1_EviiT2_lPKT1_lilS9_lilS6_lPT3_lil.num_named_barrier, 0
	.set _ZL22rocblas_gemvtsm_kernelILb0ELi256EPK19rocblas_complex_numIdES3_KPS1_EviiT2_lPKT1_lilS9_lilS6_lPT3_lil.private_seg_size, 0
	.set _ZL22rocblas_gemvtsm_kernelILb0ELi256EPK19rocblas_complex_numIdES3_KPS1_EviiT2_lPKT1_lilS9_lilS6_lPT3_lil.uses_vcc, 1
	.set _ZL22rocblas_gemvtsm_kernelILb0ELi256EPK19rocblas_complex_numIdES3_KPS1_EviiT2_lPKT1_lilS9_lilS6_lPT3_lil.uses_flat_scratch, 1
	.set _ZL22rocblas_gemvtsm_kernelILb0ELi256EPK19rocblas_complex_numIdES3_KPS1_EviiT2_lPKT1_lilS9_lilS6_lPT3_lil.has_dyn_sized_stack, 0
	.set _ZL22rocblas_gemvtsm_kernelILb0ELi256EPK19rocblas_complex_numIdES3_KPS1_EviiT2_lPKT1_lilS9_lilS6_lPT3_lil.has_recursion, 0
	.set _ZL22rocblas_gemvtsm_kernelILb0ELi256EPK19rocblas_complex_numIdES3_KPS1_EviiT2_lPKT1_lilS9_lilS6_lPT3_lil.has_indirect_call, 0
	.section	.AMDGPU.csdata,"",@progbits
; Kernel info:
; codeLenInByte = 1788
; TotalNumSgprs: 28
; NumVgprs: 66
; ScratchSize: 0
; MemoryBound: 0
; FloatMode: 240
; IeeeMode: 1
; LDSByteSize: 1024 bytes/workgroup (compile time only)
; SGPRBlocks: 0
; VGPRBlocks: 4
; NumSGPRsForWavesPerEU: 28
; NumVGPRsForWavesPerEU: 66
; NamedBarCnt: 0
; Occupancy: 12
; WaveLimiterHint : 1
; COMPUTE_PGM_RSRC2:SCRATCH_EN: 0
; COMPUTE_PGM_RSRC2:USER_SGPR: 2
; COMPUTE_PGM_RSRC2:TRAP_HANDLER: 0
; COMPUTE_PGM_RSRC2:TGID_X_EN: 1
; COMPUTE_PGM_RSRC2:TGID_Y_EN: 0
; COMPUTE_PGM_RSRC2:TGID_Z_EN: 0
; COMPUTE_PGM_RSRC2:TIDIG_COMP_CNT: 0
	.section	.text._ZL22rocblas_gemvtsm_kernelILb0ELi256EPK19rocblas_complex_numIdES1_KPS1_EviiT2_lPKT1_lilS9_lilS6_lPT3_lil,"axG",@progbits,_ZL22rocblas_gemvtsm_kernelILb0ELi256EPK19rocblas_complex_numIdES1_KPS1_EviiT2_lPKT1_lilS9_lilS6_lPT3_lil,comdat
	.globl	_ZL22rocblas_gemvtsm_kernelILb0ELi256EPK19rocblas_complex_numIdES1_KPS1_EviiT2_lPKT1_lilS9_lilS6_lPT3_lil ; -- Begin function _ZL22rocblas_gemvtsm_kernelILb0ELi256EPK19rocblas_complex_numIdES1_KPS1_EviiT2_lPKT1_lilS9_lilS6_lPT3_lil
	.p2align	8
	.type	_ZL22rocblas_gemvtsm_kernelILb0ELi256EPK19rocblas_complex_numIdES1_KPS1_EviiT2_lPKT1_lilS9_lilS6_lPT3_lil,@function
_ZL22rocblas_gemvtsm_kernelILb0ELi256EPK19rocblas_complex_numIdES1_KPS1_EviiT2_lPKT1_lilS9_lilS6_lPT3_lil: ; @_ZL22rocblas_gemvtsm_kernelILb0ELi256EPK19rocblas_complex_numIdES1_KPS1_EviiT2_lPKT1_lilS9_lilS6_lPT3_lil
; %bb.0:
	s_clause 0x1
	s_load_b128 s[8:11], s[0:1], 0x8
	s_load_b128 s[4:7], s[0:1], 0x60
	s_wait_kmcnt 0x0
	v_cmp_neq_f64_e64 s2, s[8:9], 0
	v_cmp_neq_f64_e64 s3, s[10:11], 0
	s_or_b32 s12, s2, s3
	s_mov_b32 s2, -1
	s_and_b32 vcc_lo, exec_lo, s12
	s_cbranch_vccnz .LBB351_2
; %bb.1:
	v_cmp_neq_f64_e64 s2, s[4:5], 1.0
	v_cmp_neq_f64_e64 s3, s[6:7], 0
	s_or_b32 s2, s2, s3
.LBB351_2:
	s_delay_alu instid0(SALU_CYCLE_1)
	s_and_not1_b32 vcc_lo, exec_lo, s2
	s_cbranch_vccnz .LBB351_42
; %bb.3:
	s_bfe_u32 s2, ttmp6, 0x4000c
	s_xor_b32 s3, s12, -1
	s_add_co_i32 s2, s2, 1
	s_and_b32 s13, ttmp6, 15
	s_mul_i32 s2, ttmp9, s2
	s_getreg_b32 s14, hwreg(HW_REG_IB_STS2, 6, 4)
	v_cndmask_b32_e64 v1, 0, 1, s3
	s_add_co_i32 s13, s13, s2
	s_cmp_eq_u32 s14, 0
	s_cselect_b32 s2, ttmp9, s13
	s_and_not1_b32 vcc_lo, exec_lo, s3
	s_mov_b32 s3, 0
	s_cbranch_vccnz .LBB351_5
; %bb.4:
	s_mov_b32 s13, s3
	s_mov_b64 s[20:21], 0
	s_and_not1_b32 vcc_lo, exec_lo, s13
	s_mov_b64 s[16:17], 0
	s_cbranch_vccz .LBB351_6
	s_branch .LBB351_7
.LBB351_5:
	s_mov_b64 s[20:21], 0
	s_mov_b64 s[16:17], 0
.LBB351_6:
	s_load_b128 s[16:19], s[0:1], 0x20
	s_lshl_b64 s[14:15], s[2:3], 3
	s_wait_kmcnt 0x0
	s_add_nc_u64 s[14:15], s[16:17], s[14:15]
	s_lshl_b64 s[16:17], s[18:19], 4
	s_load_b64 s[14:15], s[14:15], 0x0
	s_wait_kmcnt 0x0
	s_add_nc_u64 s[16:17], s[14:15], s[16:17]
.LBB351_7:
	s_and_not1_b32 vcc_lo, exec_lo, s12
	s_cbranch_vccnz .LBB351_9
; %bb.8:
	s_load_b128 s[12:15], s[0:1], 0x40
	s_lshl_b64 s[18:19], s[2:3], 3
	s_wait_kmcnt 0x0
	s_add_nc_u64 s[12:13], s[12:13], s[18:19]
	s_lshl_b64 s[14:15], s[14:15], 4
	s_load_b64 s[12:13], s[12:13], 0x0
	s_wait_kmcnt 0x0
	s_add_nc_u64 s[20:21], s[12:13], s[14:15]
.LBB351_9:
	s_load_b128 s[12:15], s[0:1], 0x78
	s_lshl_b64 s[18:19], s[2:3], 3
	s_load_b64 s[2:3], s[0:1], 0x0
	v_cmp_ne_u32_e32 vcc_lo, 1, v1
	s_and_b32 vcc_lo, exec_lo, vcc_lo
	s_wait_kmcnt 0x0
	s_add_nc_u64 s[22:23], s[12:13], s[18:19]
	s_load_b32 s12, s[0:1], 0x88
	s_load_b64 s[18:19], s[22:23], 0x0
	s_mov_b32 s13, -1
	s_cbranch_vccnz .LBB351_24
; %bb.10:
	v_cmp_neq_f64_e64 s13, s[4:5], 0
	s_wait_xcnt 0x0
	v_cmp_neq_f64_e64 s22, s[6:7], 0
	s_or_b32 s13, s13, s22
	s_cmp_gt_i32 s3, 0
	s_cselect_b32 s24, -1, 0
	s_and_b32 vcc_lo, exec_lo, s13
	s_mov_b32 s13, -1
	s_cbranch_vccnz .LBB351_17
; %bb.11:
	s_and_not1_b32 vcc_lo, exec_lo, s24
	s_cbranch_vccnz .LBB351_16
; %bb.12:
	v_mov_b32_e32 v2, 0
	s_wait_kmcnt 0x0
	s_ashr_i32 s13, s12, 31
	s_lshl_b64 s[22:23], s[14:15], 4
	s_delay_alu instid0(SALU_CYCLE_1) | instskip(SKIP_1) | instid1(VALU_DEP_1)
	s_add_nc_u64 s[22:23], s[18:19], s[22:23]
	v_mov_b32_e32 v1, v2
	v_mul_u64_e32 v[4:5], s[12:13], v[0:1]
	s_delay_alu instid0(VALU_DEP_1) | instskip(SKIP_2) | instid1(VALU_DEP_1)
	v_lshl_add_u64 v[4:5], v[4:5], 4, s[22:23]
	s_lshl_b64 s[22:23], s[12:13], 12
	s_mov_b32 s13, 0
	v_add_nc_u64_e32 v[6:7], 8, v[4:5]
	s_branch .LBB351_14
.LBB351_13:                             ;   in Loop: Header=BB351_14 Depth=1
	s_wait_xcnt 0x0
	s_or_b32 exec_lo, exec_lo, s25
	v_add_nc_u64_e32 v[6:7], s[22:23], v[6:7]
	s_addk_co_i32 s13, 0x100
	s_delay_alu instid0(SALU_CYCLE_1)
	s_cmp_ge_i32 s13, s3
	s_cbranch_scc1 .LBB351_16
.LBB351_14:                             ; =>This Inner Loop Header: Depth=1
	v_add_nc_u32_e32 v1, s13, v0
	s_mov_b32 s25, exec_lo
	s_delay_alu instid0(VALU_DEP_1)
	v_cmpx_gt_i32_e64 s3, v1
	s_cbranch_execz .LBB351_13
; %bb.15:                               ;   in Loop: Header=BB351_14 Depth=1
	v_dual_mov_b32 v3, v2 :: v_dual_mov_b32 v4, v2
	v_mov_b32_e32 v5, v2
	flat_store_b128 v[6:7], v[2:5] offset:-8
	s_branch .LBB351_13
.LBB351_16:
	s_mov_b32 s13, 0
.LBB351_17:
	s_delay_alu instid0(SALU_CYCLE_1)
	s_and_not1_b32 vcc_lo, exec_lo, s13
	s_cbranch_vccnz .LBB351_23
; %bb.18:
	s_and_not1_b32 vcc_lo, exec_lo, s24
	s_cbranch_vccnz .LBB351_23
; %bb.19:
	v_mov_b32_e32 v1, 0
	s_wait_kmcnt 0x0
	s_ashr_i32 s13, s12, 31
	s_lshl_b64 s[22:23], s[14:15], 4
	s_delay_alu instid0(SALU_CYCLE_1) | instskip(SKIP_1) | instid1(VALU_DEP_1)
	s_add_nc_u64 s[22:23], s[18:19], s[22:23]
	v_mul_u64_e32 v[2:3], s[12:13], v[0:1]
	v_lshl_add_u64 v[2:3], v[2:3], 4, s[22:23]
	s_lshl_b64 s[22:23], s[12:13], 12
	s_mov_b32 s13, 0
	s_delay_alu instid0(VALU_DEP_1)
	v_add_nc_u64_e32 v[2:3], 8, v[2:3]
	s_branch .LBB351_21
.LBB351_20:                             ;   in Loop: Header=BB351_21 Depth=1
	s_wait_xcnt 0x0
	s_or_b32 exec_lo, exec_lo, s24
	v_add_nc_u64_e32 v[2:3], s[22:23], v[2:3]
	s_addk_co_i32 s13, 0x100
	s_delay_alu instid0(SALU_CYCLE_1)
	s_cmp_ge_i32 s13, s3
	s_cbranch_scc1 .LBB351_23
.LBB351_21:                             ; =>This Inner Loop Header: Depth=1
	v_add_nc_u32_e32 v1, s13, v0
	s_mov_b32 s24, exec_lo
	s_delay_alu instid0(VALU_DEP_1)
	v_cmpx_gt_i32_e64 s3, v1
	s_cbranch_execz .LBB351_20
; %bb.22:                               ;   in Loop: Header=BB351_21 Depth=1
	flat_load_b128 v[4:7], v[2:3] offset:-8
	s_wait_loadcnt_dscnt 0x0
	v_mul_f64_e32 v[10:11], s[6:7], v[6:7]
	v_mul_f64_e32 v[8:9], s[4:5], v[6:7]
	s_delay_alu instid0(VALU_DEP_2) | instskip(NEXT) | instid1(VALU_DEP_2)
	v_fma_f64 v[6:7], s[4:5], v[4:5], -v[10:11]
	v_fmac_f64_e32 v[8:9], s[6:7], v[4:5]
	flat_store_b128 v[2:3], v[6:9] offset:-8
	s_branch .LBB351_20
.LBB351_23:
	s_mov_b32 s13, 0
.LBB351_24:
	s_delay_alu instid0(SALU_CYCLE_1)
	s_and_not1_b32 vcc_lo, exec_lo, s13
	s_cbranch_vccnz .LBB351_42
; %bb.25:
	s_mov_b32 s13, exec_lo
	v_cmpx_gt_i32_e64 s2, v0
	s_cbranch_execz .LBB351_27
; %bb.26:
	s_wait_xcnt 0x0
	s_load_b32 s22, s[0:1], 0x50
	v_mov_b32_e32 v1, 0
	s_wait_kmcnt 0x0
	s_ashr_i32 s23, s22, 31
	s_delay_alu instid0(VALU_DEP_1) | instid1(SALU_CYCLE_1)
	v_mul_u64_e32 v[2:3], s[22:23], v[0:1]
	v_lshlrev_b32_e32 v1, 4, v0
	s_delay_alu instid0(VALU_DEP_2) | instskip(SKIP_4) | instid1(VALU_DEP_2)
	v_lshl_add_u64 v[2:3], v[2:3], 4, s[20:21]
	flat_load_b128 v[2:5], v[2:3]
	s_wait_loadcnt_dscnt 0x0
	v_mul_f64_e32 v[8:9], s[10:11], v[4:5]
	v_mul_f64_e32 v[6:7], s[8:9], v[4:5]
	v_fma_f64 v[4:5], s[8:9], v[2:3], -v[8:9]
	s_delay_alu instid0(VALU_DEP_2)
	v_fmac_f64_e32 v[6:7], s[10:11], v[2:3]
	ds_store_b128 v1, v[4:7]
.LBB351_27:
	s_wait_xcnt 0x0
	s_or_b32 exec_lo, exec_lo, s13
	s_cmp_lt_i32 s3, 1
	s_wait_storecnt_dscnt 0x0
	s_barrier_signal -1
	s_barrier_wait -1
	s_cbranch_scc1 .LBB351_42
; %bb.28:
	s_load_b32 s10, s[0:1], 0x30
	v_mov_b32_e32 v7, 0
	s_wait_xcnt 0x0
	v_cmp_neq_f64_e64 s0, s[4:5], 0
	v_cmp_neq_f64_e64 s1, s[6:7], 0
	s_lshl_b64 s[8:9], s[14:15], 4
	s_wait_kmcnt 0x0
	s_ashr_i32 s13, s12, 31
	v_mov_b32_e32 v1, v7
	s_add_nc_u64 s[8:9], s[18:19], s[8:9]
	s_mov_b32 s18, 0
	s_ashr_i32 s11, s10, 31
	s_delay_alu instid0(VALU_DEP_1) | instid1(SALU_CYCLE_1)
	v_mul_u64_e32 v[2:3], s[10:11], v[0:1]
	s_or_b32 s20, s0, s1
	s_cmp_gt_i32 s2, 0
	s_mov_b32 s1, 0
	s_cselect_b32 s21, -1, 0
	s_and_b32 s0, s2, 7
	s_cmp_gt_u32 s2, 7
	s_cselect_b32 s22, -1, 0
	s_and_b32 s2, s2, 0x7ffffff8
	s_cmp_lg_u32 s0, 0
	s_delay_alu instid0(VALU_DEP_1) | instskip(SKIP_3) | instid1(VALU_DEP_1)
	v_lshl_add_u64 v[8:9], v[2:3], 4, s[16:17]
	s_cselect_b32 s16, -1, 0
	s_lshl_b64 s[10:11], s[10:11], 12
	s_lshl_b32 s17, s0, 4
	v_add_nc_u64_e32 v[10:11], 0x78, v[8:9]
	s_branch .LBB351_31
.LBB351_29:                             ;   in Loop: Header=BB351_31 Depth=1
	flat_store_b128 v[12:13], v[2:5]
.LBB351_30:                             ;   in Loop: Header=BB351_31 Depth=1
	s_wait_xcnt 0x0
	s_or_b32 exec_lo, exec_lo, s19
	v_add_nc_u64_e32 v[10:11], s[10:11], v[10:11]
	v_add_nc_u64_e32 v[8:9], s[10:11], v[8:9]
	s_addk_co_i32 s18, 0x100
	s_delay_alu instid0(SALU_CYCLE_1)
	s_cmp_ge_i32 s18, s3
	s_cbranch_scc1 .LBB351_42
.LBB351_31:                             ; =>This Loop Header: Depth=1
                                        ;     Child Loop BB351_37 Depth 2
                                        ;     Child Loop BB351_41 Depth 2
	v_add_nc_u32_e32 v6, s18, v0
	s_mov_b32 s19, exec_lo
	s_delay_alu instid0(VALU_DEP_1)
	v_cmpx_gt_i32_e64 s3, v6
	s_cbranch_execz .LBB351_30
; %bb.32:                               ;   in Loop: Header=BB351_31 Depth=1
	v_mul_u64_e32 v[12:13], s[12:13], v[6:7]
	v_mov_b64_e32 v[2:3], 0
	v_mov_b64_e32 v[4:5], 0
	s_and_not1_b32 vcc_lo, exec_lo, s20
	s_delay_alu instid0(VALU_DEP_3)
	v_lshl_add_u64 v[12:13], v[12:13], 4, s[8:9]
	s_cbranch_vccnz .LBB351_34
; %bb.33:                               ;   in Loop: Header=BB351_31 Depth=1
	flat_load_b128 v[14:17], v[12:13]
	s_wait_loadcnt_dscnt 0x0
	v_mul_f64_e32 v[2:3], s[6:7], v[16:17]
	v_mul_f64_e32 v[4:5], s[4:5], v[16:17]
	s_delay_alu instid0(VALU_DEP_2) | instskip(NEXT) | instid1(VALU_DEP_2)
	v_fma_f64 v[2:3], s[4:5], v[14:15], -v[2:3]
	v_fmac_f64_e32 v[4:5], s[6:7], v[14:15]
.LBB351_34:                             ;   in Loop: Header=BB351_31 Depth=1
	s_and_not1_b32 vcc_lo, exec_lo, s21
	s_cbranch_vccnz .LBB351_29
; %bb.35:                               ;   in Loop: Header=BB351_31 Depth=1
	s_and_not1_b32 vcc_lo, exec_lo, s22
	s_mov_b32 s0, 0
	s_cbranch_vccnz .LBB351_39
; %bb.36:                               ;   in Loop: Header=BB351_31 Depth=1
	v_mov_b64_e32 v[14:15], v[10:11]
	s_mov_b32 s14, 0
.LBB351_37:                             ;   Parent Loop BB351_31 Depth=1
                                        ; =>  This Inner Loop Header: Depth=2
	s_clause 0x7
	flat_load_b128 v[16:19], v[14:15] offset:-120
	flat_load_b128 v[20:23], v[14:15] offset:-104
	;; [unrolled: 1-line block ×8, first 2 shown]
	v_mov_b32_e32 v1, s0
	s_wait_xcnt 0x0
	v_add_nc_u64_e32 v[14:15], 0x80, v[14:15]
	s_add_co_i32 s14, s14, 8
	s_addk_co_i32 s0, 0x80
	ds_load_b128 v[48:51], v1
	ds_load_b128 v[52:55], v1 offset:16
	s_cmp_eq_u32 s2, s14
	s_wait_loadcnt_dscnt 0x701
	v_mul_f64_e32 v[56:57], v[18:19], v[50:51]
	v_mul_f64_e32 v[58:59], v[16:17], v[50:51]
	s_wait_loadcnt_dscnt 0x600
	v_mul_f64_e32 v[60:61], v[22:23], v[54:55]
	v_mul_f64_e32 v[54:55], v[20:21], v[54:55]
	s_delay_alu instid0(VALU_DEP_4) | instskip(NEXT) | instid1(VALU_DEP_4)
	v_fma_f64 v[56:57], v[16:17], v[48:49], -v[56:57]
	v_fmac_f64_e32 v[58:59], v[18:19], v[48:49]
	ds_load_b128 v[16:19], v1 offset:32
	ds_load_b128 v[48:51], v1 offset:48
	v_fmac_f64_e32 v[54:55], v[22:23], v[52:53]
	s_wait_loadcnt_dscnt 0x501
	v_mul_f64_e32 v[62:63], v[26:27], v[18:19]
	v_mul_f64_e32 v[64:65], v[24:25], v[18:19]
	v_fma_f64 v[18:19], v[20:21], v[52:53], -v[60:61]
	s_wait_loadcnt_dscnt 0x400
	v_mul_f64_e32 v[20:21], v[30:31], v[50:51]
	v_mul_f64_e32 v[22:23], v[28:29], v[50:51]
	v_add_f64_e32 v[2:3], v[2:3], v[56:57]
	v_add_f64_e32 v[4:5], v[4:5], v[58:59]
	v_fma_f64 v[24:25], v[24:25], v[16:17], -v[62:63]
	v_fmac_f64_e32 v[64:65], v[26:27], v[16:17]
	v_fmac_f64_e32 v[22:23], v[30:31], v[48:49]
	v_add_f64_e32 v[26:27], v[2:3], v[18:19]
	v_add_f64_e32 v[50:51], v[4:5], v[54:55]
	ds_load_b128 v[2:5], v1 offset:64
	ds_load_b128 v[16:19], v1 offset:80
	s_wait_loadcnt_dscnt 0x301
	v_mul_f64_e32 v[52:53], v[34:35], v[4:5]
	v_mul_f64_e32 v[54:55], v[32:33], v[4:5]
	v_fma_f64 v[4:5], v[28:29], v[48:49], -v[20:21]
	s_wait_loadcnt_dscnt 0x200
	v_mul_f64_e32 v[28:29], v[36:37], v[18:19]
	v_add_f64_e32 v[20:21], v[26:27], v[24:25]
	v_add_f64_e32 v[24:25], v[50:51], v[64:65]
	v_mul_f64_e32 v[26:27], v[38:39], v[18:19]
	v_fma_f64 v[30:31], v[32:33], v[2:3], -v[52:53]
	v_fmac_f64_e32 v[54:55], v[34:35], v[2:3]
	v_fmac_f64_e32 v[28:29], v[38:39], v[16:17]
	v_add_f64_e32 v[32:33], v[20:21], v[4:5]
	v_add_f64_e32 v[22:23], v[24:25], v[22:23]
	ds_load_b128 v[2:5], v1 offset:96
	ds_load_b128 v[18:21], v1 offset:112
	v_fma_f64 v[26:27], v[36:37], v[16:17], -v[26:27]
	s_wait_loadcnt_dscnt 0x101
	v_mul_f64_e32 v[24:25], v[42:43], v[4:5]
	v_mul_f64_e32 v[4:5], v[40:41], v[4:5]
	v_add_f64_e32 v[16:17], v[32:33], v[30:31]
	v_add_f64_e32 v[22:23], v[22:23], v[54:55]
	s_wait_loadcnt_dscnt 0x0
	v_mul_f64_e32 v[30:31], v[46:47], v[20:21]
	v_mul_f64_e32 v[20:21], v[44:45], v[20:21]
	v_fma_f64 v[24:25], v[40:41], v[2:3], -v[24:25]
	v_fmac_f64_e32 v[4:5], v[42:43], v[2:3]
	v_add_f64_e32 v[2:3], v[16:17], v[26:27]
	v_add_f64_e32 v[16:17], v[22:23], v[28:29]
	v_fma_f64 v[22:23], v[44:45], v[18:19], -v[30:31]
	v_fmac_f64_e32 v[20:21], v[46:47], v[18:19]
	s_delay_alu instid0(VALU_DEP_4) | instskip(NEXT) | instid1(VALU_DEP_4)
	v_add_f64_e32 v[2:3], v[2:3], v[24:25]
	v_add_f64_e32 v[4:5], v[16:17], v[4:5]
	s_delay_alu instid0(VALU_DEP_2) | instskip(NEXT) | instid1(VALU_DEP_2)
	v_add_f64_e32 v[2:3], v[2:3], v[22:23]
	v_add_f64_e32 v[4:5], v[4:5], v[20:21]
	s_cbranch_scc0 .LBB351_37
; %bb.38:                               ;   in Loop: Header=BB351_31 Depth=1
	s_mov_b32 s0, s2
.LBB351_39:                             ;   in Loop: Header=BB351_31 Depth=1
	s_and_not1_b32 vcc_lo, exec_lo, s16
	s_cbranch_vccnz .LBB351_29
; %bb.40:                               ;   in Loop: Header=BB351_31 Depth=1
	v_lshl_add_u64 v[14:15], s[0:1], 4, v[8:9]
	s_lshl_b32 s0, s0, 4
	s_mov_b64 s[14:15], 0
.LBB351_41:                             ;   Parent Loop BB351_31 Depth=1
                                        ; =>  This Inner Loop Header: Depth=2
	s_delay_alu instid0(VALU_DEP_1) | instid1(SALU_CYCLE_1)
	v_add_nc_u64_e32 v[16:17], s[14:15], v[14:15]
	s_add_nc_u64 s[14:15], s[14:15], 16
	flat_load_b128 v[16:19], v[16:17]
	v_mov_b32_e32 v1, s0
	s_add_co_i32 s0, s0, 16
	s_cmp_lg_u32 s17, s14
	ds_load_b128 v[20:23], v1
	s_wait_loadcnt_dscnt 0x0
	v_mul_f64_e32 v[24:25], v[18:19], v[22:23]
	v_mul_f64_e32 v[22:23], v[16:17], v[22:23]
	s_wait_xcnt 0x0
	s_delay_alu instid0(VALU_DEP_2) | instskip(NEXT) | instid1(VALU_DEP_2)
	v_fma_f64 v[16:17], v[16:17], v[20:21], -v[24:25]
	v_fmac_f64_e32 v[22:23], v[18:19], v[20:21]
	s_delay_alu instid0(VALU_DEP_2) | instskip(NEXT) | instid1(VALU_DEP_2)
	v_add_f64_e32 v[2:3], v[2:3], v[16:17]
	v_add_f64_e32 v[4:5], v[4:5], v[22:23]
	s_cbranch_scc1 .LBB351_41
	s_branch .LBB351_29
.LBB351_42:
	s_sendmsg sendmsg(MSG_DEALLOC_VGPRS)
	s_endpgm
	.section	.rodata,"a",@progbits
	.p2align	6, 0x0
	.amdhsa_kernel _ZL22rocblas_gemvtsm_kernelILb0ELi256EPK19rocblas_complex_numIdES1_KPS1_EviiT2_lPKT1_lilS9_lilS6_lPT3_lil
		.amdhsa_group_segment_fixed_size 1024
		.amdhsa_private_segment_fixed_size 0
		.amdhsa_kernarg_size 152
		.amdhsa_user_sgpr_count 2
		.amdhsa_user_sgpr_dispatch_ptr 0
		.amdhsa_user_sgpr_queue_ptr 0
		.amdhsa_user_sgpr_kernarg_segment_ptr 1
		.amdhsa_user_sgpr_dispatch_id 0
		.amdhsa_user_sgpr_kernarg_preload_length 0
		.amdhsa_user_sgpr_kernarg_preload_offset 0
		.amdhsa_user_sgpr_private_segment_size 0
		.amdhsa_wavefront_size32 1
		.amdhsa_uses_dynamic_stack 0
		.amdhsa_enable_private_segment 0
		.amdhsa_system_sgpr_workgroup_id_x 1
		.amdhsa_system_sgpr_workgroup_id_y 0
		.amdhsa_system_sgpr_workgroup_id_z 0
		.amdhsa_system_sgpr_workgroup_info 0
		.amdhsa_system_vgpr_workitem_id 0
		.amdhsa_next_free_vgpr 66
		.amdhsa_next_free_sgpr 26
		.amdhsa_named_barrier_count 0
		.amdhsa_reserve_vcc 1
		.amdhsa_float_round_mode_32 0
		.amdhsa_float_round_mode_16_64 0
		.amdhsa_float_denorm_mode_32 3
		.amdhsa_float_denorm_mode_16_64 3
		.amdhsa_fp16_overflow 0
		.amdhsa_memory_ordered 1
		.amdhsa_forward_progress 1
		.amdhsa_inst_pref_size 14
		.amdhsa_round_robin_scheduling 0
		.amdhsa_exception_fp_ieee_invalid_op 0
		.amdhsa_exception_fp_denorm_src 0
		.amdhsa_exception_fp_ieee_div_zero 0
		.amdhsa_exception_fp_ieee_overflow 0
		.amdhsa_exception_fp_ieee_underflow 0
		.amdhsa_exception_fp_ieee_inexact 0
		.amdhsa_exception_int_div_zero 0
	.end_amdhsa_kernel
	.section	.text._ZL22rocblas_gemvtsm_kernelILb0ELi256EPK19rocblas_complex_numIdES1_KPS1_EviiT2_lPKT1_lilS9_lilS6_lPT3_lil,"axG",@progbits,_ZL22rocblas_gemvtsm_kernelILb0ELi256EPK19rocblas_complex_numIdES1_KPS1_EviiT2_lPKT1_lilS9_lilS6_lPT3_lil,comdat
.Lfunc_end351:
	.size	_ZL22rocblas_gemvtsm_kernelILb0ELi256EPK19rocblas_complex_numIdES1_KPS1_EviiT2_lPKT1_lilS9_lilS6_lPT3_lil, .Lfunc_end351-_ZL22rocblas_gemvtsm_kernelILb0ELi256EPK19rocblas_complex_numIdES1_KPS1_EviiT2_lPKT1_lilS9_lilS6_lPT3_lil
                                        ; -- End function
	.set _ZL22rocblas_gemvtsm_kernelILb0ELi256EPK19rocblas_complex_numIdES1_KPS1_EviiT2_lPKT1_lilS9_lilS6_lPT3_lil.num_vgpr, 66
	.set _ZL22rocblas_gemvtsm_kernelILb0ELi256EPK19rocblas_complex_numIdES1_KPS1_EviiT2_lPKT1_lilS9_lilS6_lPT3_lil.num_agpr, 0
	.set _ZL22rocblas_gemvtsm_kernelILb0ELi256EPK19rocblas_complex_numIdES1_KPS1_EviiT2_lPKT1_lilS9_lilS6_lPT3_lil.numbered_sgpr, 26
	.set _ZL22rocblas_gemvtsm_kernelILb0ELi256EPK19rocblas_complex_numIdES1_KPS1_EviiT2_lPKT1_lilS9_lilS6_lPT3_lil.num_named_barrier, 0
	.set _ZL22rocblas_gemvtsm_kernelILb0ELi256EPK19rocblas_complex_numIdES1_KPS1_EviiT2_lPKT1_lilS9_lilS6_lPT3_lil.private_seg_size, 0
	.set _ZL22rocblas_gemvtsm_kernelILb0ELi256EPK19rocblas_complex_numIdES1_KPS1_EviiT2_lPKT1_lilS9_lilS6_lPT3_lil.uses_vcc, 1
	.set _ZL22rocblas_gemvtsm_kernelILb0ELi256EPK19rocblas_complex_numIdES1_KPS1_EviiT2_lPKT1_lilS9_lilS6_lPT3_lil.uses_flat_scratch, 1
	.set _ZL22rocblas_gemvtsm_kernelILb0ELi256EPK19rocblas_complex_numIdES1_KPS1_EviiT2_lPKT1_lilS9_lilS6_lPT3_lil.has_dyn_sized_stack, 0
	.set _ZL22rocblas_gemvtsm_kernelILb0ELi256EPK19rocblas_complex_numIdES1_KPS1_EviiT2_lPKT1_lilS9_lilS6_lPT3_lil.has_recursion, 0
	.set _ZL22rocblas_gemvtsm_kernelILb0ELi256EPK19rocblas_complex_numIdES1_KPS1_EviiT2_lPKT1_lilS9_lilS6_lPT3_lil.has_indirect_call, 0
	.section	.AMDGPU.csdata,"",@progbits
; Kernel info:
; codeLenInByte = 1772
; TotalNumSgprs: 28
; NumVgprs: 66
; ScratchSize: 0
; MemoryBound: 0
; FloatMode: 240
; IeeeMode: 1
; LDSByteSize: 1024 bytes/workgroup (compile time only)
; SGPRBlocks: 0
; VGPRBlocks: 4
; NumSGPRsForWavesPerEU: 28
; NumVGPRsForWavesPerEU: 66
; NamedBarCnt: 0
; Occupancy: 12
; WaveLimiterHint : 1
; COMPUTE_PGM_RSRC2:SCRATCH_EN: 0
; COMPUTE_PGM_RSRC2:USER_SGPR: 2
; COMPUTE_PGM_RSRC2:TRAP_HANDLER: 0
; COMPUTE_PGM_RSRC2:TGID_X_EN: 1
; COMPUTE_PGM_RSRC2:TGID_Y_EN: 0
; COMPUTE_PGM_RSRC2:TGID_Z_EN: 0
; COMPUTE_PGM_RSRC2:TIDIG_COMP_CNT: 0
	.section	.text._ZL23rocblas_gemvt_sn_kernelILb0ELi256ELi4EiPK19rocblas_complex_numIdES3_S1_EviiT4_lPKT3_lilS7_lilPT5_i,"axG",@progbits,_ZL23rocblas_gemvt_sn_kernelILb0ELi256ELi4EiPK19rocblas_complex_numIdES3_S1_EviiT4_lPKT3_lilS7_lilPT5_i,comdat
	.globl	_ZL23rocblas_gemvt_sn_kernelILb0ELi256ELi4EiPK19rocblas_complex_numIdES3_S1_EviiT4_lPKT3_lilS7_lilPT5_i ; -- Begin function _ZL23rocblas_gemvt_sn_kernelILb0ELi256ELi4EiPK19rocblas_complex_numIdES3_S1_EviiT4_lPKT3_lilS7_lilPT5_i
	.p2align	8
	.type	_ZL23rocblas_gemvt_sn_kernelILb0ELi256ELi4EiPK19rocblas_complex_numIdES3_S1_EviiT4_lPKT3_lilS7_lilPT5_i,@function
_ZL23rocblas_gemvt_sn_kernelILb0ELi256ELi4EiPK19rocblas_complex_numIdES3_S1_EviiT4_lPKT3_lilS7_lilPT5_i: ; @_ZL23rocblas_gemvt_sn_kernelILb0ELi256ELi4EiPK19rocblas_complex_numIdES3_S1_EviiT4_lPKT3_lilS7_lilPT5_i
; %bb.0:
	s_load_b32 s33, s[0:1], 0x60
	s_bfe_u32 s2, ttmp6, 0x40014
	s_lshr_b32 s3, ttmp7, 16
	s_add_co_i32 s2, s2, 1
	s_bfe_u32 s5, ttmp6, 0x40008
	s_mul_i32 s2, s3, s2
	s_getreg_b32 s4, hwreg(HW_REG_IB_STS2, 6, 4)
	s_add_co_i32 s5, s5, s2
	s_cmp_eq_u32 s4, 0
	s_mov_b32 s25, 0
	s_cselect_b32 s10, s3, s5
	s_wait_kmcnt 0x0
	s_cmp_ge_u32 s10, s33
	s_cbranch_scc1 .LBB352_84
; %bb.1:
	s_clause 0x6
	s_load_b64 s[26:27], s[0:1], 0x0
	s_load_b256 s[12:19], s[0:1], 0x8
	s_load_b32 s52, s[0:1], 0x28
	s_load_b128 s[20:23], s[0:1], 0x38
	s_load_b32 s53, s[0:1], 0x48
	s_load_b64 s[28:29], s[0:1], 0x58
	s_load_b32 s30, s[0:1], 0x68
	s_wait_xcnt 0x0
	v_cmp_eq_u32_e64 s0, 0, v0
	s_mov_b32 s31, s25
	v_dual_lshrrev_b32 v2, 1, v0 :: v_dual_bitop2_b32 v1, 31, v0 bitop3:0x40
	v_cmp_gt_u32_e64 s1, 32, v0
	v_cmp_gt_u32_e64 s2, 8, v0
	v_mbcnt_lo_u32_b32 v54, -1, 0
	s_delay_alu instid0(VALU_DEP_4)
	v_cmp_eq_u32_e64 s3, 0, v1
	s_mov_b32 s35, s25
	v_and_b32_e32 v53, 0x70, v2
	s_mov_b32 s59, 16
	v_lshl_or_b32 v55, v54, 2, 64
	s_mov_b32 s60, 32
	s_wait_kmcnt 0x0
	s_ashr_i32 s7, s27, 31
	s_cmp_gt_i32 s27, 0
	s_mov_b32 s6, s27
	s_cselect_b32 s5, -1, 0
	s_bfe_u32 s8, ttmp6, 0x4000c
	s_and_b32 s9, ttmp6, 15
	s_add_co_i32 s8, s8, 1
	s_and_b32 s54, s0, s5
	s_mul_i32 s8, ttmp9, s8
	s_mul_u64 s[36:37], s[6:7], s[30:31]
	s_add_co_i32 s9, s9, s8
	s_cmp_eq_u32 s4, 0
	s_mov_b32 s61, 48
	s_cselect_b32 s34, ttmp9, s9
	s_ashr_i32 s5, s26, 31
	s_lshl_b32 s6, s34, 10
	s_lshr_b32 s5, s5, 30
	v_lshl_or_b32 v24, v0, 2, s6
	s_add_co_i32 s5, s26, s5
	v_lshlrev_b32_e32 v52, 4, v1
	s_lshr_b32 s4, s7, 30
	s_and_b32 s5, s5, -4
	v_mul_lo_u32 v26, s53, v24
	v_ashrrev_i32_e32 v25, 31, v24
	s_add_co_i32 s4, s27, s4
	s_sub_co_i32 s56, s26, s5
	s_and_b32 s55, s4, -4
	v_dual_add_nc_u32 v0, 4, v24 :: v_dual_add_nc_u32 v1, s56, v24
	v_lshlrev_b64_e32 v[32:33], 4, v[24:25]
	s_cmp_gt_i32 s55, 0
	s_mul_i32 s64, s52, 3
	s_cselect_b32 s57, -1, 0
	s_delay_alu instid0(VALU_DEP_4)
	v_dual_add_nc_u32 v28, s53, v26 :: v_dual_ashrrev_i32 v27, 31, v26
	s_cmp_gt_i32 s56, 0
	v_cmp_ge_i32_e64 s5, s26, v1
	s_cselect_b32 s58, -1, 0
	v_dual_add_nc_u32 v30, s53, v28 :: v_dual_ashrrev_i32 v29, 31, v28
	s_lshl_b64 s[38:39], s[34:35], 4
	v_cmp_ge_i32_e64 s4, s26, v0
	s_delay_alu instid0(VALU_DEP_2) | instskip(SKIP_3) | instid1(VALU_DEP_2)
	v_dual_mov_b32 v0, 0 :: v_dual_add_nc_u32 v34, s53, v30
	v_ashrrev_i32_e32 v31, 31, v30
	s_add_nc_u64 s[6:7], s[28:29], s[38:39]
	s_or_b32 s62, 0, 8
	v_dual_ashrrev_i32 v35, 31, v34 :: v_dual_bitop2_b32 v32, 8, v32 bitop3:0x54
	s_lshl_b64 s[40:41], s[36:37], 4
	s_lshl_b64 s[42:43], s[30:31], 4
	s_add_nc_u64 s[44:45], s[6:7], 8
	s_and_b32 s26, s58, s5
	s_lshl_b32 s35, s52, 2
	s_lshl_b32 s63, s52, 1
	s_lshl_b64 s[18:19], s[18:19], 4
	s_lshl_b64 s[22:23], s[22:23], 4
	s_branch .LBB352_3
.LBB352_2:                              ;   in Loop: Header=BB352_3 Depth=1
	s_add_co_i32 s10, s10, 0x10000
	s_delay_alu instid0(SALU_CYCLE_1)
	s_cmp_lt_u32 s10, s33
	s_cbranch_scc0 .LBB352_84
.LBB352_3:                              ; =>This Loop Header: Depth=1
                                        ;     Child Loop BB352_11 Depth 2
                                        ;     Child Loop BB352_16 Depth 2
                                        ;       Child Loop BB352_47 Depth 3
                                        ;       Child Loop BB352_49 Depth 3
                                        ;     Child Loop BB352_65 Depth 2
                                        ;       Child Loop BB352_77 Depth 3
                                        ;       Child Loop BB352_79 Depth 3
	s_mov_b32 s11, s25
	v_mov_b64_e32 v[36:37], 0
	s_mul_u64 s[6:7], s[14:15], s[10:11]
	s_wait_dscnt 0x0
	v_mov_b64_e32 v[8:9], 0
	s_lshl_b64 s[6:7], s[6:7], 4
	s_delay_alu instid0(SALU_CYCLE_1)
	s_add_nc_u64 s[6:7], s[12:13], s[6:7]
	global_load_b128 v[4:7], v0, s[6:7]
	s_wait_loadcnt 0x0
	v_cmp_neq_f64_e32 vcc_lo, 0, v[4:5]
	s_wait_xcnt 0x0
	v_cmp_neq_f64_e64 s6, 0, v[6:7]
	s_or_b32 s7, vcc_lo, s6
	s_delay_alu instid0(SALU_CYCLE_1) | instskip(NEXT) | instid1(SALU_CYCLE_1)
	s_xor_b32 s6, s7, -1
	s_and_b32 vcc_lo, exec_lo, s6
	s_cbranch_vccz .LBB352_7
; %bb.4:                                ;   in Loop: Header=BB352_3 Depth=1
	s_and_not1_b32 vcc_lo, exec_lo, s7
	s_cbranch_vccz .LBB352_8
.LBB352_5:                              ;   in Loop: Header=BB352_3 Depth=1
	s_and_not1_b32 vcc_lo, exec_lo, s6
	s_mov_b32 s6, -1
	s_cbranch_vccz .LBB352_9
.LBB352_6:                              ;   in Loop: Header=BB352_3 Depth=1
	s_and_not1_b32 vcc_lo, exec_lo, s6
	s_cbranch_vccnz .LBB352_2
	s_branch .LBB352_13
.LBB352_7:                              ;   in Loop: Header=BB352_3 Depth=1
	s_lshl_b64 s[8:9], s[10:11], 3
	s_delay_alu instid0(SALU_CYCLE_1)
	s_add_nc_u64 s[8:9], s[16:17], s[8:9]
	global_load_b64 v[2:3], v0, s[8:9]
	s_wait_loadcnt 0x0
	v_add_nc_u64_e32 v[8:9], s[18:19], v[2:3]
	s_and_not1_b32 vcc_lo, exec_lo, s7
	s_cbranch_vccnz .LBB352_5
.LBB352_8:                              ;   in Loop: Header=BB352_3 Depth=1
	s_wait_xcnt 0x0
	s_lshl_b64 s[8:9], s[10:11], 3
	s_delay_alu instid0(SALU_CYCLE_1)
	s_add_nc_u64 s[8:9], s[20:21], s[8:9]
	global_load_b64 v[2:3], v0, s[8:9]
	s_wait_loadcnt 0x0
	v_add_nc_u64_e32 v[36:37], s[22:23], v[2:3]
	s_and_not1_b32 vcc_lo, exec_lo, s6
	s_mov_b32 s6, -1
	s_cbranch_vccnz .LBB352_6
.LBB352_9:                              ;   in Loop: Header=BB352_3 Depth=1
	s_wait_xcnt 0x0
	s_and_saveexec_b32 s8, s54
	s_cbranch_execz .LBB352_12
; %bb.10:                               ;   in Loop: Header=BB352_3 Depth=1
	s_mul_u64 s[6:7], s[40:41], s[10:11]
	s_mov_b32 s9, s27
	s_add_nc_u64 s[6:7], s[44:45], s[6:7]
.LBB352_11:                             ;   Parent Loop BB352_3 Depth=1
                                        ; =>  This Inner Loop Header: Depth=2
	v_dual_mov_b32 v1, v0 :: v_dual_mov_b32 v2, v0
	v_mov_b32_e32 v3, v0
	s_add_co_i32 s9, s9, -1
	s_delay_alu instid0(SALU_CYCLE_1)
	s_cmp_eq_u32 s9, 0
	global_store_b128 v0, v[0:3], s[6:7] offset:-8
	s_wait_xcnt 0x0
	s_add_nc_u64 s[6:7], s[6:7], s[42:43]
	s_cbranch_scc0 .LBB352_11
.LBB352_12:                             ;   in Loop: Header=BB352_3 Depth=1
	s_or_b32 exec_lo, exec_lo, s8
	s_cbranch_execnz .LBB352_2
.LBB352_13:                             ;   in Loop: Header=BB352_3 Depth=1
	v_add_nc_u64_e32 v[48:49], v[8:9], v[32:33]
	s_mul_u64 s[46:47], s[36:37], s[10:11]
	v_lshl_add_u64 v[38:39], v[24:25], 4, v[8:9]
	v_lshl_add_u64 v[40:41], v[26:27], 4, v[36:37]
	;; [unrolled: 1-line block ×5, first 2 shown]
	s_wait_xcnt 0x0
	v_cmp_gt_u32_e64 s9, 24, v54
	v_cmp_gt_u32_e64 s8, 28, v54
	;; [unrolled: 1-line block ×3, first 2 shown]
	v_cmp_ne_u32_e64 s6, 31, v54
	s_lshl_b64 s[46:47], s[46:47], 4
	s_and_not1_b32 vcc_lo, exec_lo, s57
	s_add_nc_u64 s[46:47], s[28:29], s[46:47]
	s_cbranch_vccnz .LBB352_61
; %bb.14:                               ;   in Loop: Header=BB352_3 Depth=1
	v_cndmask_b32_e64 v1, 0, 8, s9
	v_cndmask_b32_e64 v2, 0, 4, s8
	v_cndmask_b32_e64 v3, 0, 2, s7
	v_add_co_ci_u32_e64 v8, null, 0, v54, s6
	s_delay_alu instid0(VALU_DEP_4) | instskip(NEXT) | instid1(VALU_DEP_4)
	v_add_lshl_u32 v56, v1, v54, 2
	v_add_lshl_u32 v57, v2, v54, 2
	s_delay_alu instid0(VALU_DEP_4) | instskip(NEXT) | instid1(VALU_DEP_4)
	v_add_lshl_u32 v58, v3, v54, 2
	v_lshlrev_b32_e32 v59, 2, v8
	s_mov_b32 s6, 0
	s_mov_b32 s11, s64
	;; [unrolled: 1-line block ×5, first 2 shown]
	s_branch .LBB352_16
.LBB352_15:                             ;   in Loop: Header=BB352_16 Depth=2
	s_wait_xcnt 0x0
	s_or_b32 exec_lo, exec_lo, s7
	s_add_co_i32 s24, s24, 4
	s_add_co_i32 s66, s66, s35
	;; [unrolled: 1-line block ×5, first 2 shown]
	s_cmp_ge_i32 s24, s55
	s_cbranch_scc1 .LBB352_62
.LBB352_16:                             ;   Parent Loop BB352_3 Depth=1
                                        ; =>  This Loop Header: Depth=2
                                        ;       Child Loop BB352_47 Depth 3
                                        ;       Child Loop BB352_49 Depth 3
                                        ; implicit-def: $vgpr20_vgpr21
                                        ; implicit-def: $vgpr22_vgpr23
                                        ; implicit-def: $vgpr16_vgpr17
                                        ; implicit-def: $vgpr18_vgpr19
                                        ; implicit-def: $vgpr12_vgpr13
                                        ; implicit-def: $vgpr14_vgpr15
                                        ; implicit-def: $vgpr10_vgpr11
                                        ; implicit-def: $vgpr8_vgpr9
	s_and_saveexec_b32 s7, s4
	s_delay_alu instid0(SALU_CYCLE_1)
	s_xor_b32 s7, exec_lo, s7
	s_cbranch_execnz .LBB352_43
; %bb.17:                               ;   in Loop: Header=BB352_16 Depth=2
	s_and_not1_saveexec_b32 s67, s7
	s_cbranch_execnz .LBB352_44
.LBB352_18:                             ;   in Loop: Header=BB352_16 Depth=2
	s_or_b32 exec_lo, exec_lo, s67
	s_and_saveexec_b32 s7, s1
.LBB352_19:                             ;   in Loop: Header=BB352_16 Depth=2
	v_dual_mov_b32 v1, v0 :: v_dual_mov_b32 v2, v0
	v_mov_b32_e32 v3, v0
	ds_store_b128 v52, v[0:3]
.LBB352_20:                             ;   in Loop: Header=BB352_16 Depth=2
	s_or_b32 exec_lo, exec_lo, s7
	ds_bpermute_b32 v2, v55, v10
	ds_bpermute_b32 v3, v55, v11
	;; [unrolled: 1-line block ×4, first 2 shown]
	s_wait_storecnt_dscnt 0x0
	s_barrier_signal -1
	s_barrier_wait -1
	v_add_f64_e32 v[2:3], v[10:11], v[2:3]
	v_add_f64_e32 v[8:9], v[8:9], v[50:51]
	ds_bpermute_b32 v10, v56, v2
	ds_bpermute_b32 v11, v56, v3
	ds_bpermute_b32 v50, v56, v8
	ds_bpermute_b32 v51, v56, v9
	s_wait_dscnt 0x2
	v_add_f64_e32 v[2:3], v[2:3], v[10:11]
	s_wait_dscnt 0x0
	v_add_f64_e32 v[8:9], v[8:9], v[50:51]
	ds_bpermute_b32 v10, v57, v2
	ds_bpermute_b32 v11, v57, v3
	ds_bpermute_b32 v50, v57, v8
	ds_bpermute_b32 v51, v57, v9
	s_wait_dscnt 0x2
	v_add_f64_e32 v[2:3], v[2:3], v[10:11]
	s_wait_dscnt 0x0
	;; [unrolled: 8-line block ×3, first 2 shown]
	v_add_f64_e32 v[10:11], v[8:9], v[50:51]
	ds_bpermute_b32 v8, v59, v2
	ds_bpermute_b32 v9, v59, v3
	;; [unrolled: 1-line block ×4, first 2 shown]
	s_and_saveexec_b32 s7, s3
	s_cbranch_execz .LBB352_22
; %bb.21:                               ;   in Loop: Header=BB352_16 Depth=2
	s_wait_dscnt 0x0
	v_add_f64_e32 v[10:11], v[10:11], v[50:51]
	v_add_f64_e32 v[8:9], v[2:3], v[8:9]
	ds_store_b128 v53, v[8:11]
.LBB352_22:                             ;   in Loop: Header=BB352_16 Depth=2
	s_or_b32 exec_lo, exec_lo, s7
	v_mov_b64_e32 v[10:11], 0
	s_wait_dscnt 0x2
	v_mov_b64_e32 v[8:9], 0
	s_wait_dscnt 0x0
	s_barrier_signal -1
	s_barrier_wait -1
	s_and_saveexec_b32 s7, s2
	s_cbranch_execnz .LBB352_50
; %bb.23:                               ;   in Loop: Header=BB352_16 Depth=2
	s_or_b32 exec_lo, exec_lo, s7
	s_and_saveexec_b32 s7, s1
	s_cbranch_execnz .LBB352_51
.LBB352_24:                             ;   in Loop: Header=BB352_16 Depth=2
	s_or_b32 exec_lo, exec_lo, s7
	s_and_saveexec_b32 s7, s1
.LBB352_25:                             ;   in Loop: Header=BB352_16 Depth=2
	v_dual_mov_b32 v1, v0 :: v_dual_mov_b32 v2, v0
	v_mov_b32_e32 v3, v0
	ds_store_b128 v52, v[0:3]
.LBB352_26:                             ;   in Loop: Header=BB352_16 Depth=2
	s_or_b32 exec_lo, exec_lo, s7
	ds_bpermute_b32 v2, v55, v12
	ds_bpermute_b32 v3, v55, v13
	;; [unrolled: 1-line block ×4, first 2 shown]
	s_wait_dscnt 0x0
	s_barrier_signal -1
	s_barrier_wait -1
	v_add_f64_e32 v[2:3], v[12:13], v[2:3]
	v_add_f64_e32 v[12:13], v[14:15], v[50:51]
	ds_bpermute_b32 v14, v56, v2
	ds_bpermute_b32 v15, v56, v3
	ds_bpermute_b32 v50, v56, v12
	ds_bpermute_b32 v51, v56, v13
	s_wait_dscnt 0x2
	v_add_f64_e32 v[2:3], v[2:3], v[14:15]
	s_wait_dscnt 0x0
	v_add_f64_e32 v[12:13], v[12:13], v[50:51]
	ds_bpermute_b32 v14, v57, v2
	ds_bpermute_b32 v15, v57, v3
	ds_bpermute_b32 v50, v57, v12
	ds_bpermute_b32 v51, v57, v13
	s_wait_dscnt 0x2
	v_add_f64_e32 v[2:3], v[2:3], v[14:15]
	s_wait_dscnt 0x0
	;; [unrolled: 8-line block ×3, first 2 shown]
	v_add_f64_e32 v[14:15], v[12:13], v[50:51]
	ds_bpermute_b32 v12, v59, v2
	ds_bpermute_b32 v13, v59, v3
	;; [unrolled: 1-line block ×4, first 2 shown]
	s_and_saveexec_b32 s7, s3
	s_cbranch_execz .LBB352_28
; %bb.27:                               ;   in Loop: Header=BB352_16 Depth=2
	s_wait_dscnt 0x0
	v_add_f64_e32 v[14:15], v[14:15], v[50:51]
	v_add_f64_e32 v[12:13], v[2:3], v[12:13]
	ds_store_b128 v53, v[12:15]
.LBB352_28:                             ;   in Loop: Header=BB352_16 Depth=2
	s_or_b32 exec_lo, exec_lo, s7
	v_mov_b64_e32 v[14:15], 0
	s_wait_dscnt 0x2
	v_mov_b64_e32 v[12:13], 0
	s_wait_dscnt 0x0
	s_barrier_signal -1
	s_barrier_wait -1
	s_and_saveexec_b32 s7, s2
	s_cbranch_execnz .LBB352_52
; %bb.29:                               ;   in Loop: Header=BB352_16 Depth=2
	s_or_b32 exec_lo, exec_lo, s7
	s_and_saveexec_b32 s7, s1
	s_cbranch_execnz .LBB352_53
.LBB352_30:                             ;   in Loop: Header=BB352_16 Depth=2
	s_or_b32 exec_lo, exec_lo, s7
	s_and_saveexec_b32 s7, s1
.LBB352_31:                             ;   in Loop: Header=BB352_16 Depth=2
	v_dual_mov_b32 v1, v0 :: v_dual_mov_b32 v2, v0
	v_mov_b32_e32 v3, v0
	ds_store_b128 v52, v[0:3]
.LBB352_32:                             ;   in Loop: Header=BB352_16 Depth=2
	s_or_b32 exec_lo, exec_lo, s7
	ds_bpermute_b32 v2, v55, v16
	ds_bpermute_b32 v3, v55, v17
	ds_bpermute_b32 v50, v55, v18
	ds_bpermute_b32 v51, v55, v19
	s_wait_dscnt 0x0
	s_barrier_signal -1
	s_barrier_wait -1
	v_add_f64_e32 v[2:3], v[16:17], v[2:3]
	v_add_f64_e32 v[16:17], v[18:19], v[50:51]
	ds_bpermute_b32 v18, v56, v2
	ds_bpermute_b32 v19, v56, v3
	ds_bpermute_b32 v50, v56, v16
	ds_bpermute_b32 v51, v56, v17
	s_wait_dscnt 0x2
	v_add_f64_e32 v[2:3], v[2:3], v[18:19]
	s_wait_dscnt 0x0
	v_add_f64_e32 v[16:17], v[16:17], v[50:51]
	ds_bpermute_b32 v18, v57, v2
	ds_bpermute_b32 v19, v57, v3
	ds_bpermute_b32 v50, v57, v16
	ds_bpermute_b32 v51, v57, v17
	s_wait_dscnt 0x2
	v_add_f64_e32 v[2:3], v[2:3], v[18:19]
	s_wait_dscnt 0x0
	;; [unrolled: 8-line block ×3, first 2 shown]
	v_add_f64_e32 v[18:19], v[16:17], v[50:51]
	ds_bpermute_b32 v16, v59, v2
	ds_bpermute_b32 v17, v59, v3
	;; [unrolled: 1-line block ×4, first 2 shown]
	s_and_saveexec_b32 s7, s3
	s_cbranch_execz .LBB352_34
; %bb.33:                               ;   in Loop: Header=BB352_16 Depth=2
	s_wait_dscnt 0x0
	v_add_f64_e32 v[18:19], v[18:19], v[50:51]
	v_add_f64_e32 v[16:17], v[2:3], v[16:17]
	ds_store_b128 v53, v[16:19]
.LBB352_34:                             ;   in Loop: Header=BB352_16 Depth=2
	s_or_b32 exec_lo, exec_lo, s7
	v_mov_b64_e32 v[18:19], 0
	s_wait_dscnt 0x2
	v_mov_b64_e32 v[16:17], 0
	s_wait_dscnt 0x0
	s_barrier_signal -1
	s_barrier_wait -1
	s_and_saveexec_b32 s7, s2
	s_cbranch_execnz .LBB352_54
; %bb.35:                               ;   in Loop: Header=BB352_16 Depth=2
	s_or_b32 exec_lo, exec_lo, s7
	s_and_saveexec_b32 s7, s1
	s_cbranch_execnz .LBB352_55
.LBB352_36:                             ;   in Loop: Header=BB352_16 Depth=2
	s_or_b32 exec_lo, exec_lo, s7
	s_and_saveexec_b32 s7, s1
.LBB352_37:                             ;   in Loop: Header=BB352_16 Depth=2
	v_dual_mov_b32 v1, v0 :: v_dual_mov_b32 v2, v0
	v_mov_b32_e32 v3, v0
	ds_store_b128 v52, v[0:3]
.LBB352_38:                             ;   in Loop: Header=BB352_16 Depth=2
	s_or_b32 exec_lo, exec_lo, s7
	ds_bpermute_b32 v2, v55, v20
	ds_bpermute_b32 v3, v55, v21
	;; [unrolled: 1-line block ×4, first 2 shown]
	s_wait_dscnt 0x0
	s_barrier_signal -1
	s_barrier_wait -1
	v_add_f64_e32 v[2:3], v[20:21], v[2:3]
	v_add_f64_e32 v[20:21], v[22:23], v[50:51]
	ds_bpermute_b32 v22, v56, v2
	ds_bpermute_b32 v23, v56, v3
	ds_bpermute_b32 v50, v56, v20
	ds_bpermute_b32 v51, v56, v21
	s_wait_dscnt 0x2
	v_add_f64_e32 v[2:3], v[2:3], v[22:23]
	s_wait_dscnt 0x0
	v_add_f64_e32 v[20:21], v[20:21], v[50:51]
	ds_bpermute_b32 v22, v57, v2
	ds_bpermute_b32 v23, v57, v3
	ds_bpermute_b32 v50, v57, v20
	ds_bpermute_b32 v51, v57, v21
	s_wait_dscnt 0x2
	v_add_f64_e32 v[2:3], v[2:3], v[22:23]
	s_wait_dscnt 0x0
	;; [unrolled: 8-line block ×3, first 2 shown]
	v_add_f64_e32 v[22:23], v[20:21], v[50:51]
	ds_bpermute_b32 v20, v59, v2
	ds_bpermute_b32 v21, v59, v3
	;; [unrolled: 1-line block ×4, first 2 shown]
	s_and_saveexec_b32 s7, s3
	s_cbranch_execz .LBB352_40
; %bb.39:                               ;   in Loop: Header=BB352_16 Depth=2
	s_wait_dscnt 0x0
	v_add_f64_e32 v[22:23], v[22:23], v[50:51]
	v_add_f64_e32 v[20:21], v[2:3], v[20:21]
	ds_store_b128 v53, v[20:23]
.LBB352_40:                             ;   in Loop: Header=BB352_16 Depth=2
	s_or_b32 exec_lo, exec_lo, s7
	v_mov_b64_e32 v[22:23], 0
	s_wait_dscnt 0x2
	v_mov_b64_e32 v[20:21], 0
	s_wait_dscnt 0x0
	s_barrier_signal -1
	s_barrier_wait -1
	s_and_saveexec_b32 s7, s2
	s_cbranch_execnz .LBB352_56
; %bb.41:                               ;   in Loop: Header=BB352_16 Depth=2
	s_or_b32 exec_lo, exec_lo, s7
	s_and_saveexec_b32 s7, s1
	s_cbranch_execnz .LBB352_57
.LBB352_42:                             ;   in Loop: Header=BB352_16 Depth=2
	s_or_b32 exec_lo, exec_lo, s7
	s_and_saveexec_b32 s7, s0
	s_cbranch_execz .LBB352_15
	s_branch .LBB352_58
.LBB352_43:                             ;   in Loop: Header=BB352_16 Depth=2
	s_wait_dscnt 0x0
	s_clause 0x1
	flat_load_b128 v[18:21], v[40:41]
	flat_load_b128 v[8:11], v[42:43]
	s_mul_i32 s8, s24, s52
	s_delay_alu instid0(SALU_CYCLE_1)
	s_ashr_i32 s9, s8, 31
	s_wait_loadcnt_dscnt 0x101
	scratch_store_b128 off, v[18:21], off
	s_wait_loadcnt_dscnt 0x0
	scratch_store_b128 off, v[8:11], s59
	flat_load_b128 v[8:11], v[44:45]
	s_wait_loadcnt_dscnt 0x0
	scratch_store_b128 off, v[8:11], s60
	flat_load_b128 v[8:11], v[46:47]
	s_wait_loadcnt_dscnt 0x0
	scratch_store_b128 off, v[8:11], s61
	s_wait_xcnt 0x0
	v_lshl_add_u64 v[8:9], s[8:9], 4, v[38:39]
	s_add_co_i32 s8, s8, s52
	s_delay_alu instid0(SALU_CYCLE_1) | instskip(SKIP_4) | instid1(VALU_DEP_2)
	s_ashr_i32 s9, s8, 31
	flat_load_b128 v[10:13], v[8:9]
	s_wait_loadcnt_dscnt 0x0
	v_mul_f64_e32 v[2:3], v[20:21], v[12:13]
	v_mul_f64_e32 v[12:13], v[18:19], v[12:13]
	v_fma_f64 v[2:3], v[18:19], v[10:11], -v[2:3]
	s_delay_alu instid0(VALU_DEP_2) | instskip(NEXT) | instid1(VALU_DEP_2)
	v_fmac_f64_e32 v[12:13], v[20:21], v[10:11]
	v_add_f64_e32 v[10:11], 0, v[2:3]
	s_delay_alu instid0(VALU_DEP_2) | instskip(SKIP_2) | instid1(SALU_CYCLE_1)
	v_add_f64_e32 v[22:23], 0, v[12:13]
	v_lshl_add_u64 v[12:13], s[8:9], 4, v[38:39]
	s_add_co_i32 s8, s8, s52
	s_ashr_i32 s9, s8, 31
	flat_load_b128 v[14:17], v[12:13]
	s_wait_loadcnt_dscnt 0x0
	v_mul_f64_e32 v[2:3], v[20:21], v[16:17]
	v_mul_f64_e32 v[16:17], v[18:19], v[16:17]
	s_delay_alu instid0(VALU_DEP_2) | instskip(NEXT) | instid1(VALU_DEP_2)
	v_fma_f64 v[2:3], v[18:19], v[14:15], -v[2:3]
	v_fmac_f64_e32 v[16:17], v[20:21], v[14:15]
	s_delay_alu instid0(VALU_DEP_2) | instskip(NEXT) | instid1(VALU_DEP_2)
	v_add_f64_e32 v[14:15], 0, v[2:3]
	v_add_f64_e32 v[50:51], 0, v[16:17]
	v_lshl_add_u64 v[16:17], s[8:9], 4, v[38:39]
	s_add_co_i32 s8, s8, s52
	s_delay_alu instid0(SALU_CYCLE_1) | instskip(SKIP_4) | instid1(VALU_DEP_2)
	s_ashr_i32 s9, s8, 31
	flat_load_b128 v[60:63], v[16:17]
	s_wait_loadcnt_dscnt 0x0
	v_mul_f64_e32 v[2:3], v[20:21], v[62:63]
	v_mul_f64_e32 v[62:63], v[18:19], v[62:63]
	v_fma_f64 v[2:3], v[18:19], v[60:61], -v[2:3]
	s_delay_alu instid0(VALU_DEP_2) | instskip(NEXT) | instid1(VALU_DEP_2)
	v_fmac_f64_e32 v[62:63], v[20:21], v[60:61]
	v_add_f64_e32 v[64:65], 0, v[2:3]
	v_lshl_add_u64 v[2:3], s[8:9], 4, v[38:39]
	s_delay_alu instid0(VALU_DEP_3) | instskip(SKIP_3) | instid1(VALU_DEP_1)
	v_add_f64_e32 v[66:67], 0, v[62:63]
	flat_load_b128 v[60:63], v[2:3]
	s_wait_loadcnt_dscnt 0x0
	v_mul_f64_e32 v[68:69], v[20:21], v[62:63]
	v_fma_f64 v[68:69], v[18:19], v[60:61], -v[68:69]
	v_mul_f64_e32 v[18:19], v[18:19], v[62:63]
	s_delay_alu instid0(VALU_DEP_2) | instskip(NEXT) | instid1(VALU_DEP_2)
	v_add_f64_e32 v[68:69], 0, v[68:69]
	v_fmac_f64_e32 v[18:19], v[20:21], v[60:61]
	s_delay_alu instid0(VALU_DEP_1)
	v_add_f64_e32 v[70:71], 0, v[18:19]
	scratch_load_b128 v[18:21], off, off offset:16
	flat_load_b128 v[60:63], v[8:9] offset:16
	s_wait_loadcnt_dscnt 0x0
	v_mul_f64_e32 v[72:73], v[20:21], v[62:63]
	v_mul_f64_e32 v[62:63], v[18:19], v[62:63]
	s_delay_alu instid0(VALU_DEP_2) | instskip(NEXT) | instid1(VALU_DEP_2)
	v_fma_f64 v[72:73], v[18:19], v[60:61], -v[72:73]
	v_fmac_f64_e32 v[62:63], v[20:21], v[60:61]
	s_delay_alu instid0(VALU_DEP_2) | instskip(NEXT) | instid1(VALU_DEP_2)
	v_add_f64_e32 v[10:11], v[10:11], v[72:73]
	v_add_f64_e32 v[22:23], v[22:23], v[62:63]
	flat_load_b128 v[60:63], v[12:13] offset:16
	s_wait_loadcnt_dscnt 0x0
	v_mul_f64_e32 v[72:73], v[20:21], v[62:63]
	v_mul_f64_e32 v[62:63], v[18:19], v[62:63]
	s_delay_alu instid0(VALU_DEP_2) | instskip(NEXT) | instid1(VALU_DEP_2)
	v_fma_f64 v[72:73], v[18:19], v[60:61], -v[72:73]
	v_fmac_f64_e32 v[62:63], v[20:21], v[60:61]
	s_delay_alu instid0(VALU_DEP_2) | instskip(NEXT) | instid1(VALU_DEP_2)
	v_add_f64_e32 v[14:15], v[14:15], v[72:73]
	v_add_f64_e32 v[50:51], v[50:51], v[62:63]
	;; [unrolled: 10-line block ×3, first 2 shown]
	flat_load_b128 v[60:63], v[2:3] offset:16
	s_wait_loadcnt_dscnt 0x0
	v_mul_f64_e32 v[72:73], v[20:21], v[62:63]
	s_delay_alu instid0(VALU_DEP_1) | instskip(SKIP_1) | instid1(VALU_DEP_2)
	v_fma_f64 v[72:73], v[18:19], v[60:61], -v[72:73]
	v_mul_f64_e32 v[18:19], v[18:19], v[62:63]
	v_add_f64_e32 v[68:69], v[68:69], v[72:73]
	s_delay_alu instid0(VALU_DEP_2) | instskip(NEXT) | instid1(VALU_DEP_1)
	v_fmac_f64_e32 v[18:19], v[20:21], v[60:61]
	v_add_f64_e32 v[70:71], v[70:71], v[18:19]
	scratch_load_b128 v[18:21], off, off offset:32
	flat_load_b128 v[60:63], v[8:9] offset:32
	s_wait_loadcnt_dscnt 0x0
	v_mul_f64_e32 v[72:73], v[20:21], v[62:63]
	v_mul_f64_e32 v[62:63], v[18:19], v[62:63]
	s_delay_alu instid0(VALU_DEP_2) | instskip(NEXT) | instid1(VALU_DEP_2)
	v_fma_f64 v[72:73], v[18:19], v[60:61], -v[72:73]
	v_fmac_f64_e32 v[62:63], v[20:21], v[60:61]
	s_delay_alu instid0(VALU_DEP_2) | instskip(NEXT) | instid1(VALU_DEP_2)
	v_add_f64_e32 v[72:73], v[10:11], v[72:73]
	v_add_f64_e32 v[74:75], v[22:23], v[62:63]
	flat_load_b128 v[60:63], v[12:13] offset:32
	s_wait_loadcnt_dscnt 0x0
	v_mul_f64_e32 v[10:11], v[20:21], v[62:63]
	v_mul_f64_e32 v[22:23], v[18:19], v[62:63]
	s_delay_alu instid0(VALU_DEP_2) | instskip(NEXT) | instid1(VALU_DEP_2)
	v_fma_f64 v[10:11], v[18:19], v[60:61], -v[10:11]
	v_fmac_f64_e32 v[22:23], v[20:21], v[60:61]
	flat_load_b128 v[60:63], v[16:17] offset:32
	v_add_f64_e32 v[76:77], v[14:15], v[10:11]
	v_add_f64_e32 v[50:51], v[50:51], v[22:23]
	s_wait_loadcnt_dscnt 0x0
	v_mul_f64_e32 v[10:11], v[20:21], v[62:63]
	v_mul_f64_e32 v[14:15], v[18:19], v[62:63]
	s_delay_alu instid0(VALU_DEP_2) | instskip(NEXT) | instid1(VALU_DEP_2)
	v_fma_f64 v[10:11], v[18:19], v[60:61], -v[10:11]
	v_fmac_f64_e32 v[14:15], v[20:21], v[60:61]
	flat_load_b128 v[60:63], v[2:3] offset:32
	v_add_f64_e32 v[64:65], v[64:65], v[10:11]
	v_add_f64_e32 v[66:67], v[66:67], v[14:15]
	s_wait_loadcnt_dscnt 0x0
	v_mul_f64_e32 v[10:11], v[20:21], v[62:63]
	v_mul_f64_e32 v[14:15], v[18:19], v[62:63]
	s_delay_alu instid0(VALU_DEP_2) | instskip(NEXT) | instid1(VALU_DEP_2)
	v_fma_f64 v[10:11], v[18:19], v[60:61], -v[10:11]
	v_fmac_f64_e32 v[14:15], v[20:21], v[60:61]
	s_delay_alu instid0(VALU_DEP_2)
	v_add_f64_e32 v[68:69], v[68:69], v[10:11]
	scratch_load_b128 v[20:23], off, off offset:48
	flat_load_b128 v[8:11], v[8:9] offset:48
	v_add_f64_e32 v[70:71], v[70:71], v[14:15]
	flat_load_b128 v[60:63], v[2:3] offset:48
	s_wait_loadcnt_dscnt 0x101
	v_mul_f64_e32 v[14:15], v[22:23], v[10:11]
	v_mul_f64_e32 v[18:19], v[20:21], v[10:11]
	s_wait_loadcnt_dscnt 0x0
	s_wait_xcnt 0x0
	v_mul_f64_e32 v[2:3], v[22:23], v[62:63]
	s_delay_alu instid0(VALU_DEP_3) | instskip(NEXT) | instid1(VALU_DEP_3)
	v_fma_f64 v[14:15], v[20:21], v[8:9], -v[14:15]
	v_fmac_f64_e32 v[18:19], v[22:23], v[8:9]
	s_delay_alu instid0(VALU_DEP_3) | instskip(NEXT) | instid1(VALU_DEP_3)
	v_fma_f64 v[2:3], v[20:21], v[60:61], -v[2:3]
	v_add_f64_e32 v[10:11], v[72:73], v[14:15]
	flat_load_b128 v[12:15], v[12:13] offset:48
	v_add_f64_e32 v[8:9], v[74:75], v[18:19]
	s_wait_loadcnt_dscnt 0x0
	v_mul_f64_e32 v[18:19], v[22:23], v[14:15]
	v_mul_f64_e32 v[14:15], v[20:21], v[14:15]
	s_delay_alu instid0(VALU_DEP_2) | instskip(NEXT) | instid1(VALU_DEP_2)
	v_fma_f64 v[18:19], v[20:21], v[12:13], -v[18:19]
	v_fmac_f64_e32 v[14:15], v[22:23], v[12:13]
	s_wait_xcnt 0x0
	s_delay_alu instid0(VALU_DEP_2)
	v_add_f64_e32 v[12:13], v[76:77], v[18:19]
	flat_load_b128 v[16:19], v[16:17] offset:48
	v_add_f64_e32 v[14:15], v[50:51], v[14:15]
	s_wait_loadcnt_dscnt 0x0
	v_mul_f64_e32 v[50:51], v[22:23], v[18:19]
	v_mul_f64_e32 v[18:19], v[20:21], v[18:19]
	s_delay_alu instid0(VALU_DEP_2) | instskip(NEXT) | instid1(VALU_DEP_2)
	v_fma_f64 v[50:51], v[20:21], v[16:17], -v[50:51]
	v_fmac_f64_e32 v[18:19], v[22:23], v[16:17]
	s_wait_xcnt 0x0
	s_delay_alu instid0(VALU_DEP_2) | instskip(SKIP_1) | instid1(VALU_DEP_3)
	v_add_f64_e32 v[16:17], v[64:65], v[50:51]
	v_mul_f64_e32 v[50:51], v[20:21], v[62:63]
	v_add_f64_e32 v[18:19], v[66:67], v[18:19]
	v_add_f64_e32 v[20:21], v[68:69], v[2:3]
	s_delay_alu instid0(VALU_DEP_3) | instskip(NEXT) | instid1(VALU_DEP_1)
	v_fmac_f64_e32 v[50:51], v[22:23], v[60:61]
	v_add_f64_e32 v[22:23], v[70:71], v[50:51]
	s_and_not1_saveexec_b32 s67, s7
	s_cbranch_execz .LBB352_18
.LBB352_44:                             ;   in Loop: Header=BB352_16 Depth=2
	s_wait_dscnt 0x0
	v_mov_b64_e32 v[20:21], 0
	v_mov_b64_e32 v[22:23], 0
	;; [unrolled: 1-line block ×8, first 2 shown]
	s_and_saveexec_b32 s68, s5
	s_cbranch_execz .LBB352_60
; %bb.45:                               ;   in Loop: Header=BB352_16 Depth=2
	s_and_not1_b32 vcc_lo, exec_lo, s58
	s_cbranch_vccnz .LBB352_59
; %bb.46:                               ;   in Loop: Header=BB352_16 Depth=2
	v_mov_b32_e32 v1, v26
	s_mov_b32 s7, 0
	s_mov_b32 s8, s56
.LBB352_47:                             ;   Parent Loop BB352_3 Depth=1
                                        ;     Parent Loop BB352_16 Depth=2
                                        ; =>    This Inner Loop Header: Depth=3
	v_readfirstlane_b32 s48, v36
	v_readfirstlane_b32 s49, v37
	s_add_co_i32 s8, s8, -1
	flat_load_b128 v[8:11], v1, s[48:49] scale_offset
	s_wait_xcnt 0x0
	v_add_nc_u32_e32 v1, s53, v1
	s_wait_loadcnt_dscnt 0x0
	scratch_store_b128 off, v[8:11], s7
	s_wait_xcnt 0x0
	s_add_co_i32 s7, s7, 16
	s_cmp_eq_u32 s8, 0
	s_cbranch_scc0 .LBB352_47
; %bb.48:                               ;   in Loop: Header=BB352_16 Depth=2
	s_ashr_i32 s7, s6, 31
	v_mov_b64_e32 v[8:9], 0
	v_mov_b64_e32 v[10:11], 0
	;; [unrolled: 1-line block ×8, first 2 shown]
	v_lshl_add_u64 v[2:3], s[6:7], 4, v[48:49]
	s_mov_b32 s7, s62
	s_mov_b32 s8, s11
	;; [unrolled: 1-line block ×5, first 2 shown]
.LBB352_49:                             ;   Parent Loop BB352_3 Depth=1
                                        ;     Parent Loop BB352_16 Depth=2
                                        ; =>    This Inner Loop Header: Depth=3
	scratch_load_b128 v[60:63], off, s7 offset:-8
	flat_load_b128 v[64:67], v[2:3] offset:-8
	s_ashr_i32 s51, s50, 31
	s_ashr_i32 s49, s48, 31
	;; [unrolled: 1-line block ×3, first 2 shown]
	s_wait_xcnt 0x0
	v_add_nc_u64_e32 v[2:3], 16, v[2:3]
	s_add_co_i32 s69, s69, -1
	s_add_co_i32 s7, s7, 16
	s_wait_loadcnt_dscnt 0x0
	v_mul_f64_e32 v[50:51], v[62:63], v[66:67]
	v_mul_f64_e32 v[66:67], v[60:61], v[66:67]
	s_delay_alu instid0(VALU_DEP_2) | instskip(NEXT) | instid1(VALU_DEP_2)
	v_fma_f64 v[50:51], v[60:61], v[64:65], -v[50:51]
	v_fmac_f64_e32 v[66:67], v[62:63], v[64:65]
	s_delay_alu instid0(VALU_DEP_2) | instskip(SKIP_1) | instid1(VALU_DEP_3)
	v_add_f64_e32 v[10:11], v[10:11], v[50:51]
	v_lshl_add_u64 v[50:51], s[50:51], 4, v[38:39]
	v_add_f64_e32 v[8:9], v[8:9], v[66:67]
	s_add_co_i32 s50, s50, 1
	flat_load_b128 v[64:67], v[50:51]
	s_wait_loadcnt_dscnt 0x0
	v_mul_f64_e32 v[50:51], v[62:63], v[66:67]
	v_mul_f64_e32 v[66:67], v[60:61], v[66:67]
	s_delay_alu instid0(VALU_DEP_2) | instskip(NEXT) | instid1(VALU_DEP_2)
	v_fma_f64 v[50:51], v[60:61], v[64:65], -v[50:51]
	v_fmac_f64_e32 v[66:67], v[62:63], v[64:65]
	s_delay_alu instid0(VALU_DEP_2) | instskip(SKIP_1) | instid1(VALU_DEP_3)
	v_add_f64_e32 v[12:13], v[12:13], v[50:51]
	v_lshl_add_u64 v[50:51], s[48:49], 4, v[38:39]
	v_add_f64_e32 v[14:15], v[14:15], v[66:67]
	s_add_co_i32 s48, s48, 1
	flat_load_b128 v[64:67], v[50:51]
	s_wait_loadcnt_dscnt 0x0
	v_mul_f64_e32 v[50:51], v[62:63], v[66:67]
	v_mul_f64_e32 v[66:67], v[60:61], v[66:67]
	s_delay_alu instid0(VALU_DEP_2) | instskip(NEXT) | instid1(VALU_DEP_2)
	v_fma_f64 v[50:51], v[60:61], v[64:65], -v[50:51]
	v_fmac_f64_e32 v[66:67], v[62:63], v[64:65]
	s_delay_alu instid0(VALU_DEP_2) | instskip(SKIP_1) | instid1(VALU_DEP_3)
	v_add_f64_e32 v[16:17], v[16:17], v[50:51]
	v_lshl_add_u64 v[50:51], s[8:9], 4, v[38:39]
	v_add_f64_e32 v[18:19], v[18:19], v[66:67]
	s_add_co_i32 s8, s8, 1
	s_cmp_lg_u32 s69, 0
	flat_load_b128 v[64:67], v[50:51]
	s_wait_loadcnt_dscnt 0x0
	v_mul_f64_e32 v[50:51], v[62:63], v[66:67]
	s_delay_alu instid0(VALU_DEP_1) | instskip(SKIP_1) | instid1(VALU_DEP_2)
	v_fma_f64 v[50:51], v[60:61], v[64:65], -v[50:51]
	v_mul_f64_e32 v[60:61], v[60:61], v[66:67]
	v_add_f64_e32 v[20:21], v[20:21], v[50:51]
	s_delay_alu instid0(VALU_DEP_2) | instskip(NEXT) | instid1(VALU_DEP_1)
	v_fmac_f64_e32 v[60:61], v[62:63], v[64:65]
	v_add_f64_e32 v[22:23], v[22:23], v[60:61]
	s_cbranch_scc1 .LBB352_49
	s_branch .LBB352_60
.LBB352_50:                             ;   in Loop: Header=BB352_16 Depth=2
	ds_load_b128 v[8:11], v52
	s_or_b32 exec_lo, exec_lo, s7
	s_and_saveexec_b32 s7, s1
	s_cbranch_execz .LBB352_24
.LBB352_51:                             ;   in Loop: Header=BB352_16 Depth=2
	s_wait_dscnt 0x0
	ds_bpermute_b32 v2, v57, v8
	ds_bpermute_b32 v3, v57, v9
	ds_bpermute_b32 v50, v57, v10
	ds_bpermute_b32 v51, v57, v11
	s_wait_dscnt 0x2
	v_add_f64_e32 v[2:3], v[8:9], v[2:3]
	s_wait_dscnt 0x0
	v_add_f64_e32 v[8:9], v[10:11], v[50:51]
	ds_bpermute_b32 v10, v58, v2
	ds_bpermute_b32 v11, v58, v3
	ds_bpermute_b32 v50, v58, v8
	ds_bpermute_b32 v51, v58, v9
	s_wait_dscnt 0x2
	v_add_f64_e32 v[2:3], v[2:3], v[10:11]
	s_wait_dscnt 0x0
	v_add_f64_e32 v[10:11], v[8:9], v[50:51]
	;; [unrolled: 8-line block ×3, first 2 shown]
	s_or_b32 exec_lo, exec_lo, s7
	s_and_saveexec_b32 s7, s1
	s_cbranch_execnz .LBB352_25
	s_branch .LBB352_26
.LBB352_52:                             ;   in Loop: Header=BB352_16 Depth=2
	ds_load_b128 v[12:15], v52
	s_or_b32 exec_lo, exec_lo, s7
	s_and_saveexec_b32 s7, s1
	s_cbranch_execz .LBB352_30
.LBB352_53:                             ;   in Loop: Header=BB352_16 Depth=2
	s_wait_dscnt 0x0
	ds_bpermute_b32 v2, v57, v12
	ds_bpermute_b32 v3, v57, v13
	ds_bpermute_b32 v50, v57, v14
	ds_bpermute_b32 v51, v57, v15
	s_wait_dscnt 0x2
	v_add_f64_e32 v[2:3], v[12:13], v[2:3]
	s_wait_dscnt 0x0
	v_add_f64_e32 v[12:13], v[14:15], v[50:51]
	ds_bpermute_b32 v14, v58, v2
	ds_bpermute_b32 v15, v58, v3
	ds_bpermute_b32 v50, v58, v12
	ds_bpermute_b32 v51, v58, v13
	s_wait_dscnt 0x2
	v_add_f64_e32 v[2:3], v[2:3], v[14:15]
	s_wait_dscnt 0x0
	v_add_f64_e32 v[14:15], v[12:13], v[50:51]
	;; [unrolled: 8-line block ×3, first 2 shown]
	s_or_b32 exec_lo, exec_lo, s7
	s_and_saveexec_b32 s7, s1
	s_cbranch_execnz .LBB352_31
	s_branch .LBB352_32
.LBB352_54:                             ;   in Loop: Header=BB352_16 Depth=2
	ds_load_b128 v[16:19], v52
	s_or_b32 exec_lo, exec_lo, s7
	s_and_saveexec_b32 s7, s1
	s_cbranch_execz .LBB352_36
.LBB352_55:                             ;   in Loop: Header=BB352_16 Depth=2
	s_wait_dscnt 0x0
	ds_bpermute_b32 v2, v57, v16
	ds_bpermute_b32 v3, v57, v17
	ds_bpermute_b32 v50, v57, v18
	ds_bpermute_b32 v51, v57, v19
	s_wait_dscnt 0x2
	v_add_f64_e32 v[2:3], v[16:17], v[2:3]
	s_wait_dscnt 0x0
	v_add_f64_e32 v[16:17], v[18:19], v[50:51]
	ds_bpermute_b32 v18, v58, v2
	ds_bpermute_b32 v19, v58, v3
	ds_bpermute_b32 v50, v58, v16
	ds_bpermute_b32 v51, v58, v17
	s_wait_dscnt 0x2
	v_add_f64_e32 v[2:3], v[2:3], v[18:19]
	s_wait_dscnt 0x0
	v_add_f64_e32 v[18:19], v[16:17], v[50:51]
	;; [unrolled: 8-line block ×3, first 2 shown]
	s_or_b32 exec_lo, exec_lo, s7
	s_and_saveexec_b32 s7, s1
	s_cbranch_execnz .LBB352_37
	s_branch .LBB352_38
.LBB352_56:                             ;   in Loop: Header=BB352_16 Depth=2
	ds_load_b128 v[20:23], v52
	s_or_b32 exec_lo, exec_lo, s7
	s_and_saveexec_b32 s7, s1
	s_cbranch_execz .LBB352_42
.LBB352_57:                             ;   in Loop: Header=BB352_16 Depth=2
	s_wait_dscnt 0x0
	ds_bpermute_b32 v2, v57, v20
	ds_bpermute_b32 v3, v57, v21
	ds_bpermute_b32 v50, v57, v22
	ds_bpermute_b32 v51, v57, v23
	s_wait_dscnt 0x2
	v_add_f64_e32 v[2:3], v[20:21], v[2:3]
	s_wait_dscnt 0x0
	v_add_f64_e32 v[20:21], v[22:23], v[50:51]
	ds_bpermute_b32 v22, v58, v2
	ds_bpermute_b32 v23, v58, v3
	ds_bpermute_b32 v50, v58, v20
	ds_bpermute_b32 v51, v58, v21
	s_wait_dscnt 0x2
	v_add_f64_e32 v[2:3], v[2:3], v[22:23]
	s_wait_dscnt 0x0
	v_add_f64_e32 v[22:23], v[20:21], v[50:51]
	;; [unrolled: 8-line block ×3, first 2 shown]
	s_or_b32 exec_lo, exec_lo, s7
	s_and_saveexec_b32 s7, s0
	s_cbranch_execz .LBB352_15
.LBB352_58:                             ;   in Loop: Header=BB352_16 Depth=2
	s_mul_i32 s8, s24, s30
	v_mul_f64_e32 v[64:65], v[6:7], v[18:19]
	s_add_co_i32 s8, s8, s34
	s_delay_alu instid0(SALU_CYCLE_1)
	v_dual_mul_f64 v[2:3], v[6:7], v[10:11] :: v_dual_mov_b32 v1, s8
	s_add_co_i32 s9, s8, s30
	v_mul_f64_e32 v[62:63], v[4:5], v[10:11]
	s_add_co_i32 s8, s9, s30
	v_mul_f64_e32 v[50:51], v[6:7], v[14:15]
	s_wait_dscnt 0x0
	v_mul_f64_e32 v[66:67], v[6:7], v[22:23]
	s_delay_alu instid0(VALU_DEP_4)
	v_dual_fma_f64 v[60:61], v[4:5], v[8:9], -v[2:3] :: v_dual_mov_b32 v2, s9
	s_add_co_i32 s9, s8, s30
	v_mul_f64_e32 v[10:11], v[4:5], v[14:15]
	v_mul_f64_e32 v[14:15], v[4:5], v[18:19]
	;; [unrolled: 1-line block ×3, first 2 shown]
	v_fmac_f64_e32 v[62:63], v[6:7], v[8:9]
	v_dual_fma_f64 v[8:9], v[4:5], v[12:13], -v[50:51] :: v_dual_mov_b32 v3, s8
	v_fmac_f64_e32 v[10:11], v[6:7], v[12:13]
	v_fma_f64 v[12:13], v[4:5], v[16:17], -v[64:65]
	v_fmac_f64_e32 v[14:15], v[6:7], v[16:17]
	v_fma_f64 v[16:17], v[4:5], v[20:21], -v[66:67]
	v_fmac_f64_e32 v[18:19], v[6:7], v[20:21]
	v_mov_b32_e32 v20, s9
	s_clause 0x3
	global_store_b128 v1, v[60:63], s[46:47] scale_offset
	global_store_b128 v2, v[8:11], s[46:47] scale_offset
	;; [unrolled: 1-line block ×4, first 2 shown]
	s_branch .LBB352_15
.LBB352_59:                             ;   in Loop: Header=BB352_16 Depth=2
	v_mov_b64_e32 v[20:21], 0
	v_mov_b64_e32 v[22:23], 0
	v_mov_b64_e32 v[16:17], 0
	v_mov_b64_e32 v[18:19], 0
	v_mov_b64_e32 v[12:13], 0
	v_mov_b64_e32 v[14:15], 0
	v_mov_b64_e32 v[10:11], 0
	v_mov_b64_e32 v[8:9], 0
.LBB352_60:                             ;   in Loop: Header=BB352_16 Depth=2
	s_or_b32 exec_lo, exec_lo, s68
	s_delay_alu instid0(SALU_CYCLE_1)
	s_or_b32 exec_lo, exec_lo, s67
	s_and_saveexec_b32 s7, s1
	s_cbranch_execnz .LBB352_19
	s_branch .LBB352_20
.LBB352_61:                             ;   in Loop: Header=BB352_3 Depth=1
	s_mov_b32 s24, 0
.LBB352_62:                             ;   in Loop: Header=BB352_3 Depth=1
	s_delay_alu instid0(SALU_CYCLE_1)
	s_cmp_ge_i32 s24, s27
	s_cbranch_scc1 .LBB352_2
; %bb.63:                               ;   in Loop: Header=BB352_3 Depth=1
	v_cmp_gt_u32_e32 vcc_lo, 24, v54
	s_add_nc_u64 s[6:7], s[46:47], s[38:39]
	s_mul_i32 s8, s52, s24
	v_cndmask_b32_e64 v1, 0, 8, vcc_lo
	v_cmp_gt_u32_e32 vcc_lo, 28, v54
	s_delay_alu instid0(VALU_DEP_2) | instskip(SKIP_2) | instid1(VALU_DEP_2)
	v_add_lshl_u32 v14, v1, v54, 2
	v_cndmask_b32_e64 v2, 0, 4, vcc_lo
	v_cmp_gt_u32_e32 vcc_lo, 30, v54
	v_add_lshl_u32 v15, v2, v54, 2
	v_cndmask_b32_e64 v3, 0, 2, vcc_lo
	v_cmp_ne_u32_e32 vcc_lo, 31, v54
	s_delay_alu instid0(VALU_DEP_2) | instskip(SKIP_1) | instid1(VALU_DEP_1)
	v_add_lshl_u32 v16, v3, v54, 2
	v_add_co_ci_u32_e64 v8, null, 0, v54, vcc_lo
	v_lshlrev_b32_e32 v17, 2, v8
	s_branch .LBB352_65
.LBB352_64:                             ;   in Loop: Header=BB352_65 Depth=2
	s_wait_xcnt 0x0
	s_or_b32 exec_lo, exec_lo, s9
	s_add_co_i32 s24, s24, 1
	s_add_co_i32 s8, s8, s52
	s_cmp_lt_i32 s24, s27
	s_cbranch_scc0 .LBB352_2
.LBB352_65:                             ;   Parent Loop BB352_3 Depth=1
                                        ; =>  This Loop Header: Depth=2
                                        ;       Child Loop BB352_77 Depth 3
                                        ;       Child Loop BB352_79 Depth 3
                                        ; implicit-def: $vgpr8_vgpr9
                                        ; implicit-def: $vgpr10_vgpr11
	s_and_saveexec_b32 s9, s4
	s_delay_alu instid0(SALU_CYCLE_1)
	s_xor_b32 s9, exec_lo, s9
	s_cbranch_execnz .LBB352_74
; %bb.66:                               ;   in Loop: Header=BB352_65 Depth=2
	s_and_not1_saveexec_b32 s11, s9
	s_cbranch_execnz .LBB352_75
.LBB352_67:                             ;   in Loop: Header=BB352_65 Depth=2
	s_or_b32 exec_lo, exec_lo, s11
	s_and_saveexec_b32 s9, s1
.LBB352_68:                             ;   in Loop: Header=BB352_65 Depth=2
	v_dual_mov_b32 v1, v0 :: v_dual_mov_b32 v2, v0
	v_mov_b32_e32 v3, v0
	ds_store_b128 v52, v[0:3]
.LBB352_69:                             ;   in Loop: Header=BB352_65 Depth=2
	s_or_b32 exec_lo, exec_lo, s9
	s_wait_dscnt 0x0
	ds_bpermute_b32 v2, v55, v8
	ds_bpermute_b32 v3, v55, v9
	;; [unrolled: 1-line block ×4, first 2 shown]
	s_wait_storecnt_dscnt 0x0
	s_barrier_signal -1
	s_barrier_wait -1
	v_add_f64_e32 v[2:3], v[8:9], v[2:3]
	v_add_f64_e32 v[8:9], v[10:11], v[12:13]
	ds_bpermute_b32 v10, v14, v2
	ds_bpermute_b32 v11, v14, v3
	ds_bpermute_b32 v12, v14, v8
	ds_bpermute_b32 v13, v14, v9
	s_wait_dscnt 0x2
	v_add_f64_e32 v[2:3], v[2:3], v[10:11]
	s_wait_dscnt 0x0
	v_add_f64_e32 v[8:9], v[8:9], v[12:13]
	ds_bpermute_b32 v10, v15, v2
	ds_bpermute_b32 v11, v15, v3
	ds_bpermute_b32 v12, v15, v8
	ds_bpermute_b32 v13, v15, v9
	s_wait_dscnt 0x2
	v_add_f64_e32 v[2:3], v[2:3], v[10:11]
	s_wait_dscnt 0x0
	;; [unrolled: 8-line block ×3, first 2 shown]
	v_add_f64_e32 v[10:11], v[8:9], v[12:13]
	ds_bpermute_b32 v8, v17, v2
	ds_bpermute_b32 v9, v17, v3
	;; [unrolled: 1-line block ×4, first 2 shown]
	s_and_saveexec_b32 s9, s3
	s_cbranch_execz .LBB352_71
; %bb.70:                               ;   in Loop: Header=BB352_65 Depth=2
	s_wait_dscnt 0x0
	v_add_f64_e32 v[10:11], v[10:11], v[12:13]
	v_add_f64_e32 v[8:9], v[2:3], v[8:9]
	ds_store_b128 v53, v[8:11]
.LBB352_71:                             ;   in Loop: Header=BB352_65 Depth=2
	s_or_b32 exec_lo, exec_lo, s9
	v_mov_b64_e32 v[10:11], 0
	s_wait_dscnt 0x2
	v_mov_b64_e32 v[8:9], 0
	s_wait_dscnt 0x0
	s_barrier_signal -1
	s_barrier_wait -1
	s_and_saveexec_b32 s9, s2
	s_cbranch_execnz .LBB352_81
; %bb.72:                               ;   in Loop: Header=BB352_65 Depth=2
	s_or_b32 exec_lo, exec_lo, s9
	s_and_saveexec_b32 s9, s1
	s_cbranch_execnz .LBB352_82
.LBB352_73:                             ;   in Loop: Header=BB352_65 Depth=2
	s_or_b32 exec_lo, exec_lo, s9
	s_and_saveexec_b32 s9, s0
	s_cbranch_execz .LBB352_64
	s_branch .LBB352_83
.LBB352_74:                             ;   in Loop: Header=BB352_65 Depth=2
	s_wait_dscnt 0x0
	flat_load_b128 v[8:11], v[42:43]
	s_wait_dscnt 0x1
	s_clause 0x1
	flat_load_b128 v[18:21], v[44:45]
	flat_load_b128 v[56:59], v[46:47]
	s_mul_i32 s46, s24, s52
	s_delay_alu instid0(SALU_CYCLE_1) | instskip(NEXT) | instid1(SALU_CYCLE_1)
	s_ashr_i32 s47, s46, 31
	v_lshl_add_u64 v[2:3], s[46:47], 4, v[38:39]
	flat_load_b128 v[60:63], v[40:41]
	s_clause 0x1
	flat_load_b128 v[64:67], v[2:3]
	flat_load_b128 v[68:71], v[2:3] offset:16
	s_wait_loadcnt_dscnt 0x505
	scratch_store_b128 off, v[8:11], s59
	s_wait_loadcnt_dscnt 0x404
	scratch_store_b128 off, v[18:21], s60
	s_clause 0x1
	scratch_load_b128 v[8:11], off, off offset:16
	scratch_load_b128 v[18:21], off, off offset:32
	s_clause 0x1
	flat_load_b128 v[72:75], v[2:3] offset:32
	flat_load_b128 v[76:79], v[2:3] offset:48
	s_wait_loadcnt_dscnt 0x705
	scratch_store_b128 off, v[56:59], s61
	scratch_load_b128 v[56:59], off, off offset:48
	s_wait_loadcnt_dscnt 0x704
	scratch_store_b128 off, v[60:63], off
	s_wait_loadcnt_dscnt 0x603
	v_mul_f64_e32 v[2:3], v[66:67], v[62:63]
	v_mul_f64_e32 v[12:13], v[64:65], v[62:63]
	s_delay_alu instid0(VALU_DEP_2) | instskip(NEXT) | instid1(VALU_DEP_2)
	v_fma_f64 v[2:3], v[64:65], v[60:61], -v[2:3]
	v_fmac_f64_e32 v[12:13], v[66:67], v[60:61]
	s_delay_alu instid0(VALU_DEP_2) | instskip(NEXT) | instid1(VALU_DEP_2)
	v_add_f64_e32 v[2:3], 0, v[2:3]
	v_add_f64_e32 v[12:13], 0, v[12:13]
	s_wait_loadcnt_dscnt 0x402
	v_mul_f64_e32 v[22:23], v[70:71], v[10:11]
	v_mul_f64_e32 v[10:11], v[68:69], v[10:11]
	s_wait_loadcnt_dscnt 0x201
	v_mul_f64_e32 v[50:51], v[74:75], v[20:21]
	v_mul_f64_e32 v[20:21], v[72:73], v[20:21]
	s_delay_alu instid0(VALU_DEP_4) | instskip(NEXT) | instid1(VALU_DEP_4)
	v_fma_f64 v[22:23], v[68:69], v[8:9], -v[22:23]
	v_fmac_f64_e32 v[10:11], v[70:71], v[8:9]
	s_wait_loadcnt_dscnt 0x0
	v_mul_f64_e32 v[8:9], v[78:79], v[58:59]
	v_mul_f64_e32 v[58:59], v[76:77], v[58:59]
	v_fma_f64 v[50:51], v[72:73], v[18:19], -v[50:51]
	v_fmac_f64_e32 v[20:21], v[74:75], v[18:19]
	v_add_f64_e32 v[2:3], v[2:3], v[22:23]
	v_add_f64_e32 v[10:11], v[12:13], v[10:11]
	v_fma_f64 v[8:9], v[76:77], v[56:57], -v[8:9]
	v_fmac_f64_e32 v[58:59], v[78:79], v[56:57]
	s_delay_alu instid0(VALU_DEP_4) | instskip(NEXT) | instid1(VALU_DEP_4)
	v_add_f64_e32 v[2:3], v[2:3], v[50:51]
	v_add_f64_e32 v[10:11], v[10:11], v[20:21]
	s_delay_alu instid0(VALU_DEP_2) | instskip(NEXT) | instid1(VALU_DEP_2)
	v_add_f64_e32 v[8:9], v[2:3], v[8:9]
	v_add_f64_e32 v[10:11], v[10:11], v[58:59]
	s_wait_xcnt 0x0
	s_and_not1_saveexec_b32 s11, s9
	s_cbranch_execz .LBB352_67
.LBB352_75:                             ;   in Loop: Header=BB352_65 Depth=2
	s_wait_dscnt 0x0
	v_mov_b64_e32 v[8:9], 0
	v_mov_b64_e32 v[10:11], 0
	s_and_saveexec_b32 s46, s26
	s_cbranch_execz .LBB352_80
; %bb.76:                               ;   in Loop: Header=BB352_65 Depth=2
	v_mov_b32_e32 v1, v26
	s_mov_b32 s9, 0
	s_mov_b32 s47, s56
.LBB352_77:                             ;   Parent Loop BB352_3 Depth=1
                                        ;     Parent Loop BB352_65 Depth=2
                                        ; =>    This Inner Loop Header: Depth=3
	v_readfirstlane_b32 s48, v36
	v_readfirstlane_b32 s49, v37
	s_add_co_i32 s47, s47, -1
	flat_load_b128 v[8:11], v1, s[48:49] scale_offset
	s_wait_xcnt 0x0
	v_add_nc_u32_e32 v1, s53, v1
	s_wait_loadcnt_dscnt 0x0
	scratch_store_b128 off, v[8:11], s9
	s_wait_xcnt 0x0
	s_add_co_i32 s9, s9, 16
	s_cmp_eq_u32 s47, 0
	s_cbranch_scc0 .LBB352_77
; %bb.78:                               ;   in Loop: Header=BB352_65 Depth=2
	s_ashr_i32 s9, s8, 31
	v_mov_b64_e32 v[8:9], 0
	v_mov_b64_e32 v[10:11], 0
	v_lshl_add_u64 v[2:3], s[8:9], 4, v[48:49]
	s_mov_b32 s9, s62
	s_mov_b32 s47, s56
.LBB352_79:                             ;   Parent Loop BB352_3 Depth=1
                                        ;     Parent Loop BB352_65 Depth=2
                                        ; =>    This Inner Loop Header: Depth=3
	flat_load_b128 v[18:21], v[2:3] offset:-8
	scratch_load_b128 v[56:59], off, s9 offset:-8
	s_wait_xcnt 0x1
	v_add_nc_u64_e32 v[2:3], 16, v[2:3]
	s_add_co_i32 s47, s47, -1
	s_wait_xcnt 0x0
	s_add_co_i32 s9, s9, 16
	s_cmp_lg_u32 s47, 0
	s_wait_loadcnt_dscnt 0x0
	v_mul_f64_e32 v[12:13], v[20:21], v[58:59]
	v_mul_f64_e32 v[22:23], v[18:19], v[58:59]
	s_delay_alu instid0(VALU_DEP_2) | instskip(NEXT) | instid1(VALU_DEP_2)
	v_fma_f64 v[12:13], v[18:19], v[56:57], -v[12:13]
	v_fmac_f64_e32 v[22:23], v[20:21], v[56:57]
	s_delay_alu instid0(VALU_DEP_2) | instskip(NEXT) | instid1(VALU_DEP_2)
	v_add_f64_e32 v[8:9], v[8:9], v[12:13]
	v_add_f64_e32 v[10:11], v[10:11], v[22:23]
	s_cbranch_scc1 .LBB352_79
.LBB352_80:                             ;   in Loop: Header=BB352_65 Depth=2
	s_or_b32 exec_lo, exec_lo, s46
	s_delay_alu instid0(SALU_CYCLE_1)
	s_or_b32 exec_lo, exec_lo, s11
	s_and_saveexec_b32 s9, s1
	s_cbranch_execnz .LBB352_68
	s_branch .LBB352_69
.LBB352_81:                             ;   in Loop: Header=BB352_65 Depth=2
	ds_load_b128 v[8:11], v52
	s_or_b32 exec_lo, exec_lo, s9
	s_and_saveexec_b32 s9, s1
	s_cbranch_execz .LBB352_73
.LBB352_82:                             ;   in Loop: Header=BB352_65 Depth=2
	s_wait_dscnt 0x0
	ds_bpermute_b32 v2, v15, v8
	ds_bpermute_b32 v3, v15, v9
	ds_bpermute_b32 v12, v15, v10
	ds_bpermute_b32 v13, v15, v11
	s_wait_dscnt 0x2
	v_add_f64_e32 v[2:3], v[8:9], v[2:3]
	s_wait_dscnt 0x0
	v_add_f64_e32 v[8:9], v[10:11], v[12:13]
	ds_bpermute_b32 v10, v16, v2
	ds_bpermute_b32 v11, v16, v3
	ds_bpermute_b32 v12, v16, v8
	ds_bpermute_b32 v13, v16, v9
	s_wait_dscnt 0x2
	v_add_f64_e32 v[2:3], v[2:3], v[10:11]
	s_wait_dscnt 0x0
	v_add_f64_e32 v[10:11], v[8:9], v[12:13]
	;; [unrolled: 8-line block ×3, first 2 shown]
	s_or_b32 exec_lo, exec_lo, s9
	s_and_saveexec_b32 s9, s0
	s_cbranch_execz .LBB352_64
.LBB352_83:                             ;   in Loop: Header=BB352_65 Depth=2
	s_wait_dscnt 0x0
	s_delay_alu instid0(VALU_DEP_1) | instskip(SKIP_2) | instid1(SALU_CYCLE_1)
	v_mul_f64_e32 v[2:3], v[6:7], v[10:11]
	v_mul_f64_e32 v[12:13], v[4:5], v[10:11]
	s_mul_u64 s[46:47], s[24:25], s[30:31]
	s_lshl_b64 s[46:47], s[46:47], 4
	s_delay_alu instid0(SALU_CYCLE_1) | instskip(NEXT) | instid1(VALU_DEP_2)
	s_add_nc_u64 s[46:47], s[6:7], s[46:47]
	v_fma_f64 v[10:11], v[4:5], v[8:9], -v[2:3]
	s_delay_alu instid0(VALU_DEP_2)
	v_fmac_f64_e32 v[12:13], v[6:7], v[8:9]
	global_store_b128 v0, v[10:13], s[46:47]
	s_branch .LBB352_64
.LBB352_84:
	s_sendmsg sendmsg(MSG_DEALLOC_VGPRS)
	s_endpgm
	.section	.rodata,"a",@progbits
	.p2align	6, 0x0
	.amdhsa_kernel _ZL23rocblas_gemvt_sn_kernelILb0ELi256ELi4EiPK19rocblas_complex_numIdES3_S1_EviiT4_lPKT3_lilS7_lilPT5_i
		.amdhsa_group_segment_fixed_size 512
		.amdhsa_private_segment_fixed_size 80
		.amdhsa_kernarg_size 360
		.amdhsa_user_sgpr_count 2
		.amdhsa_user_sgpr_dispatch_ptr 0
		.amdhsa_user_sgpr_queue_ptr 0
		.amdhsa_user_sgpr_kernarg_segment_ptr 1
		.amdhsa_user_sgpr_dispatch_id 0
		.amdhsa_user_sgpr_kernarg_preload_length 0
		.amdhsa_user_sgpr_kernarg_preload_offset 0
		.amdhsa_user_sgpr_private_segment_size 0
		.amdhsa_wavefront_size32 1
		.amdhsa_uses_dynamic_stack 0
		.amdhsa_enable_private_segment 1
		.amdhsa_system_sgpr_workgroup_id_x 1
		.amdhsa_system_sgpr_workgroup_id_y 0
		.amdhsa_system_sgpr_workgroup_id_z 1
		.amdhsa_system_sgpr_workgroup_info 0
		.amdhsa_system_vgpr_workitem_id 0
		.amdhsa_next_free_vgpr 80
		.amdhsa_next_free_sgpr 70
		.amdhsa_named_barrier_count 0
		.amdhsa_reserve_vcc 1
		.amdhsa_float_round_mode_32 0
		.amdhsa_float_round_mode_16_64 0
		.amdhsa_float_denorm_mode_32 3
		.amdhsa_float_denorm_mode_16_64 3
		.amdhsa_fp16_overflow 0
		.amdhsa_memory_ordered 1
		.amdhsa_forward_progress 1
		.amdhsa_inst_pref_size 50
		.amdhsa_round_robin_scheduling 0
		.amdhsa_exception_fp_ieee_invalid_op 0
		.amdhsa_exception_fp_denorm_src 0
		.amdhsa_exception_fp_ieee_div_zero 0
		.amdhsa_exception_fp_ieee_overflow 0
		.amdhsa_exception_fp_ieee_underflow 0
		.amdhsa_exception_fp_ieee_inexact 0
		.amdhsa_exception_int_div_zero 0
	.end_amdhsa_kernel
	.section	.text._ZL23rocblas_gemvt_sn_kernelILb0ELi256ELi4EiPK19rocblas_complex_numIdES3_S1_EviiT4_lPKT3_lilS7_lilPT5_i,"axG",@progbits,_ZL23rocblas_gemvt_sn_kernelILb0ELi256ELi4EiPK19rocblas_complex_numIdES3_S1_EviiT4_lPKT3_lilS7_lilPT5_i,comdat
.Lfunc_end352:
	.size	_ZL23rocblas_gemvt_sn_kernelILb0ELi256ELi4EiPK19rocblas_complex_numIdES3_S1_EviiT4_lPKT3_lilS7_lilPT5_i, .Lfunc_end352-_ZL23rocblas_gemvt_sn_kernelILb0ELi256ELi4EiPK19rocblas_complex_numIdES3_S1_EviiT4_lPKT3_lilS7_lilPT5_i
                                        ; -- End function
	.set _ZL23rocblas_gemvt_sn_kernelILb0ELi256ELi4EiPK19rocblas_complex_numIdES3_S1_EviiT4_lPKT3_lilS7_lilPT5_i.num_vgpr, 80
	.set _ZL23rocblas_gemvt_sn_kernelILb0ELi256ELi4EiPK19rocblas_complex_numIdES3_S1_EviiT4_lPKT3_lilS7_lilPT5_i.num_agpr, 0
	.set _ZL23rocblas_gemvt_sn_kernelILb0ELi256ELi4EiPK19rocblas_complex_numIdES3_S1_EviiT4_lPKT3_lilS7_lilPT5_i.numbered_sgpr, 70
	.set _ZL23rocblas_gemvt_sn_kernelILb0ELi256ELi4EiPK19rocblas_complex_numIdES3_S1_EviiT4_lPKT3_lilS7_lilPT5_i.num_named_barrier, 0
	.set _ZL23rocblas_gemvt_sn_kernelILb0ELi256ELi4EiPK19rocblas_complex_numIdES3_S1_EviiT4_lPKT3_lilS7_lilPT5_i.private_seg_size, 80
	.set _ZL23rocblas_gemvt_sn_kernelILb0ELi256ELi4EiPK19rocblas_complex_numIdES3_S1_EviiT4_lPKT3_lilS7_lilPT5_i.uses_vcc, 1
	.set _ZL23rocblas_gemvt_sn_kernelILb0ELi256ELi4EiPK19rocblas_complex_numIdES3_S1_EviiT4_lPKT3_lilS7_lilPT5_i.uses_flat_scratch, 1
	.set _ZL23rocblas_gemvt_sn_kernelILb0ELi256ELi4EiPK19rocblas_complex_numIdES3_S1_EviiT4_lPKT3_lilS7_lilPT5_i.has_dyn_sized_stack, 0
	.set _ZL23rocblas_gemvt_sn_kernelILb0ELi256ELi4EiPK19rocblas_complex_numIdES3_S1_EviiT4_lPKT3_lilS7_lilPT5_i.has_recursion, 0
	.set _ZL23rocblas_gemvt_sn_kernelILb0ELi256ELi4EiPK19rocblas_complex_numIdES3_S1_EviiT4_lPKT3_lilS7_lilPT5_i.has_indirect_call, 0
	.section	.AMDGPU.csdata,"",@progbits
; Kernel info:
; codeLenInByte = 6368
; TotalNumSgprs: 72
; NumVgprs: 80
; ScratchSize: 80
; MemoryBound: 0
; FloatMode: 240
; IeeeMode: 1
; LDSByteSize: 512 bytes/workgroup (compile time only)
; SGPRBlocks: 0
; VGPRBlocks: 4
; NumSGPRsForWavesPerEU: 72
; NumVGPRsForWavesPerEU: 80
; NamedBarCnt: 0
; Occupancy: 12
; WaveLimiterHint : 0
; COMPUTE_PGM_RSRC2:SCRATCH_EN: 1
; COMPUTE_PGM_RSRC2:USER_SGPR: 2
; COMPUTE_PGM_RSRC2:TRAP_HANDLER: 0
; COMPUTE_PGM_RSRC2:TGID_X_EN: 1
; COMPUTE_PGM_RSRC2:TGID_Y_EN: 0
; COMPUTE_PGM_RSRC2:TGID_Z_EN: 1
; COMPUTE_PGM_RSRC2:TIDIG_COMP_CNT: 0
	.section	.text._ZL23rocblas_gemvt_sn_kernelILb0ELi256ELi4ElPK19rocblas_complex_numIdES3_S1_EviiT4_lPKT3_lilS7_lilPT5_i,"axG",@progbits,_ZL23rocblas_gemvt_sn_kernelILb0ELi256ELi4ElPK19rocblas_complex_numIdES3_S1_EviiT4_lPKT3_lilS7_lilPT5_i,comdat
	.globl	_ZL23rocblas_gemvt_sn_kernelILb0ELi256ELi4ElPK19rocblas_complex_numIdES3_S1_EviiT4_lPKT3_lilS7_lilPT5_i ; -- Begin function _ZL23rocblas_gemvt_sn_kernelILb0ELi256ELi4ElPK19rocblas_complex_numIdES3_S1_EviiT4_lPKT3_lilS7_lilPT5_i
	.p2align	8
	.type	_ZL23rocblas_gemvt_sn_kernelILb0ELi256ELi4ElPK19rocblas_complex_numIdES3_S1_EviiT4_lPKT3_lilS7_lilPT5_i,@function
_ZL23rocblas_gemvt_sn_kernelILb0ELi256ELi4ElPK19rocblas_complex_numIdES3_S1_EviiT4_lPKT3_lilS7_lilPT5_i: ; @_ZL23rocblas_gemvt_sn_kernelILb0ELi256ELi4ElPK19rocblas_complex_numIdES3_S1_EviiT4_lPKT3_lilS7_lilPT5_i
; %bb.0:
	s_load_b32 s33, s[0:1], 0x60
	s_bfe_u32 s2, ttmp6, 0x40014
	s_lshr_b32 s3, ttmp7, 16
	s_add_co_i32 s2, s2, 1
	s_bfe_u32 s4, ttmp6, 0x40008
	s_mul_i32 s2, s3, s2
	s_getreg_b32 s6, hwreg(HW_REG_IB_STS2, 6, 4)
	s_add_co_i32 s4, s4, s2
	s_cmp_eq_u32 s6, 0
	s_mov_b32 s25, 0
	s_cselect_b32 s10, s3, s4
	s_wait_kmcnt 0x0
	s_cmp_ge_u32 s10, s33
	s_cbranch_scc1 .LBB353_84
; %bb.1:
	s_clause 0x6
	s_load_b32 s26, s[0:1], 0x28
	s_load_b32 s4, s[0:1], 0x48
	s_load_b64 s[28:29], s[0:1], 0x0
	s_load_b256 s[12:19], s[0:1], 0x8
	s_load_b128 s[20:23], s[0:1], 0x38
	s_load_b64 s[30:31], s[0:1], 0x58
	s_load_b32 s34, s[0:1], 0x68
	s_wait_xcnt 0x0
	v_cmp_eq_u32_e64 s0, 0, v0
	v_dual_lshrrev_b32 v2, 1, v0 :: v_dual_bitop2_b32 v1, 31, v0 bitop3:0x40
	s_mov_b32 s35, s25
	v_cmp_gt_u32_e64 s1, 32, v0
	v_cmp_gt_u32_e64 s2, 8, v0
	s_delay_alu instid0(VALU_DEP_3)
	v_cmp_eq_u32_e64 s3, 0, v1
	v_and_b32_e32 v62, 0x70, v2
	v_mbcnt_lo_u32_b32 v60, -1, 0
	s_mov_b32 s59, 16
	s_mov_b32 s60, 32
	;; [unrolled: 1-line block ×3, first 2 shown]
	s_delay_alu instid0(VALU_DEP_1)
	v_lshl_or_b32 v63, v60, 2, 64
	s_wait_kmcnt 0x0
	s_ashr_i32 s27, s26, 31
	s_ashr_i32 s5, s4, 31
	;; [unrolled: 1-line block ×3, first 2 shown]
	s_cmp_gt_i32 s29, 0
	s_cselect_b32 s8, -1, 0
	s_bfe_u32 s9, ttmp6, 0x4000c
	s_and_b32 s11, ttmp6, 15
	s_add_co_i32 s9, s9, 1
	s_and_b32 s54, s0, s8
	s_mul_i32 s9, ttmp9, s9
	s_delay_alu instid0(SALU_CYCLE_1)
	s_add_co_i32 s11, s11, s9
	s_cmp_eq_u32 s6, 0
	s_mov_b32 s6, s29
	s_cselect_b32 s24, ttmp9, s11
	s_mul_u64 s[36:37], s[6:7], s[34:35]
	s_lshl_b32 s8, s24, 10
	s_lshr_b32 s6, s7, 30
	v_lshl_or_b32 v24, v0, 2, s8
	s_ashr_i32 s7, s28, 31
	v_lshlrev_b32_e32 v61, 4, v1
	s_lshr_b32 s7, s7, 30
	s_add_co_i32 s6, s29, s6
	v_dual_ashrrev_i32 v25, 31, v24 :: v_dual_bitop2_b32 v2, 2, v24 bitop3:0x54
	v_or_b32_e32 v0, 1, v24
	s_add_co_i32 s7, s28, s7
	s_and_b32 s55, s6, -4
	s_and_b32 s6, s7, -4
	v_lshlrev_b64_e32 v[34:35], 4, v[24:25]
	v_dual_ashrrev_i32 v3, 31, v2 :: v_dual_ashrrev_i32 v1, 31, v0
	s_sub_co_i32 s56, s28, s6
	v_or_b32_e32 v4, 3, v24
	v_mul_u64_e32 v[26:27], s[4:5], v[24:25]
	s_cmp_gt_i32 s55, 0
	s_delay_alu instid0(VALU_DEP_4)
	v_or_b32_e32 v34, 8, v34
	v_mul_u64_e32 v[28:29], s[4:5], v[0:1]
	v_add_nc_u32_e32 v1, s56, v24
	v_ashrrev_i32_e32 v5, 31, v4
	v_add_nc_u32_e32 v0, 4, v24
	v_mul_u64_e32 v[30:31], s[4:5], v[2:3]
	s_cselect_b32 s57, -1, 0
	s_cmp_gt_i32 s56, 0
	v_mul_u64_e32 v[32:33], s[4:5], v[4:5]
	s_cselect_b32 s58, -1, 0
	s_lshl_b64 s[44:45], s[4:5], 4
	v_cmp_ge_i32_e64 s4, s28, v1
	s_lshl_b64 s[38:39], s[24:25], 4
	v_cmp_ge_i32_e64 s5, s28, v0
	v_mov_b32_e32 v0, 0
	s_add_nc_u64 s[6:7], s[30:31], s[38:39]
	s_or_b32 s62, 0, 8
	s_lshl_b64 s[40:41], s[36:37], 4
	s_lshl_b64 s[42:43], s[34:35], 4
	;; [unrolled: 1-line block ×3, first 2 shown]
	s_add_nc_u64 s[48:49], s[6:7], 8
	s_and_b32 s28, s58, s4
	s_lshl_b64 s[50:51], s[26:27], 4
	s_lshl_b64 s[18:19], s[18:19], 4
	;; [unrolled: 1-line block ×3, first 2 shown]
	v_lshlrev_b64_e32 v[36:37], 4, v[26:27]
	s_branch .LBB353_3
.LBB353_2:                              ;   in Loop: Header=BB353_3 Depth=1
	s_add_co_i32 s10, s10, 0x10000
	s_delay_alu instid0(SALU_CYCLE_1)
	s_cmp_lt_u32 s10, s33
	s_cbranch_scc0 .LBB353_84
.LBB353_3:                              ; =>This Loop Header: Depth=1
                                        ;     Child Loop BB353_11 Depth 2
                                        ;     Child Loop BB353_16 Depth 2
                                        ;       Child Loop BB353_47 Depth 3
                                        ;       Child Loop BB353_49 Depth 3
                                        ;     Child Loop BB353_65 Depth 2
                                        ;       Child Loop BB353_77 Depth 3
                                        ;       Child Loop BB353_79 Depth 3
	s_mov_b32 s11, s25
	s_wait_dscnt 0x0
	v_mov_b64_e32 v[8:9], 0
	s_mul_u64 s[6:7], s[14:15], s[10:11]
	v_mov_b64_e32 v[50:51], 0
	s_lshl_b64 s[6:7], s[6:7], 4
	s_delay_alu instid0(SALU_CYCLE_1)
	s_add_nc_u64 s[6:7], s[12:13], s[6:7]
	global_load_b128 v[4:7], v0, s[6:7]
	s_wait_loadcnt 0x0
	v_cmp_neq_f64_e32 vcc_lo, 0, v[4:5]
	s_wait_xcnt 0x0
	v_cmp_neq_f64_e64 s6, 0, v[6:7]
	s_or_b32 s7, vcc_lo, s6
	s_delay_alu instid0(SALU_CYCLE_1) | instskip(NEXT) | instid1(SALU_CYCLE_1)
	s_xor_b32 s6, s7, -1
	s_and_b32 vcc_lo, exec_lo, s6
	s_cbranch_vccz .LBB353_7
; %bb.4:                                ;   in Loop: Header=BB353_3 Depth=1
	s_and_not1_b32 vcc_lo, exec_lo, s7
	s_cbranch_vccz .LBB353_8
.LBB353_5:                              ;   in Loop: Header=BB353_3 Depth=1
	s_and_not1_b32 vcc_lo, exec_lo, s6
	s_mov_b32 s6, -1
	s_cbranch_vccz .LBB353_9
.LBB353_6:                              ;   in Loop: Header=BB353_3 Depth=1
	s_and_not1_b32 vcc_lo, exec_lo, s6
	s_cbranch_vccnz .LBB353_2
	s_branch .LBB353_13
.LBB353_7:                              ;   in Loop: Header=BB353_3 Depth=1
	s_lshl_b64 s[8:9], s[10:11], 3
	s_delay_alu instid0(SALU_CYCLE_1)
	s_add_nc_u64 s[8:9], s[16:17], s[8:9]
	global_load_b64 v[2:3], v0, s[8:9]
	s_wait_loadcnt 0x0
	v_add_nc_u64_e32 v[50:51], s[18:19], v[2:3]
	s_and_not1_b32 vcc_lo, exec_lo, s7
	s_cbranch_vccnz .LBB353_5
.LBB353_8:                              ;   in Loop: Header=BB353_3 Depth=1
	s_wait_xcnt 0x0
	s_lshl_b64 s[8:9], s[10:11], 3
	s_delay_alu instid0(SALU_CYCLE_1)
	s_add_nc_u64 s[8:9], s[20:21], s[8:9]
	global_load_b64 v[2:3], v0, s[8:9]
	s_wait_loadcnt 0x0
	v_add_nc_u64_e32 v[8:9], s[22:23], v[2:3]
	s_and_not1_b32 vcc_lo, exec_lo, s6
	s_mov_b32 s6, -1
	s_cbranch_vccnz .LBB353_6
.LBB353_9:                              ;   in Loop: Header=BB353_3 Depth=1
	s_wait_xcnt 0x0
	s_and_saveexec_b32 s8, s54
	s_cbranch_execz .LBB353_12
; %bb.10:                               ;   in Loop: Header=BB353_3 Depth=1
	s_mul_u64 s[6:7], s[40:41], s[10:11]
	s_mov_b32 s9, s29
	s_add_nc_u64 s[6:7], s[48:49], s[6:7]
.LBB353_11:                             ;   Parent Loop BB353_3 Depth=1
                                        ; =>  This Inner Loop Header: Depth=2
	v_dual_mov_b32 v1, v0 :: v_dual_mov_b32 v2, v0
	v_mov_b32_e32 v3, v0
	s_add_co_i32 s9, s9, -1
	s_delay_alu instid0(SALU_CYCLE_1)
	s_cmp_eq_u32 s9, 0
	global_store_b128 v0, v[0:3], s[6:7] offset:-8
	s_wait_xcnt 0x0
	s_add_nc_u64 s[6:7], s[6:7], s[42:43]
	s_cbranch_scc0 .LBB353_11
.LBB353_12:                             ;   in Loop: Header=BB353_3 Depth=1
	s_or_b32 exec_lo, exec_lo, s8
	s_cbranch_execnz .LBB353_2
.LBB353_13:                             ;   in Loop: Header=BB353_3 Depth=1
	s_mul_u64 s[6:7], s[36:37], s[10:11]
	v_add_nc_u64_e32 v[48:49], v[8:9], v[36:37]
	s_lshl_b64 s[52:53], s[6:7], 4
	v_lshl_add_u64 v[38:39], v[24:25], 4, v[50:51]
	v_lshl_add_u64 v[40:41], v[26:27], 4, v[8:9]
	;; [unrolled: 1-line block ×5, first 2 shown]
	v_cmp_gt_u32_e64 s7, 24, v60
	v_cmp_gt_u32_e64 s6, 28, v60
	s_wait_xcnt 0x0
	v_cmp_gt_u32_e64 s9, 30, v60
	v_cmp_ne_u32_e64 s8, 31, v60
	s_add_nc_u64 s[52:53], s[30:31], s[52:53]
	s_and_not1_b32 vcc_lo, exec_lo, s57
	s_add_nc_u64 s[52:53], s[52:53], s[38:39]
	s_cbranch_vccnz .LBB353_61
; %bb.14:                               ;   in Loop: Header=BB353_3 Depth=1
	v_cndmask_b32_e64 v1, 0, 8, s7
	v_cndmask_b32_e64 v2, 0, 4, s6
	;; [unrolled: 1-line block ×3, first 2 shown]
	v_add_co_ci_u32_e64 v10, null, 0, v60, s8
	v_add_nc_u64_e32 v[52:53], v[8:9], v[36:37]
	v_mov_b64_e32 v[54:55], v[38:39]
	v_add_lshl_u32 v64, v1, v60, 2
	v_add_lshl_u32 v65, v2, v60, 2
	;; [unrolled: 1-line block ×3, first 2 shown]
	v_lshlrev_b32_e32 v67, 2, v10
	s_mov_b32 s24, 0
	s_branch .LBB353_16
.LBB353_15:                             ;   in Loop: Header=BB353_16 Depth=2
	s_wait_xcnt 0x0
	s_or_b32 exec_lo, exec_lo, s6
	v_add_nc_u64_e32 v[54:55], s[46:47], v[54:55]
	s_add_co_i32 s24, s24, 4
	s_delay_alu instid0(SALU_CYCLE_1)
	s_cmp_ge_i32 s24, s55
	s_cbranch_scc1 .LBB353_62
.LBB353_16:                             ;   Parent Loop BB353_3 Depth=1
                                        ; =>  This Loop Header: Depth=2
                                        ;       Child Loop BB353_47 Depth 3
                                        ;       Child Loop BB353_49 Depth 3
                                        ; implicit-def: $vgpr20_vgpr21
                                        ; implicit-def: $vgpr22_vgpr23
                                        ; implicit-def: $vgpr16_vgpr17
                                        ; implicit-def: $vgpr18_vgpr19
                                        ; implicit-def: $vgpr12_vgpr13
                                        ; implicit-def: $vgpr14_vgpr15
                                        ; implicit-def: $vgpr58_vgpr59
                                        ; implicit-def: $vgpr56_vgpr57
	s_and_saveexec_b32 s6, s5
	s_delay_alu instid0(SALU_CYCLE_1)
	s_xor_b32 s6, exec_lo, s6
	s_cbranch_execnz .LBB353_43
; %bb.17:                               ;   in Loop: Header=BB353_16 Depth=2
	s_and_not1_saveexec_b32 s6, s6
	s_cbranch_execnz .LBB353_44
.LBB353_18:                             ;   in Loop: Header=BB353_16 Depth=2
	s_or_b32 exec_lo, exec_lo, s6
	s_and_saveexec_b32 s6, s1
.LBB353_19:                             ;   in Loop: Header=BB353_16 Depth=2
	v_dual_mov_b32 v1, v0 :: v_dual_mov_b32 v2, v0
	v_mov_b32_e32 v3, v0
	ds_store_b128 v61, v[0:3]
.LBB353_20:                             ;   in Loop: Header=BB353_16 Depth=2
	s_or_b32 exec_lo, exec_lo, s6
	ds_bpermute_b32 v2, v63, v58
	ds_bpermute_b32 v3, v63, v59
	;; [unrolled: 1-line block ×4, first 2 shown]
	s_wait_storecnt_dscnt 0x0
	s_barrier_signal -1
	s_barrier_wait -1
	v_add_f64_e32 v[2:3], v[58:59], v[2:3]
	v_add_f64_e32 v[8:9], v[56:57], v[8:9]
	ds_bpermute_b32 v10, v64, v2
	ds_bpermute_b32 v11, v64, v3
	ds_bpermute_b32 v56, v64, v8
	ds_bpermute_b32 v57, v64, v9
	s_wait_dscnt 0x2
	v_add_f64_e32 v[2:3], v[2:3], v[10:11]
	s_wait_dscnt 0x0
	v_add_f64_e32 v[8:9], v[8:9], v[56:57]
	ds_bpermute_b32 v10, v65, v2
	ds_bpermute_b32 v11, v65, v3
	ds_bpermute_b32 v56, v65, v8
	ds_bpermute_b32 v57, v65, v9
	s_wait_dscnt 0x2
	v_add_f64_e32 v[2:3], v[2:3], v[10:11]
	s_wait_dscnt 0x0
	;; [unrolled: 8-line block ×3, first 2 shown]
	v_add_f64_e32 v[10:11], v[8:9], v[56:57]
	ds_bpermute_b32 v8, v67, v2
	ds_bpermute_b32 v9, v67, v3
	;; [unrolled: 1-line block ×4, first 2 shown]
	s_and_saveexec_b32 s6, s3
	s_cbranch_execz .LBB353_22
; %bb.21:                               ;   in Loop: Header=BB353_16 Depth=2
	s_wait_dscnt 0x0
	v_add_f64_e32 v[10:11], v[10:11], v[56:57]
	v_add_f64_e32 v[8:9], v[2:3], v[8:9]
	ds_store_b128 v62, v[8:11]
.LBB353_22:                             ;   in Loop: Header=BB353_16 Depth=2
	s_or_b32 exec_lo, exec_lo, s6
	v_mov_b64_e32 v[10:11], 0
	s_wait_dscnt 0x2
	v_mov_b64_e32 v[8:9], 0
	s_wait_dscnt 0x0
	s_barrier_signal -1
	s_barrier_wait -1
	s_and_saveexec_b32 s6, s2
	s_cbranch_execnz .LBB353_50
; %bb.23:                               ;   in Loop: Header=BB353_16 Depth=2
	s_or_b32 exec_lo, exec_lo, s6
	s_and_saveexec_b32 s6, s1
	s_cbranch_execnz .LBB353_51
.LBB353_24:                             ;   in Loop: Header=BB353_16 Depth=2
	s_or_b32 exec_lo, exec_lo, s6
	s_and_saveexec_b32 s6, s1
.LBB353_25:                             ;   in Loop: Header=BB353_16 Depth=2
	v_dual_mov_b32 v1, v0 :: v_dual_mov_b32 v2, v0
	v_mov_b32_e32 v3, v0
	ds_store_b128 v61, v[0:3]
.LBB353_26:                             ;   in Loop: Header=BB353_16 Depth=2
	s_or_b32 exec_lo, exec_lo, s6
	ds_bpermute_b32 v2, v63, v12
	ds_bpermute_b32 v3, v63, v13
	;; [unrolled: 1-line block ×4, first 2 shown]
	s_wait_dscnt 0x0
	s_barrier_signal -1
	s_barrier_wait -1
	v_add_f64_e32 v[2:3], v[12:13], v[2:3]
	v_add_f64_e32 v[12:13], v[14:15], v[56:57]
	ds_bpermute_b32 v14, v64, v2
	ds_bpermute_b32 v15, v64, v3
	ds_bpermute_b32 v56, v64, v12
	ds_bpermute_b32 v57, v64, v13
	s_wait_dscnt 0x2
	v_add_f64_e32 v[2:3], v[2:3], v[14:15]
	s_wait_dscnt 0x0
	v_add_f64_e32 v[12:13], v[12:13], v[56:57]
	ds_bpermute_b32 v14, v65, v2
	ds_bpermute_b32 v15, v65, v3
	ds_bpermute_b32 v56, v65, v12
	ds_bpermute_b32 v57, v65, v13
	s_wait_dscnt 0x2
	v_add_f64_e32 v[2:3], v[2:3], v[14:15]
	s_wait_dscnt 0x0
	;; [unrolled: 8-line block ×3, first 2 shown]
	v_add_f64_e32 v[14:15], v[12:13], v[56:57]
	ds_bpermute_b32 v12, v67, v2
	ds_bpermute_b32 v13, v67, v3
	;; [unrolled: 1-line block ×4, first 2 shown]
	s_and_saveexec_b32 s6, s3
	s_cbranch_execz .LBB353_28
; %bb.27:                               ;   in Loop: Header=BB353_16 Depth=2
	s_wait_dscnt 0x0
	v_add_f64_e32 v[14:15], v[14:15], v[56:57]
	v_add_f64_e32 v[12:13], v[2:3], v[12:13]
	ds_store_b128 v62, v[12:15]
.LBB353_28:                             ;   in Loop: Header=BB353_16 Depth=2
	s_or_b32 exec_lo, exec_lo, s6
	v_mov_b64_e32 v[14:15], 0
	s_wait_dscnt 0x2
	v_mov_b64_e32 v[12:13], 0
	s_wait_dscnt 0x0
	s_barrier_signal -1
	s_barrier_wait -1
	s_and_saveexec_b32 s6, s2
	s_cbranch_execnz .LBB353_52
; %bb.29:                               ;   in Loop: Header=BB353_16 Depth=2
	s_or_b32 exec_lo, exec_lo, s6
	s_and_saveexec_b32 s6, s1
	s_cbranch_execnz .LBB353_53
.LBB353_30:                             ;   in Loop: Header=BB353_16 Depth=2
	s_or_b32 exec_lo, exec_lo, s6
	s_and_saveexec_b32 s6, s1
.LBB353_31:                             ;   in Loop: Header=BB353_16 Depth=2
	v_dual_mov_b32 v1, v0 :: v_dual_mov_b32 v2, v0
	v_mov_b32_e32 v3, v0
	ds_store_b128 v61, v[0:3]
.LBB353_32:                             ;   in Loop: Header=BB353_16 Depth=2
	s_or_b32 exec_lo, exec_lo, s6
	ds_bpermute_b32 v2, v63, v16
	ds_bpermute_b32 v3, v63, v17
	;; [unrolled: 1-line block ×4, first 2 shown]
	s_wait_dscnt 0x0
	s_barrier_signal -1
	s_barrier_wait -1
	v_add_f64_e32 v[2:3], v[16:17], v[2:3]
	v_add_f64_e32 v[16:17], v[18:19], v[56:57]
	ds_bpermute_b32 v18, v64, v2
	ds_bpermute_b32 v19, v64, v3
	ds_bpermute_b32 v56, v64, v16
	ds_bpermute_b32 v57, v64, v17
	s_wait_dscnt 0x2
	v_add_f64_e32 v[2:3], v[2:3], v[18:19]
	s_wait_dscnt 0x0
	v_add_f64_e32 v[16:17], v[16:17], v[56:57]
	ds_bpermute_b32 v18, v65, v2
	ds_bpermute_b32 v19, v65, v3
	ds_bpermute_b32 v56, v65, v16
	ds_bpermute_b32 v57, v65, v17
	s_wait_dscnt 0x2
	v_add_f64_e32 v[2:3], v[2:3], v[18:19]
	s_wait_dscnt 0x0
	;; [unrolled: 8-line block ×3, first 2 shown]
	v_add_f64_e32 v[18:19], v[16:17], v[56:57]
	ds_bpermute_b32 v16, v67, v2
	ds_bpermute_b32 v17, v67, v3
	;; [unrolled: 1-line block ×4, first 2 shown]
	s_and_saveexec_b32 s6, s3
	s_cbranch_execz .LBB353_34
; %bb.33:                               ;   in Loop: Header=BB353_16 Depth=2
	s_wait_dscnt 0x0
	v_add_f64_e32 v[18:19], v[18:19], v[56:57]
	v_add_f64_e32 v[16:17], v[2:3], v[16:17]
	ds_store_b128 v62, v[16:19]
.LBB353_34:                             ;   in Loop: Header=BB353_16 Depth=2
	s_or_b32 exec_lo, exec_lo, s6
	v_mov_b64_e32 v[18:19], 0
	s_wait_dscnt 0x2
	v_mov_b64_e32 v[16:17], 0
	s_wait_dscnt 0x0
	s_barrier_signal -1
	s_barrier_wait -1
	s_and_saveexec_b32 s6, s2
	s_cbranch_execnz .LBB353_54
; %bb.35:                               ;   in Loop: Header=BB353_16 Depth=2
	s_or_b32 exec_lo, exec_lo, s6
	s_and_saveexec_b32 s6, s1
	s_cbranch_execnz .LBB353_55
.LBB353_36:                             ;   in Loop: Header=BB353_16 Depth=2
	s_or_b32 exec_lo, exec_lo, s6
	s_and_saveexec_b32 s6, s1
.LBB353_37:                             ;   in Loop: Header=BB353_16 Depth=2
	v_dual_mov_b32 v1, v0 :: v_dual_mov_b32 v2, v0
	v_mov_b32_e32 v3, v0
	ds_store_b128 v61, v[0:3]
.LBB353_38:                             ;   in Loop: Header=BB353_16 Depth=2
	s_or_b32 exec_lo, exec_lo, s6
	ds_bpermute_b32 v2, v63, v20
	ds_bpermute_b32 v3, v63, v21
	;; [unrolled: 1-line block ×4, first 2 shown]
	s_wait_dscnt 0x0
	s_barrier_signal -1
	s_barrier_wait -1
	v_add_f64_e32 v[2:3], v[20:21], v[2:3]
	v_add_f64_e32 v[20:21], v[22:23], v[56:57]
	ds_bpermute_b32 v22, v64, v2
	ds_bpermute_b32 v23, v64, v3
	ds_bpermute_b32 v56, v64, v20
	ds_bpermute_b32 v57, v64, v21
	s_wait_dscnt 0x2
	v_add_f64_e32 v[2:3], v[2:3], v[22:23]
	s_wait_dscnt 0x0
	v_add_f64_e32 v[20:21], v[20:21], v[56:57]
	ds_bpermute_b32 v22, v65, v2
	ds_bpermute_b32 v23, v65, v3
	ds_bpermute_b32 v56, v65, v20
	ds_bpermute_b32 v57, v65, v21
	s_wait_dscnt 0x2
	v_add_f64_e32 v[2:3], v[2:3], v[22:23]
	s_wait_dscnt 0x0
	;; [unrolled: 8-line block ×3, first 2 shown]
	v_add_f64_e32 v[22:23], v[20:21], v[56:57]
	ds_bpermute_b32 v20, v67, v2
	ds_bpermute_b32 v21, v67, v3
	;; [unrolled: 1-line block ×4, first 2 shown]
	s_and_saveexec_b32 s6, s3
	s_cbranch_execz .LBB353_40
; %bb.39:                               ;   in Loop: Header=BB353_16 Depth=2
	s_wait_dscnt 0x0
	v_add_f64_e32 v[22:23], v[22:23], v[56:57]
	v_add_f64_e32 v[20:21], v[2:3], v[20:21]
	ds_store_b128 v62, v[20:23]
.LBB353_40:                             ;   in Loop: Header=BB353_16 Depth=2
	s_or_b32 exec_lo, exec_lo, s6
	v_mov_b64_e32 v[22:23], 0
	s_wait_dscnt 0x2
	v_mov_b64_e32 v[20:21], 0
	s_wait_dscnt 0x0
	s_barrier_signal -1
	s_barrier_wait -1
	s_and_saveexec_b32 s6, s2
	s_cbranch_execnz .LBB353_56
; %bb.41:                               ;   in Loop: Header=BB353_16 Depth=2
	s_or_b32 exec_lo, exec_lo, s6
	s_and_saveexec_b32 s6, s1
	s_cbranch_execnz .LBB353_57
.LBB353_42:                             ;   in Loop: Header=BB353_16 Depth=2
	s_or_b32 exec_lo, exec_lo, s6
	s_and_saveexec_b32 s6, s0
	s_cbranch_execz .LBB353_15
	s_branch .LBB353_58
.LBB353_43:                             ;   in Loop: Header=BB353_16 Depth=2
	s_clause 0x1
	flat_load_b128 v[14:17], v[40:41]
	flat_load_b128 v[8:11], v[42:43]
	s_mul_u64 s[8:9], s[24:25], s[26:27]
	s_delay_alu instid0(SALU_CYCLE_1) | instskip(SKIP_2) | instid1(SALU_CYCLE_1)
	v_lshl_add_u64 v[12:13], s[8:9], 4, v[38:39]
	s_or_b32 s8, s24, 1
	s_mov_b32 s9, s25
	s_mul_u64 s[8:9], s[8:9], s[26:27]
	s_wait_loadcnt_dscnt 0x101
	scratch_store_b128 off, v[14:17], off
	s_wait_loadcnt_dscnt 0x0
	scratch_store_b128 off, v[8:11], s59
	flat_load_b128 v[8:11], v[44:45]
	s_wait_loadcnt_dscnt 0x0
	scratch_store_b128 off, v[8:11], s60
	flat_load_b128 v[8:11], v[46:47]
	;; [unrolled: 3-line block ×3, first 2 shown]
	s_wait_loadcnt_dscnt 0x0
	v_mul_f64_e32 v[2:3], v[16:17], v[10:11]
	v_mul_f64_e32 v[10:11], v[14:15], v[10:11]
	s_delay_alu instid0(VALU_DEP_2) | instskip(NEXT) | instid1(VALU_DEP_2)
	v_fma_f64 v[2:3], v[14:15], v[8:9], -v[2:3]
	v_fmac_f64_e32 v[10:11], v[16:17], v[8:9]
	s_delay_alu instid0(VALU_DEP_2) | instskip(NEXT) | instid1(VALU_DEP_2)
	v_add_f64_e32 v[22:23], 0, v[2:3]
	v_add_f64_e32 v[56:57], 0, v[10:11]
	v_lshl_add_u64 v[10:11], s[8:9], 4, v[38:39]
	s_or_b32 s8, s24, 2
	s_mov_b32 s9, s25
	s_delay_alu instid0(SALU_CYCLE_1) | instskip(SKIP_4) | instid1(VALU_DEP_2)
	s_mul_u64 s[8:9], s[8:9], s[26:27]
	flat_load_b128 v[18:21], v[10:11]
	s_wait_loadcnt_dscnt 0x0
	v_mul_f64_e32 v[8:9], v[14:15], v[20:21]
	v_mul_f64_e32 v[2:3], v[16:17], v[20:21]
	v_fmac_f64_e32 v[8:9], v[16:17], v[18:19]
	s_delay_alu instid0(VALU_DEP_2) | instskip(NEXT) | instid1(VALU_DEP_2)
	v_fma_f64 v[2:3], v[14:15], v[18:19], -v[2:3]
	v_add_f64_e32 v[68:69], 0, v[8:9]
	v_lshl_add_u64 v[8:9], s[8:9], 4, v[38:39]
	s_delay_alu instid0(VALU_DEP_3)
	v_add_f64_e32 v[58:59], 0, v[2:3]
	s_or_b32 s8, s24, 3
	s_mov_b32 s9, s25
	flat_load_b128 v[18:21], v[8:9]
	s_mul_u64 s[8:9], s[8:9], s[26:27]
	s_wait_loadcnt_dscnt 0x0
	v_mul_f64_e32 v[2:3], v[16:17], v[20:21]
	v_mul_f64_e32 v[20:21], v[14:15], v[20:21]
	s_delay_alu instid0(VALU_DEP_2) | instskip(NEXT) | instid1(VALU_DEP_2)
	v_fma_f64 v[2:3], v[14:15], v[18:19], -v[2:3]
	v_fmac_f64_e32 v[20:21], v[16:17], v[18:19]
	s_delay_alu instid0(VALU_DEP_2) | instskip(SKIP_1) | instid1(VALU_DEP_3)
	v_add_f64_e32 v[70:71], 0, v[2:3]
	v_lshl_add_u64 v[2:3], s[8:9], 4, v[38:39]
	v_add_f64_e32 v[72:73], 0, v[20:21]
	flat_load_b128 v[18:21], v[2:3]
	s_wait_loadcnt_dscnt 0x0
	v_mul_f64_e32 v[74:75], v[16:17], v[20:21]
	s_delay_alu instid0(VALU_DEP_1) | instskip(SKIP_1) | instid1(VALU_DEP_2)
	v_fma_f64 v[74:75], v[14:15], v[18:19], -v[74:75]
	v_mul_f64_e32 v[14:15], v[14:15], v[20:21]
	v_add_f64_e32 v[74:75], 0, v[74:75]
	s_delay_alu instid0(VALU_DEP_2) | instskip(NEXT) | instid1(VALU_DEP_1)
	v_fmac_f64_e32 v[14:15], v[16:17], v[18:19]
	v_add_f64_e32 v[76:77], 0, v[14:15]
	scratch_load_b128 v[14:17], off, off offset:16
	flat_load_b128 v[18:21], v[12:13] offset:16
	s_wait_loadcnt_dscnt 0x0
	v_mul_f64_e32 v[78:79], v[16:17], v[20:21]
	v_mul_f64_e32 v[20:21], v[14:15], v[20:21]
	s_delay_alu instid0(VALU_DEP_2) | instskip(NEXT) | instid1(VALU_DEP_2)
	v_fma_f64 v[78:79], v[14:15], v[18:19], -v[78:79]
	v_fmac_f64_e32 v[20:21], v[16:17], v[18:19]
	s_delay_alu instid0(VALU_DEP_2) | instskip(NEXT) | instid1(VALU_DEP_2)
	v_add_f64_e32 v[22:23], v[22:23], v[78:79]
	v_add_f64_e32 v[56:57], v[56:57], v[20:21]
	flat_load_b128 v[18:21], v[10:11] offset:16
	s_wait_loadcnt_dscnt 0x0
	v_mul_f64_e32 v[78:79], v[16:17], v[20:21]
	v_mul_f64_e32 v[20:21], v[14:15], v[20:21]
	s_delay_alu instid0(VALU_DEP_2) | instskip(NEXT) | instid1(VALU_DEP_2)
	v_fma_f64 v[78:79], v[14:15], v[18:19], -v[78:79]
	v_fmac_f64_e32 v[20:21], v[16:17], v[18:19]
	s_delay_alu instid0(VALU_DEP_2) | instskip(NEXT) | instid1(VALU_DEP_2)
	v_add_f64_e32 v[58:59], v[58:59], v[78:79]
	v_add_f64_e32 v[68:69], v[68:69], v[20:21]
	;; [unrolled: 10-line block ×3, first 2 shown]
	flat_load_b128 v[18:21], v[2:3] offset:16
	s_wait_loadcnt_dscnt 0x0
	v_mul_f64_e32 v[78:79], v[16:17], v[20:21]
	s_delay_alu instid0(VALU_DEP_1) | instskip(SKIP_1) | instid1(VALU_DEP_2)
	v_fma_f64 v[78:79], v[14:15], v[18:19], -v[78:79]
	v_mul_f64_e32 v[14:15], v[14:15], v[20:21]
	v_add_f64_e32 v[74:75], v[74:75], v[78:79]
	s_delay_alu instid0(VALU_DEP_2) | instskip(NEXT) | instid1(VALU_DEP_1)
	v_fmac_f64_e32 v[14:15], v[16:17], v[18:19]
	v_add_f64_e32 v[76:77], v[76:77], v[14:15]
	scratch_load_b128 v[14:17], off, off offset:32
	flat_load_b128 v[18:21], v[12:13] offset:32
	s_wait_loadcnt_dscnt 0x0
	v_mul_f64_e32 v[78:79], v[16:17], v[20:21]
	v_mul_f64_e32 v[20:21], v[14:15], v[20:21]
	s_delay_alu instid0(VALU_DEP_2) | instskip(NEXT) | instid1(VALU_DEP_2)
	v_fma_f64 v[78:79], v[14:15], v[18:19], -v[78:79]
	v_fmac_f64_e32 v[20:21], v[16:17], v[18:19]
	s_delay_alu instid0(VALU_DEP_2) | instskip(NEXT) | instid1(VALU_DEP_2)
	v_add_f64_e32 v[78:79], v[22:23], v[78:79]
	v_add_f64_e32 v[56:57], v[56:57], v[20:21]
	flat_load_b128 v[18:21], v[10:11] offset:32
	s_wait_loadcnt_dscnt 0x0
	v_mul_f64_e32 v[22:23], v[16:17], v[20:21]
	v_mul_f64_e32 v[20:21], v[14:15], v[20:21]
	s_delay_alu instid0(VALU_DEP_2) | instskip(NEXT) | instid1(VALU_DEP_2)
	v_fma_f64 v[22:23], v[14:15], v[18:19], -v[22:23]
	v_fmac_f64_e32 v[20:21], v[16:17], v[18:19]
	s_delay_alu instid0(VALU_DEP_2) | instskip(NEXT) | instid1(VALU_DEP_2)
	v_add_f64_e32 v[80:81], v[58:59], v[22:23]
	v_add_f64_e32 v[68:69], v[68:69], v[20:21]
	;; [unrolled: 10-line block ×3, first 2 shown]
	flat_load_b128 v[18:21], v[2:3] offset:32
	s_wait_loadcnt_dscnt 0x0
	v_mul_f64_e32 v[22:23], v[16:17], v[20:21]
	s_delay_alu instid0(VALU_DEP_1) | instskip(SKIP_1) | instid1(VALU_DEP_2)
	v_fma_f64 v[22:23], v[14:15], v[18:19], -v[22:23]
	v_mul_f64_e32 v[14:15], v[14:15], v[20:21]
	v_add_f64_e32 v[74:75], v[74:75], v[22:23]
	s_delay_alu instid0(VALU_DEP_2) | instskip(NEXT) | instid1(VALU_DEP_1)
	v_fmac_f64_e32 v[14:15], v[16:17], v[18:19]
	v_add_f64_e32 v[76:77], v[76:77], v[14:15]
	scratch_load_b128 v[20:23], off, off offset:48
	flat_load_b128 v[12:15], v[12:13] offset:48
	s_wait_loadcnt_dscnt 0x0
	v_mul_f64_e32 v[16:17], v[22:23], v[14:15]
	v_mul_f64_e32 v[14:15], v[20:21], v[14:15]
	s_delay_alu instid0(VALU_DEP_2) | instskip(NEXT) | instid1(VALU_DEP_2)
	v_fma_f64 v[16:17], v[20:21], v[12:13], -v[16:17]
	v_fmac_f64_e32 v[14:15], v[22:23], v[12:13]
	flat_load_b128 v[10:13], v[10:11] offset:48
	v_add_f64_e32 v[58:59], v[78:79], v[16:17]
	v_add_f64_e32 v[56:57], v[56:57], v[14:15]
	s_wait_loadcnt_dscnt 0x0
	v_mul_f64_e32 v[14:15], v[22:23], v[12:13]
	v_mul_f64_e32 v[16:17], v[20:21], v[12:13]
	s_delay_alu instid0(VALU_DEP_2) | instskip(NEXT) | instid1(VALU_DEP_2)
	v_fma_f64 v[14:15], v[20:21], v[10:11], -v[14:15]
	v_fmac_f64_e32 v[16:17], v[22:23], v[10:11]
	flat_load_b128 v[8:11], v[8:9] offset:48
	v_add_f64_e32 v[12:13], v[80:81], v[14:15]
	v_add_f64_e32 v[14:15], v[68:69], v[16:17]
	s_wait_loadcnt_dscnt 0x0
	v_mul_f64_e32 v[16:17], v[22:23], v[10:11]
	v_mul_f64_e32 v[10:11], v[20:21], v[10:11]
	s_delay_alu instid0(VALU_DEP_2) | instskip(NEXT) | instid1(VALU_DEP_2)
	v_fma_f64 v[16:17], v[20:21], v[8:9], -v[16:17]
	v_fmac_f64_e32 v[10:11], v[22:23], v[8:9]
	s_delay_alu instid0(VALU_DEP_2) | instskip(NEXT) | instid1(VALU_DEP_2)
	v_add_f64_e32 v[16:17], v[70:71], v[16:17]
	v_add_f64_e32 v[18:19], v[72:73], v[10:11]
	flat_load_b128 v[8:11], v[2:3] offset:48
	s_wait_loadcnt_dscnt 0x0
	s_wait_xcnt 0x0
	v_mul_f64_e32 v[2:3], v[22:23], v[10:11]
	v_mul_f64_e32 v[10:11], v[20:21], v[10:11]
	s_delay_alu instid0(VALU_DEP_2) | instskip(NEXT) | instid1(VALU_DEP_2)
	v_fma_f64 v[2:3], v[20:21], v[8:9], -v[2:3]
	v_fmac_f64_e32 v[10:11], v[22:23], v[8:9]
	s_delay_alu instid0(VALU_DEP_2) | instskip(NEXT) | instid1(VALU_DEP_2)
	v_add_f64_e32 v[20:21], v[74:75], v[2:3]
	v_add_f64_e32 v[22:23], v[76:77], v[10:11]
	s_and_not1_saveexec_b32 s6, s6
	s_cbranch_execz .LBB353_18
.LBB353_44:                             ;   in Loop: Header=BB353_16 Depth=2
	s_wait_dscnt 0x0
	v_mov_b64_e32 v[20:21], 0
	v_mov_b64_e32 v[22:23], 0
	;; [unrolled: 1-line block ×8, first 2 shown]
	s_and_saveexec_b32 s7, s4
	s_cbranch_execz .LBB353_60
; %bb.45:                               ;   in Loop: Header=BB353_16 Depth=2
	s_and_not1_b32 vcc_lo, exec_lo, s58
	s_cbranch_vccnz .LBB353_59
; %bb.46:                               ;   in Loop: Header=BB353_16 Depth=2
	v_mov_b64_e32 v[2:3], v[52:53]
	s_mov_b32 s8, 0
	s_mov_b32 s9, s56
.LBB353_47:                             ;   Parent Loop BB353_3 Depth=1
                                        ;     Parent Loop BB353_16 Depth=2
                                        ; =>    This Inner Loop Header: Depth=3
	flat_load_b128 v[8:11], v[2:3]
	s_wait_xcnt 0x0
	v_add_nc_u64_e32 v[2:3], s[44:45], v[2:3]
	s_add_co_i32 s9, s9, -1
	s_wait_loadcnt_dscnt 0x0
	scratch_store_b128 off, v[8:11], s8
	s_wait_xcnt 0x0
	s_add_co_i32 s8, s8, 16
	s_cmp_eq_u32 s9, 0
	s_cbranch_scc0 .LBB353_47
; %bb.48:                               ;   in Loop: Header=BB353_16 Depth=2
	v_mov_b64_e32 v[56:57], 0
	v_mov_b64_e32 v[58:59], 0
	;; [unrolled: 1-line block ×9, first 2 shown]
	s_mov_b32 s8, s62
	s_mov_b32 s9, s56
.LBB353_49:                             ;   Parent Loop BB353_3 Depth=1
                                        ;     Parent Loop BB353_16 Depth=2
                                        ; =>    This Inner Loop Header: Depth=3
	s_delay_alu instid0(VALU_DEP_1)
	v_add_nc_u64_e32 v[72:73], s[50:51], v[2:3]
	scratch_load_b128 v[8:11], off, s8 offset:-8
	s_add_co_i32 s9, s9, -1
	s_wait_xcnt 0x0
	s_add_co_i32 s8, s8, 16
	s_cmp_lg_u32 s9, 0
	v_add_nc_u64_e32 v[76:77], s[50:51], v[72:73]
	s_delay_alu instid0(VALU_DEP_1)
	v_add_nc_u64_e32 v[80:81], s[50:51], v[76:77]
	s_clause 0x3
	flat_load_b128 v[68:71], v[2:3]
	flat_load_b128 v[72:75], v[72:73]
	;; [unrolled: 1-line block ×4, first 2 shown]
	s_wait_xcnt 0x3
	v_add_nc_u64_e32 v[2:3], 16, v[2:3]
	s_wait_loadcnt_dscnt 0x303
	v_mul_f64_e32 v[84:85], v[10:11], v[70:71]
	v_mul_f64_e32 v[70:71], v[8:9], v[70:71]
	s_wait_loadcnt_dscnt 0x202
	v_mul_f64_e32 v[86:87], v[10:11], v[74:75]
	v_mul_f64_e32 v[74:75], v[8:9], v[74:75]
	;; [unrolled: 3-line block ×4, first 2 shown]
	v_fma_f64 v[84:85], v[8:9], v[68:69], -v[84:85]
	v_fmac_f64_e32 v[70:71], v[10:11], v[68:69]
	v_fma_f64 v[68:69], v[8:9], v[72:73], -v[86:87]
	v_fmac_f64_e32 v[74:75], v[10:11], v[72:73]
	s_wait_xcnt 0x2
	v_fma_f64 v[72:73], v[8:9], v[76:77], -v[88:89]
	v_fmac_f64_e32 v[78:79], v[10:11], v[76:77]
	v_fma_f64 v[8:9], v[8:9], v[80:81], -v[90:91]
	v_fmac_f64_e32 v[82:83], v[10:11], v[80:81]
	v_add_f64_e32 v[58:59], v[58:59], v[84:85]
	v_add_f64_e32 v[56:57], v[56:57], v[70:71]
	;; [unrolled: 1-line block ×8, first 2 shown]
	s_cbranch_scc1 .LBB353_49
	s_branch .LBB353_60
.LBB353_50:                             ;   in Loop: Header=BB353_16 Depth=2
	ds_load_b128 v[8:11], v61
	s_or_b32 exec_lo, exec_lo, s6
	s_and_saveexec_b32 s6, s1
	s_cbranch_execz .LBB353_24
.LBB353_51:                             ;   in Loop: Header=BB353_16 Depth=2
	s_wait_dscnt 0x0
	ds_bpermute_b32 v2, v65, v8
	ds_bpermute_b32 v3, v65, v9
	ds_bpermute_b32 v56, v65, v10
	ds_bpermute_b32 v57, v65, v11
	s_wait_dscnt 0x2
	v_add_f64_e32 v[2:3], v[8:9], v[2:3]
	s_wait_dscnt 0x0
	v_add_f64_e32 v[8:9], v[10:11], v[56:57]
	ds_bpermute_b32 v10, v66, v2
	ds_bpermute_b32 v11, v66, v3
	ds_bpermute_b32 v56, v66, v8
	ds_bpermute_b32 v57, v66, v9
	s_wait_dscnt 0x2
	v_add_f64_e32 v[2:3], v[2:3], v[10:11]
	s_wait_dscnt 0x0
	v_add_f64_e32 v[10:11], v[8:9], v[56:57]
	;; [unrolled: 8-line block ×3, first 2 shown]
	s_or_b32 exec_lo, exec_lo, s6
	s_and_saveexec_b32 s6, s1
	s_cbranch_execnz .LBB353_25
	s_branch .LBB353_26
.LBB353_52:                             ;   in Loop: Header=BB353_16 Depth=2
	ds_load_b128 v[12:15], v61
	s_or_b32 exec_lo, exec_lo, s6
	s_and_saveexec_b32 s6, s1
	s_cbranch_execz .LBB353_30
.LBB353_53:                             ;   in Loop: Header=BB353_16 Depth=2
	s_wait_dscnt 0x0
	ds_bpermute_b32 v2, v65, v12
	ds_bpermute_b32 v3, v65, v13
	ds_bpermute_b32 v56, v65, v14
	ds_bpermute_b32 v57, v65, v15
	s_wait_dscnt 0x2
	v_add_f64_e32 v[2:3], v[12:13], v[2:3]
	s_wait_dscnt 0x0
	v_add_f64_e32 v[12:13], v[14:15], v[56:57]
	ds_bpermute_b32 v14, v66, v2
	ds_bpermute_b32 v15, v66, v3
	ds_bpermute_b32 v56, v66, v12
	ds_bpermute_b32 v57, v66, v13
	s_wait_dscnt 0x2
	v_add_f64_e32 v[2:3], v[2:3], v[14:15]
	s_wait_dscnt 0x0
	v_add_f64_e32 v[14:15], v[12:13], v[56:57]
	;; [unrolled: 8-line block ×3, first 2 shown]
	s_or_b32 exec_lo, exec_lo, s6
	s_and_saveexec_b32 s6, s1
	s_cbranch_execnz .LBB353_31
	s_branch .LBB353_32
.LBB353_54:                             ;   in Loop: Header=BB353_16 Depth=2
	ds_load_b128 v[16:19], v61
	s_or_b32 exec_lo, exec_lo, s6
	s_and_saveexec_b32 s6, s1
	s_cbranch_execz .LBB353_36
.LBB353_55:                             ;   in Loop: Header=BB353_16 Depth=2
	s_wait_dscnt 0x0
	ds_bpermute_b32 v2, v65, v16
	ds_bpermute_b32 v3, v65, v17
	ds_bpermute_b32 v56, v65, v18
	ds_bpermute_b32 v57, v65, v19
	s_wait_dscnt 0x2
	v_add_f64_e32 v[2:3], v[16:17], v[2:3]
	s_wait_dscnt 0x0
	v_add_f64_e32 v[16:17], v[18:19], v[56:57]
	ds_bpermute_b32 v18, v66, v2
	ds_bpermute_b32 v19, v66, v3
	ds_bpermute_b32 v56, v66, v16
	ds_bpermute_b32 v57, v66, v17
	s_wait_dscnt 0x2
	v_add_f64_e32 v[2:3], v[2:3], v[18:19]
	s_wait_dscnt 0x0
	v_add_f64_e32 v[18:19], v[16:17], v[56:57]
	;; [unrolled: 8-line block ×3, first 2 shown]
	s_or_b32 exec_lo, exec_lo, s6
	s_and_saveexec_b32 s6, s1
	s_cbranch_execnz .LBB353_37
	s_branch .LBB353_38
.LBB353_56:                             ;   in Loop: Header=BB353_16 Depth=2
	ds_load_b128 v[20:23], v61
	s_or_b32 exec_lo, exec_lo, s6
	s_and_saveexec_b32 s6, s1
	s_cbranch_execz .LBB353_42
.LBB353_57:                             ;   in Loop: Header=BB353_16 Depth=2
	s_wait_dscnt 0x0
	ds_bpermute_b32 v2, v65, v20
	ds_bpermute_b32 v3, v65, v21
	ds_bpermute_b32 v56, v65, v22
	ds_bpermute_b32 v57, v65, v23
	s_wait_dscnt 0x2
	v_add_f64_e32 v[2:3], v[20:21], v[2:3]
	s_wait_dscnt 0x0
	v_add_f64_e32 v[20:21], v[22:23], v[56:57]
	ds_bpermute_b32 v22, v66, v2
	ds_bpermute_b32 v23, v66, v3
	ds_bpermute_b32 v56, v66, v20
	ds_bpermute_b32 v57, v66, v21
	s_wait_dscnt 0x2
	v_add_f64_e32 v[2:3], v[2:3], v[22:23]
	s_wait_dscnt 0x0
	v_add_f64_e32 v[22:23], v[20:21], v[56:57]
	;; [unrolled: 8-line block ×3, first 2 shown]
	s_or_b32 exec_lo, exec_lo, s6
	s_and_saveexec_b32 s6, s0
	s_cbranch_execz .LBB353_15
.LBB353_58:                             ;   in Loop: Header=BB353_16 Depth=2
	v_mul_f64_e32 v[2:3], v[6:7], v[10:11]
	v_mul_f64_e32 v[58:59], v[4:5], v[10:11]
	;; [unrolled: 1-line block ×6, first 2 shown]
	s_wait_dscnt 0x0
	v_mul_f64_e32 v[72:73], v[6:7], v[22:23]
	v_mul_f64_e32 v[18:19], v[4:5], v[22:23]
	s_or_b32 s64, s24, 1
	s_mov_b32 s65, s25
	s_mul_u64 s[8:9], s[24:25], s[34:35]
	s_or_b32 s66, s24, 2
	s_mov_b32 s67, s25
	s_or_b32 s68, s24, 3
	s_mov_b32 s69, s25
	s_mul_u64 s[64:65], s[64:65], s[34:35]
	s_lshl_b64 s[8:9], s[8:9], 4
	s_mul_u64 s[66:67], s[66:67], s[34:35]
	s_mul_u64 s[68:69], s[68:69], s[34:35]
	s_lshl_b64 s[64:65], s[64:65], 4
	s_add_nc_u64 s[8:9], s[52:53], s[8:9]
	s_lshl_b64 s[66:67], s[66:67], 4
	s_lshl_b64 s[68:69], s[68:69], 4
	s_add_nc_u64 s[64:65], s[52:53], s[64:65]
	s_add_nc_u64 s[66:67], s[52:53], s[66:67]
	;; [unrolled: 1-line block ×3, first 2 shown]
	v_fma_f64 v[56:57], v[4:5], v[8:9], -v[2:3]
	v_fmac_f64_e32 v[58:59], v[6:7], v[8:9]
	v_fma_f64 v[8:9], v[4:5], v[12:13], -v[68:69]
	v_fmac_f64_e32 v[10:11], v[6:7], v[12:13]
	;; [unrolled: 2-line block ×4, first 2 shown]
	s_clause 0x3
	global_store_b128 v0, v[56:59], s[8:9]
	global_store_b128 v0, v[8:11], s[64:65]
	;; [unrolled: 1-line block ×4, first 2 shown]
	s_branch .LBB353_15
.LBB353_59:                             ;   in Loop: Header=BB353_16 Depth=2
	v_mov_b64_e32 v[20:21], 0
	v_mov_b64_e32 v[22:23], 0
	v_mov_b64_e32 v[16:17], 0
	v_mov_b64_e32 v[18:19], 0
	v_mov_b64_e32 v[12:13], 0
	v_mov_b64_e32 v[14:15], 0
	v_mov_b64_e32 v[58:59], 0
	v_mov_b64_e32 v[56:57], 0
.LBB353_60:                             ;   in Loop: Header=BB353_16 Depth=2
	s_wait_xcnt 0x0
	s_or_b32 exec_lo, exec_lo, s7
	s_delay_alu instid0(SALU_CYCLE_1)
	s_or_b32 exec_lo, exec_lo, s6
	s_and_saveexec_b32 s6, s1
	s_cbranch_execnz .LBB353_19
	s_branch .LBB353_20
.LBB353_61:                             ;   in Loop: Header=BB353_3 Depth=1
	s_mov_b32 s24, 0
.LBB353_62:                             ;   in Loop: Header=BB353_3 Depth=1
	s_delay_alu instid0(SALU_CYCLE_1)
	s_cmp_ge_i32 s24, s29
	s_cbranch_scc1 .LBB353_2
; %bb.63:                               ;   in Loop: Header=BB353_3 Depth=1
	v_cmp_gt_u32_e32 vcc_lo, 24, v60
	v_add_nc_u64_e32 v[2:3], v[50:51], v[34:35]
	v_cndmask_b32_e64 v1, 0, 8, vcc_lo
	v_cmp_gt_u32_e32 vcc_lo, 28, v60
	s_delay_alu instid0(VALU_DEP_3) | instskip(NEXT) | instid1(VALU_DEP_3)
	v_mad_nc_u64_u32 v[12:13], s50, s24, v[2:3]
	v_add_lshl_u32 v16, v1, v60, 2
	v_cndmask_b32_e64 v2, 0, 4, vcc_lo
	v_cmp_gt_u32_e32 vcc_lo, 30, v60
	s_delay_alu instid0(VALU_DEP_2) | instskip(SKIP_3) | instid1(VALU_DEP_3)
	v_add_lshl_u32 v17, v2, v60, 2
	v_cndmask_b32_e64 v3, 0, 2, vcc_lo
	v_cmp_ne_u32_e32 vcc_lo, 31, v60
	v_mad_u32 v13, s51, s24, v13
	v_add_lshl_u32 v18, v3, v60, 2
	v_add_co_ci_u32_e64 v8, null, 0, v60, vcc_lo
	s_delay_alu instid0(VALU_DEP_1)
	v_lshlrev_b32_e32 v19, 2, v8
	s_branch .LBB353_65
.LBB353_64:                             ;   in Loop: Header=BB353_65 Depth=2
	s_wait_xcnt 0x0
	s_or_b32 exec_lo, exec_lo, s6
	v_add_nc_u64_e32 v[12:13], s[50:51], v[12:13]
	s_add_co_i32 s24, s24, 1
	s_delay_alu instid0(SALU_CYCLE_1)
	s_cmp_lt_i32 s24, s29
	s_cbranch_scc0 .LBB353_2
.LBB353_65:                             ;   Parent Loop BB353_3 Depth=1
                                        ; =>  This Loop Header: Depth=2
                                        ;       Child Loop BB353_77 Depth 3
                                        ;       Child Loop BB353_79 Depth 3
                                        ; implicit-def: $vgpr8_vgpr9
                                        ; implicit-def: $vgpr10_vgpr11
	s_and_saveexec_b32 s6, s5
	s_delay_alu instid0(SALU_CYCLE_1)
	s_xor_b32 s6, exec_lo, s6
	s_cbranch_execnz .LBB353_74
; %bb.66:                               ;   in Loop: Header=BB353_65 Depth=2
	s_and_not1_saveexec_b32 s6, s6
	s_cbranch_execnz .LBB353_75
.LBB353_67:                             ;   in Loop: Header=BB353_65 Depth=2
	s_or_b32 exec_lo, exec_lo, s6
	s_and_saveexec_b32 s6, s1
.LBB353_68:                             ;   in Loop: Header=BB353_65 Depth=2
	v_dual_mov_b32 v1, v0 :: v_dual_mov_b32 v2, v0
	v_mov_b32_e32 v3, v0
	ds_store_b128 v61, v[0:3]
.LBB353_69:                             ;   in Loop: Header=BB353_65 Depth=2
	s_or_b32 exec_lo, exec_lo, s6
	s_wait_dscnt 0x0
	ds_bpermute_b32 v2, v63, v8
	ds_bpermute_b32 v3, v63, v9
	;; [unrolled: 1-line block ×4, first 2 shown]
	s_wait_storecnt_dscnt 0x0
	s_barrier_signal -1
	s_barrier_wait -1
	v_add_f64_e32 v[2:3], v[8:9], v[2:3]
	v_add_f64_e32 v[8:9], v[10:11], v[14:15]
	ds_bpermute_b32 v10, v16, v2
	ds_bpermute_b32 v11, v16, v3
	ds_bpermute_b32 v14, v16, v8
	ds_bpermute_b32 v15, v16, v9
	s_wait_dscnt 0x2
	v_add_f64_e32 v[2:3], v[2:3], v[10:11]
	s_wait_dscnt 0x0
	v_add_f64_e32 v[8:9], v[8:9], v[14:15]
	ds_bpermute_b32 v10, v17, v2
	ds_bpermute_b32 v11, v17, v3
	ds_bpermute_b32 v14, v17, v8
	ds_bpermute_b32 v15, v17, v9
	s_wait_dscnt 0x2
	v_add_f64_e32 v[2:3], v[2:3], v[10:11]
	s_wait_dscnt 0x0
	;; [unrolled: 8-line block ×3, first 2 shown]
	v_add_f64_e32 v[10:11], v[8:9], v[14:15]
	ds_bpermute_b32 v8, v19, v2
	ds_bpermute_b32 v9, v19, v3
	;; [unrolled: 1-line block ×4, first 2 shown]
	s_and_saveexec_b32 s6, s3
	s_cbranch_execz .LBB353_71
; %bb.70:                               ;   in Loop: Header=BB353_65 Depth=2
	s_wait_dscnt 0x0
	v_add_f64_e32 v[10:11], v[10:11], v[14:15]
	v_add_f64_e32 v[8:9], v[2:3], v[8:9]
	ds_store_b128 v62, v[8:11]
.LBB353_71:                             ;   in Loop: Header=BB353_65 Depth=2
	s_or_b32 exec_lo, exec_lo, s6
	v_mov_b64_e32 v[10:11], 0
	s_wait_dscnt 0x2
	v_mov_b64_e32 v[8:9], 0
	s_wait_dscnt 0x0
	s_barrier_signal -1
	s_barrier_wait -1
	s_and_saveexec_b32 s6, s2
	s_cbranch_execnz .LBB353_81
; %bb.72:                               ;   in Loop: Header=BB353_65 Depth=2
	s_or_b32 exec_lo, exec_lo, s6
	s_and_saveexec_b32 s6, s1
	s_cbranch_execnz .LBB353_82
.LBB353_73:                             ;   in Loop: Header=BB353_65 Depth=2
	s_or_b32 exec_lo, exec_lo, s6
	s_and_saveexec_b32 s6, s0
	s_cbranch_execz .LBB353_64
	s_branch .LBB353_83
.LBB353_74:                             ;   in Loop: Header=BB353_65 Depth=2
	s_wait_dscnt 0x0
	flat_load_b128 v[8:11], v[42:43]
	s_wait_dscnt 0x1
	s_clause 0x1
	flat_load_b128 v[20:23], v[44:45]
	flat_load_b128 v[50:53], v[46:47]
	s_mul_u64 s[8:9], s[24:25], s[26:27]
	s_delay_alu instid0(SALU_CYCLE_1)
	v_lshl_add_u64 v[2:3], s[8:9], 4, v[38:39]
	flat_load_b128 v[54:57], v[40:41]
	s_clause 0x1
	flat_load_b128 v[64:67], v[2:3]
	flat_load_b128 v[68:71], v[2:3] offset:16
	s_wait_loadcnt_dscnt 0x505
	scratch_store_b128 off, v[8:11], s59
	s_wait_loadcnt_dscnt 0x404
	scratch_store_b128 off, v[20:23], s60
	s_clause 0x1
	scratch_load_b128 v[8:11], off, off offset:16
	scratch_load_b128 v[20:23], off, off offset:32
	s_clause 0x1
	flat_load_b128 v[72:75], v[2:3] offset:32
	flat_load_b128 v[76:79], v[2:3] offset:48
	s_wait_loadcnt_dscnt 0x705
	scratch_store_b128 off, v[50:53], s61
	scratch_load_b128 v[50:53], off, off offset:48
	s_wait_loadcnt_dscnt 0x704
	scratch_store_b128 off, v[54:57], off
	s_wait_loadcnt_dscnt 0x603
	v_mul_f64_e32 v[2:3], v[66:67], v[56:57]
	v_mul_f64_e32 v[14:15], v[64:65], v[56:57]
	s_delay_alu instid0(VALU_DEP_2) | instskip(NEXT) | instid1(VALU_DEP_2)
	v_fma_f64 v[2:3], v[64:65], v[54:55], -v[2:3]
	v_fmac_f64_e32 v[14:15], v[66:67], v[54:55]
	s_delay_alu instid0(VALU_DEP_2) | instskip(NEXT) | instid1(VALU_DEP_2)
	v_add_f64_e32 v[2:3], 0, v[2:3]
	v_add_f64_e32 v[14:15], 0, v[14:15]
	s_wait_loadcnt_dscnt 0x402
	v_mul_f64_e32 v[58:59], v[70:71], v[10:11]
	v_mul_f64_e32 v[10:11], v[68:69], v[10:11]
	s_wait_loadcnt_dscnt 0x201
	v_mul_f64_e32 v[64:65], v[74:75], v[22:23]
	v_mul_f64_e32 v[22:23], v[72:73], v[22:23]
	s_delay_alu instid0(VALU_DEP_4) | instskip(NEXT) | instid1(VALU_DEP_4)
	v_fma_f64 v[58:59], v[68:69], v[8:9], -v[58:59]
	v_fmac_f64_e32 v[10:11], v[70:71], v[8:9]
	s_wait_loadcnt_dscnt 0x0
	v_mul_f64_e32 v[8:9], v[78:79], v[52:53]
	v_mul_f64_e32 v[52:53], v[76:77], v[52:53]
	v_fma_f64 v[64:65], v[72:73], v[20:21], -v[64:65]
	v_fmac_f64_e32 v[22:23], v[74:75], v[20:21]
	v_add_f64_e32 v[2:3], v[2:3], v[58:59]
	v_add_f64_e32 v[10:11], v[14:15], v[10:11]
	v_fma_f64 v[8:9], v[76:77], v[50:51], -v[8:9]
	v_fmac_f64_e32 v[52:53], v[78:79], v[50:51]
	s_delay_alu instid0(VALU_DEP_4) | instskip(NEXT) | instid1(VALU_DEP_4)
	v_add_f64_e32 v[2:3], v[2:3], v[64:65]
	v_add_f64_e32 v[10:11], v[10:11], v[22:23]
	s_delay_alu instid0(VALU_DEP_2) | instskip(NEXT) | instid1(VALU_DEP_2)
	v_add_f64_e32 v[8:9], v[2:3], v[8:9]
	v_add_f64_e32 v[10:11], v[10:11], v[52:53]
	s_wait_xcnt 0x0
	s_and_not1_saveexec_b32 s6, s6
	s_cbranch_execz .LBB353_67
.LBB353_75:                             ;   in Loop: Header=BB353_65 Depth=2
	s_wait_dscnt 0x0
	v_mov_b64_e32 v[8:9], 0
	v_mov_b64_e32 v[10:11], 0
	s_and_saveexec_b32 s7, s28
	s_cbranch_execz .LBB353_80
; %bb.76:                               ;   in Loop: Header=BB353_65 Depth=2
	v_mov_b64_e32 v[2:3], v[48:49]
	s_mov_b32 s8, 0
	s_mov_b32 s9, s56
.LBB353_77:                             ;   Parent Loop BB353_3 Depth=1
                                        ;     Parent Loop BB353_65 Depth=2
                                        ; =>    This Inner Loop Header: Depth=3
	flat_load_b128 v[8:11], v[2:3]
	s_wait_xcnt 0x0
	v_add_nc_u64_e32 v[2:3], s[44:45], v[2:3]
	s_add_co_i32 s9, s9, -1
	s_wait_loadcnt_dscnt 0x0
	scratch_store_b128 off, v[8:11], s8
	s_wait_xcnt 0x0
	s_add_co_i32 s8, s8, 16
	s_cmp_eq_u32 s9, 0
	s_cbranch_scc0 .LBB353_77
; %bb.78:                               ;   in Loop: Header=BB353_65 Depth=2
	v_mov_b64_e32 v[8:9], 0
	v_mov_b64_e32 v[10:11], 0
	;; [unrolled: 1-line block ×3, first 2 shown]
	s_mov_b32 s8, s62
	s_mov_b32 s9, s56
.LBB353_79:                             ;   Parent Loop BB353_3 Depth=1
                                        ;     Parent Loop BB353_65 Depth=2
                                        ; =>    This Inner Loop Header: Depth=3
	flat_load_b128 v[20:23], v[2:3] offset:-8
	scratch_load_b128 v[50:53], off, s8 offset:-8
	s_wait_xcnt 0x1
	v_add_nc_u64_e32 v[2:3], 16, v[2:3]
	s_add_co_i32 s9, s9, -1
	s_wait_xcnt 0x0
	s_add_co_i32 s8, s8, 16
	s_cmp_lg_u32 s9, 0
	s_wait_loadcnt_dscnt 0x0
	v_mul_f64_e32 v[14:15], v[22:23], v[52:53]
	v_mul_f64_e32 v[52:53], v[20:21], v[52:53]
	s_delay_alu instid0(VALU_DEP_2) | instskip(NEXT) | instid1(VALU_DEP_2)
	v_fma_f64 v[14:15], v[20:21], v[50:51], -v[14:15]
	v_fmac_f64_e32 v[52:53], v[22:23], v[50:51]
	s_delay_alu instid0(VALU_DEP_2) | instskip(NEXT) | instid1(VALU_DEP_2)
	v_add_f64_e32 v[8:9], v[8:9], v[14:15]
	v_add_f64_e32 v[10:11], v[10:11], v[52:53]
	s_cbranch_scc1 .LBB353_79
.LBB353_80:                             ;   in Loop: Header=BB353_65 Depth=2
	s_or_b32 exec_lo, exec_lo, s7
	s_delay_alu instid0(SALU_CYCLE_1)
	s_or_b32 exec_lo, exec_lo, s6
	s_and_saveexec_b32 s6, s1
	s_cbranch_execnz .LBB353_68
	s_branch .LBB353_69
.LBB353_81:                             ;   in Loop: Header=BB353_65 Depth=2
	ds_load_b128 v[8:11], v61
	s_or_b32 exec_lo, exec_lo, s6
	s_and_saveexec_b32 s6, s1
	s_cbranch_execz .LBB353_73
.LBB353_82:                             ;   in Loop: Header=BB353_65 Depth=2
	s_wait_dscnt 0x0
	ds_bpermute_b32 v2, v17, v8
	ds_bpermute_b32 v3, v17, v9
	ds_bpermute_b32 v14, v17, v10
	ds_bpermute_b32 v15, v17, v11
	s_wait_dscnt 0x2
	v_add_f64_e32 v[2:3], v[8:9], v[2:3]
	s_wait_dscnt 0x0
	v_add_f64_e32 v[8:9], v[10:11], v[14:15]
	ds_bpermute_b32 v10, v18, v2
	ds_bpermute_b32 v11, v18, v3
	ds_bpermute_b32 v14, v18, v8
	ds_bpermute_b32 v15, v18, v9
	s_wait_dscnt 0x2
	v_add_f64_e32 v[2:3], v[2:3], v[10:11]
	s_wait_dscnt 0x0
	v_add_f64_e32 v[10:11], v[8:9], v[14:15]
	;; [unrolled: 8-line block ×3, first 2 shown]
	s_or_b32 exec_lo, exec_lo, s6
	s_and_saveexec_b32 s6, s0
	s_cbranch_execz .LBB353_64
.LBB353_83:                             ;   in Loop: Header=BB353_65 Depth=2
	s_wait_dscnt 0x0
	s_delay_alu instid0(VALU_DEP_1) | instskip(SKIP_2) | instid1(SALU_CYCLE_1)
	v_mul_f64_e32 v[2:3], v[6:7], v[10:11]
	v_mul_f64_e32 v[22:23], v[4:5], v[10:11]
	s_mul_u64 s[8:9], s[24:25], s[34:35]
	s_lshl_b64 s[8:9], s[8:9], 4
	s_delay_alu instid0(SALU_CYCLE_1) | instskip(NEXT) | instid1(VALU_DEP_2)
	s_add_nc_u64 s[8:9], s[52:53], s[8:9]
	v_fma_f64 v[20:21], v[4:5], v[8:9], -v[2:3]
	s_delay_alu instid0(VALU_DEP_2)
	v_fmac_f64_e32 v[22:23], v[6:7], v[8:9]
	global_store_b128 v0, v[20:23], s[8:9]
	s_branch .LBB353_64
.LBB353_84:
	s_sendmsg sendmsg(MSG_DEALLOC_VGPRS)
	s_endpgm
	.section	.rodata,"a",@progbits
	.p2align	6, 0x0
	.amdhsa_kernel _ZL23rocblas_gemvt_sn_kernelILb0ELi256ELi4ElPK19rocblas_complex_numIdES3_S1_EviiT4_lPKT3_lilS7_lilPT5_i
		.amdhsa_group_segment_fixed_size 512
		.amdhsa_private_segment_fixed_size 80
		.amdhsa_kernarg_size 360
		.amdhsa_user_sgpr_count 2
		.amdhsa_user_sgpr_dispatch_ptr 0
		.amdhsa_user_sgpr_queue_ptr 0
		.amdhsa_user_sgpr_kernarg_segment_ptr 1
		.amdhsa_user_sgpr_dispatch_id 0
		.amdhsa_user_sgpr_kernarg_preload_length 0
		.amdhsa_user_sgpr_kernarg_preload_offset 0
		.amdhsa_user_sgpr_private_segment_size 0
		.amdhsa_wavefront_size32 1
		.amdhsa_uses_dynamic_stack 0
		.amdhsa_enable_private_segment 1
		.amdhsa_system_sgpr_workgroup_id_x 1
		.amdhsa_system_sgpr_workgroup_id_y 0
		.amdhsa_system_sgpr_workgroup_id_z 1
		.amdhsa_system_sgpr_workgroup_info 0
		.amdhsa_system_vgpr_workitem_id 0
		.amdhsa_next_free_vgpr 92
		.amdhsa_next_free_sgpr 70
		.amdhsa_named_barrier_count 0
		.amdhsa_reserve_vcc 1
		.amdhsa_float_round_mode_32 0
		.amdhsa_float_round_mode_16_64 0
		.amdhsa_float_denorm_mode_32 3
		.amdhsa_float_denorm_mode_16_64 3
		.amdhsa_fp16_overflow 0
		.amdhsa_memory_ordered 1
		.amdhsa_forward_progress 1
		.amdhsa_inst_pref_size 50
		.amdhsa_round_robin_scheduling 0
		.amdhsa_exception_fp_ieee_invalid_op 0
		.amdhsa_exception_fp_denorm_src 0
		.amdhsa_exception_fp_ieee_div_zero 0
		.amdhsa_exception_fp_ieee_overflow 0
		.amdhsa_exception_fp_ieee_underflow 0
		.amdhsa_exception_fp_ieee_inexact 0
		.amdhsa_exception_int_div_zero 0
	.end_amdhsa_kernel
	.section	.text._ZL23rocblas_gemvt_sn_kernelILb0ELi256ELi4ElPK19rocblas_complex_numIdES3_S1_EviiT4_lPKT3_lilS7_lilPT5_i,"axG",@progbits,_ZL23rocblas_gemvt_sn_kernelILb0ELi256ELi4ElPK19rocblas_complex_numIdES3_S1_EviiT4_lPKT3_lilS7_lilPT5_i,comdat
.Lfunc_end353:
	.size	_ZL23rocblas_gemvt_sn_kernelILb0ELi256ELi4ElPK19rocblas_complex_numIdES3_S1_EviiT4_lPKT3_lilS7_lilPT5_i, .Lfunc_end353-_ZL23rocblas_gemvt_sn_kernelILb0ELi256ELi4ElPK19rocblas_complex_numIdES3_S1_EviiT4_lPKT3_lilS7_lilPT5_i
                                        ; -- End function
	.set _ZL23rocblas_gemvt_sn_kernelILb0ELi256ELi4ElPK19rocblas_complex_numIdES3_S1_EviiT4_lPKT3_lilS7_lilPT5_i.num_vgpr, 92
	.set _ZL23rocblas_gemvt_sn_kernelILb0ELi256ELi4ElPK19rocblas_complex_numIdES3_S1_EviiT4_lPKT3_lilS7_lilPT5_i.num_agpr, 0
	.set _ZL23rocblas_gemvt_sn_kernelILb0ELi256ELi4ElPK19rocblas_complex_numIdES3_S1_EviiT4_lPKT3_lilS7_lilPT5_i.numbered_sgpr, 70
	.set _ZL23rocblas_gemvt_sn_kernelILb0ELi256ELi4ElPK19rocblas_complex_numIdES3_S1_EviiT4_lPKT3_lilS7_lilPT5_i.num_named_barrier, 0
	.set _ZL23rocblas_gemvt_sn_kernelILb0ELi256ELi4ElPK19rocblas_complex_numIdES3_S1_EviiT4_lPKT3_lilS7_lilPT5_i.private_seg_size, 80
	.set _ZL23rocblas_gemvt_sn_kernelILb0ELi256ELi4ElPK19rocblas_complex_numIdES3_S1_EviiT4_lPKT3_lilS7_lilPT5_i.uses_vcc, 1
	.set _ZL23rocblas_gemvt_sn_kernelILb0ELi256ELi4ElPK19rocblas_complex_numIdES3_S1_EviiT4_lPKT3_lilS7_lilPT5_i.uses_flat_scratch, 1
	.set _ZL23rocblas_gemvt_sn_kernelILb0ELi256ELi4ElPK19rocblas_complex_numIdES3_S1_EviiT4_lPKT3_lilS7_lilPT5_i.has_dyn_sized_stack, 0
	.set _ZL23rocblas_gemvt_sn_kernelILb0ELi256ELi4ElPK19rocblas_complex_numIdES3_S1_EviiT4_lPKT3_lilS7_lilPT5_i.has_recursion, 0
	.set _ZL23rocblas_gemvt_sn_kernelILb0ELi256ELi4ElPK19rocblas_complex_numIdES3_S1_EviiT4_lPKT3_lilS7_lilPT5_i.has_indirect_call, 0
	.section	.AMDGPU.csdata,"",@progbits
; Kernel info:
; codeLenInByte = 6296
; TotalNumSgprs: 72
; NumVgprs: 92
; ScratchSize: 80
; MemoryBound: 0
; FloatMode: 240
; IeeeMode: 1
; LDSByteSize: 512 bytes/workgroup (compile time only)
; SGPRBlocks: 0
; VGPRBlocks: 5
; NumSGPRsForWavesPerEU: 72
; NumVGPRsForWavesPerEU: 92
; NamedBarCnt: 0
; Occupancy: 10
; WaveLimiterHint : 0
; COMPUTE_PGM_RSRC2:SCRATCH_EN: 1
; COMPUTE_PGM_RSRC2:USER_SGPR: 2
; COMPUTE_PGM_RSRC2:TRAP_HANDLER: 0
; COMPUTE_PGM_RSRC2:TGID_X_EN: 1
; COMPUTE_PGM_RSRC2:TGID_Y_EN: 0
; COMPUTE_PGM_RSRC2:TGID_Z_EN: 1
; COMPUTE_PGM_RSRC2:TIDIG_COMP_CNT: 0
	.section	.text._ZL23rocblas_gemvt_sn_reduceILi256ELi8E19rocblas_complex_numIdEPKS1_KPS1_EviT2_lPT3_lilPT1_i,"axG",@progbits,_ZL23rocblas_gemvt_sn_reduceILi256ELi8E19rocblas_complex_numIdEPKS1_KPS1_EviT2_lPT3_lilPT1_i,comdat
	.globl	_ZL23rocblas_gemvt_sn_reduceILi256ELi8E19rocblas_complex_numIdEPKS1_KPS1_EviT2_lPT3_lilPT1_i ; -- Begin function _ZL23rocblas_gemvt_sn_reduceILi256ELi8E19rocblas_complex_numIdEPKS1_KPS1_EviT2_lPT3_lilPT1_i
	.p2align	8
	.type	_ZL23rocblas_gemvt_sn_reduceILi256ELi8E19rocblas_complex_numIdEPKS1_KPS1_EviT2_lPT3_lilPT1_i,@function
_ZL23rocblas_gemvt_sn_reduceILi256ELi8E19rocblas_complex_numIdEPKS1_KPS1_EviT2_lPT3_lilPT1_i: ; @_ZL23rocblas_gemvt_sn_reduceILi256ELi8E19rocblas_complex_numIdEPKS1_KPS1_EviT2_lPT3_lilPT1_i
; %bb.0:
	s_load_b32 s7, s[0:1], 0x40
	s_bfe_u32 s2, ttmp6, 0x40014
	s_lshr_b32 s3, ttmp7, 16
	s_add_co_i32 s2, s2, 1
	s_bfe_u32 s5, ttmp6, 0x40008
	s_mul_i32 s4, s3, s2
	s_getreg_b32 s2, hwreg(HW_REG_IB_STS2, 6, 4)
	s_add_co_i32 s5, s5, s4
	s_cmp_eq_u32 s2, 0
	s_mov_b32 s17, 0
	s_cselect_b32 s16, s3, s5
	s_wait_kmcnt 0x0
	s_cmp_ge_u32 s16, s7
	s_cbranch_scc1 .LBB354_21
; %bb.1:
	s_clause 0x5
	s_load_b32 s18, s[0:1], 0x0
	s_load_b32 s30, s[0:1], 0x4c
	;; [unrolled: 1-line block ×4, first 2 shown]
	s_load_b64 s[20:21], s[0:1], 0x38
	s_load_b256 s[8:15], s[0:1], 0x8
	v_mbcnt_lo_u32_b32 v3, -1, 0
	s_wait_xcnt 0x0
	s_bfe_u32 s1, ttmp6, 0x40010
	v_dual_lshlrev_b32 v20, 3, v0 :: v_dual_mov_b32 v2, 0
	v_and_b32_e32 v1, 31, v0
	v_cmp_gt_u32_e32 vcc_lo, 24, v3
	s_and_b32 s0, ttmp7, 0xffff
	s_add_co_i32 s1, s1, 1
	s_bfe_u32 s4, ttmp6, 0x40004
	s_mul_i32 s1, s0, s1
	v_cndmask_b32_e64 v4, 0, 8, vcc_lo
	v_cmp_gt_u32_e32 vcc_lo, 28, v3
	v_dual_mov_b32 v15, v2 :: v_dual_lshlrev_b32 v21, 4, v1
	v_mov_b32_e32 v5, v2
	s_delay_alu instid0(VALU_DEP_4)
	v_add_lshl_u32 v23, v4, v3, 2
	v_cndmask_b32_e64 v6, 0, 4, vcc_lo
	v_cmp_gt_u32_e32 vcc_lo, 30, v3
	v_lshlrev_b32_e32 v4, 7, v0
	s_add_co_i32 s4, s4, s1
	s_wait_kmcnt 0x0
	s_ashr_i32 s19, s18, 31
	s_ashr_i32 s25, s24, 31
	s_cmp_eq_u32 s2, 0
	v_cndmask_b32_e64 v7, 0, 2, vcc_lo
	s_cselect_b32 s22, s0, s4
	s_lshr_b32 s0, s19, 29
	v_cmp_ne_u32_e32 vcc_lo, 31, v3
	v_add_lshl_u32 v24, v6, v3, 2
	v_lshrrev_b32_e32 v6, 1, v0
	v_add_nc_u64_e32 v[4:5], s[20:21], v[4:5]
	s_add_co_i32 s0, s18, s0
	v_add_co_ci_u32_e64 v8, null, 0, v3, vcc_lo
	s_and_b32 s31, s0, -8
	v_xad_u32 v14, v0, -1, s18
	s_sub_co_i32 s1, s18, s31
	s_and_b32 s6, s3, 0xffff
	v_cmp_gt_u32_e64 s1, s1, v0
	v_cmp_gt_u32_e64 s2, 32, v0
	v_cmp_eq_u32_e64 s3, 0, v1
	v_cmp_gt_u32_e64 s4, 8, v0
	v_cmp_eq_u32_e64 s5, 0, v0
	v_add_nc_u64_e32 v[0:1], 0x78, v[4:5]
	s_mov_b32 s23, s17
	v_cmp_gt_i32_e64 s0, s31, v20
	v_lshl_or_b32 v22, v3, 2, 64
	v_add_lshl_u32 v25, v7, v3, 2
	v_lshlrev_b32_e32 v26, 2, v8
	v_and_b32_e32 v27, 0x70, v6
	s_mul_u64 s[28:29], s[24:25], s[22:23]
	s_mul_i32 s23, s16, s30
	s_lshl_b32 s33, s6, 3
	s_lshl_b64 s[24:25], s[18:19], 4
	s_add_co_i32 s23, s22, s23
	s_lshl_b32 s34, s30, 16
	s_lshl_b32 s26, s6, 7
	s_mov_b32 s27, s17
	s_lshl_b64 s[14:15], s[14:15], 4
	s_lshl_b64 s[28:29], s[28:29], 4
	s_branch .LBB354_4
.LBB354_2:                              ;   in Loop: Header=BB354_4 Depth=1
	s_wait_dscnt 0x0
	flat_store_b128 v[4:5], v[10:13]
.LBB354_3:                              ;   in Loop: Header=BB354_4 Depth=1
	s_wait_xcnt 0x0
	s_or_b32 exec_lo, exec_lo, s35
	s_add_co_i32 s16, s16, 0x10000
	s_add_co_i32 s23, s23, s34
	s_cmp_lt_u32 s16, s7
	s_cbranch_scc0 .LBB354_21
.LBB354_4:                              ; =>This Loop Header: Depth=1
                                        ;     Child Loop BB354_14 Depth 2
	v_mov_b32_e32 v3, s16
	s_mul_u64 s[36:37], s[10:11], s[16:17]
	s_wait_dscnt 0x0
	v_mov_b64_e32 v[10:11], 0
	s_lshl_b64 s[36:37], s[36:37], 4
	v_mov_b64_e32 v[12:13], 0
	s_add_nc_u64 s[36:37], s[8:9], s[36:37]
	global_load_b64 v[16:17], v3, s[12:13] scale_offset
	global_load_b128 v[6:9], v2, s[36:37]
	s_wait_xcnt 0x0
	s_and_saveexec_b32 s6, s0
	s_cbranch_execnz .LBB354_13
; %bb.5:                                ;   in Loop: Header=BB354_4 Depth=1
	s_or_b32 exec_lo, exec_lo, s6
	s_and_saveexec_b32 s6, s1
	s_cbranch_execnz .LBB354_16
.LBB354_6:                              ;   in Loop: Header=BB354_4 Depth=1
	s_or_b32 exec_lo, exec_lo, s6
	s_and_saveexec_b32 s6, s2
.LBB354_7:                              ;   in Loop: Header=BB354_4 Depth=1
	v_dual_mov_b32 v3, v2 :: v_dual_mov_b32 v4, v2
	v_mov_b32_e32 v5, v2
	ds_store_b128 v21, v[2:5]
.LBB354_8:                              ;   in Loop: Header=BB354_4 Depth=1
	s_or_b32 exec_lo, exec_lo, s6
	ds_bpermute_b32 v4, v22, v12
	ds_bpermute_b32 v5, v22, v13
	;; [unrolled: 1-line block ×4, first 2 shown]
	s_wait_loadcnt_dscnt 0x0
	s_barrier_signal -1
	s_barrier_wait -1
	v_add_f64_e32 v[4:5], v[12:13], v[4:5]
	v_add_f64_e32 v[10:11], v[10:11], v[18:19]
	ds_bpermute_b32 v12, v23, v4
	ds_bpermute_b32 v13, v23, v5
	ds_bpermute_b32 v18, v23, v10
	ds_bpermute_b32 v19, v23, v11
	s_wait_dscnt 0x2
	v_add_f64_e32 v[4:5], v[4:5], v[12:13]
	s_wait_dscnt 0x0
	v_add_f64_e32 v[10:11], v[10:11], v[18:19]
	ds_bpermute_b32 v12, v24, v4
	ds_bpermute_b32 v13, v24, v5
	ds_bpermute_b32 v18, v24, v10
	ds_bpermute_b32 v19, v24, v11
	s_wait_dscnt 0x2
	v_add_f64_e32 v[4:5], v[4:5], v[12:13]
	s_wait_dscnt 0x0
	;; [unrolled: 8-line block ×3, first 2 shown]
	v_add_f64_e32 v[12:13], v[10:11], v[18:19]
	ds_bpermute_b32 v10, v26, v4
	ds_bpermute_b32 v11, v26, v5
	;; [unrolled: 1-line block ×4, first 2 shown]
	s_and_saveexec_b32 s6, s3
	s_cbranch_execz .LBB354_10
; %bb.9:                                ;   in Loop: Header=BB354_4 Depth=1
	s_wait_dscnt 0x0
	v_add_f64_e32 v[12:13], v[12:13], v[18:19]
	v_add_f64_e32 v[10:11], v[4:5], v[10:11]
	ds_store_b128 v27, v[10:13]
.LBB354_10:                             ;   in Loop: Header=BB354_4 Depth=1
	s_or_b32 exec_lo, exec_lo, s6
	v_mov_b64_e32 v[12:13], 0
	s_wait_dscnt 0x2
	v_mov_b64_e32 v[10:11], 0
	s_wait_dscnt 0x0
	s_barrier_signal -1
	s_barrier_wait -1
	s_and_saveexec_b32 s6, s4
	s_cbranch_execnz .LBB354_17
; %bb.11:                               ;   in Loop: Header=BB354_4 Depth=1
	s_or_b32 exec_lo, exec_lo, s6
	s_and_saveexec_b32 s6, s2
	s_cbranch_execnz .LBB354_18
.LBB354_12:                             ;   in Loop: Header=BB354_4 Depth=1
	s_or_b32 exec_lo, exec_lo, s6
	s_and_saveexec_b32 s35, s5
	s_cbranch_execz .LBB354_3
	s_branch .LBB354_19
.LBB354_13:                             ;   in Loop: Header=BB354_4 Depth=1
	v_mad_nc_u64_u32 v[4:5], s24, s23, v[0:1]
	v_mov_b64_e32 v[10:11], 0
	v_mov_b64_e32 v[12:13], 0
	v_mov_b32_e32 v3, v20
	s_mov_b32 s35, 0
	s_delay_alu instid0(VALU_DEP_4)
	v_mad_u32 v5, s25, s23, v5
.LBB354_14:                             ;   Parent Loop BB354_4 Depth=1
                                        ; =>  This Inner Loop Header: Depth=2
	s_clause 0x7
	global_load_b128 v[28:31], v[4:5], off offset:-120
	global_load_b128 v[32:35], v[4:5], off offset:-104
	;; [unrolled: 1-line block ×8, first 2 shown]
	s_wait_xcnt 0x0
	v_add_nc_u64_e32 v[4:5], s[26:27], v[4:5]
	v_add_nc_u32_e32 v3, s33, v3
	s_delay_alu instid0(VALU_DEP_1)
	v_cmp_le_i32_e32 vcc_lo, s31, v3
	s_or_b32 s35, vcc_lo, s35
	s_wait_loadcnt 0x7
	v_add_f64_e32 v[12:13], v[12:13], v[28:29]
	v_add_f64_e32 v[10:11], v[10:11], v[30:31]
	s_wait_loadcnt 0x6
	s_delay_alu instid0(VALU_DEP_2) | instskip(NEXT) | instid1(VALU_DEP_2)
	v_add_f64_e32 v[12:13], v[12:13], v[32:33]
	v_add_f64_e32 v[10:11], v[10:11], v[34:35]
	s_wait_loadcnt 0x5
	s_delay_alu instid0(VALU_DEP_2) | instskip(NEXT) | instid1(VALU_DEP_2)
	;; [unrolled: 4-line block ×7, first 2 shown]
	v_add_f64_e32 v[12:13], v[12:13], v[56:57]
	v_add_f64_e32 v[10:11], v[10:11], v[58:59]
	s_and_not1_b32 exec_lo, exec_lo, s35
	s_cbranch_execnz .LBB354_14
; %bb.15:                               ;   in Loop: Header=BB354_4 Depth=1
	s_or_b32 exec_lo, exec_lo, s35
	s_delay_alu instid0(SALU_CYCLE_1)
	s_or_b32 exec_lo, exec_lo, s6
	s_and_saveexec_b32 s6, s1
	s_cbranch_execz .LBB354_6
.LBB354_16:                             ;   in Loop: Header=BB354_4 Depth=1
	s_mul_i32 s35, s30, s16
	s_mov_b32 s37, s17
	s_add_co_i32 s36, s35, s22
	s_delay_alu instid0(SALU_CYCLE_1) | instskip(NEXT) | instid1(SALU_CYCLE_1)
	s_mul_u64 s[36:37], s[36:37], s[18:19]
	s_lshl_b64 s[36:37], s[36:37], 4
	s_delay_alu instid0(SALU_CYCLE_1) | instskip(NEXT) | instid1(SALU_CYCLE_1)
	s_add_nc_u64 s[36:37], s[20:21], s[36:37]
	v_lshl_add_u64 v[4:5], v[14:15], 4, s[36:37]
	global_load_b128 v[28:31], v[4:5], off
	s_wait_loadcnt 0x0
	v_add_f64_e32 v[12:13], v[12:13], v[28:29]
	v_add_f64_e32 v[10:11], v[10:11], v[30:31]
	s_wait_xcnt 0x0
	s_or_b32 exec_lo, exec_lo, s6
	s_and_saveexec_b32 s6, s2
	s_cbranch_execnz .LBB354_7
	s_branch .LBB354_8
.LBB354_17:                             ;   in Loop: Header=BB354_4 Depth=1
	ds_load_b128 v[10:13], v21
	s_or_b32 exec_lo, exec_lo, s6
	s_and_saveexec_b32 s6, s2
	s_cbranch_execz .LBB354_12
.LBB354_18:                             ;   in Loop: Header=BB354_4 Depth=1
	s_wait_dscnt 0x0
	ds_bpermute_b32 v4, v24, v10
	ds_bpermute_b32 v5, v24, v11
	ds_bpermute_b32 v18, v24, v12
	ds_bpermute_b32 v19, v24, v13
	s_wait_dscnt 0x2
	v_add_f64_e32 v[4:5], v[10:11], v[4:5]
	s_wait_dscnt 0x0
	v_add_f64_e32 v[10:11], v[12:13], v[18:19]
	ds_bpermute_b32 v12, v25, v4
	ds_bpermute_b32 v13, v25, v5
	ds_bpermute_b32 v18, v25, v10
	ds_bpermute_b32 v19, v25, v11
	s_wait_dscnt 0x2
	v_add_f64_e32 v[4:5], v[4:5], v[12:13]
	s_wait_dscnt 0x0
	v_add_f64_e32 v[12:13], v[10:11], v[18:19]
	;; [unrolled: 8-line block ×3, first 2 shown]
	s_or_b32 exec_lo, exec_lo, s6
	s_and_saveexec_b32 s35, s5
	s_cbranch_execz .LBB354_3
.LBB354_19:                             ;   in Loop: Header=BB354_4 Depth=1
	v_cmp_neq_f64_e32 vcc_lo, 0, v[6:7]
	v_cmp_neq_f64_e64 s6, 0, v[8:9]
	v_add_nc_u64_e32 v[4:5], s[14:15], v[16:17]
	s_delay_alu instid0(VALU_DEP_1) | instskip(SKIP_1) | instid1(SALU_CYCLE_1)
	v_add_nc_u64_e32 v[4:5], s[28:29], v[4:5]
	s_or_b32 s6, vcc_lo, s6
	s_and_not1_b32 vcc_lo, exec_lo, s6
	s_cbranch_vccnz .LBB354_2
; %bb.20:                               ;   in Loop: Header=BB354_4 Depth=1
	flat_load_b128 v[16:19], v[4:5]
	s_wait_loadcnt_dscnt 0x0
	v_mul_f64_e32 v[28:29], v[8:9], v[18:19]
	v_mul_f64_e32 v[18:19], v[6:7], v[18:19]
	s_delay_alu instid0(VALU_DEP_2) | instskip(NEXT) | instid1(VALU_DEP_2)
	v_fma_f64 v[6:7], v[6:7], v[16:17], -v[28:29]
	v_fmac_f64_e32 v[18:19], v[8:9], v[16:17]
	s_delay_alu instid0(VALU_DEP_2) | instskip(NEXT) | instid1(VALU_DEP_2)
	v_add_f64_e32 v[10:11], v[10:11], v[6:7]
	v_add_f64_e32 v[12:13], v[12:13], v[18:19]
	s_branch .LBB354_2
.LBB354_21:
	s_endpgm
	.section	.rodata,"a",@progbits
	.p2align	6, 0x0
	.amdhsa_kernel _ZL23rocblas_gemvt_sn_reduceILi256ELi8E19rocblas_complex_numIdEPKS1_KPS1_EviT2_lPT3_lilPT1_i
		.amdhsa_group_segment_fixed_size 512
		.amdhsa_private_segment_fixed_size 0
		.amdhsa_kernarg_size 328
		.amdhsa_user_sgpr_count 2
		.amdhsa_user_sgpr_dispatch_ptr 0
		.amdhsa_user_sgpr_queue_ptr 0
		.amdhsa_user_sgpr_kernarg_segment_ptr 1
		.amdhsa_user_sgpr_dispatch_id 0
		.amdhsa_user_sgpr_kernarg_preload_length 0
		.amdhsa_user_sgpr_kernarg_preload_offset 0
		.amdhsa_user_sgpr_private_segment_size 0
		.amdhsa_wavefront_size32 1
		.amdhsa_uses_dynamic_stack 0
		.amdhsa_enable_private_segment 0
		.amdhsa_system_sgpr_workgroup_id_x 1
		.amdhsa_system_sgpr_workgroup_id_y 1
		.amdhsa_system_sgpr_workgroup_id_z 1
		.amdhsa_system_sgpr_workgroup_info 0
		.amdhsa_system_vgpr_workitem_id 0
		.amdhsa_next_free_vgpr 60
		.amdhsa_next_free_sgpr 38
		.amdhsa_named_barrier_count 0
		.amdhsa_reserve_vcc 1
		.amdhsa_float_round_mode_32 0
		.amdhsa_float_round_mode_16_64 0
		.amdhsa_float_denorm_mode_32 3
		.amdhsa_float_denorm_mode_16_64 3
		.amdhsa_fp16_overflow 0
		.amdhsa_memory_ordered 1
		.amdhsa_forward_progress 1
		.amdhsa_inst_pref_size 13
		.amdhsa_round_robin_scheduling 0
		.amdhsa_exception_fp_ieee_invalid_op 0
		.amdhsa_exception_fp_denorm_src 0
		.amdhsa_exception_fp_ieee_div_zero 0
		.amdhsa_exception_fp_ieee_overflow 0
		.amdhsa_exception_fp_ieee_underflow 0
		.amdhsa_exception_fp_ieee_inexact 0
		.amdhsa_exception_int_div_zero 0
	.end_amdhsa_kernel
	.section	.text._ZL23rocblas_gemvt_sn_reduceILi256ELi8E19rocblas_complex_numIdEPKS1_KPS1_EviT2_lPT3_lilPT1_i,"axG",@progbits,_ZL23rocblas_gemvt_sn_reduceILi256ELi8E19rocblas_complex_numIdEPKS1_KPS1_EviT2_lPT3_lilPT1_i,comdat
.Lfunc_end354:
	.size	_ZL23rocblas_gemvt_sn_reduceILi256ELi8E19rocblas_complex_numIdEPKS1_KPS1_EviT2_lPT3_lilPT1_i, .Lfunc_end354-_ZL23rocblas_gemvt_sn_reduceILi256ELi8E19rocblas_complex_numIdEPKS1_KPS1_EviT2_lPT3_lilPT1_i
                                        ; -- End function
	.set _ZL23rocblas_gemvt_sn_reduceILi256ELi8E19rocblas_complex_numIdEPKS1_KPS1_EviT2_lPT3_lilPT1_i.num_vgpr, 60
	.set _ZL23rocblas_gemvt_sn_reduceILi256ELi8E19rocblas_complex_numIdEPKS1_KPS1_EviT2_lPT3_lilPT1_i.num_agpr, 0
	.set _ZL23rocblas_gemvt_sn_reduceILi256ELi8E19rocblas_complex_numIdEPKS1_KPS1_EviT2_lPT3_lilPT1_i.numbered_sgpr, 38
	.set _ZL23rocblas_gemvt_sn_reduceILi256ELi8E19rocblas_complex_numIdEPKS1_KPS1_EviT2_lPT3_lilPT1_i.num_named_barrier, 0
	.set _ZL23rocblas_gemvt_sn_reduceILi256ELi8E19rocblas_complex_numIdEPKS1_KPS1_EviT2_lPT3_lilPT1_i.private_seg_size, 0
	.set _ZL23rocblas_gemvt_sn_reduceILi256ELi8E19rocblas_complex_numIdEPKS1_KPS1_EviT2_lPT3_lilPT1_i.uses_vcc, 1
	.set _ZL23rocblas_gemvt_sn_reduceILi256ELi8E19rocblas_complex_numIdEPKS1_KPS1_EviT2_lPT3_lilPT1_i.uses_flat_scratch, 0
	.set _ZL23rocblas_gemvt_sn_reduceILi256ELi8E19rocblas_complex_numIdEPKS1_KPS1_EviT2_lPT3_lilPT1_i.has_dyn_sized_stack, 0
	.set _ZL23rocblas_gemvt_sn_reduceILi256ELi8E19rocblas_complex_numIdEPKS1_KPS1_EviT2_lPT3_lilPT1_i.has_recursion, 0
	.set _ZL23rocblas_gemvt_sn_reduceILi256ELi8E19rocblas_complex_numIdEPKS1_KPS1_EviT2_lPT3_lilPT1_i.has_indirect_call, 0
	.section	.AMDGPU.csdata,"",@progbits
; Kernel info:
; codeLenInByte = 1608
; TotalNumSgprs: 40
; NumVgprs: 60
; ScratchSize: 0
; MemoryBound: 1
; FloatMode: 240
; IeeeMode: 1
; LDSByteSize: 512 bytes/workgroup (compile time only)
; SGPRBlocks: 0
; VGPRBlocks: 3
; NumSGPRsForWavesPerEU: 40
; NumVGPRsForWavesPerEU: 60
; NamedBarCnt: 0
; Occupancy: 16
; WaveLimiterHint : 1
; COMPUTE_PGM_RSRC2:SCRATCH_EN: 0
; COMPUTE_PGM_RSRC2:USER_SGPR: 2
; COMPUTE_PGM_RSRC2:TRAP_HANDLER: 0
; COMPUTE_PGM_RSRC2:TGID_X_EN: 1
; COMPUTE_PGM_RSRC2:TGID_Y_EN: 1
; COMPUTE_PGM_RSRC2:TGID_Z_EN: 1
; COMPUTE_PGM_RSRC2:TIDIG_COMP_CNT: 0
	.section	.text._ZL23rocblas_gemvt_sn_kernelILb0ELi256ELi4EiPK19rocblas_complex_numIdES1_S1_EviiT4_lPKT3_lilS7_lilPT5_i,"axG",@progbits,_ZL23rocblas_gemvt_sn_kernelILb0ELi256ELi4EiPK19rocblas_complex_numIdES1_S1_EviiT4_lPKT3_lilS7_lilPT5_i,comdat
	.globl	_ZL23rocblas_gemvt_sn_kernelILb0ELi256ELi4EiPK19rocblas_complex_numIdES1_S1_EviiT4_lPKT3_lilS7_lilPT5_i ; -- Begin function _ZL23rocblas_gemvt_sn_kernelILb0ELi256ELi4EiPK19rocblas_complex_numIdES1_S1_EviiT4_lPKT3_lilS7_lilPT5_i
	.p2align	8
	.type	_ZL23rocblas_gemvt_sn_kernelILb0ELi256ELi4EiPK19rocblas_complex_numIdES1_S1_EviiT4_lPKT3_lilS7_lilPT5_i,@function
_ZL23rocblas_gemvt_sn_kernelILb0ELi256ELi4EiPK19rocblas_complex_numIdES1_S1_EviiT4_lPKT3_lilS7_lilPT5_i: ; @_ZL23rocblas_gemvt_sn_kernelILb0ELi256ELi4EiPK19rocblas_complex_numIdES1_S1_EviiT4_lPKT3_lilS7_lilPT5_i
; %bb.0:
	s_load_b32 s33, s[0:1], 0x68
	s_bfe_u32 s2, ttmp6, 0x40014
	s_lshr_b32 s3, ttmp7, 16
	s_add_co_i32 s2, s2, 1
	s_bfe_u32 s5, ttmp6, 0x40008
	s_mul_i32 s2, s3, s2
	s_getreg_b32 s4, hwreg(HW_REG_IB_STS2, 6, 4)
	s_add_co_i32 s5, s5, s2
	s_cmp_eq_u32 s4, 0
	s_mov_b32 s25, 0
	s_cselect_b32 s10, s3, s5
	s_wait_kmcnt 0x0
	s_cmp_ge_u32 s10, s33
	s_cbranch_scc1 .LBB355_86
; %bb.1:
	s_clause 0x7
	s_load_b128 s[12:15], s[0:1], 0x8
	s_load_b64 s[26:27], s[0:1], 0x0
	s_load_b128 s[16:19], s[0:1], 0x20
	s_load_b32 s52, s[0:1], 0x30
	s_load_b128 s[20:23], s[0:1], 0x40
	s_load_b32 s53, s[0:1], 0x50
	s_load_b64 s[28:29], s[0:1], 0x60
	s_load_b32 s30, s[0:1], 0x70
	s_wait_xcnt 0x0
	v_cmp_eq_u32_e64 s0, 0, v0
	s_mov_b32 s31, s25
	v_dual_lshrrev_b32 v3, 1, v0 :: v_dual_bitop2_b32 v1, 31, v0 bitop3:0x40
	v_cmp_gt_u32_e64 s1, 32, v0
	v_cmp_gt_u32_e64 s2, 8, v0
	s_delay_alu instid0(VALU_DEP_3)
	v_dual_mov_b32 v2, 0 :: v_dual_lshlrev_b32 v49, 4, v1
	v_cmp_eq_u32_e64 s3, 0, v1
	v_and_b32_e32 v50, 0x70, v3
	v_mbcnt_lo_u32_b32 v48, -1, 0
	s_mov_b32 s35, s25
	s_mov_b32 s60, 16
	s_wait_kmcnt 0x0
	s_ashr_i32 s7, s27, 31
	s_mov_b32 s61, 32
	v_lshl_or_b32 v52, v48, 2, 64
	s_mov_b32 s62, 48
	s_mul_i32 s65, s52, 3
	v_cmp_neq_f64_e64 s5, s[12:13], 0
	v_cmp_neq_f64_e64 s6, s[14:15], 0
	s_or_b32 s5, s5, s6
	s_mov_b32 s6, s27
	s_xor_b32 s54, s5, -1
	s_cmp_gt_i32 s27, 0
	v_cndmask_b32_e64 v51, 0, 1, s5
	s_cselect_b32 s5, -1, 0
	s_bfe_u32 s8, ttmp6, 0x4000c
	s_mul_u64 s[36:37], s[6:7], s[30:31]
	s_add_co_i32 s8, s8, 1
	s_and_b32 s6, ttmp6, 15
	s_mul_i32 s8, ttmp9, s8
	s_and_b32 s55, s0, s5
	s_add_co_i32 s6, s6, s8
	s_cmp_eq_u32 s4, 0
	s_cselect_b32 s34, ttmp9, s6
	s_ashr_i32 s5, s26, 31
	s_lshl_b32 s6, s34, 10
	s_lshr_b32 s5, s5, 30
	v_lshl_or_b32 v0, v0, 2, s6
	s_add_co_i32 s5, s26, s5
	s_lshr_b32 s4, s7, 30
	s_and_b32 s5, s5, -4
	s_add_co_i32 s4, s27, s4
	v_mul_lo_u32 v22, s53, v0
	s_sub_co_i32 s57, s26, s5
	v_dual_ashrrev_i32 v1, 31, v0 :: v_dual_add_nc_u32 v3, 4, v0
	v_add_nc_u32_e32 v4, s57, v0
	s_and_b32 s56, s4, -4
	s_delay_alu instid0(VALU_DEP_2)
	v_lshlrev_b64_e32 v[26:27], 4, v[0:1]
	s_cmp_gt_i32 s56, 0
	v_cmp_ge_i32_e64 s5, s26, v3
	s_cselect_b32 s58, -1, 0
	v_add_nc_u32_e32 v24, s53, v22
	s_cmp_gt_i32 s57, 0
	v_cmp_ge_i32_e64 s4, s26, v4
	v_ashrrev_i32_e32 v23, 31, v22
	s_cselect_b32 s59, -1, 0
	v_add_nc_u32_e32 v28, s53, v24
	s_lshl_b64 s[38:39], s[34:35], 4
	s_or_b32 s63, 0, 8
	v_or_b32_e32 v26, 8, v26
	s_add_nc_u64 s[6:7], s[28:29], s[38:39]
	v_add_nc_u32_e32 v30, s53, v28
	v_ashrrev_i32_e32 v25, 31, v24
	v_ashrrev_i32_e32 v29, 31, v28
	s_lshl_b64 s[40:41], s[36:37], 4
	s_lshl_b64 s[42:43], s[30:31], 4
	v_ashrrev_i32_e32 v31, 31, v30
	s_lshl_b32 s35, s52, 2
	s_lshl_b32 s64, s52, 1
	s_add_nc_u64 s[44:45], s[6:7], 8
	s_and_b32 s26, s59, s4
	s_lshl_b64 s[18:19], s[18:19], 4
	s_lshl_b64 s[22:23], s[22:23], 4
	s_branch .LBB355_3
.LBB355_2:                              ;   in Loop: Header=BB355_3 Depth=1
	s_add_co_i32 s10, s10, 0x10000
	s_delay_alu instid0(SALU_CYCLE_1)
	s_cmp_lt_u32 s10, s33
	s_cbranch_scc0 .LBB355_86
.LBB355_3:                              ; =>This Loop Header: Depth=1
                                        ;     Child Loop BB355_13 Depth 2
                                        ;     Child Loop BB355_18 Depth 2
                                        ;       Child Loop BB355_49 Depth 3
                                        ;       Child Loop BB355_51 Depth 3
                                        ;     Child Loop BB355_67 Depth 2
                                        ;       Child Loop BB355_79 Depth 3
                                        ;       Child Loop BB355_81 Depth 3
	s_mov_b32 s11, s25
	s_and_not1_b32 vcc_lo, exec_lo, s54
	s_mov_b32 s6, -1
	s_cbranch_vccz .LBB355_8
; %bb.4:                                ;   in Loop: Header=BB355_3 Depth=1
	v_mov_b64_e32 v[32:33], 0
	s_wait_dscnt 0x0
	v_mov_b64_e32 v[6:7], 0
	s_and_not1_b32 vcc_lo, exec_lo, s6
	s_cbranch_vccz .LBB355_9
.LBB355_5:                              ;   in Loop: Header=BB355_3 Depth=1
	v_cmp_ne_u32_e32 vcc_lo, 1, v51
	s_cbranch_vccz .LBB355_10
.LBB355_6:                              ;   in Loop: Header=BB355_3 Depth=1
	s_and_not1_b32 vcc_lo, exec_lo, s54
	s_wait_xcnt 0x0
	s_mov_b32 s6, -1
	s_cbranch_vccz .LBB355_11
.LBB355_7:                              ;   in Loop: Header=BB355_3 Depth=1
	s_and_not1_b32 vcc_lo, exec_lo, s6
	s_cbranch_vccnz .LBB355_2
	s_branch .LBB355_15
.LBB355_8:                              ;   in Loop: Header=BB355_3 Depth=1
	v_mov_b64_e32 v[32:33], 0
	s_wait_dscnt 0x0
	v_mov_b64_e32 v[6:7], 0
	s_cbranch_execnz .LBB355_5
.LBB355_9:                              ;   in Loop: Header=BB355_3 Depth=1
	s_lshl_b64 s[6:7], s[10:11], 3
	s_delay_alu instid0(SALU_CYCLE_1)
	s_add_nc_u64 s[6:7], s[16:17], s[6:7]
	global_load_b64 v[4:5], v2, s[6:7]
	s_wait_loadcnt 0x0
	v_add_nc_u64_e32 v[6:7], s[18:19], v[4:5]
	v_cmp_ne_u32_e32 vcc_lo, 1, v51
	s_cbranch_vccnz .LBB355_6
.LBB355_10:                             ;   in Loop: Header=BB355_3 Depth=1
	s_wait_xcnt 0x0
	s_lshl_b64 s[6:7], s[10:11], 3
	s_delay_alu instid0(SALU_CYCLE_1)
	s_add_nc_u64 s[6:7], s[20:21], s[6:7]
	global_load_b64 v[4:5], v2, s[6:7]
	s_wait_loadcnt 0x0
	v_add_nc_u64_e32 v[32:33], s[22:23], v[4:5]
	s_and_not1_b32 vcc_lo, exec_lo, s54
	s_wait_xcnt 0x0
	s_mov_b32 s6, -1
	s_cbranch_vccnz .LBB355_7
.LBB355_11:                             ;   in Loop: Header=BB355_3 Depth=1
	s_and_saveexec_b32 s8, s55
	s_cbranch_execz .LBB355_14
; %bb.12:                               ;   in Loop: Header=BB355_3 Depth=1
	s_mul_u64 s[6:7], s[40:41], s[10:11]
	s_mov_b32 s9, s27
	s_add_nc_u64 s[6:7], s[44:45], s[6:7]
.LBB355_13:                             ;   Parent Loop BB355_3 Depth=1
                                        ; =>  This Inner Loop Header: Depth=2
	v_dual_mov_b32 v3, v2 :: v_dual_mov_b32 v4, v2
	v_mov_b32_e32 v5, v2
	s_add_co_i32 s9, s9, -1
	s_delay_alu instid0(SALU_CYCLE_1)
	s_cmp_eq_u32 s9, 0
	global_store_b128 v2, v[2:5], s[6:7] offset:-8
	s_wait_xcnt 0x0
	s_add_nc_u64 s[6:7], s[6:7], s[42:43]
	s_cbranch_scc0 .LBB355_13
.LBB355_14:                             ;   in Loop: Header=BB355_3 Depth=1
	s_or_b32 exec_lo, exec_lo, s8
	s_cbranch_execnz .LBB355_2
.LBB355_15:                             ;   in Loop: Header=BB355_3 Depth=1
	v_add_nc_u64_e32 v[44:45], v[6:7], v[26:27]
	s_mul_u64 s[46:47], s[36:37], s[10:11]
	v_lshl_add_u64 v[34:35], v[0:1], 4, v[6:7]
	v_lshl_add_u64 v[36:37], v[22:23], 4, v[32:33]
	;; [unrolled: 1-line block ×5, first 2 shown]
	v_cmp_gt_u32_e64 s9, 24, v48
	v_cmp_gt_u32_e64 s8, 28, v48
	;; [unrolled: 1-line block ×3, first 2 shown]
	v_cmp_ne_u32_e64 s6, 31, v48
	s_lshl_b64 s[46:47], s[46:47], 4
	s_and_not1_b32 vcc_lo, exec_lo, s58
	s_add_nc_u64 s[46:47], s[28:29], s[46:47]
	s_cbranch_vccnz .LBB355_63
; %bb.16:                               ;   in Loop: Header=BB355_3 Depth=1
	v_cndmask_b32_e64 v3, 0, 8, s9
	v_cndmask_b32_e64 v4, 0, 4, s8
	;; [unrolled: 1-line block ×3, first 2 shown]
	v_add_co_ci_u32_e64 v6, null, 0, v48, s6
	s_delay_alu instid0(VALU_DEP_4) | instskip(NEXT) | instid1(VALU_DEP_4)
	v_add_lshl_u32 v53, v3, v48, 2
	v_add_lshl_u32 v54, v4, v48, 2
	s_delay_alu instid0(VALU_DEP_4) | instskip(NEXT) | instid1(VALU_DEP_4)
	v_add_lshl_u32 v55, v5, v48, 2
	v_lshlrev_b32_e32 v56, 2, v6
	s_mov_b32 s6, 0
	s_mov_b32 s11, s65
	;; [unrolled: 1-line block ×5, first 2 shown]
	s_branch .LBB355_18
.LBB355_17:                             ;   in Loop: Header=BB355_18 Depth=2
	s_wait_xcnt 0x0
	s_or_b32 exec_lo, exec_lo, s7
	s_add_co_i32 s24, s24, 4
	s_add_co_i32 s67, s67, s35
	;; [unrolled: 1-line block ×5, first 2 shown]
	s_cmp_ge_i32 s24, s56
	s_cbranch_scc1 .LBB355_64
.LBB355_18:                             ;   Parent Loop BB355_3 Depth=1
                                        ; =>  This Loop Header: Depth=2
                                        ;       Child Loop BB355_49 Depth 3
                                        ;       Child Loop BB355_51 Depth 3
                                        ; implicit-def: $vgpr18_vgpr19
                                        ; implicit-def: $vgpr20_vgpr21
                                        ; implicit-def: $vgpr14_vgpr15
                                        ; implicit-def: $vgpr16_vgpr17
                                        ; implicit-def: $vgpr10_vgpr11
                                        ; implicit-def: $vgpr12_vgpr13
                                        ; implicit-def: $vgpr8_vgpr9
                                        ; implicit-def: $vgpr6_vgpr7
	s_and_saveexec_b32 s7, s5
	s_delay_alu instid0(SALU_CYCLE_1)
	s_xor_b32 s7, exec_lo, s7
	s_cbranch_execnz .LBB355_45
; %bb.19:                               ;   in Loop: Header=BB355_18 Depth=2
	s_and_not1_saveexec_b32 s68, s7
	s_cbranch_execnz .LBB355_46
.LBB355_20:                             ;   in Loop: Header=BB355_18 Depth=2
	s_or_b32 exec_lo, exec_lo, s68
	s_and_saveexec_b32 s7, s1
.LBB355_21:                             ;   in Loop: Header=BB355_18 Depth=2
	v_dual_mov_b32 v3, v2 :: v_dual_mov_b32 v4, v2
	v_mov_b32_e32 v5, v2
	ds_store_b128 v49, v[2:5]
.LBB355_22:                             ;   in Loop: Header=BB355_18 Depth=2
	s_or_b32 exec_lo, exec_lo, s7
	ds_bpermute_b32 v4, v52, v8
	ds_bpermute_b32 v5, v52, v9
	;; [unrolled: 1-line block ×4, first 2 shown]
	s_wait_storecnt_dscnt 0x0
	s_barrier_signal -1
	s_barrier_wait -1
	v_add_f64_e32 v[4:5], v[8:9], v[4:5]
	v_add_f64_e32 v[6:7], v[6:7], v[46:47]
	ds_bpermute_b32 v8, v53, v4
	ds_bpermute_b32 v9, v53, v5
	ds_bpermute_b32 v46, v53, v6
	ds_bpermute_b32 v47, v53, v7
	s_wait_dscnt 0x2
	v_add_f64_e32 v[4:5], v[4:5], v[8:9]
	s_wait_dscnt 0x0
	v_add_f64_e32 v[6:7], v[6:7], v[46:47]
	ds_bpermute_b32 v8, v54, v4
	ds_bpermute_b32 v9, v54, v5
	ds_bpermute_b32 v46, v54, v6
	ds_bpermute_b32 v47, v54, v7
	s_wait_dscnt 0x2
	v_add_f64_e32 v[4:5], v[4:5], v[8:9]
	s_wait_dscnt 0x0
	;; [unrolled: 8-line block ×3, first 2 shown]
	v_add_f64_e32 v[8:9], v[6:7], v[46:47]
	ds_bpermute_b32 v6, v56, v4
	ds_bpermute_b32 v7, v56, v5
	;; [unrolled: 1-line block ×4, first 2 shown]
	s_and_saveexec_b32 s7, s3
	s_cbranch_execz .LBB355_24
; %bb.23:                               ;   in Loop: Header=BB355_18 Depth=2
	s_wait_dscnt 0x0
	v_add_f64_e32 v[8:9], v[8:9], v[46:47]
	v_add_f64_e32 v[6:7], v[4:5], v[6:7]
	ds_store_b128 v50, v[6:9]
.LBB355_24:                             ;   in Loop: Header=BB355_18 Depth=2
	s_or_b32 exec_lo, exec_lo, s7
	v_mov_b64_e32 v[8:9], 0
	s_wait_dscnt 0x2
	v_mov_b64_e32 v[6:7], 0
	s_wait_dscnt 0x0
	s_barrier_signal -1
	s_barrier_wait -1
	s_and_saveexec_b32 s7, s2
	s_cbranch_execnz .LBB355_52
; %bb.25:                               ;   in Loop: Header=BB355_18 Depth=2
	s_or_b32 exec_lo, exec_lo, s7
	s_and_saveexec_b32 s7, s1
	s_cbranch_execnz .LBB355_53
.LBB355_26:                             ;   in Loop: Header=BB355_18 Depth=2
	s_or_b32 exec_lo, exec_lo, s7
	s_and_saveexec_b32 s7, s1
.LBB355_27:                             ;   in Loop: Header=BB355_18 Depth=2
	v_dual_mov_b32 v3, v2 :: v_dual_mov_b32 v4, v2
	v_mov_b32_e32 v5, v2
	ds_store_b128 v49, v[2:5]
.LBB355_28:                             ;   in Loop: Header=BB355_18 Depth=2
	s_or_b32 exec_lo, exec_lo, s7
	ds_bpermute_b32 v4, v52, v10
	ds_bpermute_b32 v5, v52, v11
	ds_bpermute_b32 v46, v52, v12
	ds_bpermute_b32 v47, v52, v13
	s_wait_dscnt 0x0
	s_barrier_signal -1
	s_barrier_wait -1
	v_add_f64_e32 v[4:5], v[10:11], v[4:5]
	v_add_f64_e32 v[10:11], v[12:13], v[46:47]
	ds_bpermute_b32 v12, v53, v4
	ds_bpermute_b32 v13, v53, v5
	ds_bpermute_b32 v46, v53, v10
	ds_bpermute_b32 v47, v53, v11
	s_wait_dscnt 0x2
	v_add_f64_e32 v[4:5], v[4:5], v[12:13]
	s_wait_dscnt 0x0
	v_add_f64_e32 v[10:11], v[10:11], v[46:47]
	ds_bpermute_b32 v12, v54, v4
	ds_bpermute_b32 v13, v54, v5
	ds_bpermute_b32 v46, v54, v10
	ds_bpermute_b32 v47, v54, v11
	s_wait_dscnt 0x2
	v_add_f64_e32 v[4:5], v[4:5], v[12:13]
	s_wait_dscnt 0x0
	;; [unrolled: 8-line block ×3, first 2 shown]
	v_add_f64_e32 v[12:13], v[10:11], v[46:47]
	ds_bpermute_b32 v10, v56, v4
	ds_bpermute_b32 v11, v56, v5
	;; [unrolled: 1-line block ×4, first 2 shown]
	s_and_saveexec_b32 s7, s3
	s_cbranch_execz .LBB355_30
; %bb.29:                               ;   in Loop: Header=BB355_18 Depth=2
	s_wait_dscnt 0x0
	v_add_f64_e32 v[12:13], v[12:13], v[46:47]
	v_add_f64_e32 v[10:11], v[4:5], v[10:11]
	ds_store_b128 v50, v[10:13]
.LBB355_30:                             ;   in Loop: Header=BB355_18 Depth=2
	s_or_b32 exec_lo, exec_lo, s7
	v_mov_b64_e32 v[12:13], 0
	s_wait_dscnt 0x2
	v_mov_b64_e32 v[10:11], 0
	s_wait_dscnt 0x0
	s_barrier_signal -1
	s_barrier_wait -1
	s_and_saveexec_b32 s7, s2
	s_cbranch_execnz .LBB355_54
; %bb.31:                               ;   in Loop: Header=BB355_18 Depth=2
	s_or_b32 exec_lo, exec_lo, s7
	s_and_saveexec_b32 s7, s1
	s_cbranch_execnz .LBB355_55
.LBB355_32:                             ;   in Loop: Header=BB355_18 Depth=2
	s_or_b32 exec_lo, exec_lo, s7
	s_and_saveexec_b32 s7, s1
.LBB355_33:                             ;   in Loop: Header=BB355_18 Depth=2
	v_dual_mov_b32 v3, v2 :: v_dual_mov_b32 v4, v2
	v_mov_b32_e32 v5, v2
	ds_store_b128 v49, v[2:5]
.LBB355_34:                             ;   in Loop: Header=BB355_18 Depth=2
	s_or_b32 exec_lo, exec_lo, s7
	ds_bpermute_b32 v4, v52, v14
	ds_bpermute_b32 v5, v52, v15
	;; [unrolled: 1-line block ×4, first 2 shown]
	s_wait_dscnt 0x0
	s_barrier_signal -1
	s_barrier_wait -1
	v_add_f64_e32 v[4:5], v[14:15], v[4:5]
	v_add_f64_e32 v[14:15], v[16:17], v[46:47]
	ds_bpermute_b32 v16, v53, v4
	ds_bpermute_b32 v17, v53, v5
	ds_bpermute_b32 v46, v53, v14
	ds_bpermute_b32 v47, v53, v15
	s_wait_dscnt 0x2
	v_add_f64_e32 v[4:5], v[4:5], v[16:17]
	s_wait_dscnt 0x0
	v_add_f64_e32 v[14:15], v[14:15], v[46:47]
	ds_bpermute_b32 v16, v54, v4
	ds_bpermute_b32 v17, v54, v5
	ds_bpermute_b32 v46, v54, v14
	ds_bpermute_b32 v47, v54, v15
	s_wait_dscnt 0x2
	v_add_f64_e32 v[4:5], v[4:5], v[16:17]
	s_wait_dscnt 0x0
	;; [unrolled: 8-line block ×3, first 2 shown]
	v_add_f64_e32 v[16:17], v[14:15], v[46:47]
	ds_bpermute_b32 v14, v56, v4
	ds_bpermute_b32 v15, v56, v5
	;; [unrolled: 1-line block ×4, first 2 shown]
	s_and_saveexec_b32 s7, s3
	s_cbranch_execz .LBB355_36
; %bb.35:                               ;   in Loop: Header=BB355_18 Depth=2
	s_wait_dscnt 0x0
	v_add_f64_e32 v[16:17], v[16:17], v[46:47]
	v_add_f64_e32 v[14:15], v[4:5], v[14:15]
	ds_store_b128 v50, v[14:17]
.LBB355_36:                             ;   in Loop: Header=BB355_18 Depth=2
	s_or_b32 exec_lo, exec_lo, s7
	v_mov_b64_e32 v[16:17], 0
	s_wait_dscnt 0x2
	v_mov_b64_e32 v[14:15], 0
	s_wait_dscnt 0x0
	s_barrier_signal -1
	s_barrier_wait -1
	s_and_saveexec_b32 s7, s2
	s_cbranch_execnz .LBB355_56
; %bb.37:                               ;   in Loop: Header=BB355_18 Depth=2
	s_or_b32 exec_lo, exec_lo, s7
	s_and_saveexec_b32 s7, s1
	s_cbranch_execnz .LBB355_57
.LBB355_38:                             ;   in Loop: Header=BB355_18 Depth=2
	s_or_b32 exec_lo, exec_lo, s7
	s_and_saveexec_b32 s7, s1
.LBB355_39:                             ;   in Loop: Header=BB355_18 Depth=2
	v_dual_mov_b32 v3, v2 :: v_dual_mov_b32 v4, v2
	v_mov_b32_e32 v5, v2
	ds_store_b128 v49, v[2:5]
.LBB355_40:                             ;   in Loop: Header=BB355_18 Depth=2
	s_or_b32 exec_lo, exec_lo, s7
	ds_bpermute_b32 v4, v52, v18
	ds_bpermute_b32 v5, v52, v19
	;; [unrolled: 1-line block ×4, first 2 shown]
	s_wait_dscnt 0x0
	s_barrier_signal -1
	s_barrier_wait -1
	v_add_f64_e32 v[4:5], v[18:19], v[4:5]
	v_add_f64_e32 v[18:19], v[20:21], v[46:47]
	ds_bpermute_b32 v20, v53, v4
	ds_bpermute_b32 v21, v53, v5
	ds_bpermute_b32 v46, v53, v18
	ds_bpermute_b32 v47, v53, v19
	s_wait_dscnt 0x2
	v_add_f64_e32 v[4:5], v[4:5], v[20:21]
	s_wait_dscnt 0x0
	v_add_f64_e32 v[18:19], v[18:19], v[46:47]
	ds_bpermute_b32 v20, v54, v4
	ds_bpermute_b32 v21, v54, v5
	ds_bpermute_b32 v46, v54, v18
	ds_bpermute_b32 v47, v54, v19
	s_wait_dscnt 0x2
	v_add_f64_e32 v[4:5], v[4:5], v[20:21]
	s_wait_dscnt 0x0
	;; [unrolled: 8-line block ×3, first 2 shown]
	v_add_f64_e32 v[20:21], v[18:19], v[46:47]
	ds_bpermute_b32 v18, v56, v4
	ds_bpermute_b32 v19, v56, v5
	;; [unrolled: 1-line block ×4, first 2 shown]
	s_and_saveexec_b32 s7, s3
	s_cbranch_execz .LBB355_42
; %bb.41:                               ;   in Loop: Header=BB355_18 Depth=2
	s_wait_dscnt 0x0
	v_add_f64_e32 v[20:21], v[20:21], v[46:47]
	v_add_f64_e32 v[18:19], v[4:5], v[18:19]
	ds_store_b128 v50, v[18:21]
.LBB355_42:                             ;   in Loop: Header=BB355_18 Depth=2
	s_or_b32 exec_lo, exec_lo, s7
	v_mov_b64_e32 v[20:21], 0
	s_wait_dscnt 0x2
	v_mov_b64_e32 v[18:19], 0
	s_wait_dscnt 0x0
	s_barrier_signal -1
	s_barrier_wait -1
	s_and_saveexec_b32 s7, s2
	s_cbranch_execnz .LBB355_58
; %bb.43:                               ;   in Loop: Header=BB355_18 Depth=2
	s_or_b32 exec_lo, exec_lo, s7
	s_and_saveexec_b32 s7, s1
	s_cbranch_execnz .LBB355_59
.LBB355_44:                             ;   in Loop: Header=BB355_18 Depth=2
	s_or_b32 exec_lo, exec_lo, s7
	s_and_saveexec_b32 s7, s0
	s_cbranch_execz .LBB355_17
	s_branch .LBB355_60
.LBB355_45:                             ;   in Loop: Header=BB355_18 Depth=2
	s_clause 0x2
	flat_load_b128 v[4:7], v[38:39]
	flat_load_b128 v[8:11], v[40:41]
	;; [unrolled: 1-line block ×3, first 2 shown]
	s_mul_i32 s8, s24, s52
	flat_load_b128 v[58:61], v[36:37]
	s_ashr_i32 s9, s8, 31
	s_add_co_i32 s48, s8, s52
	s_wait_dscnt 0x4
	v_lshl_add_u64 v[20:21], s[8:9], 4, v[34:35]
	s_ashr_i32 s49, s48, 31
	s_add_co_i32 s8, s48, s52
	v_lshl_add_u64 v[46:47], s[48:49], 4, v[34:35]
	s_add_co_i32 s48, s8, s52
	s_ashr_i32 s9, s8, 31
	s_ashr_i32 s49, s48, 31
	v_lshl_add_u64 v[114:115], s[8:9], 4, v[34:35]
	v_lshl_add_u64 v[118:119], s[48:49], 4, v[34:35]
	s_clause 0x4
	flat_load_b128 v[16:19], v[20:21]
	flat_load_b128 v[62:65], v[46:47]
	;; [unrolled: 1-line block ×4, first 2 shown]
	flat_load_b128 v[74:77], v[20:21] offset:16
	s_wait_loadcnt_dscnt 0x808
	scratch_store_b128 off, v[4:7], s60
	scratch_load_b128 v[4:7], off, off offset:16
	s_clause 0x3
	flat_load_b128 v[78:81], v[46:47] offset:16
	flat_load_b128 v[82:85], v[114:115] offset:16
	flat_load_b128 v[86:89], v[118:119] offset:16
	flat_load_b128 v[90:93], v[20:21] offset:32
	s_wait_loadcnt_dscnt 0xc0b
	scratch_store_b128 off, v[8:11], s61
	scratch_load_b128 v[8:11], off, off offset:32
	s_clause 0x3
	flat_load_b128 v[94:97], v[46:47] offset:32
	flat_load_b128 v[98:101], v[114:115] offset:32
	flat_load_b128 v[102:105], v[118:119] offset:32
	;; [unrolled: 8-line block ×3, first 2 shown]
	s_wait_loadcnt_dscnt 0x1310
	scratch_store_b128 off, v[58:61], off
	s_wait_loadcnt_dscnt 0x110e
	s_wait_xcnt 0x3
	v_mul_f64_e32 v[46:47], v[60:61], v[64:65]
	v_mul_f64_e32 v[20:21], v[60:61], v[18:19]
	;; [unrolled: 1-line block ×4, first 2 shown]
	s_wait_loadcnt_dscnt 0x100d
	v_mul_f64_e32 v[122:123], v[60:61], v[68:69]
	v_mul_f64_e32 v[68:69], v[58:59], v[68:69]
	s_wait_loadcnt_dscnt 0xf0c
	v_mul_f64_e32 v[124:125], v[60:61], v[72:73]
	v_mul_f64_e32 v[72:73], v[58:59], v[72:73]
	v_fma_f64 v[20:21], v[58:59], v[16:17], -v[20:21]
	v_fmac_f64_e32 v[18:19], v[60:61], v[16:17]
	v_fma_f64 v[16:17], v[58:59], v[62:63], -v[46:47]
	v_fmac_f64_e32 v[64:65], v[60:61], v[62:63]
	;; [unrolled: 2-line block ×4, first 2 shown]
	v_add_f64_e32 v[20:21], 0, v[20:21]
	v_add_f64_e32 v[18:19], 0, v[18:19]
	;; [unrolled: 1-line block ×8, first 2 shown]
	s_wait_loadcnt_dscnt 0xd0b
	v_mul_f64_e32 v[66:67], v[6:7], v[76:77]
	v_mul_f64_e32 v[70:71], v[4:5], v[76:77]
	s_wait_loadcnt_dscnt 0xc0a
	v_mul_f64_e32 v[76:77], v[6:7], v[80:81]
	v_mul_f64_e32 v[80:81], v[4:5], v[80:81]
	;; [unrolled: 3-line block ×8, first 2 shown]
	v_fma_f64 v[66:67], v[4:5], v[74:75], -v[66:67]
	v_fmac_f64_e32 v[70:71], v[6:7], v[74:75]
	v_fma_f64 v[74:75], v[4:5], v[78:79], -v[76:77]
	v_fmac_f64_e32 v[80:81], v[6:7], v[78:79]
	;; [unrolled: 2-line block ×4, first 2 shown]
	s_wait_loadcnt_dscnt 0x303
	v_mul_f64_e32 v[6:7], v[14:15], v[108:109]
	v_mul_f64_e32 v[78:79], v[12:13], v[108:109]
	s_wait_loadcnt_dscnt 0x202
	v_mul_f64_e32 v[82:83], v[14:15], v[112:113]
	v_mul_f64_e32 v[86:87], v[12:13], v[112:113]
	;; [unrolled: 3-line block ×4, first 2 shown]
	v_fma_f64 v[122:123], v[8:9], v[90:91], -v[126:127]
	v_fmac_f64_e32 v[92:93], v[10:11], v[90:91]
	v_fma_f64 v[90:91], v[8:9], v[94:95], -v[128:129]
	v_fmac_f64_e32 v[96:97], v[10:11], v[94:95]
	;; [unrolled: 2-line block ×4, first 2 shown]
	v_add_f64_e32 v[10:11], v[20:21], v[66:67]
	v_add_f64_e32 v[18:19], v[18:19], v[70:71]
	;; [unrolled: 1-line block ×8, first 2 shown]
	v_fma_f64 v[6:7], v[12:13], v[106:107], -v[6:7]
	v_fmac_f64_e32 v[78:79], v[14:15], v[106:107]
	v_fma_f64 v[66:67], v[12:13], v[110:111], -v[82:83]
	v_fmac_f64_e32 v[86:87], v[14:15], v[110:111]
	;; [unrolled: 2-line block ×4, first 2 shown]
	v_add_f64_e32 v[10:11], v[10:11], v[122:123]
	v_add_f64_e32 v[12:13], v[18:19], v[92:93]
	;; [unrolled: 1-line block ×16, first 2 shown]
	s_wait_xcnt 0x0
	s_and_not1_saveexec_b32 s68, s7
	s_cbranch_execz .LBB355_20
.LBB355_46:                             ;   in Loop: Header=BB355_18 Depth=2
	s_wait_dscnt 0x0
	v_mov_b64_e32 v[18:19], 0
	v_mov_b64_e32 v[20:21], 0
	v_mov_b64_e32 v[14:15], 0
	v_mov_b64_e32 v[16:17], 0
	v_mov_b64_e32 v[10:11], 0
	v_mov_b64_e32 v[12:13], 0
	v_mov_b64_e32 v[8:9], 0
	v_mov_b64_e32 v[6:7], 0
	s_and_saveexec_b32 s69, s4
	s_cbranch_execz .LBB355_62
; %bb.47:                               ;   in Loop: Header=BB355_18 Depth=2
	s_and_not1_b32 vcc_lo, exec_lo, s59
	s_cbranch_vccnz .LBB355_61
; %bb.48:                               ;   in Loop: Header=BB355_18 Depth=2
	v_mov_b32_e32 v3, v22
	s_mov_b32 s7, 0
	s_mov_b32 s8, s57
.LBB355_49:                             ;   Parent Loop BB355_3 Depth=1
                                        ;     Parent Loop BB355_18 Depth=2
                                        ; =>    This Inner Loop Header: Depth=3
	v_readfirstlane_b32 s48, v32
	v_readfirstlane_b32 s49, v33
	s_add_co_i32 s8, s8, -1
	flat_load_b128 v[4:7], v3, s[48:49] scale_offset
	s_wait_xcnt 0x0
	v_add_nc_u32_e32 v3, s53, v3
	s_wait_loadcnt_dscnt 0x0
	scratch_store_b128 off, v[4:7], s7
	s_wait_xcnt 0x0
	s_add_co_i32 s7, s7, 16
	s_cmp_eq_u32 s8, 0
	s_cbranch_scc0 .LBB355_49
; %bb.50:                               ;   in Loop: Header=BB355_18 Depth=2
	s_ashr_i32 s7, s6, 31
	v_mov_b64_e32 v[6:7], 0
	v_mov_b64_e32 v[8:9], 0
	;; [unrolled: 1-line block ×8, first 2 shown]
	v_lshl_add_u64 v[4:5], s[6:7], 4, v[44:45]
	s_mov_b32 s7, s63
	s_mov_b32 s8, s11
	;; [unrolled: 1-line block ×5, first 2 shown]
.LBB355_51:                             ;   Parent Loop BB355_3 Depth=1
                                        ;     Parent Loop BB355_18 Depth=2
                                        ; =>    This Inner Loop Header: Depth=3
	s_ashr_i32 s51, s50, 31
	s_ashr_i32 s49, s48, 31
	;; [unrolled: 1-line block ×3, first 2 shown]
	v_lshl_add_u64 v[46:47], s[50:51], 4, v[34:35]
	s_wait_xcnt 0x1
	v_lshl_add_u64 v[70:71], s[48:49], 4, v[34:35]
	s_wait_xcnt 0x0
	v_lshl_add_u64 v[74:75], s[8:9], 4, v[34:35]
	scratch_load_b128 v[58:61], off, s7 offset:-8
	flat_load_b128 v[62:65], v[4:5] offset:-8
	s_clause 0x2
	flat_load_b128 v[66:69], v[46:47]
	flat_load_b128 v[70:73], v[70:71]
	flat_load_b128 v[74:77], v[74:75]
	s_wait_xcnt 0x3
	v_add_nc_u64_e32 v[4:5], 16, v[4:5]
	s_add_co_i32 s70, s70, -1
	s_add_co_i32 s7, s7, 16
	s_add_co_i32 s50, s50, 1
	;; [unrolled: 1-line block ×4, first 2 shown]
	s_cmp_lg_u32 s70, 0
	s_wait_loadcnt_dscnt 0x303
	s_wait_xcnt 0x2
	v_mul_f64_e32 v[46:47], v[60:61], v[64:65]
	v_mul_f64_e32 v[64:65], v[58:59], v[64:65]
	s_wait_loadcnt_dscnt 0x202
	v_mul_f64_e32 v[78:79], v[60:61], v[68:69]
	v_mul_f64_e32 v[68:69], v[58:59], v[68:69]
	s_wait_loadcnt_dscnt 0x101
	;; [unrolled: 3-line block ×3, first 2 shown]
	v_mul_f64_e32 v[82:83], v[60:61], v[76:77]
	v_mul_f64_e32 v[76:77], v[58:59], v[76:77]
	v_fma_f64 v[46:47], v[58:59], v[62:63], -v[46:47]
	v_fmac_f64_e32 v[64:65], v[60:61], v[62:63]
	v_fma_f64 v[62:63], v[58:59], v[66:67], -v[78:79]
	v_fmac_f64_e32 v[68:69], v[60:61], v[66:67]
	v_fma_f64 v[66:67], v[58:59], v[70:71], -v[80:81]
	v_fmac_f64_e32 v[72:73], v[60:61], v[70:71]
	v_fma_f64 v[58:59], v[58:59], v[74:75], -v[82:83]
	v_fmac_f64_e32 v[76:77], v[60:61], v[74:75]
	v_add_f64_e32 v[8:9], v[8:9], v[46:47]
	v_add_f64_e32 v[6:7], v[6:7], v[64:65]
	;; [unrolled: 1-line block ×8, first 2 shown]
	s_cbranch_scc1 .LBB355_51
	s_branch .LBB355_62
.LBB355_52:                             ;   in Loop: Header=BB355_18 Depth=2
	ds_load_b128 v[6:9], v49
	s_or_b32 exec_lo, exec_lo, s7
	s_and_saveexec_b32 s7, s1
	s_cbranch_execz .LBB355_26
.LBB355_53:                             ;   in Loop: Header=BB355_18 Depth=2
	s_wait_dscnt 0x0
	ds_bpermute_b32 v4, v54, v6
	ds_bpermute_b32 v5, v54, v7
	ds_bpermute_b32 v46, v54, v8
	ds_bpermute_b32 v47, v54, v9
	s_wait_dscnt 0x2
	v_add_f64_e32 v[4:5], v[6:7], v[4:5]
	s_wait_dscnt 0x0
	v_add_f64_e32 v[6:7], v[8:9], v[46:47]
	ds_bpermute_b32 v8, v55, v4
	ds_bpermute_b32 v9, v55, v5
	ds_bpermute_b32 v46, v55, v6
	ds_bpermute_b32 v47, v55, v7
	s_wait_dscnt 0x2
	v_add_f64_e32 v[4:5], v[4:5], v[8:9]
	s_wait_dscnt 0x0
	v_add_f64_e32 v[8:9], v[6:7], v[46:47]
	;; [unrolled: 8-line block ×3, first 2 shown]
	s_or_b32 exec_lo, exec_lo, s7
	s_and_saveexec_b32 s7, s1
	s_cbranch_execnz .LBB355_27
	s_branch .LBB355_28
.LBB355_54:                             ;   in Loop: Header=BB355_18 Depth=2
	ds_load_b128 v[10:13], v49
	s_or_b32 exec_lo, exec_lo, s7
	s_and_saveexec_b32 s7, s1
	s_cbranch_execz .LBB355_32
.LBB355_55:                             ;   in Loop: Header=BB355_18 Depth=2
	s_wait_dscnt 0x0
	ds_bpermute_b32 v4, v54, v10
	ds_bpermute_b32 v5, v54, v11
	ds_bpermute_b32 v46, v54, v12
	ds_bpermute_b32 v47, v54, v13
	s_wait_dscnt 0x2
	v_add_f64_e32 v[4:5], v[10:11], v[4:5]
	s_wait_dscnt 0x0
	v_add_f64_e32 v[10:11], v[12:13], v[46:47]
	ds_bpermute_b32 v12, v55, v4
	ds_bpermute_b32 v13, v55, v5
	ds_bpermute_b32 v46, v55, v10
	ds_bpermute_b32 v47, v55, v11
	s_wait_dscnt 0x2
	v_add_f64_e32 v[4:5], v[4:5], v[12:13]
	s_wait_dscnt 0x0
	v_add_f64_e32 v[12:13], v[10:11], v[46:47]
	;; [unrolled: 8-line block ×3, first 2 shown]
	s_or_b32 exec_lo, exec_lo, s7
	s_and_saveexec_b32 s7, s1
	s_cbranch_execnz .LBB355_33
	s_branch .LBB355_34
.LBB355_56:                             ;   in Loop: Header=BB355_18 Depth=2
	ds_load_b128 v[14:17], v49
	s_or_b32 exec_lo, exec_lo, s7
	s_and_saveexec_b32 s7, s1
	s_cbranch_execz .LBB355_38
.LBB355_57:                             ;   in Loop: Header=BB355_18 Depth=2
	s_wait_dscnt 0x0
	ds_bpermute_b32 v4, v54, v14
	ds_bpermute_b32 v5, v54, v15
	ds_bpermute_b32 v46, v54, v16
	ds_bpermute_b32 v47, v54, v17
	s_wait_dscnt 0x2
	v_add_f64_e32 v[4:5], v[14:15], v[4:5]
	s_wait_dscnt 0x0
	v_add_f64_e32 v[14:15], v[16:17], v[46:47]
	ds_bpermute_b32 v16, v55, v4
	ds_bpermute_b32 v17, v55, v5
	ds_bpermute_b32 v46, v55, v14
	ds_bpermute_b32 v47, v55, v15
	s_wait_dscnt 0x2
	v_add_f64_e32 v[4:5], v[4:5], v[16:17]
	s_wait_dscnt 0x0
	v_add_f64_e32 v[16:17], v[14:15], v[46:47]
	;; [unrolled: 8-line block ×3, first 2 shown]
	s_or_b32 exec_lo, exec_lo, s7
	s_and_saveexec_b32 s7, s1
	s_cbranch_execnz .LBB355_39
	s_branch .LBB355_40
.LBB355_58:                             ;   in Loop: Header=BB355_18 Depth=2
	ds_load_b128 v[18:21], v49
	s_or_b32 exec_lo, exec_lo, s7
	s_and_saveexec_b32 s7, s1
	s_cbranch_execz .LBB355_44
.LBB355_59:                             ;   in Loop: Header=BB355_18 Depth=2
	s_wait_dscnt 0x0
	ds_bpermute_b32 v4, v54, v18
	ds_bpermute_b32 v5, v54, v19
	ds_bpermute_b32 v46, v54, v20
	ds_bpermute_b32 v47, v54, v21
	s_wait_dscnt 0x2
	v_add_f64_e32 v[4:5], v[18:19], v[4:5]
	s_wait_dscnt 0x0
	v_add_f64_e32 v[18:19], v[20:21], v[46:47]
	ds_bpermute_b32 v20, v55, v4
	ds_bpermute_b32 v21, v55, v5
	ds_bpermute_b32 v46, v55, v18
	ds_bpermute_b32 v47, v55, v19
	s_wait_dscnt 0x2
	v_add_f64_e32 v[4:5], v[4:5], v[20:21]
	s_wait_dscnt 0x0
	v_add_f64_e32 v[20:21], v[18:19], v[46:47]
	;; [unrolled: 8-line block ×3, first 2 shown]
	s_or_b32 exec_lo, exec_lo, s7
	s_and_saveexec_b32 s7, s0
	s_cbranch_execz .LBB355_17
.LBB355_60:                             ;   in Loop: Header=BB355_18 Depth=2
	s_mul_i32 s8, s24, s30
	v_mul_f64_e32 v[62:63], s[14:15], v[16:17]
	s_add_co_i32 s8, s8, s34
	s_delay_alu instid0(SALU_CYCLE_1)
	v_dual_mul_f64 v[4:5], s[14:15], v[8:9] :: v_dual_mov_b32 v3, s8
	s_add_co_i32 s9, s8, s30
	v_mul_f64_e32 v[60:61], s[12:13], v[8:9]
	s_add_co_i32 s8, s9, s30
	v_mul_f64_e32 v[46:47], s[14:15], v[12:13]
	s_wait_dscnt 0x0
	v_mul_f64_e32 v[64:65], s[14:15], v[20:21]
	s_delay_alu instid0(VALU_DEP_4)
	v_dual_fma_f64 v[58:59], s[12:13], v[6:7], -v[4:5] :: v_dual_mov_b32 v4, s9
	s_add_co_i32 s9, s8, s30
	v_mul_f64_e32 v[8:9], s[12:13], v[12:13]
	v_mul_f64_e32 v[12:13], s[12:13], v[16:17]
	;; [unrolled: 1-line block ×3, first 2 shown]
	v_fmac_f64_e32 v[60:61], s[14:15], v[6:7]
	v_dual_fma_f64 v[6:7], s[12:13], v[10:11], -v[46:47] :: v_dual_mov_b32 v5, s8
	v_fmac_f64_e32 v[8:9], s[14:15], v[10:11]
	v_fma_f64 v[10:11], s[12:13], v[14:15], -v[62:63]
	v_fmac_f64_e32 v[12:13], s[14:15], v[14:15]
	v_fma_f64 v[14:15], s[12:13], v[18:19], -v[64:65]
	v_fmac_f64_e32 v[16:17], s[14:15], v[18:19]
	v_mov_b32_e32 v18, s9
	s_clause 0x3
	global_store_b128 v3, v[58:61], s[46:47] scale_offset
	global_store_b128 v4, v[6:9], s[46:47] scale_offset
	global_store_b128 v5, v[10:13], s[46:47] scale_offset
	global_store_b128 v18, v[14:17], s[46:47] scale_offset
	s_branch .LBB355_17
.LBB355_61:                             ;   in Loop: Header=BB355_18 Depth=2
	v_mov_b64_e32 v[18:19], 0
	v_mov_b64_e32 v[20:21], 0
	;; [unrolled: 1-line block ×8, first 2 shown]
.LBB355_62:                             ;   in Loop: Header=BB355_18 Depth=2
	s_wait_xcnt 0x0
	s_or_b32 exec_lo, exec_lo, s69
	s_delay_alu instid0(SALU_CYCLE_1)
	s_or_b32 exec_lo, exec_lo, s68
	s_and_saveexec_b32 s7, s1
	s_cbranch_execnz .LBB355_21
	s_branch .LBB355_22
.LBB355_63:                             ;   in Loop: Header=BB355_3 Depth=1
	s_mov_b32 s24, 0
.LBB355_64:                             ;   in Loop: Header=BB355_3 Depth=1
	s_delay_alu instid0(SALU_CYCLE_1)
	s_cmp_ge_i32 s24, s27
	s_cbranch_scc1 .LBB355_2
; %bb.65:                               ;   in Loop: Header=BB355_3 Depth=1
	v_cmp_gt_u32_e32 vcc_lo, 24, v48
	s_add_nc_u64 s[6:7], s[46:47], s[38:39]
	s_mul_i32 s8, s52, s24
	v_cndmask_b32_e64 v3, 0, 8, vcc_lo
	v_cmp_gt_u32_e32 vcc_lo, 28, v48
	s_delay_alu instid0(VALU_DEP_2) | instskip(SKIP_2) | instid1(VALU_DEP_2)
	v_add_lshl_u32 v12, v3, v48, 2
	v_cndmask_b32_e64 v4, 0, 4, vcc_lo
	v_cmp_gt_u32_e32 vcc_lo, 30, v48
	v_add_lshl_u32 v13, v4, v48, 2
	v_cndmask_b32_e64 v5, 0, 2, vcc_lo
	v_cmp_ne_u32_e32 vcc_lo, 31, v48
	s_delay_alu instid0(VALU_DEP_2) | instskip(SKIP_1) | instid1(VALU_DEP_1)
	v_add_lshl_u32 v14, v5, v48, 2
	v_add_co_ci_u32_e64 v6, null, 0, v48, vcc_lo
	v_lshlrev_b32_e32 v15, 2, v6
	s_branch .LBB355_67
.LBB355_66:                             ;   in Loop: Header=BB355_67 Depth=2
	s_wait_xcnt 0x0
	s_or_b32 exec_lo, exec_lo, s9
	s_add_co_i32 s24, s24, 1
	s_add_co_i32 s8, s8, s52
	s_cmp_lt_i32 s24, s27
	s_cbranch_scc0 .LBB355_2
.LBB355_67:                             ;   Parent Loop BB355_3 Depth=1
                                        ; =>  This Loop Header: Depth=2
                                        ;       Child Loop BB355_79 Depth 3
                                        ;       Child Loop BB355_81 Depth 3
                                        ; implicit-def: $vgpr6_vgpr7
                                        ; implicit-def: $vgpr8_vgpr9
	s_and_saveexec_b32 s9, s5
	s_delay_alu instid0(SALU_CYCLE_1)
	s_xor_b32 s9, exec_lo, s9
	s_cbranch_execnz .LBB355_76
; %bb.68:                               ;   in Loop: Header=BB355_67 Depth=2
	s_and_not1_saveexec_b32 s11, s9
	s_cbranch_execnz .LBB355_77
.LBB355_69:                             ;   in Loop: Header=BB355_67 Depth=2
	s_or_b32 exec_lo, exec_lo, s11
	s_and_saveexec_b32 s9, s1
	s_cbranch_execz .LBB355_71
.LBB355_70:                             ;   in Loop: Header=BB355_67 Depth=2
	s_wait_dscnt 0x0
	v_dual_mov_b32 v3, v2 :: v_dual_mov_b32 v4, v2
	v_mov_b32_e32 v5, v2
	ds_store_b128 v49, v[2:5]
.LBB355_71:                             ;   in Loop: Header=BB355_67 Depth=2
	s_or_b32 exec_lo, exec_lo, s9
	s_wait_dscnt 0x0
	ds_bpermute_b32 v4, v52, v6
	ds_bpermute_b32 v5, v52, v7
	;; [unrolled: 1-line block ×4, first 2 shown]
	s_wait_storecnt_dscnt 0x0
	s_barrier_signal -1
	s_barrier_wait -1
	v_add_f64_e32 v[4:5], v[6:7], v[4:5]
	v_add_f64_e32 v[6:7], v[8:9], v[10:11]
	ds_bpermute_b32 v8, v12, v4
	ds_bpermute_b32 v9, v12, v5
	ds_bpermute_b32 v10, v12, v6
	ds_bpermute_b32 v11, v12, v7
	s_wait_dscnt 0x2
	v_add_f64_e32 v[4:5], v[4:5], v[8:9]
	s_wait_dscnt 0x0
	v_add_f64_e32 v[6:7], v[6:7], v[10:11]
	ds_bpermute_b32 v8, v13, v4
	ds_bpermute_b32 v9, v13, v5
	ds_bpermute_b32 v10, v13, v6
	ds_bpermute_b32 v11, v13, v7
	s_wait_dscnt 0x2
	v_add_f64_e32 v[4:5], v[4:5], v[8:9]
	s_wait_dscnt 0x0
	v_add_f64_e32 v[6:7], v[6:7], v[10:11]
	ds_bpermute_b32 v8, v14, v4
	ds_bpermute_b32 v9, v14, v5
	ds_bpermute_b32 v10, v14, v6
	ds_bpermute_b32 v11, v14, v7
	s_wait_dscnt 0x2
	v_add_f64_e32 v[4:5], v[4:5], v[8:9]
	s_wait_dscnt 0x0
	v_add_f64_e32 v[8:9], v[6:7], v[10:11]
	ds_bpermute_b32 v6, v15, v4
	ds_bpermute_b32 v7, v15, v5
	;; [unrolled: 1-line block ×4, first 2 shown]
	s_and_saveexec_b32 s9, s3
	s_cbranch_execz .LBB355_73
; %bb.72:                               ;   in Loop: Header=BB355_67 Depth=2
	s_wait_dscnt 0x0
	v_add_f64_e32 v[8:9], v[8:9], v[10:11]
	v_add_f64_e32 v[6:7], v[4:5], v[6:7]
	ds_store_b128 v50, v[6:9]
.LBB355_73:                             ;   in Loop: Header=BB355_67 Depth=2
	s_or_b32 exec_lo, exec_lo, s9
	s_wait_dscnt 0x2
	v_mov_b64_e32 v[6:7], 0
	v_mov_b64_e32 v[4:5], 0
	s_wait_dscnt 0x0
	s_barrier_signal -1
	s_barrier_wait -1
	s_and_saveexec_b32 s9, s2
	s_cbranch_execnz .LBB355_83
; %bb.74:                               ;   in Loop: Header=BB355_67 Depth=2
	s_or_b32 exec_lo, exec_lo, s9
	s_and_saveexec_b32 s9, s1
	s_cbranch_execnz .LBB355_84
.LBB355_75:                             ;   in Loop: Header=BB355_67 Depth=2
	s_or_b32 exec_lo, exec_lo, s9
	s_and_saveexec_b32 s9, s0
	s_cbranch_execz .LBB355_66
	s_branch .LBB355_85
.LBB355_76:                             ;   in Loop: Header=BB355_67 Depth=2
	s_wait_dscnt 0x0
	s_clause 0x1
	flat_load_b128 v[4:7], v[38:39]
	flat_load_b128 v[8:11], v[40:41]
	s_wait_dscnt 0x2
	flat_load_b128 v[16:19], v[42:43]
	s_mul_i32 s46, s24, s52
	s_delay_alu instid0(SALU_CYCLE_1) | instskip(NEXT) | instid1(SALU_CYCLE_1)
	s_ashr_i32 s47, s46, 31
	v_lshl_add_u64 v[20:21], s[46:47], 4, v[34:35]
	flat_load_b128 v[54:57], v[36:37]
	s_clause 0x1
	flat_load_b128 v[58:61], v[20:21]
	flat_load_b128 v[62:65], v[20:21] offset:16
	s_wait_loadcnt_dscnt 0x505
	scratch_store_b128 off, v[4:7], s60
	s_wait_loadcnt_dscnt 0x404
	scratch_store_b128 off, v[8:11], s61
	s_clause 0x1
	scratch_load_b128 v[4:7], off, off offset:16
	scratch_load_b128 v[8:11], off, off offset:32
	s_clause 0x1
	flat_load_b128 v[66:69], v[20:21] offset:32
	flat_load_b128 v[70:73], v[20:21] offset:48
	s_wait_loadcnt_dscnt 0x705
	scratch_store_b128 off, v[16:19], s62
	scratch_load_b128 v[16:19], off, off offset:48
	s_wait_loadcnt_dscnt 0x704
	scratch_store_b128 off, v[54:57], off
	s_wait_loadcnt_dscnt 0x603
	v_mul_f64_e32 v[20:21], v[60:61], v[56:57]
	v_mul_f64_e32 v[46:47], v[58:59], v[56:57]
	s_delay_alu instid0(VALU_DEP_2) | instskip(NEXT) | instid1(VALU_DEP_2)
	v_fma_f64 v[20:21], v[58:59], v[54:55], -v[20:21]
	v_fmac_f64_e32 v[46:47], v[60:61], v[54:55]
	s_delay_alu instid0(VALU_DEP_2) | instskip(NEXT) | instid1(VALU_DEP_2)
	v_add_f64_e32 v[20:21], 0, v[20:21]
	v_add_f64_e32 v[46:47], 0, v[46:47]
	s_wait_loadcnt_dscnt 0x402
	v_mul_f64_e32 v[58:59], v[64:65], v[6:7]
	v_mul_f64_e32 v[6:7], v[62:63], v[6:7]
	s_wait_loadcnt_dscnt 0x201
	v_mul_f64_e32 v[60:61], v[68:69], v[10:11]
	v_mul_f64_e32 v[10:11], v[66:67], v[10:11]
	s_delay_alu instid0(VALU_DEP_4) | instskip(NEXT) | instid1(VALU_DEP_4)
	v_fma_f64 v[58:59], v[62:63], v[4:5], -v[58:59]
	v_fmac_f64_e32 v[6:7], v[64:65], v[4:5]
	s_wait_loadcnt_dscnt 0x0
	v_mul_f64_e32 v[4:5], v[72:73], v[18:19]
	v_mul_f64_e32 v[18:19], v[70:71], v[18:19]
	v_fma_f64 v[60:61], v[66:67], v[8:9], -v[60:61]
	v_fmac_f64_e32 v[10:11], v[68:69], v[8:9]
	v_add_f64_e32 v[8:9], v[20:21], v[58:59]
	v_add_f64_e32 v[6:7], v[46:47], v[6:7]
	v_fma_f64 v[4:5], v[70:71], v[16:17], -v[4:5]
	v_fmac_f64_e32 v[18:19], v[72:73], v[16:17]
	s_delay_alu instid0(VALU_DEP_4) | instskip(NEXT) | instid1(VALU_DEP_4)
	v_add_f64_e32 v[8:9], v[8:9], v[60:61]
	v_add_f64_e32 v[10:11], v[6:7], v[10:11]
	s_delay_alu instid0(VALU_DEP_2) | instskip(NEXT) | instid1(VALU_DEP_2)
	v_add_f64_e32 v[6:7], v[8:9], v[4:5]
	v_add_f64_e32 v[8:9], v[10:11], v[18:19]
	s_wait_xcnt 0x0
	s_and_not1_saveexec_b32 s11, s9
	s_cbranch_execz .LBB355_69
.LBB355_77:                             ;   in Loop: Header=BB355_67 Depth=2
	s_wait_dscnt 0x0
	v_mov_b64_e32 v[6:7], 0
	v_mov_b64_e32 v[8:9], 0
	s_and_saveexec_b32 s46, s26
	s_cbranch_execz .LBB355_82
; %bb.78:                               ;   in Loop: Header=BB355_67 Depth=2
	v_mov_b32_e32 v3, v22
	s_mov_b32 s9, 0
	s_mov_b32 s47, s57
.LBB355_79:                             ;   Parent Loop BB355_3 Depth=1
                                        ;     Parent Loop BB355_67 Depth=2
                                        ; =>    This Inner Loop Header: Depth=3
	v_readfirstlane_b32 s48, v32
	v_readfirstlane_b32 s49, v33
	s_add_co_i32 s47, s47, -1
	flat_load_b128 v[4:7], v3, s[48:49] scale_offset
	s_wait_xcnt 0x0
	v_add_nc_u32_e32 v3, s53, v3
	s_wait_loadcnt_dscnt 0x0
	scratch_store_b128 off, v[4:7], s9
	s_wait_xcnt 0x0
	s_add_co_i32 s9, s9, 16
	s_cmp_eq_u32 s47, 0
	s_cbranch_scc0 .LBB355_79
; %bb.80:                               ;   in Loop: Header=BB355_67 Depth=2
	s_ashr_i32 s9, s8, 31
	v_mov_b64_e32 v[6:7], 0
	v_mov_b64_e32 v[8:9], 0
	v_lshl_add_u64 v[4:5], s[8:9], 4, v[44:45]
	s_mov_b32 s9, s63
	s_mov_b32 s47, s57
.LBB355_81:                             ;   Parent Loop BB355_3 Depth=1
                                        ;     Parent Loop BB355_67 Depth=2
                                        ; =>    This Inner Loop Header: Depth=3
	flat_load_b128 v[16:19], v[4:5] offset:-8
	scratch_load_b128 v[54:57], off, s9 offset:-8
	s_wait_xcnt 0x1
	v_add_nc_u64_e32 v[4:5], 16, v[4:5]
	s_add_co_i32 s47, s47, -1
	s_wait_xcnt 0x0
	s_add_co_i32 s9, s9, 16
	s_cmp_lg_u32 s47, 0
	s_wait_loadcnt_dscnt 0x0
	v_mul_f64_e32 v[10:11], v[18:19], v[56:57]
	v_mul_f64_e32 v[20:21], v[16:17], v[56:57]
	s_delay_alu instid0(VALU_DEP_2) | instskip(NEXT) | instid1(VALU_DEP_2)
	v_fma_f64 v[10:11], v[16:17], v[54:55], -v[10:11]
	v_fmac_f64_e32 v[20:21], v[18:19], v[54:55]
	s_delay_alu instid0(VALU_DEP_2) | instskip(NEXT) | instid1(VALU_DEP_2)
	v_add_f64_e32 v[6:7], v[6:7], v[10:11]
	v_add_f64_e32 v[8:9], v[8:9], v[20:21]
	s_cbranch_scc1 .LBB355_81
.LBB355_82:                             ;   in Loop: Header=BB355_67 Depth=2
	s_or_b32 exec_lo, exec_lo, s46
	s_delay_alu instid0(SALU_CYCLE_1)
	s_or_b32 exec_lo, exec_lo, s11
	s_and_saveexec_b32 s9, s1
	s_cbranch_execnz .LBB355_70
	s_branch .LBB355_71
.LBB355_83:                             ;   in Loop: Header=BB355_67 Depth=2
	ds_load_b128 v[4:7], v49
	s_or_b32 exec_lo, exec_lo, s9
	s_and_saveexec_b32 s9, s1
	s_cbranch_execz .LBB355_75
.LBB355_84:                             ;   in Loop: Header=BB355_67 Depth=2
	s_wait_dscnt 0x0
	ds_bpermute_b32 v8, v13, v4
	ds_bpermute_b32 v9, v13, v5
	ds_bpermute_b32 v10, v13, v6
	ds_bpermute_b32 v11, v13, v7
	s_wait_dscnt 0x2
	v_add_f64_e32 v[4:5], v[4:5], v[8:9]
	s_wait_dscnt 0x0
	v_add_f64_e32 v[6:7], v[6:7], v[10:11]
	ds_bpermute_b32 v8, v14, v4
	ds_bpermute_b32 v9, v14, v5
	ds_bpermute_b32 v10, v14, v6
	ds_bpermute_b32 v11, v14, v7
	s_wait_dscnt 0x2
	v_add_f64_e32 v[4:5], v[4:5], v[8:9]
	s_wait_dscnt 0x0
	v_add_f64_e32 v[6:7], v[6:7], v[10:11]
	;; [unrolled: 8-line block ×3, first 2 shown]
	s_or_b32 exec_lo, exec_lo, s9
	s_and_saveexec_b32 s9, s0
	s_cbranch_execz .LBB355_66
.LBB355_85:                             ;   in Loop: Header=BB355_67 Depth=2
	s_wait_dscnt 0x0
	s_delay_alu instid0(VALU_DEP_1) | instskip(SKIP_2) | instid1(SALU_CYCLE_1)
	v_mul_f64_e32 v[10:11], s[14:15], v[6:7]
	v_mul_f64_e32 v[8:9], s[12:13], v[6:7]
	s_mul_u64 s[46:47], s[24:25], s[30:31]
	s_lshl_b64 s[46:47], s[46:47], 4
	s_delay_alu instid0(SALU_CYCLE_1) | instskip(NEXT) | instid1(VALU_DEP_2)
	s_add_nc_u64 s[46:47], s[6:7], s[46:47]
	v_fma_f64 v[6:7], s[12:13], v[4:5], -v[10:11]
	s_delay_alu instid0(VALU_DEP_2)
	v_fmac_f64_e32 v[8:9], s[14:15], v[4:5]
	global_store_b128 v2, v[6:9], s[46:47]
	s_branch .LBB355_66
.LBB355_86:
	s_sendmsg sendmsg(MSG_DEALLOC_VGPRS)
	s_endpgm
	.section	.rodata,"a",@progbits
	.p2align	6, 0x0
	.amdhsa_kernel _ZL23rocblas_gemvt_sn_kernelILb0ELi256ELi4EiPK19rocblas_complex_numIdES1_S1_EviiT4_lPKT3_lilS7_lilPT5_i
		.amdhsa_group_segment_fixed_size 512
		.amdhsa_private_segment_fixed_size 80
		.amdhsa_kernarg_size 368
		.amdhsa_user_sgpr_count 2
		.amdhsa_user_sgpr_dispatch_ptr 0
		.amdhsa_user_sgpr_queue_ptr 0
		.amdhsa_user_sgpr_kernarg_segment_ptr 1
		.amdhsa_user_sgpr_dispatch_id 0
		.amdhsa_user_sgpr_kernarg_preload_length 0
		.amdhsa_user_sgpr_kernarg_preload_offset 0
		.amdhsa_user_sgpr_private_segment_size 0
		.amdhsa_wavefront_size32 1
		.amdhsa_uses_dynamic_stack 0
		.amdhsa_enable_private_segment 1
		.amdhsa_system_sgpr_workgroup_id_x 1
		.amdhsa_system_sgpr_workgroup_id_y 0
		.amdhsa_system_sgpr_workgroup_id_z 1
		.amdhsa_system_sgpr_workgroup_info 0
		.amdhsa_system_vgpr_workitem_id 0
		.amdhsa_next_free_vgpr 134
		.amdhsa_next_free_sgpr 71
		.amdhsa_named_barrier_count 0
		.amdhsa_reserve_vcc 1
		.amdhsa_float_round_mode_32 0
		.amdhsa_float_round_mode_16_64 0
		.amdhsa_float_denorm_mode_32 3
		.amdhsa_float_denorm_mode_16_64 3
		.amdhsa_fp16_overflow 0
		.amdhsa_memory_ordered 1
		.amdhsa_forward_progress 1
		.amdhsa_inst_pref_size 49
		.amdhsa_round_robin_scheduling 0
		.amdhsa_exception_fp_ieee_invalid_op 0
		.amdhsa_exception_fp_denorm_src 0
		.amdhsa_exception_fp_ieee_div_zero 0
		.amdhsa_exception_fp_ieee_overflow 0
		.amdhsa_exception_fp_ieee_underflow 0
		.amdhsa_exception_fp_ieee_inexact 0
		.amdhsa_exception_int_div_zero 0
	.end_amdhsa_kernel
	.section	.text._ZL23rocblas_gemvt_sn_kernelILb0ELi256ELi4EiPK19rocblas_complex_numIdES1_S1_EviiT4_lPKT3_lilS7_lilPT5_i,"axG",@progbits,_ZL23rocblas_gemvt_sn_kernelILb0ELi256ELi4EiPK19rocblas_complex_numIdES1_S1_EviiT4_lPKT3_lilS7_lilPT5_i,comdat
.Lfunc_end355:
	.size	_ZL23rocblas_gemvt_sn_kernelILb0ELi256ELi4EiPK19rocblas_complex_numIdES1_S1_EviiT4_lPKT3_lilS7_lilPT5_i, .Lfunc_end355-_ZL23rocblas_gemvt_sn_kernelILb0ELi256ELi4EiPK19rocblas_complex_numIdES1_S1_EviiT4_lPKT3_lilS7_lilPT5_i
                                        ; -- End function
	.set _ZL23rocblas_gemvt_sn_kernelILb0ELi256ELi4EiPK19rocblas_complex_numIdES1_S1_EviiT4_lPKT3_lilS7_lilPT5_i.num_vgpr, 134
	.set _ZL23rocblas_gemvt_sn_kernelILb0ELi256ELi4EiPK19rocblas_complex_numIdES1_S1_EviiT4_lPKT3_lilS7_lilPT5_i.num_agpr, 0
	.set _ZL23rocblas_gemvt_sn_kernelILb0ELi256ELi4EiPK19rocblas_complex_numIdES1_S1_EviiT4_lPKT3_lilS7_lilPT5_i.numbered_sgpr, 71
	.set _ZL23rocblas_gemvt_sn_kernelILb0ELi256ELi4EiPK19rocblas_complex_numIdES1_S1_EviiT4_lPKT3_lilS7_lilPT5_i.num_named_barrier, 0
	.set _ZL23rocblas_gemvt_sn_kernelILb0ELi256ELi4EiPK19rocblas_complex_numIdES1_S1_EviiT4_lPKT3_lilS7_lilPT5_i.private_seg_size, 80
	.set _ZL23rocblas_gemvt_sn_kernelILb0ELi256ELi4EiPK19rocblas_complex_numIdES1_S1_EviiT4_lPKT3_lilS7_lilPT5_i.uses_vcc, 1
	.set _ZL23rocblas_gemvt_sn_kernelILb0ELi256ELi4EiPK19rocblas_complex_numIdES1_S1_EviiT4_lPKT3_lilS7_lilPT5_i.uses_flat_scratch, 1
	.set _ZL23rocblas_gemvt_sn_kernelILb0ELi256ELi4EiPK19rocblas_complex_numIdES1_S1_EviiT4_lPKT3_lilS7_lilPT5_i.has_dyn_sized_stack, 0
	.set _ZL23rocblas_gemvt_sn_kernelILb0ELi256ELi4EiPK19rocblas_complex_numIdES1_S1_EviiT4_lPKT3_lilS7_lilPT5_i.has_recursion, 0
	.set _ZL23rocblas_gemvt_sn_kernelILb0ELi256ELi4EiPK19rocblas_complex_numIdES1_S1_EviiT4_lPKT3_lilS7_lilPT5_i.has_indirect_call, 0
	.section	.AMDGPU.csdata,"",@progbits
; Kernel info:
; codeLenInByte = 6228
; TotalNumSgprs: 73
; NumVgprs: 134
; ScratchSize: 80
; MemoryBound: 0
; FloatMode: 240
; IeeeMode: 1
; LDSByteSize: 512 bytes/workgroup (compile time only)
; SGPRBlocks: 0
; VGPRBlocks: 8
; NumSGPRsForWavesPerEU: 73
; NumVGPRsForWavesPerEU: 134
; NamedBarCnt: 0
; Occupancy: 7
; WaveLimiterHint : 1
; COMPUTE_PGM_RSRC2:SCRATCH_EN: 1
; COMPUTE_PGM_RSRC2:USER_SGPR: 2
; COMPUTE_PGM_RSRC2:TRAP_HANDLER: 0
; COMPUTE_PGM_RSRC2:TGID_X_EN: 1
; COMPUTE_PGM_RSRC2:TGID_Y_EN: 0
; COMPUTE_PGM_RSRC2:TGID_Z_EN: 1
; COMPUTE_PGM_RSRC2:TIDIG_COMP_CNT: 0
	.section	.text._ZL23rocblas_gemvt_sn_kernelILb0ELi256ELi4ElPK19rocblas_complex_numIdES1_S1_EviiT4_lPKT3_lilS7_lilPT5_i,"axG",@progbits,_ZL23rocblas_gemvt_sn_kernelILb0ELi256ELi4ElPK19rocblas_complex_numIdES1_S1_EviiT4_lPKT3_lilS7_lilPT5_i,comdat
	.globl	_ZL23rocblas_gemvt_sn_kernelILb0ELi256ELi4ElPK19rocblas_complex_numIdES1_S1_EviiT4_lPKT3_lilS7_lilPT5_i ; -- Begin function _ZL23rocblas_gemvt_sn_kernelILb0ELi256ELi4ElPK19rocblas_complex_numIdES1_S1_EviiT4_lPKT3_lilS7_lilPT5_i
	.p2align	8
	.type	_ZL23rocblas_gemvt_sn_kernelILb0ELi256ELi4ElPK19rocblas_complex_numIdES1_S1_EviiT4_lPKT3_lilS7_lilPT5_i,@function
_ZL23rocblas_gemvt_sn_kernelILb0ELi256ELi4ElPK19rocblas_complex_numIdES1_S1_EviiT4_lPKT3_lilS7_lilPT5_i: ; @_ZL23rocblas_gemvt_sn_kernelILb0ELi256ELi4ElPK19rocblas_complex_numIdES1_S1_EviiT4_lPKT3_lilS7_lilPT5_i
; %bb.0:
	s_load_b32 s33, s[0:1], 0x68
	s_bfe_u32 s2, ttmp6, 0x40014
	s_lshr_b32 s3, ttmp7, 16
	s_add_co_i32 s2, s2, 1
	s_bfe_u32 s4, ttmp6, 0x40008
	s_mul_i32 s2, s3, s2
	s_getreg_b32 s6, hwreg(HW_REG_IB_STS2, 6, 4)
	s_add_co_i32 s4, s4, s2
	s_cmp_eq_u32 s6, 0
	s_mov_b32 s25, 0
	s_cselect_b32 s10, s3, s4
	s_wait_kmcnt 0x0
	s_cmp_ge_u32 s10, s33
	s_cbranch_scc1 .LBB356_86
; %bb.1:
	s_clause 0x7
	s_load_b128 s[12:15], s[0:1], 0x8
	s_load_b32 s26, s[0:1], 0x30
	s_load_b32 s4, s[0:1], 0x50
	s_load_b64 s[28:29], s[0:1], 0x0
	s_load_b128 s[16:19], s[0:1], 0x20
	s_load_b128 s[20:23], s[0:1], 0x40
	s_load_b64 s[30:31], s[0:1], 0x60
	s_load_b32 s34, s[0:1], 0x70
	s_wait_xcnt 0x0
	v_cmp_eq_u32_e64 s0, 0, v0
	s_mov_b32 s35, s25
	v_dual_lshrrev_b32 v2, 1, v0 :: v_dual_bitop2_b32 v1, 31, v0 bitop3:0x40
	v_cmp_gt_u32_e64 s1, 32, v0
	v_cmp_gt_u32_e64 s2, 8, v0
	v_mbcnt_lo_u32_b32 v54, -1, 0
	s_delay_alu instid0(VALU_DEP_4)
	v_cmp_eq_u32_e64 s3, 0, v1
	v_and_b32_e32 v57, 0x70, v2
	s_mov_b32 s60, 16
	s_mov_b32 s61, 32
	v_lshl_or_b32 v58, v54, 2, 64
	s_mov_b32 s62, 48
	s_wait_kmcnt 0x0
	s_ashr_i32 s27, s26, 31
	s_ashr_i32 s5, s4, 31
	;; [unrolled: 1-line block ×3, first 2 shown]
	v_cmp_neq_f64_e64 s8, s[12:13], 0
	v_cmp_neq_f64_e64 s9, s[14:15], 0
	s_or_b32 s8, s8, s9
	s_delay_alu instid0(SALU_CYCLE_1)
	s_xor_b32 s54, s8, -1
	s_cmp_gt_i32 s29, 0
	v_cndmask_b32_e64 v55, 0, 1, s8
	s_cselect_b32 s8, -1, 0
	s_bfe_u32 s9, ttmp6, 0x4000c
	s_and_b32 s11, ttmp6, 15
	s_add_co_i32 s9, s9, 1
	s_and_b32 s55, s0, s8
	s_mul_i32 s9, ttmp9, s9
	s_delay_alu instid0(SALU_CYCLE_1)
	s_add_co_i32 s11, s11, s9
	s_cmp_eq_u32 s6, 0
	s_mov_b32 s6, s29
	s_cselect_b32 s24, ttmp9, s11
	s_mul_u64 s[36:37], s[6:7], s[34:35]
	s_lshl_b32 s6, s24, 10
	s_delay_alu instid0(SALU_CYCLE_1)
	v_lshl_or_b32 v20, v0, 2, s6
	s_lshr_b32 s6, s7, 30
	s_ashr_i32 s7, s28, 31
	v_lshlrev_b32_e32 v56, 4, v1
	s_lshr_b32 s7, s7, 30
	v_dual_ashrrev_i32 v21, 31, v20 :: v_dual_bitop2_b32 v2, 2, v20 bitop3:0x54
	v_or_b32_e32 v0, 1, v20
	s_add_co_i32 s6, s29, s6
	s_add_co_i32 s7, s28, s7
	s_and_b32 s56, s6, -4
	s_and_b32 s6, s7, -4
	v_lshlrev_b64_e32 v[30:31], 4, v[20:21]
	v_dual_ashrrev_i32 v3, 31, v2 :: v_dual_ashrrev_i32 v1, 31, v0
	s_sub_co_i32 s57, s28, s6
	v_or_b32_e32 v4, 3, v20
	v_mul_u64_e32 v[22:23], s[4:5], v[20:21]
	s_cmp_gt_i32 s56, 0
	s_delay_alu instid0(VALU_DEP_4)
	v_or_b32_e32 v30, 8, v30
	v_mul_u64_e32 v[24:25], s[4:5], v[0:1]
	v_add_nc_u32_e32 v1, s57, v20
	v_ashrrev_i32_e32 v5, 31, v4
	v_add_nc_u32_e32 v0, 4, v20
	v_mul_u64_e32 v[26:27], s[4:5], v[2:3]
	s_cselect_b32 s58, -1, 0
	s_cmp_gt_i32 s57, 0
	v_mul_u64_e32 v[28:29], s[4:5], v[4:5]
	s_cselect_b32 s59, -1, 0
	s_lshl_b64 s[44:45], s[4:5], 4
	v_cmp_ge_i32_e64 s4, s28, v1
	s_lshl_b64 s[38:39], s[24:25], 4
	v_cmp_ge_i32_e64 s5, s28, v0
	v_mov_b32_e32 v0, 0
	s_add_nc_u64 s[6:7], s[30:31], s[38:39]
	s_or_b32 s63, 0, 8
	s_lshl_b64 s[40:41], s[36:37], 4
	s_lshl_b64 s[42:43], s[34:35], 4
	;; [unrolled: 1-line block ×3, first 2 shown]
	s_add_nc_u64 s[48:49], s[6:7], 8
	s_and_b32 s28, s59, s4
	s_lshl_b64 s[50:51], s[26:27], 4
	s_lshl_b64 s[18:19], s[18:19], 4
	;; [unrolled: 1-line block ×3, first 2 shown]
	v_lshlrev_b64_e32 v[32:33], 4, v[22:23]
	s_branch .LBB356_3
.LBB356_2:                              ;   in Loop: Header=BB356_3 Depth=1
	s_add_co_i32 s10, s10, 0x10000
	s_delay_alu instid0(SALU_CYCLE_1)
	s_cmp_lt_u32 s10, s33
	s_cbranch_scc0 .LBB356_86
.LBB356_3:                              ; =>This Loop Header: Depth=1
                                        ;     Child Loop BB356_13 Depth 2
                                        ;     Child Loop BB356_18 Depth 2
                                        ;       Child Loop BB356_49 Depth 3
                                        ;       Child Loop BB356_51 Depth 3
                                        ;     Child Loop BB356_67 Depth 2
                                        ;       Child Loop BB356_79 Depth 3
                                        ;       Child Loop BB356_81 Depth 3
	s_mov_b32 s11, s25
	s_and_not1_b32 vcc_lo, exec_lo, s54
	s_mov_b32 s6, -1
	s_cbranch_vccz .LBB356_8
; %bb.4:                                ;   in Loop: Header=BB356_3 Depth=1
	s_wait_dscnt 0x0
	v_mov_b64_e32 v[4:5], 0
	v_mov_b64_e32 v[46:47], 0
	s_and_not1_b32 vcc_lo, exec_lo, s6
	s_cbranch_vccz .LBB356_9
.LBB356_5:                              ;   in Loop: Header=BB356_3 Depth=1
	v_cmp_ne_u32_e32 vcc_lo, 1, v55
	s_cbranch_vccz .LBB356_10
.LBB356_6:                              ;   in Loop: Header=BB356_3 Depth=1
	s_and_not1_b32 vcc_lo, exec_lo, s54
	s_wait_xcnt 0x0
	s_mov_b32 s6, -1
	s_cbranch_vccz .LBB356_11
.LBB356_7:                              ;   in Loop: Header=BB356_3 Depth=1
	s_and_not1_b32 vcc_lo, exec_lo, s6
	s_cbranch_vccnz .LBB356_2
	s_branch .LBB356_15
.LBB356_8:                              ;   in Loop: Header=BB356_3 Depth=1
	s_wait_dscnt 0x0
	v_mov_b64_e32 v[4:5], 0
	v_mov_b64_e32 v[46:47], 0
	s_cbranch_execnz .LBB356_5
.LBB356_9:                              ;   in Loop: Header=BB356_3 Depth=1
	s_lshl_b64 s[6:7], s[10:11], 3
	s_delay_alu instid0(SALU_CYCLE_1)
	s_add_nc_u64 s[6:7], s[16:17], s[6:7]
	global_load_b64 v[2:3], v0, s[6:7]
	s_wait_loadcnt 0x0
	v_add_nc_u64_e32 v[46:47], s[18:19], v[2:3]
	v_cmp_ne_u32_e32 vcc_lo, 1, v55
	s_cbranch_vccnz .LBB356_6
.LBB356_10:                             ;   in Loop: Header=BB356_3 Depth=1
	s_wait_xcnt 0x0
	s_lshl_b64 s[6:7], s[10:11], 3
	s_delay_alu instid0(SALU_CYCLE_1)
	s_add_nc_u64 s[6:7], s[20:21], s[6:7]
	global_load_b64 v[2:3], v0, s[6:7]
	s_wait_loadcnt 0x0
	v_add_nc_u64_e32 v[4:5], s[22:23], v[2:3]
	s_and_not1_b32 vcc_lo, exec_lo, s54
	s_wait_xcnt 0x0
	s_mov_b32 s6, -1
	s_cbranch_vccnz .LBB356_7
.LBB356_11:                             ;   in Loop: Header=BB356_3 Depth=1
	s_and_saveexec_b32 s8, s55
	s_cbranch_execz .LBB356_14
; %bb.12:                               ;   in Loop: Header=BB356_3 Depth=1
	s_mul_u64 s[6:7], s[40:41], s[10:11]
	s_mov_b32 s9, s29
	s_add_nc_u64 s[6:7], s[48:49], s[6:7]
.LBB356_13:                             ;   Parent Loop BB356_3 Depth=1
                                        ; =>  This Inner Loop Header: Depth=2
	v_dual_mov_b32 v1, v0 :: v_dual_mov_b32 v2, v0
	v_mov_b32_e32 v3, v0
	s_add_co_i32 s9, s9, -1
	s_delay_alu instid0(SALU_CYCLE_1)
	s_cmp_eq_u32 s9, 0
	global_store_b128 v0, v[0:3], s[6:7] offset:-8
	s_wait_xcnt 0x0
	s_add_nc_u64 s[6:7], s[6:7], s[42:43]
	s_cbranch_scc0 .LBB356_13
.LBB356_14:                             ;   in Loop: Header=BB356_3 Depth=1
	s_or_b32 exec_lo, exec_lo, s8
	s_cbranch_execnz .LBB356_2
.LBB356_15:                             ;   in Loop: Header=BB356_3 Depth=1
	s_mul_u64 s[6:7], s[36:37], s[10:11]
	v_add_nc_u64_e32 v[44:45], v[4:5], v[32:33]
	s_lshl_b64 s[52:53], s[6:7], 4
	v_lshl_add_u64 v[34:35], v[20:21], 4, v[46:47]
	v_lshl_add_u64 v[36:37], v[22:23], 4, v[4:5]
	;; [unrolled: 1-line block ×5, first 2 shown]
	v_cmp_gt_u32_e64 s7, 24, v54
	v_cmp_gt_u32_e64 s6, 28, v54
	v_cmp_gt_u32_e64 s9, 30, v54
	v_cmp_ne_u32_e64 s8, 31, v54
	s_add_nc_u64 s[52:53], s[30:31], s[52:53]
	s_and_not1_b32 vcc_lo, exec_lo, s58
	s_add_nc_u64 s[52:53], s[52:53], s[38:39]
	s_cbranch_vccnz .LBB356_63
; %bb.16:                               ;   in Loop: Header=BB356_3 Depth=1
	v_cndmask_b32_e64 v1, 0, 8, s7
	v_cndmask_b32_e64 v2, 0, 4, s6
	;; [unrolled: 1-line block ×3, first 2 shown]
	v_add_co_ci_u32_e64 v6, null, 0, v54, s8
	v_add_nc_u64_e32 v[48:49], v[4:5], v[32:33]
	v_mov_b64_e32 v[50:51], v[34:35]
	v_add_lshl_u32 v59, v1, v54, 2
	v_add_lshl_u32 v60, v2, v54, 2
	;; [unrolled: 1-line block ×3, first 2 shown]
	v_lshlrev_b32_e32 v62, 2, v6
	s_mov_b32 s24, 0
	s_branch .LBB356_18
.LBB356_17:                             ;   in Loop: Header=BB356_18 Depth=2
	s_wait_xcnt 0x0
	s_or_b32 exec_lo, exec_lo, s6
	v_add_nc_u64_e32 v[50:51], s[46:47], v[50:51]
	s_add_co_i32 s24, s24, 4
	s_delay_alu instid0(SALU_CYCLE_1)
	s_cmp_ge_i32 s24, s56
	s_cbranch_scc1 .LBB356_64
.LBB356_18:                             ;   Parent Loop BB356_3 Depth=1
                                        ; =>  This Loop Header: Depth=2
                                        ;       Child Loop BB356_49 Depth 3
                                        ;       Child Loop BB356_51 Depth 3
                                        ; implicit-def: $vgpr16_vgpr17
                                        ; implicit-def: $vgpr18_vgpr19
                                        ; implicit-def: $vgpr12_vgpr13
                                        ; implicit-def: $vgpr14_vgpr15
                                        ; implicit-def: $vgpr8_vgpr9
                                        ; implicit-def: $vgpr10_vgpr11
                                        ; implicit-def: $vgpr6_vgpr7
                                        ; implicit-def: $vgpr4_vgpr5
	s_and_saveexec_b32 s6, s5
	s_delay_alu instid0(SALU_CYCLE_1)
	s_xor_b32 s8, exec_lo, s6
	s_cbranch_execnz .LBB356_45
; %bb.19:                               ;   in Loop: Header=BB356_18 Depth=2
	s_and_not1_saveexec_b32 s6, s8
	s_cbranch_execnz .LBB356_46
.LBB356_20:                             ;   in Loop: Header=BB356_18 Depth=2
	s_or_b32 exec_lo, exec_lo, s6
	s_and_saveexec_b32 s6, s1
.LBB356_21:                             ;   in Loop: Header=BB356_18 Depth=2
	v_dual_mov_b32 v1, v0 :: v_dual_mov_b32 v2, v0
	v_mov_b32_e32 v3, v0
	ds_store_b128 v56, v[0:3]
.LBB356_22:                             ;   in Loop: Header=BB356_18 Depth=2
	s_or_b32 exec_lo, exec_lo, s6
	ds_bpermute_b32 v2, v58, v6
	ds_bpermute_b32 v3, v58, v7
	;; [unrolled: 1-line block ×4, first 2 shown]
	s_wait_storecnt_dscnt 0x0
	s_barrier_signal -1
	s_barrier_wait -1
	v_add_f64_e32 v[2:3], v[6:7], v[2:3]
	v_add_f64_e32 v[4:5], v[4:5], v[52:53]
	ds_bpermute_b32 v6, v59, v2
	ds_bpermute_b32 v7, v59, v3
	ds_bpermute_b32 v52, v59, v4
	ds_bpermute_b32 v53, v59, v5
	s_wait_dscnt 0x2
	v_add_f64_e32 v[2:3], v[2:3], v[6:7]
	s_wait_dscnt 0x0
	v_add_f64_e32 v[4:5], v[4:5], v[52:53]
	ds_bpermute_b32 v6, v60, v2
	ds_bpermute_b32 v7, v60, v3
	ds_bpermute_b32 v52, v60, v4
	ds_bpermute_b32 v53, v60, v5
	s_wait_dscnt 0x2
	v_add_f64_e32 v[2:3], v[2:3], v[6:7]
	s_wait_dscnt 0x0
	;; [unrolled: 8-line block ×3, first 2 shown]
	v_add_f64_e32 v[6:7], v[4:5], v[52:53]
	ds_bpermute_b32 v4, v62, v2
	ds_bpermute_b32 v5, v62, v3
	;; [unrolled: 1-line block ×4, first 2 shown]
	s_and_saveexec_b32 s6, s3
	s_cbranch_execz .LBB356_24
; %bb.23:                               ;   in Loop: Header=BB356_18 Depth=2
	s_wait_dscnt 0x0
	v_add_f64_e32 v[6:7], v[6:7], v[52:53]
	v_add_f64_e32 v[4:5], v[2:3], v[4:5]
	ds_store_b128 v57, v[4:7]
.LBB356_24:                             ;   in Loop: Header=BB356_18 Depth=2
	s_or_b32 exec_lo, exec_lo, s6
	v_mov_b64_e32 v[6:7], 0
	s_wait_dscnt 0x2
	v_mov_b64_e32 v[4:5], 0
	s_wait_dscnt 0x0
	s_barrier_signal -1
	s_barrier_wait -1
	s_and_saveexec_b32 s6, s2
	s_cbranch_execnz .LBB356_52
; %bb.25:                               ;   in Loop: Header=BB356_18 Depth=2
	s_or_b32 exec_lo, exec_lo, s6
	s_and_saveexec_b32 s6, s1
	s_cbranch_execnz .LBB356_53
.LBB356_26:                             ;   in Loop: Header=BB356_18 Depth=2
	s_or_b32 exec_lo, exec_lo, s6
	s_and_saveexec_b32 s6, s1
.LBB356_27:                             ;   in Loop: Header=BB356_18 Depth=2
	v_dual_mov_b32 v1, v0 :: v_dual_mov_b32 v2, v0
	v_mov_b32_e32 v3, v0
	ds_store_b128 v56, v[0:3]
.LBB356_28:                             ;   in Loop: Header=BB356_18 Depth=2
	s_or_b32 exec_lo, exec_lo, s6
	ds_bpermute_b32 v2, v58, v8
	ds_bpermute_b32 v3, v58, v9
	;; [unrolled: 1-line block ×4, first 2 shown]
	s_wait_dscnt 0x0
	s_barrier_signal -1
	s_barrier_wait -1
	v_add_f64_e32 v[2:3], v[8:9], v[2:3]
	v_add_f64_e32 v[8:9], v[10:11], v[52:53]
	ds_bpermute_b32 v10, v59, v2
	ds_bpermute_b32 v11, v59, v3
	ds_bpermute_b32 v52, v59, v8
	ds_bpermute_b32 v53, v59, v9
	s_wait_dscnt 0x2
	v_add_f64_e32 v[2:3], v[2:3], v[10:11]
	s_wait_dscnt 0x0
	v_add_f64_e32 v[8:9], v[8:9], v[52:53]
	ds_bpermute_b32 v10, v60, v2
	ds_bpermute_b32 v11, v60, v3
	ds_bpermute_b32 v52, v60, v8
	ds_bpermute_b32 v53, v60, v9
	s_wait_dscnt 0x2
	v_add_f64_e32 v[2:3], v[2:3], v[10:11]
	s_wait_dscnt 0x0
	;; [unrolled: 8-line block ×3, first 2 shown]
	v_add_f64_e32 v[10:11], v[8:9], v[52:53]
	ds_bpermute_b32 v8, v62, v2
	ds_bpermute_b32 v9, v62, v3
	;; [unrolled: 1-line block ×4, first 2 shown]
	s_and_saveexec_b32 s6, s3
	s_cbranch_execz .LBB356_30
; %bb.29:                               ;   in Loop: Header=BB356_18 Depth=2
	s_wait_dscnt 0x0
	v_add_f64_e32 v[10:11], v[10:11], v[52:53]
	v_add_f64_e32 v[8:9], v[2:3], v[8:9]
	ds_store_b128 v57, v[8:11]
.LBB356_30:                             ;   in Loop: Header=BB356_18 Depth=2
	s_or_b32 exec_lo, exec_lo, s6
	v_mov_b64_e32 v[10:11], 0
	s_wait_dscnt 0x2
	v_mov_b64_e32 v[8:9], 0
	s_wait_dscnt 0x0
	s_barrier_signal -1
	s_barrier_wait -1
	s_and_saveexec_b32 s6, s2
	s_cbranch_execnz .LBB356_54
; %bb.31:                               ;   in Loop: Header=BB356_18 Depth=2
	s_or_b32 exec_lo, exec_lo, s6
	s_and_saveexec_b32 s6, s1
	s_cbranch_execnz .LBB356_55
.LBB356_32:                             ;   in Loop: Header=BB356_18 Depth=2
	s_or_b32 exec_lo, exec_lo, s6
	s_and_saveexec_b32 s6, s1
.LBB356_33:                             ;   in Loop: Header=BB356_18 Depth=2
	v_dual_mov_b32 v1, v0 :: v_dual_mov_b32 v2, v0
	v_mov_b32_e32 v3, v0
	ds_store_b128 v56, v[0:3]
.LBB356_34:                             ;   in Loop: Header=BB356_18 Depth=2
	s_or_b32 exec_lo, exec_lo, s6
	ds_bpermute_b32 v2, v58, v12
	ds_bpermute_b32 v3, v58, v13
	;; [unrolled: 1-line block ×4, first 2 shown]
	s_wait_dscnt 0x0
	s_barrier_signal -1
	s_barrier_wait -1
	v_add_f64_e32 v[2:3], v[12:13], v[2:3]
	v_add_f64_e32 v[12:13], v[14:15], v[52:53]
	ds_bpermute_b32 v14, v59, v2
	ds_bpermute_b32 v15, v59, v3
	ds_bpermute_b32 v52, v59, v12
	ds_bpermute_b32 v53, v59, v13
	s_wait_dscnt 0x2
	v_add_f64_e32 v[2:3], v[2:3], v[14:15]
	s_wait_dscnt 0x0
	v_add_f64_e32 v[12:13], v[12:13], v[52:53]
	ds_bpermute_b32 v14, v60, v2
	ds_bpermute_b32 v15, v60, v3
	ds_bpermute_b32 v52, v60, v12
	ds_bpermute_b32 v53, v60, v13
	s_wait_dscnt 0x2
	v_add_f64_e32 v[2:3], v[2:3], v[14:15]
	s_wait_dscnt 0x0
	;; [unrolled: 8-line block ×3, first 2 shown]
	v_add_f64_e32 v[14:15], v[12:13], v[52:53]
	ds_bpermute_b32 v12, v62, v2
	ds_bpermute_b32 v13, v62, v3
	;; [unrolled: 1-line block ×4, first 2 shown]
	s_and_saveexec_b32 s6, s3
	s_cbranch_execz .LBB356_36
; %bb.35:                               ;   in Loop: Header=BB356_18 Depth=2
	s_wait_dscnt 0x0
	v_add_f64_e32 v[14:15], v[14:15], v[52:53]
	v_add_f64_e32 v[12:13], v[2:3], v[12:13]
	ds_store_b128 v57, v[12:15]
.LBB356_36:                             ;   in Loop: Header=BB356_18 Depth=2
	s_or_b32 exec_lo, exec_lo, s6
	v_mov_b64_e32 v[14:15], 0
	s_wait_dscnt 0x2
	v_mov_b64_e32 v[12:13], 0
	s_wait_dscnt 0x0
	s_barrier_signal -1
	s_barrier_wait -1
	s_and_saveexec_b32 s6, s2
	s_cbranch_execnz .LBB356_56
; %bb.37:                               ;   in Loop: Header=BB356_18 Depth=2
	s_or_b32 exec_lo, exec_lo, s6
	s_and_saveexec_b32 s6, s1
	s_cbranch_execnz .LBB356_57
.LBB356_38:                             ;   in Loop: Header=BB356_18 Depth=2
	s_or_b32 exec_lo, exec_lo, s6
	s_and_saveexec_b32 s6, s1
.LBB356_39:                             ;   in Loop: Header=BB356_18 Depth=2
	v_dual_mov_b32 v1, v0 :: v_dual_mov_b32 v2, v0
	v_mov_b32_e32 v3, v0
	ds_store_b128 v56, v[0:3]
.LBB356_40:                             ;   in Loop: Header=BB356_18 Depth=2
	s_or_b32 exec_lo, exec_lo, s6
	ds_bpermute_b32 v2, v58, v16
	ds_bpermute_b32 v3, v58, v17
	;; [unrolled: 1-line block ×4, first 2 shown]
	s_wait_dscnt 0x0
	s_barrier_signal -1
	s_barrier_wait -1
	v_add_f64_e32 v[2:3], v[16:17], v[2:3]
	v_add_f64_e32 v[16:17], v[18:19], v[52:53]
	ds_bpermute_b32 v18, v59, v2
	ds_bpermute_b32 v19, v59, v3
	ds_bpermute_b32 v52, v59, v16
	ds_bpermute_b32 v53, v59, v17
	s_wait_dscnt 0x2
	v_add_f64_e32 v[2:3], v[2:3], v[18:19]
	s_wait_dscnt 0x0
	v_add_f64_e32 v[16:17], v[16:17], v[52:53]
	ds_bpermute_b32 v18, v60, v2
	ds_bpermute_b32 v19, v60, v3
	ds_bpermute_b32 v52, v60, v16
	ds_bpermute_b32 v53, v60, v17
	s_wait_dscnt 0x2
	v_add_f64_e32 v[2:3], v[2:3], v[18:19]
	s_wait_dscnt 0x0
	;; [unrolled: 8-line block ×3, first 2 shown]
	v_add_f64_e32 v[18:19], v[16:17], v[52:53]
	ds_bpermute_b32 v16, v62, v2
	ds_bpermute_b32 v17, v62, v3
	;; [unrolled: 1-line block ×4, first 2 shown]
	s_and_saveexec_b32 s6, s3
	s_cbranch_execz .LBB356_42
; %bb.41:                               ;   in Loop: Header=BB356_18 Depth=2
	s_wait_dscnt 0x0
	v_add_f64_e32 v[18:19], v[18:19], v[52:53]
	v_add_f64_e32 v[16:17], v[2:3], v[16:17]
	ds_store_b128 v57, v[16:19]
.LBB356_42:                             ;   in Loop: Header=BB356_18 Depth=2
	s_or_b32 exec_lo, exec_lo, s6
	v_mov_b64_e32 v[18:19], 0
	s_wait_dscnt 0x2
	v_mov_b64_e32 v[16:17], 0
	s_wait_dscnt 0x0
	s_barrier_signal -1
	s_barrier_wait -1
	s_and_saveexec_b32 s6, s2
	s_cbranch_execnz .LBB356_58
; %bb.43:                               ;   in Loop: Header=BB356_18 Depth=2
	s_or_b32 exec_lo, exec_lo, s6
	s_and_saveexec_b32 s6, s1
	s_cbranch_execnz .LBB356_59
.LBB356_44:                             ;   in Loop: Header=BB356_18 Depth=2
	s_or_b32 exec_lo, exec_lo, s6
	s_and_saveexec_b32 s6, s0
	s_cbranch_execz .LBB356_17
	s_branch .LBB356_60
.LBB356_45:                             ;   in Loop: Header=BB356_18 Depth=2
	s_clause 0x2
	flat_load_b128 v[2:5], v[38:39]
	flat_load_b128 v[6:9], v[40:41]
	;; [unrolled: 1-line block ×3, first 2 shown]
	s_mul_u64 s[6:7], s[24:25], s[26:27]
	s_or_b32 s64, s24, 1
	s_mov_b32 s65, s25
	s_or_b32 s66, s24, 2
	s_mov_b32 s67, s25
	;; [unrolled: 2-line block ×3, first 2 shown]
	s_wait_dscnt 0x3
	v_lshl_add_u64 v[18:19], s[6:7], 4, v[34:35]
	s_mul_u64 s[6:7], s[64:65], s[26:27]
	s_mul_u64 s[64:65], s[66:67], s[26:27]
	v_lshl_add_u64 v[52:53], s[6:7], 4, v[34:35]
	s_mul_u64 s[6:7], s[68:69], s[26:27]
	v_lshl_add_u64 v[120:121], s[64:65], 4, v[34:35]
	v_lshl_add_u64 v[124:125], s[6:7], 4, v[34:35]
	flat_load_b128 v[64:67], v[36:37]
	s_clause 0x4
	flat_load_b128 v[14:17], v[18:19]
	flat_load_b128 v[68:71], v[52:53]
	;; [unrolled: 1-line block ×4, first 2 shown]
	flat_load_b128 v[80:83], v[18:19] offset:16
	s_wait_loadcnt_dscnt 0x808
	scratch_store_b128 off, v[2:5], s60
	scratch_load_b128 v[2:5], off, off offset:16
	s_clause 0x3
	flat_load_b128 v[84:87], v[52:53] offset:16
	flat_load_b128 v[88:91], v[120:121] offset:16
	flat_load_b128 v[92:95], v[124:125] offset:16
	flat_load_b128 v[96:99], v[18:19] offset:32
	s_wait_loadcnt_dscnt 0xc0b
	scratch_store_b128 off, v[6:9], s61
	scratch_load_b128 v[6:9], off, off offset:32
	s_clause 0x3
	flat_load_b128 v[100:103], v[52:53] offset:32
	flat_load_b128 v[104:107], v[120:121] offset:32
	flat_load_b128 v[108:111], v[124:125] offset:32
	;; [unrolled: 8-line block ×3, first 2 shown]
	s_wait_loadcnt_dscnt 0x1310
	scratch_store_b128 off, v[64:67], off
	s_wait_loadcnt_dscnt 0x120f
	v_mul_f64_e32 v[18:19], v[66:67], v[16:17]
	v_mul_f64_e32 v[16:17], v[64:65], v[16:17]
	s_wait_loadcnt_dscnt 0x110e
	s_wait_xcnt 0x3
	v_mul_f64_e32 v[52:53], v[66:67], v[70:71]
	v_mul_f64_e32 v[70:71], v[64:65], v[70:71]
	s_wait_loadcnt_dscnt 0x100d
	v_mul_f64_e32 v[128:129], v[66:67], v[74:75]
	v_mul_f64_e32 v[74:75], v[64:65], v[74:75]
	s_wait_loadcnt_dscnt 0xf0c
	v_mul_f64_e32 v[130:131], v[66:67], v[78:79]
	v_mul_f64_e32 v[78:79], v[64:65], v[78:79]
	v_fma_f64 v[18:19], v[64:65], v[14:15], -v[18:19]
	v_fmac_f64_e32 v[16:17], v[66:67], v[14:15]
	v_fma_f64 v[14:15], v[64:65], v[68:69], -v[52:53]
	v_fmac_f64_e32 v[70:71], v[66:67], v[68:69]
	;; [unrolled: 2-line block ×4, first 2 shown]
	v_add_f64_e32 v[18:19], 0, v[18:19]
	v_add_f64_e32 v[16:17], 0, v[16:17]
	;; [unrolled: 1-line block ×8, first 2 shown]
	s_wait_loadcnt_dscnt 0xd0b
	v_mul_f64_e32 v[72:73], v[4:5], v[82:83]
	v_mul_f64_e32 v[76:77], v[2:3], v[82:83]
	s_wait_loadcnt_dscnt 0xc0a
	v_mul_f64_e32 v[82:83], v[4:5], v[86:87]
	v_mul_f64_e32 v[86:87], v[2:3], v[86:87]
	;; [unrolled: 3-line block ×8, first 2 shown]
	v_fma_f64 v[72:73], v[2:3], v[80:81], -v[72:73]
	v_fmac_f64_e32 v[76:77], v[4:5], v[80:81]
	v_fma_f64 v[80:81], v[2:3], v[84:85], -v[82:83]
	v_fmac_f64_e32 v[86:87], v[4:5], v[84:85]
	;; [unrolled: 2-line block ×4, first 2 shown]
	s_wait_loadcnt_dscnt 0x303
	v_mul_f64_e32 v[4:5], v[12:13], v[114:115]
	v_mul_f64_e32 v[84:85], v[10:11], v[114:115]
	s_wait_loadcnt_dscnt 0x202
	v_mul_f64_e32 v[88:89], v[12:13], v[118:119]
	v_mul_f64_e32 v[92:93], v[10:11], v[118:119]
	;; [unrolled: 3-line block ×4, first 2 shown]
	v_fma_f64 v[128:129], v[6:7], v[96:97], -v[132:133]
	v_fmac_f64_e32 v[98:99], v[8:9], v[96:97]
	v_fma_f64 v[96:97], v[6:7], v[100:101], -v[134:135]
	v_fmac_f64_e32 v[102:103], v[8:9], v[100:101]
	;; [unrolled: 2-line block ×4, first 2 shown]
	v_add_f64_e32 v[8:9], v[18:19], v[72:73]
	v_add_f64_e32 v[16:17], v[16:17], v[76:77]
	v_add_f64_e32 v[14:15], v[14:15], v[80:81]
	v_add_f64_e32 v[18:19], v[70:71], v[86:87]
	v_add_f64_e32 v[52:53], v[52:53], v[82:83]
	v_add_f64_e32 v[70:71], v[74:75], v[90:91]
	v_add_f64_e32 v[2:3], v[68:69], v[2:3]
	v_add_f64_e32 v[68:69], v[78:79], v[94:95]
	v_fma_f64 v[4:5], v[10:11], v[112:113], -v[4:5]
	v_fmac_f64_e32 v[84:85], v[12:13], v[112:113]
	v_fma_f64 v[72:73], v[10:11], v[116:117], -v[88:89]
	v_fmac_f64_e32 v[92:93], v[12:13], v[116:117]
	;; [unrolled: 2-line block ×4, first 2 shown]
	v_add_f64_e32 v[8:9], v[8:9], v[128:129]
	v_add_f64_e32 v[10:11], v[16:17], v[98:99]
	v_add_f64_e32 v[12:13], v[14:15], v[96:97]
	v_add_f64_e32 v[14:15], v[18:19], v[102:103]
	v_add_f64_e32 v[16:17], v[52:53], v[100:101]
	v_add_f64_e32 v[18:19], v[70:71], v[106:107]
	v_add_f64_e32 v[2:3], v[2:3], v[6:7]
	v_add_f64_e32 v[52:53], v[68:69], v[110:111]
	v_add_f64_e32 v[6:7], v[8:9], v[4:5]
	v_add_f64_e32 v[4:5], v[10:11], v[84:85]
	v_add_f64_e32 v[8:9], v[12:13], v[72:73]
	v_add_f64_e32 v[10:11], v[14:15], v[92:93]
	v_add_f64_e32 v[12:13], v[16:17], v[74:75]
	v_add_f64_e32 v[14:15], v[18:19], v[118:119]
	v_add_f64_e32 v[16:17], v[2:3], v[76:77]
	v_add_f64_e32 v[18:19], v[52:53], v[126:127]
	s_wait_xcnt 0x0
	s_and_not1_saveexec_b32 s6, s8
	s_cbranch_execz .LBB356_20
.LBB356_46:                             ;   in Loop: Header=BB356_18 Depth=2
	s_wait_dscnt 0x0
	v_mov_b64_e32 v[16:17], 0
	v_mov_b64_e32 v[18:19], 0
	;; [unrolled: 1-line block ×8, first 2 shown]
	s_and_saveexec_b32 s7, s4
	s_cbranch_execz .LBB356_62
; %bb.47:                               ;   in Loop: Header=BB356_18 Depth=2
	s_and_not1_b32 vcc_lo, exec_lo, s59
	s_cbranch_vccnz .LBB356_61
; %bb.48:                               ;   in Loop: Header=BB356_18 Depth=2
	v_mov_b64_e32 v[2:3], v[48:49]
	s_mov_b32 s8, 0
	s_mov_b32 s9, s57
.LBB356_49:                             ;   Parent Loop BB356_3 Depth=1
                                        ;     Parent Loop BB356_18 Depth=2
                                        ; =>    This Inner Loop Header: Depth=3
	flat_load_b128 v[4:7], v[2:3]
	s_wait_xcnt 0x0
	v_add_nc_u64_e32 v[2:3], s[44:45], v[2:3]
	s_add_co_i32 s9, s9, -1
	s_wait_loadcnt_dscnt 0x0
	scratch_store_b128 off, v[4:7], s8
	s_wait_xcnt 0x0
	s_add_co_i32 s8, s8, 16
	s_cmp_eq_u32 s9, 0
	s_cbranch_scc0 .LBB356_49
; %bb.50:                               ;   in Loop: Header=BB356_18 Depth=2
	v_mov_b64_e32 v[4:5], 0
	v_mov_b64_e32 v[6:7], 0
	;; [unrolled: 1-line block ×9, first 2 shown]
	s_mov_b32 s8, s63
	s_mov_b32 s9, s57
.LBB356_51:                             ;   Parent Loop BB356_3 Depth=1
                                        ;     Parent Loop BB356_18 Depth=2
                                        ; =>    This Inner Loop Header: Depth=3
	s_delay_alu instid0(VALU_DEP_1)
	v_add_nc_u64_e32 v[52:53], s[50:51], v[2:3]
	scratch_load_b128 v[64:67], off, s8 offset:-8
	s_add_co_i32 s9, s9, -1
	s_wait_xcnt 0x0
	s_add_co_i32 s8, s8, 16
	s_cmp_lg_u32 s9, 0
	v_add_nc_u64_e32 v[76:77], s[50:51], v[52:53]
	s_delay_alu instid0(VALU_DEP_1)
	v_add_nc_u64_e32 v[80:81], s[50:51], v[76:77]
	s_clause 0x3
	flat_load_b128 v[68:71], v[2:3]
	flat_load_b128 v[72:75], v[52:53]
	flat_load_b128 v[76:79], v[76:77]
	flat_load_b128 v[80:83], v[80:81]
	s_wait_xcnt 0x3
	v_add_nc_u64_e32 v[2:3], 16, v[2:3]
	s_wait_loadcnt_dscnt 0x303
	s_wait_xcnt 0x2
	v_mul_f64_e32 v[52:53], v[66:67], v[70:71]
	v_mul_f64_e32 v[70:71], v[64:65], v[70:71]
	s_wait_loadcnt_dscnt 0x202
	v_mul_f64_e32 v[84:85], v[66:67], v[74:75]
	v_mul_f64_e32 v[74:75], v[64:65], v[74:75]
	s_wait_loadcnt_dscnt 0x101
	;; [unrolled: 3-line block ×3, first 2 shown]
	v_mul_f64_e32 v[88:89], v[66:67], v[82:83]
	v_mul_f64_e32 v[82:83], v[64:65], v[82:83]
	v_fma_f64 v[52:53], v[64:65], v[68:69], -v[52:53]
	v_fmac_f64_e32 v[70:71], v[66:67], v[68:69]
	v_fma_f64 v[68:69], v[64:65], v[72:73], -v[84:85]
	v_fmac_f64_e32 v[74:75], v[66:67], v[72:73]
	;; [unrolled: 2-line block ×4, first 2 shown]
	v_add_f64_e32 v[6:7], v[6:7], v[52:53]
	v_add_f64_e32 v[4:5], v[4:5], v[70:71]
	v_add_f64_e32 v[8:9], v[8:9], v[68:69]
	v_add_f64_e32 v[10:11], v[10:11], v[74:75]
	v_add_f64_e32 v[12:13], v[12:13], v[72:73]
	v_add_f64_e32 v[14:15], v[14:15], v[78:79]
	v_add_f64_e32 v[16:17], v[16:17], v[64:65]
	v_add_f64_e32 v[18:19], v[18:19], v[82:83]
	s_cbranch_scc1 .LBB356_51
	s_branch .LBB356_62
.LBB356_52:                             ;   in Loop: Header=BB356_18 Depth=2
	ds_load_b128 v[4:7], v56
	s_or_b32 exec_lo, exec_lo, s6
	s_and_saveexec_b32 s6, s1
	s_cbranch_execz .LBB356_26
.LBB356_53:                             ;   in Loop: Header=BB356_18 Depth=2
	s_wait_dscnt 0x0
	ds_bpermute_b32 v2, v60, v4
	ds_bpermute_b32 v3, v60, v5
	ds_bpermute_b32 v52, v60, v6
	ds_bpermute_b32 v53, v60, v7
	s_wait_dscnt 0x2
	v_add_f64_e32 v[2:3], v[4:5], v[2:3]
	s_wait_dscnt 0x0
	v_add_f64_e32 v[4:5], v[6:7], v[52:53]
	ds_bpermute_b32 v6, v61, v2
	ds_bpermute_b32 v7, v61, v3
	ds_bpermute_b32 v52, v61, v4
	ds_bpermute_b32 v53, v61, v5
	s_wait_dscnt 0x2
	v_add_f64_e32 v[2:3], v[2:3], v[6:7]
	s_wait_dscnt 0x0
	v_add_f64_e32 v[6:7], v[4:5], v[52:53]
	;; [unrolled: 8-line block ×3, first 2 shown]
	s_or_b32 exec_lo, exec_lo, s6
	s_and_saveexec_b32 s6, s1
	s_cbranch_execnz .LBB356_27
	s_branch .LBB356_28
.LBB356_54:                             ;   in Loop: Header=BB356_18 Depth=2
	ds_load_b128 v[8:11], v56
	s_or_b32 exec_lo, exec_lo, s6
	s_and_saveexec_b32 s6, s1
	s_cbranch_execz .LBB356_32
.LBB356_55:                             ;   in Loop: Header=BB356_18 Depth=2
	s_wait_dscnt 0x0
	ds_bpermute_b32 v2, v60, v8
	ds_bpermute_b32 v3, v60, v9
	ds_bpermute_b32 v52, v60, v10
	ds_bpermute_b32 v53, v60, v11
	s_wait_dscnt 0x2
	v_add_f64_e32 v[2:3], v[8:9], v[2:3]
	s_wait_dscnt 0x0
	v_add_f64_e32 v[8:9], v[10:11], v[52:53]
	ds_bpermute_b32 v10, v61, v2
	ds_bpermute_b32 v11, v61, v3
	ds_bpermute_b32 v52, v61, v8
	ds_bpermute_b32 v53, v61, v9
	s_wait_dscnt 0x2
	v_add_f64_e32 v[2:3], v[2:3], v[10:11]
	s_wait_dscnt 0x0
	v_add_f64_e32 v[10:11], v[8:9], v[52:53]
	ds_bpermute_b32 v8, v62, v2
	ds_bpermute_b32 v9, v62, v3
	ds_bpermute_b32 v52, v62, v10
	ds_bpermute_b32 v53, v62, v11
	s_wait_dscnt 0x2
	v_add_f64_e32 v[8:9], v[2:3], v[8:9]
	s_wait_dscnt 0x0
	v_add_f64_e32 v[10:11], v[10:11], v[52:53]
	s_or_b32 exec_lo, exec_lo, s6
	s_and_saveexec_b32 s6, s1
	s_cbranch_execnz .LBB356_33
	s_branch .LBB356_34
.LBB356_56:                             ;   in Loop: Header=BB356_18 Depth=2
	ds_load_b128 v[12:15], v56
	s_or_b32 exec_lo, exec_lo, s6
	s_and_saveexec_b32 s6, s1
	s_cbranch_execz .LBB356_38
.LBB356_57:                             ;   in Loop: Header=BB356_18 Depth=2
	s_wait_dscnt 0x0
	ds_bpermute_b32 v2, v60, v12
	ds_bpermute_b32 v3, v60, v13
	ds_bpermute_b32 v52, v60, v14
	ds_bpermute_b32 v53, v60, v15
	s_wait_dscnt 0x2
	v_add_f64_e32 v[2:3], v[12:13], v[2:3]
	s_wait_dscnt 0x0
	v_add_f64_e32 v[12:13], v[14:15], v[52:53]
	ds_bpermute_b32 v14, v61, v2
	ds_bpermute_b32 v15, v61, v3
	ds_bpermute_b32 v52, v61, v12
	ds_bpermute_b32 v53, v61, v13
	s_wait_dscnt 0x2
	v_add_f64_e32 v[2:3], v[2:3], v[14:15]
	s_wait_dscnt 0x0
	v_add_f64_e32 v[14:15], v[12:13], v[52:53]
	;; [unrolled: 8-line block ×3, first 2 shown]
	s_or_b32 exec_lo, exec_lo, s6
	s_and_saveexec_b32 s6, s1
	s_cbranch_execnz .LBB356_39
	s_branch .LBB356_40
.LBB356_58:                             ;   in Loop: Header=BB356_18 Depth=2
	ds_load_b128 v[16:19], v56
	s_or_b32 exec_lo, exec_lo, s6
	s_and_saveexec_b32 s6, s1
	s_cbranch_execz .LBB356_44
.LBB356_59:                             ;   in Loop: Header=BB356_18 Depth=2
	s_wait_dscnt 0x0
	ds_bpermute_b32 v2, v60, v16
	ds_bpermute_b32 v3, v60, v17
	ds_bpermute_b32 v52, v60, v18
	ds_bpermute_b32 v53, v60, v19
	s_wait_dscnt 0x2
	v_add_f64_e32 v[2:3], v[16:17], v[2:3]
	s_wait_dscnt 0x0
	v_add_f64_e32 v[16:17], v[18:19], v[52:53]
	ds_bpermute_b32 v18, v61, v2
	ds_bpermute_b32 v19, v61, v3
	ds_bpermute_b32 v52, v61, v16
	ds_bpermute_b32 v53, v61, v17
	s_wait_dscnt 0x2
	v_add_f64_e32 v[2:3], v[2:3], v[18:19]
	s_wait_dscnt 0x0
	v_add_f64_e32 v[18:19], v[16:17], v[52:53]
	;; [unrolled: 8-line block ×3, first 2 shown]
	s_or_b32 exec_lo, exec_lo, s6
	s_and_saveexec_b32 s6, s0
	s_cbranch_execz .LBB356_17
.LBB356_60:                             ;   in Loop: Header=BB356_18 Depth=2
	v_mul_f64_e32 v[2:3], s[14:15], v[6:7]
	v_mul_f64_e32 v[66:67], s[12:13], v[6:7]
	;; [unrolled: 1-line block ×6, first 2 shown]
	s_wait_dscnt 0x0
	v_mul_f64_e32 v[70:71], s[14:15], v[18:19]
	v_mul_f64_e32 v[14:15], s[12:13], v[18:19]
	s_or_b32 s64, s24, 1
	s_mov_b32 s65, s25
	s_mul_u64 s[8:9], s[24:25], s[34:35]
	s_or_b32 s66, s24, 2
	s_mov_b32 s67, s25
	s_or_b32 s68, s24, 3
	s_mov_b32 s69, s25
	s_mul_u64 s[64:65], s[64:65], s[34:35]
	s_lshl_b64 s[8:9], s[8:9], 4
	s_mul_u64 s[66:67], s[66:67], s[34:35]
	s_mul_u64 s[68:69], s[68:69], s[34:35]
	s_lshl_b64 s[64:65], s[64:65], 4
	s_add_nc_u64 s[8:9], s[52:53], s[8:9]
	s_lshl_b64 s[66:67], s[66:67], 4
	s_lshl_b64 s[68:69], s[68:69], 4
	s_add_nc_u64 s[64:65], s[52:53], s[64:65]
	s_add_nc_u64 s[66:67], s[52:53], s[66:67]
	s_add_nc_u64 s[68:69], s[52:53], s[68:69]
	v_fma_f64 v[64:65], s[12:13], v[4:5], -v[2:3]
	v_fmac_f64_e32 v[66:67], s[14:15], v[4:5]
	v_fma_f64 v[4:5], s[12:13], v[8:9], -v[52:53]
	v_fmac_f64_e32 v[6:7], s[14:15], v[8:9]
	;; [unrolled: 2-line block ×4, first 2 shown]
	s_clause 0x3
	global_store_b128 v0, v[64:67], s[8:9]
	global_store_b128 v0, v[4:7], s[64:65]
	;; [unrolled: 1-line block ×4, first 2 shown]
	s_branch .LBB356_17
.LBB356_61:                             ;   in Loop: Header=BB356_18 Depth=2
	v_mov_b64_e32 v[16:17], 0
	v_mov_b64_e32 v[18:19], 0
	;; [unrolled: 1-line block ×8, first 2 shown]
.LBB356_62:                             ;   in Loop: Header=BB356_18 Depth=2
	s_wait_xcnt 0x0
	s_or_b32 exec_lo, exec_lo, s7
	s_delay_alu instid0(SALU_CYCLE_1)
	s_or_b32 exec_lo, exec_lo, s6
	s_and_saveexec_b32 s6, s1
	s_cbranch_execnz .LBB356_21
	s_branch .LBB356_22
.LBB356_63:                             ;   in Loop: Header=BB356_3 Depth=1
	s_mov_b32 s24, 0
.LBB356_64:                             ;   in Loop: Header=BB356_3 Depth=1
	s_delay_alu instid0(SALU_CYCLE_1)
	s_cmp_ge_i32 s24, s29
	s_cbranch_scc1 .LBB356_2
; %bb.65:                               ;   in Loop: Header=BB356_3 Depth=1
	v_cmp_gt_u32_e32 vcc_lo, 24, v54
	v_add_nc_u64_e32 v[2:3], v[46:47], v[30:31]
	v_cndmask_b32_e64 v1, 0, 8, vcc_lo
	v_cmp_gt_u32_e32 vcc_lo, 28, v54
	s_delay_alu instid0(VALU_DEP_3) | instskip(NEXT) | instid1(VALU_DEP_3)
	v_mad_nc_u64_u32 v[6:7], s50, s24, v[2:3]
	v_add_lshl_u32 v12, v1, v54, 2
	v_cndmask_b32_e64 v2, 0, 4, vcc_lo
	v_cmp_gt_u32_e32 vcc_lo, 30, v54
	s_delay_alu instid0(VALU_DEP_2) | instskip(SKIP_3) | instid1(VALU_DEP_3)
	v_add_lshl_u32 v13, v2, v54, 2
	v_cndmask_b32_e64 v3, 0, 2, vcc_lo
	v_cmp_ne_u32_e32 vcc_lo, 31, v54
	v_mad_u32 v7, s51, s24, v7
	v_add_lshl_u32 v14, v3, v54, 2
	v_add_co_ci_u32_e64 v4, null, 0, v54, vcc_lo
	s_delay_alu instid0(VALU_DEP_1)
	v_lshlrev_b32_e32 v15, 2, v4
	s_branch .LBB356_67
.LBB356_66:                             ;   in Loop: Header=BB356_67 Depth=2
	s_wait_xcnt 0x0
	s_or_b32 exec_lo, exec_lo, s6
	v_add_nc_u64_e32 v[6:7], s[50:51], v[6:7]
	s_add_co_i32 s24, s24, 1
	s_delay_alu instid0(SALU_CYCLE_1)
	s_cmp_lt_i32 s24, s29
	s_cbranch_scc0 .LBB356_2
.LBB356_67:                             ;   Parent Loop BB356_3 Depth=1
                                        ; =>  This Loop Header: Depth=2
                                        ;       Child Loop BB356_79 Depth 3
                                        ;       Child Loop BB356_81 Depth 3
                                        ; implicit-def: $vgpr4_vgpr5
                                        ; implicit-def: $vgpr8_vgpr9
	s_and_saveexec_b32 s6, s5
	s_delay_alu instid0(SALU_CYCLE_1)
	s_xor_b32 s6, exec_lo, s6
	s_cbranch_execnz .LBB356_76
; %bb.68:                               ;   in Loop: Header=BB356_67 Depth=2
	s_and_not1_saveexec_b32 s6, s6
	s_cbranch_execnz .LBB356_77
.LBB356_69:                             ;   in Loop: Header=BB356_67 Depth=2
	s_or_b32 exec_lo, exec_lo, s6
	s_and_saveexec_b32 s6, s1
	s_cbranch_execz .LBB356_71
.LBB356_70:                             ;   in Loop: Header=BB356_67 Depth=2
	s_wait_dscnt 0x0
	v_dual_mov_b32 v1, v0 :: v_dual_mov_b32 v2, v0
	v_mov_b32_e32 v3, v0
	ds_store_b128 v56, v[0:3]
.LBB356_71:                             ;   in Loop: Header=BB356_67 Depth=2
	s_or_b32 exec_lo, exec_lo, s6
	s_wait_dscnt 0x0
	ds_bpermute_b32 v2, v58, v4
	ds_bpermute_b32 v3, v58, v5
	;; [unrolled: 1-line block ×4, first 2 shown]
	s_wait_storecnt_dscnt 0x0
	s_barrier_signal -1
	s_barrier_wait -1
	v_add_f64_e32 v[2:3], v[4:5], v[2:3]
	v_add_f64_e32 v[4:5], v[8:9], v[10:11]
	ds_bpermute_b32 v8, v12, v2
	ds_bpermute_b32 v9, v12, v3
	ds_bpermute_b32 v10, v12, v4
	ds_bpermute_b32 v11, v12, v5
	s_wait_dscnt 0x2
	v_add_f64_e32 v[2:3], v[2:3], v[8:9]
	s_wait_dscnt 0x0
	v_add_f64_e32 v[4:5], v[4:5], v[10:11]
	ds_bpermute_b32 v8, v13, v2
	ds_bpermute_b32 v9, v13, v3
	ds_bpermute_b32 v10, v13, v4
	ds_bpermute_b32 v11, v13, v5
	s_wait_dscnt 0x2
	v_add_f64_e32 v[2:3], v[2:3], v[8:9]
	s_wait_dscnt 0x0
	;; [unrolled: 8-line block ×3, first 2 shown]
	v_add_f64_e32 v[8:9], v[4:5], v[10:11]
	ds_bpermute_b32 v4, v15, v2
	ds_bpermute_b32 v5, v15, v3
	;; [unrolled: 1-line block ×4, first 2 shown]
	s_and_saveexec_b32 s6, s3
	s_cbranch_execz .LBB356_73
; %bb.72:                               ;   in Loop: Header=BB356_67 Depth=2
	s_wait_dscnt 0x0
	v_add_f64_e32 v[10:11], v[8:9], v[10:11]
	v_add_f64_e32 v[8:9], v[2:3], v[4:5]
	ds_store_b128 v57, v[8:11]
.LBB356_73:                             ;   in Loop: Header=BB356_67 Depth=2
	s_or_b32 exec_lo, exec_lo, s6
	s_wait_dscnt 0x2
	v_mov_b64_e32 v[4:5], 0
	v_mov_b64_e32 v[2:3], 0
	s_wait_dscnt 0x0
	s_barrier_signal -1
	s_barrier_wait -1
	s_and_saveexec_b32 s6, s2
	s_cbranch_execnz .LBB356_83
; %bb.74:                               ;   in Loop: Header=BB356_67 Depth=2
	s_or_b32 exec_lo, exec_lo, s6
	s_and_saveexec_b32 s6, s1
	s_cbranch_execnz .LBB356_84
.LBB356_75:                             ;   in Loop: Header=BB356_67 Depth=2
	s_or_b32 exec_lo, exec_lo, s6
	s_and_saveexec_b32 s6, s0
	s_cbranch_execz .LBB356_66
	s_branch .LBB356_85
.LBB356_76:                             ;   in Loop: Header=BB356_67 Depth=2
	s_wait_dscnt 0x0
	s_clause 0x1
	flat_load_b128 v[2:5], v[38:39]
	flat_load_b128 v[8:11], v[40:41]
	s_wait_dscnt 0x2
	flat_load_b128 v[16:19], v[42:43]
	s_mul_u64 s[8:9], s[24:25], s[26:27]
	s_delay_alu instid0(SALU_CYCLE_1)
	v_lshl_add_u64 v[68:69], s[8:9], 4, v[34:35]
	flat_load_b128 v[46:49], v[36:37]
	s_clause 0x1
	flat_load_b128 v[50:53], v[68:69]
	flat_load_b128 v[60:63], v[68:69] offset:16
	s_wait_loadcnt_dscnt 0x505
	scratch_store_b128 off, v[2:5], s60
	s_wait_loadcnt_dscnt 0x404
	scratch_store_b128 off, v[8:11], s61
	s_clause 0x1
	scratch_load_b128 v[2:5], off, off offset:16
	scratch_load_b128 v[8:11], off, off offset:32
	s_clause 0x1
	flat_load_b128 v[64:67], v[68:69] offset:32
	flat_load_b128 v[68:71], v[68:69] offset:48
	s_wait_loadcnt_dscnt 0x705
	scratch_store_b128 off, v[16:19], s62
	scratch_load_b128 v[16:19], off, off offset:48
	s_wait_loadcnt_dscnt 0x704
	scratch_store_b128 off, v[46:49], off
	s_wait_loadcnt_dscnt 0x603
	v_mul_f64_e32 v[72:73], v[52:53], v[48:49]
	v_mul_f64_e32 v[74:75], v[50:51], v[48:49]
	s_delay_alu instid0(VALU_DEP_2) | instskip(NEXT) | instid1(VALU_DEP_2)
	v_fma_f64 v[50:51], v[50:51], v[46:47], -v[72:73]
	v_fmac_f64_e32 v[74:75], v[52:53], v[46:47]
	s_delay_alu instid0(VALU_DEP_2) | instskip(NEXT) | instid1(VALU_DEP_2)
	v_add_f64_e32 v[50:51], 0, v[50:51]
	v_add_f64_e32 v[72:73], 0, v[74:75]
	s_wait_loadcnt_dscnt 0x402
	v_mul_f64_e32 v[52:53], v[62:63], v[4:5]
	v_mul_f64_e32 v[4:5], v[60:61], v[4:5]
	s_wait_loadcnt_dscnt 0x201
	v_mul_f64_e32 v[74:75], v[66:67], v[10:11]
	v_mul_f64_e32 v[10:11], v[64:65], v[10:11]
	s_delay_alu instid0(VALU_DEP_4) | instskip(NEXT) | instid1(VALU_DEP_4)
	v_fma_f64 v[52:53], v[60:61], v[2:3], -v[52:53]
	v_fmac_f64_e32 v[4:5], v[62:63], v[2:3]
	s_wait_loadcnt_dscnt 0x0
	v_mul_f64_e32 v[2:3], v[70:71], v[18:19]
	v_mul_f64_e32 v[18:19], v[68:69], v[18:19]
	v_fma_f64 v[60:61], v[64:65], v[8:9], -v[74:75]
	v_fmac_f64_e32 v[10:11], v[66:67], v[8:9]
	v_add_f64_e32 v[8:9], v[50:51], v[52:53]
	v_add_f64_e32 v[4:5], v[72:73], v[4:5]
	v_fma_f64 v[2:3], v[68:69], v[16:17], -v[2:3]
	v_fmac_f64_e32 v[18:19], v[70:71], v[16:17]
	s_delay_alu instid0(VALU_DEP_4) | instskip(NEXT) | instid1(VALU_DEP_4)
	v_add_f64_e32 v[8:9], v[8:9], v[60:61]
	v_add_f64_e32 v[10:11], v[4:5], v[10:11]
	s_delay_alu instid0(VALU_DEP_2) | instskip(NEXT) | instid1(VALU_DEP_2)
	v_add_f64_e32 v[4:5], v[8:9], v[2:3]
	v_add_f64_e32 v[8:9], v[10:11], v[18:19]
	s_wait_xcnt 0x0
	s_and_not1_saveexec_b32 s6, s6
	s_cbranch_execz .LBB356_69
.LBB356_77:                             ;   in Loop: Header=BB356_67 Depth=2
	s_wait_dscnt 0x0
	v_mov_b64_e32 v[4:5], 0
	v_mov_b64_e32 v[8:9], 0
	s_and_saveexec_b32 s7, s28
	s_cbranch_execz .LBB356_82
; %bb.78:                               ;   in Loop: Header=BB356_67 Depth=2
	v_mov_b64_e32 v[2:3], v[44:45]
	s_mov_b32 s8, 0
	s_mov_b32 s9, s57
.LBB356_79:                             ;   Parent Loop BB356_3 Depth=1
                                        ;     Parent Loop BB356_67 Depth=2
                                        ; =>    This Inner Loop Header: Depth=3
	flat_load_b128 v[8:11], v[2:3]
	s_wait_xcnt 0x0
	v_add_nc_u64_e32 v[2:3], s[44:45], v[2:3]
	s_add_co_i32 s9, s9, -1
	s_wait_loadcnt_dscnt 0x0
	scratch_store_b128 off, v[8:11], s8
	s_wait_xcnt 0x0
	s_add_co_i32 s8, s8, 16
	s_cmp_eq_u32 s9, 0
	s_cbranch_scc0 .LBB356_79
; %bb.80:                               ;   in Loop: Header=BB356_67 Depth=2
	v_mov_b64_e32 v[4:5], 0
	v_mov_b64_e32 v[8:9], 0
	;; [unrolled: 1-line block ×3, first 2 shown]
	s_mov_b32 s8, s63
	s_mov_b32 s9, s57
.LBB356_81:                             ;   Parent Loop BB356_3 Depth=1
                                        ;     Parent Loop BB356_67 Depth=2
                                        ; =>    This Inner Loop Header: Depth=3
	flat_load_b128 v[16:19], v[2:3] offset:-8
	scratch_load_b128 v[46:49], off, s8 offset:-8
	s_wait_xcnt 0x1
	v_add_nc_u64_e32 v[2:3], 16, v[2:3]
	s_add_co_i32 s9, s9, -1
	s_wait_xcnt 0x0
	s_add_co_i32 s8, s8, 16
	s_cmp_lg_u32 s9, 0
	s_wait_loadcnt_dscnt 0x0
	v_mul_f64_e32 v[10:11], v[18:19], v[48:49]
	v_mul_f64_e32 v[48:49], v[16:17], v[48:49]
	s_delay_alu instid0(VALU_DEP_2) | instskip(NEXT) | instid1(VALU_DEP_2)
	v_fma_f64 v[10:11], v[16:17], v[46:47], -v[10:11]
	v_fmac_f64_e32 v[48:49], v[18:19], v[46:47]
	s_delay_alu instid0(VALU_DEP_2) | instskip(NEXT) | instid1(VALU_DEP_2)
	v_add_f64_e32 v[4:5], v[4:5], v[10:11]
	v_add_f64_e32 v[8:9], v[8:9], v[48:49]
	s_cbranch_scc1 .LBB356_81
.LBB356_82:                             ;   in Loop: Header=BB356_67 Depth=2
	s_or_b32 exec_lo, exec_lo, s7
	s_delay_alu instid0(SALU_CYCLE_1)
	s_or_b32 exec_lo, exec_lo, s6
	s_and_saveexec_b32 s6, s1
	s_cbranch_execnz .LBB356_70
	s_branch .LBB356_71
.LBB356_83:                             ;   in Loop: Header=BB356_67 Depth=2
	ds_load_b128 v[2:5], v56
	s_or_b32 exec_lo, exec_lo, s6
	s_and_saveexec_b32 s6, s1
	s_cbranch_execz .LBB356_75
.LBB356_84:                             ;   in Loop: Header=BB356_67 Depth=2
	s_wait_dscnt 0x0
	ds_bpermute_b32 v8, v13, v2
	ds_bpermute_b32 v9, v13, v3
	ds_bpermute_b32 v10, v13, v4
	ds_bpermute_b32 v11, v13, v5
	s_wait_dscnt 0x2
	v_add_f64_e32 v[2:3], v[2:3], v[8:9]
	s_wait_dscnt 0x0
	v_add_f64_e32 v[4:5], v[4:5], v[10:11]
	ds_bpermute_b32 v8, v14, v2
	ds_bpermute_b32 v9, v14, v3
	ds_bpermute_b32 v10, v14, v4
	ds_bpermute_b32 v11, v14, v5
	s_wait_dscnt 0x2
	v_add_f64_e32 v[2:3], v[2:3], v[8:9]
	s_wait_dscnt 0x0
	v_add_f64_e32 v[4:5], v[4:5], v[10:11]
	;; [unrolled: 8-line block ×3, first 2 shown]
	s_or_b32 exec_lo, exec_lo, s6
	s_and_saveexec_b32 s6, s0
	s_cbranch_execz .LBB356_66
.LBB356_85:                             ;   in Loop: Header=BB356_67 Depth=2
	s_wait_dscnt 0x0
	s_delay_alu instid0(VALU_DEP_1) | instskip(SKIP_2) | instid1(SALU_CYCLE_1)
	v_mul_f64_e32 v[8:9], s[14:15], v[4:5]
	v_mul_f64_e32 v[10:11], s[12:13], v[4:5]
	s_mul_u64 s[8:9], s[24:25], s[34:35]
	s_lshl_b64 s[8:9], s[8:9], 4
	s_delay_alu instid0(SALU_CYCLE_1) | instskip(NEXT) | instid1(VALU_DEP_2)
	s_add_nc_u64 s[8:9], s[52:53], s[8:9]
	v_fma_f64 v[8:9], s[12:13], v[2:3], -v[8:9]
	s_delay_alu instid0(VALU_DEP_2)
	v_fmac_f64_e32 v[10:11], s[14:15], v[2:3]
	global_store_b128 v0, v[8:11], s[8:9]
	s_branch .LBB356_66
.LBB356_86:
	s_sendmsg sendmsg(MSG_DEALLOC_VGPRS)
	s_endpgm
	.section	.rodata,"a",@progbits
	.p2align	6, 0x0
	.amdhsa_kernel _ZL23rocblas_gemvt_sn_kernelILb0ELi256ELi4ElPK19rocblas_complex_numIdES1_S1_EviiT4_lPKT3_lilS7_lilPT5_i
		.amdhsa_group_segment_fixed_size 512
		.amdhsa_private_segment_fixed_size 80
		.amdhsa_kernarg_size 368
		.amdhsa_user_sgpr_count 2
		.amdhsa_user_sgpr_dispatch_ptr 0
		.amdhsa_user_sgpr_queue_ptr 0
		.amdhsa_user_sgpr_kernarg_segment_ptr 1
		.amdhsa_user_sgpr_dispatch_id 0
		.amdhsa_user_sgpr_kernarg_preload_length 0
		.amdhsa_user_sgpr_kernarg_preload_offset 0
		.amdhsa_user_sgpr_private_segment_size 0
		.amdhsa_wavefront_size32 1
		.amdhsa_uses_dynamic_stack 0
		.amdhsa_enable_private_segment 1
		.amdhsa_system_sgpr_workgroup_id_x 1
		.amdhsa_system_sgpr_workgroup_id_y 0
		.amdhsa_system_sgpr_workgroup_id_z 1
		.amdhsa_system_sgpr_workgroup_info 0
		.amdhsa_system_vgpr_workitem_id 0
		.amdhsa_next_free_vgpr 140
		.amdhsa_next_free_sgpr 70
		.amdhsa_named_barrier_count 0
		.amdhsa_reserve_vcc 1
		.amdhsa_float_round_mode_32 0
		.amdhsa_float_round_mode_16_64 0
		.amdhsa_float_denorm_mode_32 3
		.amdhsa_float_denorm_mode_16_64 3
		.amdhsa_fp16_overflow 0
		.amdhsa_memory_ordered 1
		.amdhsa_forward_progress 1
		.amdhsa_inst_pref_size 49
		.amdhsa_round_robin_scheduling 0
		.amdhsa_exception_fp_ieee_invalid_op 0
		.amdhsa_exception_fp_denorm_src 0
		.amdhsa_exception_fp_ieee_div_zero 0
		.amdhsa_exception_fp_ieee_overflow 0
		.amdhsa_exception_fp_ieee_underflow 0
		.amdhsa_exception_fp_ieee_inexact 0
		.amdhsa_exception_int_div_zero 0
	.end_amdhsa_kernel
	.section	.text._ZL23rocblas_gemvt_sn_kernelILb0ELi256ELi4ElPK19rocblas_complex_numIdES1_S1_EviiT4_lPKT3_lilS7_lilPT5_i,"axG",@progbits,_ZL23rocblas_gemvt_sn_kernelILb0ELi256ELi4ElPK19rocblas_complex_numIdES1_S1_EviiT4_lPKT3_lilS7_lilPT5_i,comdat
.Lfunc_end356:
	.size	_ZL23rocblas_gemvt_sn_kernelILb0ELi256ELi4ElPK19rocblas_complex_numIdES1_S1_EviiT4_lPKT3_lilS7_lilPT5_i, .Lfunc_end356-_ZL23rocblas_gemvt_sn_kernelILb0ELi256ELi4ElPK19rocblas_complex_numIdES1_S1_EviiT4_lPKT3_lilS7_lilPT5_i
                                        ; -- End function
	.set _ZL23rocblas_gemvt_sn_kernelILb0ELi256ELi4ElPK19rocblas_complex_numIdES1_S1_EviiT4_lPKT3_lilS7_lilPT5_i.num_vgpr, 140
	.set _ZL23rocblas_gemvt_sn_kernelILb0ELi256ELi4ElPK19rocblas_complex_numIdES1_S1_EviiT4_lPKT3_lilS7_lilPT5_i.num_agpr, 0
	.set _ZL23rocblas_gemvt_sn_kernelILb0ELi256ELi4ElPK19rocblas_complex_numIdES1_S1_EviiT4_lPKT3_lilS7_lilPT5_i.numbered_sgpr, 70
	.set _ZL23rocblas_gemvt_sn_kernelILb0ELi256ELi4ElPK19rocblas_complex_numIdES1_S1_EviiT4_lPKT3_lilS7_lilPT5_i.num_named_barrier, 0
	.set _ZL23rocblas_gemvt_sn_kernelILb0ELi256ELi4ElPK19rocblas_complex_numIdES1_S1_EviiT4_lPKT3_lilS7_lilPT5_i.private_seg_size, 80
	.set _ZL23rocblas_gemvt_sn_kernelILb0ELi256ELi4ElPK19rocblas_complex_numIdES1_S1_EviiT4_lPKT3_lilS7_lilPT5_i.uses_vcc, 1
	.set _ZL23rocblas_gemvt_sn_kernelILb0ELi256ELi4ElPK19rocblas_complex_numIdES1_S1_EviiT4_lPKT3_lilS7_lilPT5_i.uses_flat_scratch, 1
	.set _ZL23rocblas_gemvt_sn_kernelILb0ELi256ELi4ElPK19rocblas_complex_numIdES1_S1_EviiT4_lPKT3_lilS7_lilPT5_i.has_dyn_sized_stack, 0
	.set _ZL23rocblas_gemvt_sn_kernelILb0ELi256ELi4ElPK19rocblas_complex_numIdES1_S1_EviiT4_lPKT3_lilS7_lilPT5_i.has_recursion, 0
	.set _ZL23rocblas_gemvt_sn_kernelILb0ELi256ELi4ElPK19rocblas_complex_numIdES1_S1_EviiT4_lPKT3_lilS7_lilPT5_i.has_indirect_call, 0
	.section	.AMDGPU.csdata,"",@progbits
; Kernel info:
; codeLenInByte = 6212
; TotalNumSgprs: 72
; NumVgprs: 140
; ScratchSize: 80
; MemoryBound: 0
; FloatMode: 240
; IeeeMode: 1
; LDSByteSize: 512 bytes/workgroup (compile time only)
; SGPRBlocks: 0
; VGPRBlocks: 8
; NumSGPRsForWavesPerEU: 72
; NumVGPRsForWavesPerEU: 140
; NamedBarCnt: 0
; Occupancy: 7
; WaveLimiterHint : 1
; COMPUTE_PGM_RSRC2:SCRATCH_EN: 1
; COMPUTE_PGM_RSRC2:USER_SGPR: 2
; COMPUTE_PGM_RSRC2:TRAP_HANDLER: 0
; COMPUTE_PGM_RSRC2:TGID_X_EN: 1
; COMPUTE_PGM_RSRC2:TGID_Y_EN: 0
; COMPUTE_PGM_RSRC2:TGID_Z_EN: 1
; COMPUTE_PGM_RSRC2:TIDIG_COMP_CNT: 0
	.section	.text._ZL23rocblas_gemvt_sn_reduceILi256ELi8E19rocblas_complex_numIdES1_KPS1_EviT2_lPT3_lilPT1_i,"axG",@progbits,_ZL23rocblas_gemvt_sn_reduceILi256ELi8E19rocblas_complex_numIdES1_KPS1_EviT2_lPT3_lilPT1_i,comdat
	.globl	_ZL23rocblas_gemvt_sn_reduceILi256ELi8E19rocblas_complex_numIdES1_KPS1_EviT2_lPT3_lilPT1_i ; -- Begin function _ZL23rocblas_gemvt_sn_reduceILi256ELi8E19rocblas_complex_numIdES1_KPS1_EviT2_lPT3_lilPT1_i
	.p2align	8
	.type	_ZL23rocblas_gemvt_sn_reduceILi256ELi8E19rocblas_complex_numIdES1_KPS1_EviT2_lPT3_lilPT1_i,@function
_ZL23rocblas_gemvt_sn_reduceILi256ELi8E19rocblas_complex_numIdES1_KPS1_EviT2_lPT3_lilPT1_i: ; @_ZL23rocblas_gemvt_sn_reduceILi256ELi8E19rocblas_complex_numIdES1_KPS1_EviT2_lPT3_lilPT1_i
; %bb.0:
	s_load_b32 s28, s[0:1], 0x48
	s_bfe_u32 s2, ttmp6, 0x40014
	s_lshr_b32 s3, ttmp7, 16
	s_add_co_i32 s2, s2, 1
	s_bfe_u32 s5, ttmp6, 0x40008
	s_mul_i32 s4, s3, s2
	s_getreg_b32 s2, hwreg(HW_REG_IB_STS2, 6, 4)
	s_add_co_i32 s5, s5, s4
	s_cmp_eq_u32 s2, 0
	s_mov_b32 s7, 0
	s_cselect_b32 s29, s3, s5
	s_wait_kmcnt 0x0
	s_cmp_ge_u32 s29, s28
	s_cbranch_scc1 .LBB357_21
; %bb.1:
	s_clause 0x6
	s_load_b32 s16, s[0:1], 0x0
	s_load_b32 s22, s[0:1], 0x30
	s_load_b128 s[8:11], s[0:1], 0x8
	s_load_b128 s[12:15], s[0:1], 0x20
	s_load_b64 s[18:19], s[0:1], 0x40
	s_load_b32 s30, s[0:1], 0x54
	s_load_b32 s3, s[0:1], 0x5c
	v_mbcnt_lo_u32_b32 v1, -1, 0
	v_dual_mov_b32 v2, 0 :: v_dual_lshlrev_b32 v16, 3, v0
	s_wait_xcnt 0x0
	s_bfe_u32 s1, ttmp6, 0x40010
	v_and_b32_e32 v3, 31, v0
	v_cmp_gt_u32_e32 vcc_lo, 24, v1
	v_mov_b32_e32 v9, v2
	s_and_b32 s0, ttmp7, 0xffff
	s_add_co_i32 s1, s1, 1
	s_bfe_u32 s4, ttmp6, 0x40004
	v_cndmask_b32_e64 v4, 0, 8, vcc_lo
	v_cmp_gt_u32_e32 vcc_lo, 28, v1
	s_mul_i32 s1, s0, s1
	v_lshlrev_b32_e32 v17, 4, v3
	s_add_co_i32 s4, s4, s1
	s_wait_kmcnt 0x0
	v_cmp_neq_f64_e64 s6, s[8:9], 0
	v_cmp_neq_f64_e64 s24, s[10:11], 0
	v_cndmask_b32_e64 v5, 0, 4, vcc_lo
	v_cmp_gt_u32_e32 vcc_lo, 30, v1
	v_add_lshl_u32 v19, v4, v1, 2
	v_lshlrev_b32_e32 v4, 7, v0
	s_ashr_i32 s17, s16, 31
	v_add_lshl_u32 v20, v5, v1, 2
	v_dual_mov_b32 v5, v2 :: v_dual_lshrrev_b32 v10, 1, v0
	s_ashr_i32 s23, s22, 31
	s_cmp_eq_u32 s2, 0
	v_cndmask_b32_e64 v6, 0, 2, vcc_lo
	s_cselect_b32 s20, s0, s4
	s_lshr_b32 s0, s17, 29
	v_cmp_ne_u32_e32 vcc_lo, 31, v1
	v_add_nc_u64_e32 v[4:5], s[18:19], v[4:5]
	s_add_co_i32 s0, s16, s0
	v_xad_u32 v8, v0, -1, s16
	s_and_b32 s31, s0, -8
	v_add_co_ci_u32_e64 v7, null, 0, v1, vcc_lo
	s_sub_co_i32 s1, s16, s31
	v_cmp_gt_u32_e64 s2, 32, v0
	v_cmp_gt_u32_e64 s1, s1, v0
	v_lshl_or_b32 v18, v1, 2, 64
	v_add_lshl_u32 v21, v6, v1, 2
	v_cmp_gt_u32_e64 s4, 8, v0
	v_cmp_eq_u32_e64 s5, 0, v0
	v_add_nc_u64_e32 v[0:1], 0x78, v[4:5]
	s_mov_b32 s21, s7
	s_and_b32 s25, s3, 0xffff
	v_cmp_gt_i32_e64 s0, s31, v16
	v_lshlrev_b32_e32 v22, 2, v7
	v_cmp_eq_u32_e64 s3, 0, v3
	v_and_b32_e32 v23, 0x70, v10
	s_or_b32 s34, s6, s24
	s_mul_u64 s[26:27], s[22:23], s[20:21]
	s_mul_i32 s6, s29, s30
	s_lshl_b32 s33, s25, 3
	s_lshl_b64 s[22:23], s[16:17], 4
	s_add_co_i32 s21, s20, s6
	s_lshl_b32 s35, s30, 16
	s_lshl_b32 s24, s25, 7
	s_mov_b32 s25, s7
	s_lshl_b64 s[14:15], s[14:15], 4
	s_lshl_b64 s[26:27], s[26:27], 4
	s_branch .LBB357_4
.LBB357_2:                              ;   in Loop: Header=BB357_4 Depth=1
	s_wait_dscnt 0x0
	flat_store_b128 v[10:11], v[4:7]
.LBB357_3:                              ;   in Loop: Header=BB357_4 Depth=1
	s_wait_xcnt 0x0
	s_or_b32 exec_lo, exec_lo, s6
	s_add_co_i32 s29, s29, 0x10000
	s_add_co_i32 s21, s21, s35
	s_cmp_lt_u32 s29, s28
	s_cbranch_scc0 .LBB357_21
.LBB357_4:                              ; =>This Loop Header: Depth=1
                                        ;     Child Loop BB357_14 Depth 2
	v_mov_b32_e32 v3, s29
	s_wait_dscnt 0x0
	v_mov_b64_e32 v[6:7], 0
	v_mov_b64_e32 v[12:13], 0
	global_load_b64 v[10:11], v3, s[12:13] scale_offset
	s_wait_xcnt 0x0
	s_and_saveexec_b32 s6, s0
	s_cbranch_execnz .LBB357_13
; %bb.5:                                ;   in Loop: Header=BB357_4 Depth=1
	s_or_b32 exec_lo, exec_lo, s6
	s_and_saveexec_b32 s36, s1
	s_cbranch_execnz .LBB357_16
.LBB357_6:                              ;   in Loop: Header=BB357_4 Depth=1
	s_or_b32 exec_lo, exec_lo, s36
	s_and_saveexec_b32 s6, s2
.LBB357_7:                              ;   in Loop: Header=BB357_4 Depth=1
	v_dual_mov_b32 v3, v2 :: v_dual_mov_b32 v4, v2
	v_mov_b32_e32 v5, v2
	ds_store_b128 v17, v[2:5]
.LBB357_8:                              ;   in Loop: Header=BB357_4 Depth=1
	s_or_b32 exec_lo, exec_lo, s6
	ds_bpermute_b32 v4, v18, v12
	ds_bpermute_b32 v5, v18, v13
	;; [unrolled: 1-line block ×4, first 2 shown]
	s_wait_loadcnt_dscnt 0x0
	s_barrier_signal -1
	s_barrier_wait -1
	v_add_f64_e32 v[4:5], v[12:13], v[4:5]
	v_add_f64_e32 v[6:7], v[6:7], v[14:15]
	ds_bpermute_b32 v12, v19, v4
	ds_bpermute_b32 v13, v19, v5
	ds_bpermute_b32 v14, v19, v6
	ds_bpermute_b32 v15, v19, v7
	s_wait_dscnt 0x2
	v_add_f64_e32 v[4:5], v[4:5], v[12:13]
	s_wait_dscnt 0x0
	v_add_f64_e32 v[6:7], v[6:7], v[14:15]
	ds_bpermute_b32 v12, v20, v4
	ds_bpermute_b32 v13, v20, v5
	ds_bpermute_b32 v14, v20, v6
	ds_bpermute_b32 v15, v20, v7
	s_wait_dscnt 0x2
	v_add_f64_e32 v[4:5], v[4:5], v[12:13]
	s_wait_dscnt 0x0
	;; [unrolled: 8-line block ×3, first 2 shown]
	v_add_f64_e32 v[12:13], v[6:7], v[14:15]
	ds_bpermute_b32 v6, v22, v4
	ds_bpermute_b32 v7, v22, v5
	;; [unrolled: 1-line block ×4, first 2 shown]
	s_and_saveexec_b32 s6, s3
	s_cbranch_execz .LBB357_10
; %bb.9:                                ;   in Loop: Header=BB357_4 Depth=1
	s_wait_dscnt 0x0
	v_add_f64_e32 v[14:15], v[12:13], v[14:15]
	v_add_f64_e32 v[12:13], v[4:5], v[6:7]
	ds_store_b128 v23, v[12:15]
.LBB357_10:                             ;   in Loop: Header=BB357_4 Depth=1
	s_or_b32 exec_lo, exec_lo, s6
	s_wait_dscnt 0x2
	v_mov_b64_e32 v[6:7], 0
	v_mov_b64_e32 v[4:5], 0
	s_wait_dscnt 0x0
	s_barrier_signal -1
	s_barrier_wait -1
	s_and_saveexec_b32 s6, s4
	s_cbranch_execnz .LBB357_17
; %bb.11:                               ;   in Loop: Header=BB357_4 Depth=1
	s_or_b32 exec_lo, exec_lo, s6
	s_and_saveexec_b32 s6, s2
	s_cbranch_execnz .LBB357_18
.LBB357_12:                             ;   in Loop: Header=BB357_4 Depth=1
	s_or_b32 exec_lo, exec_lo, s6
	s_and_saveexec_b32 s6, s5
	s_cbranch_execz .LBB357_3
	s_branch .LBB357_19
.LBB357_13:                             ;   in Loop: Header=BB357_4 Depth=1
	v_mad_nc_u64_u32 v[4:5], s22, s21, v[0:1]
	v_mov_b64_e32 v[6:7], 0
	v_mov_b64_e32 v[12:13], 0
	v_mov_b32_e32 v3, v16
	s_mov_b32 s36, 0
	s_delay_alu instid0(VALU_DEP_4)
	v_mad_u32 v5, s23, s21, v5
.LBB357_14:                             ;   Parent Loop BB357_4 Depth=1
                                        ; =>  This Inner Loop Header: Depth=2
	s_clause 0x7
	global_load_b128 v[24:27], v[4:5], off offset:-120
	global_load_b128 v[28:31], v[4:5], off offset:-104
	;; [unrolled: 1-line block ×8, first 2 shown]
	s_wait_xcnt 0x0
	v_add_nc_u64_e32 v[4:5], s[24:25], v[4:5]
	v_add_nc_u32_e32 v3, s33, v3
	s_delay_alu instid0(VALU_DEP_1)
	v_cmp_le_i32_e32 vcc_lo, s31, v3
	s_or_b32 s36, vcc_lo, s36
	s_wait_loadcnt 0x7
	v_add_f64_e32 v[12:13], v[12:13], v[24:25]
	v_add_f64_e32 v[6:7], v[6:7], v[26:27]
	s_wait_loadcnt 0x6
	s_delay_alu instid0(VALU_DEP_2) | instskip(NEXT) | instid1(VALU_DEP_2)
	v_add_f64_e32 v[12:13], v[12:13], v[28:29]
	v_add_f64_e32 v[6:7], v[6:7], v[30:31]
	s_wait_loadcnt 0x5
	s_delay_alu instid0(VALU_DEP_2) | instskip(NEXT) | instid1(VALU_DEP_2)
	;; [unrolled: 4-line block ×7, first 2 shown]
	v_add_f64_e32 v[12:13], v[12:13], v[52:53]
	v_add_f64_e32 v[6:7], v[6:7], v[54:55]
	s_and_not1_b32 exec_lo, exec_lo, s36
	s_cbranch_execnz .LBB357_14
; %bb.15:                               ;   in Loop: Header=BB357_4 Depth=1
	s_or_b32 exec_lo, exec_lo, s36
	s_delay_alu instid0(SALU_CYCLE_1)
	s_or_b32 exec_lo, exec_lo, s6
	s_and_saveexec_b32 s36, s1
	s_cbranch_execz .LBB357_6
.LBB357_16:                             ;   in Loop: Header=BB357_4 Depth=1
	s_mul_i32 s6, s30, s29
	s_delay_alu instid0(SALU_CYCLE_1) | instskip(NEXT) | instid1(SALU_CYCLE_1)
	s_add_co_i32 s6, s6, s20
	s_mul_u64 s[38:39], s[6:7], s[16:17]
	s_delay_alu instid0(SALU_CYCLE_1) | instskip(NEXT) | instid1(SALU_CYCLE_1)
	s_lshl_b64 s[38:39], s[38:39], 4
	s_add_nc_u64 s[38:39], s[18:19], s[38:39]
	s_delay_alu instid0(SALU_CYCLE_1)
	v_lshl_add_u64 v[4:5], v[8:9], 4, s[38:39]
	global_load_b128 v[24:27], v[4:5], off
	s_wait_loadcnt 0x0
	v_add_f64_e32 v[12:13], v[12:13], v[24:25]
	v_add_f64_e32 v[6:7], v[6:7], v[26:27]
	s_wait_xcnt 0x0
	s_or_b32 exec_lo, exec_lo, s36
	s_and_saveexec_b32 s6, s2
	s_cbranch_execnz .LBB357_7
	s_branch .LBB357_8
.LBB357_17:                             ;   in Loop: Header=BB357_4 Depth=1
	ds_load_b128 v[4:7], v17
	s_or_b32 exec_lo, exec_lo, s6
	s_and_saveexec_b32 s6, s2
	s_cbranch_execz .LBB357_12
.LBB357_18:                             ;   in Loop: Header=BB357_4 Depth=1
	s_wait_dscnt 0x0
	ds_bpermute_b32 v12, v20, v4
	ds_bpermute_b32 v13, v20, v5
	ds_bpermute_b32 v14, v20, v6
	ds_bpermute_b32 v15, v20, v7
	s_wait_dscnt 0x2
	v_add_f64_e32 v[4:5], v[4:5], v[12:13]
	s_wait_dscnt 0x0
	v_add_f64_e32 v[6:7], v[6:7], v[14:15]
	ds_bpermute_b32 v12, v21, v4
	ds_bpermute_b32 v13, v21, v5
	ds_bpermute_b32 v14, v21, v6
	ds_bpermute_b32 v15, v21, v7
	s_wait_dscnt 0x2
	v_add_f64_e32 v[4:5], v[4:5], v[12:13]
	s_wait_dscnt 0x0
	v_add_f64_e32 v[6:7], v[6:7], v[14:15]
	;; [unrolled: 8-line block ×3, first 2 shown]
	s_or_b32 exec_lo, exec_lo, s6
	s_and_saveexec_b32 s6, s5
	s_cbranch_execz .LBB357_3
.LBB357_19:                             ;   in Loop: Header=BB357_4 Depth=1
	v_add_nc_u64_e32 v[10:11], s[14:15], v[10:11]
	s_and_not1_b32 vcc_lo, exec_lo, s34
	s_delay_alu instid0(VALU_DEP_1)
	v_add_nc_u64_e32 v[10:11], s[26:27], v[10:11]
	s_cbranch_vccnz .LBB357_2
; %bb.20:                               ;   in Loop: Header=BB357_4 Depth=1
	flat_load_b128 v[12:15], v[10:11]
	s_wait_loadcnt_dscnt 0x0
	v_mul_f64_e32 v[24:25], s[10:11], v[14:15]
	v_mul_f64_e32 v[14:15], s[8:9], v[14:15]
	s_delay_alu instid0(VALU_DEP_2) | instskip(NEXT) | instid1(VALU_DEP_2)
	v_fma_f64 v[24:25], s[8:9], v[12:13], -v[24:25]
	v_fmac_f64_e32 v[14:15], s[10:11], v[12:13]
	s_delay_alu instid0(VALU_DEP_2) | instskip(NEXT) | instid1(VALU_DEP_2)
	v_add_f64_e32 v[4:5], v[4:5], v[24:25]
	v_add_f64_e32 v[6:7], v[6:7], v[14:15]
	s_branch .LBB357_2
.LBB357_21:
	s_endpgm
	.section	.rodata,"a",@progbits
	.p2align	6, 0x0
	.amdhsa_kernel _ZL23rocblas_gemvt_sn_reduceILi256ELi8E19rocblas_complex_numIdES1_KPS1_EviT2_lPT3_lilPT1_i
		.amdhsa_group_segment_fixed_size 512
		.amdhsa_private_segment_fixed_size 0
		.amdhsa_kernarg_size 336
		.amdhsa_user_sgpr_count 2
		.amdhsa_user_sgpr_dispatch_ptr 0
		.amdhsa_user_sgpr_queue_ptr 0
		.amdhsa_user_sgpr_kernarg_segment_ptr 1
		.amdhsa_user_sgpr_dispatch_id 0
		.amdhsa_user_sgpr_kernarg_preload_length 0
		.amdhsa_user_sgpr_kernarg_preload_offset 0
		.amdhsa_user_sgpr_private_segment_size 0
		.amdhsa_wavefront_size32 1
		.amdhsa_uses_dynamic_stack 0
		.amdhsa_enable_private_segment 0
		.amdhsa_system_sgpr_workgroup_id_x 1
		.amdhsa_system_sgpr_workgroup_id_y 1
		.amdhsa_system_sgpr_workgroup_id_z 1
		.amdhsa_system_sgpr_workgroup_info 0
		.amdhsa_system_vgpr_workitem_id 0
		.amdhsa_next_free_vgpr 56
		.amdhsa_next_free_sgpr 40
		.amdhsa_named_barrier_count 0
		.amdhsa_reserve_vcc 1
		.amdhsa_float_round_mode_32 0
		.amdhsa_float_round_mode_16_64 0
		.amdhsa_float_denorm_mode_32 3
		.amdhsa_float_denorm_mode_16_64 3
		.amdhsa_fp16_overflow 0
		.amdhsa_memory_ordered 1
		.amdhsa_forward_progress 1
		.amdhsa_inst_pref_size 13
		.amdhsa_round_robin_scheduling 0
		.amdhsa_exception_fp_ieee_invalid_op 0
		.amdhsa_exception_fp_denorm_src 0
		.amdhsa_exception_fp_ieee_div_zero 0
		.amdhsa_exception_fp_ieee_overflow 0
		.amdhsa_exception_fp_ieee_underflow 0
		.amdhsa_exception_fp_ieee_inexact 0
		.amdhsa_exception_int_div_zero 0
	.end_amdhsa_kernel
	.section	.text._ZL23rocblas_gemvt_sn_reduceILi256ELi8E19rocblas_complex_numIdES1_KPS1_EviT2_lPT3_lilPT1_i,"axG",@progbits,_ZL23rocblas_gemvt_sn_reduceILi256ELi8E19rocblas_complex_numIdES1_KPS1_EviT2_lPT3_lilPT1_i,comdat
.Lfunc_end357:
	.size	_ZL23rocblas_gemvt_sn_reduceILi256ELi8E19rocblas_complex_numIdES1_KPS1_EviT2_lPT3_lilPT1_i, .Lfunc_end357-_ZL23rocblas_gemvt_sn_reduceILi256ELi8E19rocblas_complex_numIdES1_KPS1_EviT2_lPT3_lilPT1_i
                                        ; -- End function
	.set _ZL23rocblas_gemvt_sn_reduceILi256ELi8E19rocblas_complex_numIdES1_KPS1_EviT2_lPT3_lilPT1_i.num_vgpr, 56
	.set _ZL23rocblas_gemvt_sn_reduceILi256ELi8E19rocblas_complex_numIdES1_KPS1_EviT2_lPT3_lilPT1_i.num_agpr, 0
	.set _ZL23rocblas_gemvt_sn_reduceILi256ELi8E19rocblas_complex_numIdES1_KPS1_EviT2_lPT3_lilPT1_i.numbered_sgpr, 40
	.set _ZL23rocblas_gemvt_sn_reduceILi256ELi8E19rocblas_complex_numIdES1_KPS1_EviT2_lPT3_lilPT1_i.num_named_barrier, 0
	.set _ZL23rocblas_gemvt_sn_reduceILi256ELi8E19rocblas_complex_numIdES1_KPS1_EviT2_lPT3_lilPT1_i.private_seg_size, 0
	.set _ZL23rocblas_gemvt_sn_reduceILi256ELi8E19rocblas_complex_numIdES1_KPS1_EviT2_lPT3_lilPT1_i.uses_vcc, 1
	.set _ZL23rocblas_gemvt_sn_reduceILi256ELi8E19rocblas_complex_numIdES1_KPS1_EviT2_lPT3_lilPT1_i.uses_flat_scratch, 0
	.set _ZL23rocblas_gemvt_sn_reduceILi256ELi8E19rocblas_complex_numIdES1_KPS1_EviT2_lPT3_lilPT1_i.has_dyn_sized_stack, 0
	.set _ZL23rocblas_gemvt_sn_reduceILi256ELi8E19rocblas_complex_numIdES1_KPS1_EviT2_lPT3_lilPT1_i.has_recursion, 0
	.set _ZL23rocblas_gemvt_sn_reduceILi256ELi8E19rocblas_complex_numIdES1_KPS1_EviT2_lPT3_lilPT1_i.has_indirect_call, 0
	.section	.AMDGPU.csdata,"",@progbits
; Kernel info:
; codeLenInByte = 1588
; TotalNumSgprs: 42
; NumVgprs: 56
; ScratchSize: 0
; MemoryBound: 1
; FloatMode: 240
; IeeeMode: 1
; LDSByteSize: 512 bytes/workgroup (compile time only)
; SGPRBlocks: 0
; VGPRBlocks: 3
; NumSGPRsForWavesPerEU: 42
; NumVGPRsForWavesPerEU: 56
; NamedBarCnt: 0
; Occupancy: 16
; WaveLimiterHint : 1
; COMPUTE_PGM_RSRC2:SCRATCH_EN: 0
; COMPUTE_PGM_RSRC2:USER_SGPR: 2
; COMPUTE_PGM_RSRC2:TRAP_HANDLER: 0
; COMPUTE_PGM_RSRC2:TGID_X_EN: 1
; COMPUTE_PGM_RSRC2:TGID_Y_EN: 1
; COMPUTE_PGM_RSRC2:TGID_Z_EN: 1
; COMPUTE_PGM_RSRC2:TIDIG_COMP_CNT: 0
	.section	.text._ZL32rocblas_gemvt_warp_reduce_kernelILb0ELi256EiPK19rocblas_complex_numIdES3_KPS1_EviiT3_lPKT2_lT1_lS9_lSA_lS6_lPT4_lSA_li,"axG",@progbits,_ZL32rocblas_gemvt_warp_reduce_kernelILb0ELi256EiPK19rocblas_complex_numIdES3_KPS1_EviiT3_lPKT2_lT1_lS9_lSA_lS6_lPT4_lSA_li,comdat
	.globl	_ZL32rocblas_gemvt_warp_reduce_kernelILb0ELi256EiPK19rocblas_complex_numIdES3_KPS1_EviiT3_lPKT2_lT1_lS9_lSA_lS6_lPT4_lSA_li ; -- Begin function _ZL32rocblas_gemvt_warp_reduce_kernelILb0ELi256EiPK19rocblas_complex_numIdES3_KPS1_EviiT3_lPKT2_lT1_lS9_lSA_lS6_lPT4_lSA_li
	.p2align	8
	.type	_ZL32rocblas_gemvt_warp_reduce_kernelILb0ELi256EiPK19rocblas_complex_numIdES3_KPS1_EviiT3_lPKT2_lT1_lS9_lSA_lS6_lPT4_lSA_li,@function
_ZL32rocblas_gemvt_warp_reduce_kernelILb0ELi256EiPK19rocblas_complex_numIdES3_KPS1_EviiT3_lPKT2_lT1_lS9_lSA_lS6_lPT4_lSA_li: ; @_ZL32rocblas_gemvt_warp_reduce_kernelILb0ELi256EiPK19rocblas_complex_numIdES3_KPS1_EviiT3_lPKT2_lT1_lS9_lSA_lS6_lPT4_lSA_li
; %bb.0:
	s_load_b32 s7, s[0:1], 0x88
	s_bfe_u32 s2, ttmp6, 0x40014
	s_lshr_b32 s3, ttmp7, 16
	s_add_co_i32 s2, s2, 1
	s_bfe_u32 s5, ttmp6, 0x40008
	s_mul_i32 s4, s3, s2
	s_getreg_b32 s2, hwreg(HW_REG_IB_STS2, 6, 4)
	s_add_co_i32 s5, s5, s4
	s_cmp_eq_u32 s2, 0
	s_mov_b32 s29, 0
	s_cselect_b32 s28, s3, s5
	s_wait_kmcnt 0x0
	s_cmp_ge_u32 s28, s7
	s_cbranch_scc1 .LBB358_39
; %bb.1:
	s_clause 0x6
	s_load_b32 s5, s[0:1], 0x0
	s_load_b256 s[8:15], s[0:1], 0x8
	s_load_b32 s4, s[0:1], 0x28
	s_load_b128 s[24:27], s[0:1], 0x38
	s_load_b32 s6, s[0:1], 0x48
	s_load_b256 s[16:23], s[0:1], 0x58
	s_load_b32 s31, s[0:1], 0x78
	s_wait_xcnt 0x0
	s_bfe_u32 s1, ttmp6, 0x4000c
	s_and_b32 s3, ttmp6, 15
	s_add_co_i32 s1, s1, 1
	v_dual_mov_b32 v19, 0 :: v_dual_bitop2_b32 v2, 31, v0 bitop3:0x40
	s_mul_i32 s30, ttmp9, s1
	v_lshrrev_b32_e32 v3, 1, v0
	s_add_co_i32 s3, s3, s30
	s_cmp_eq_u32 s2, 0
	v_lshlrev_b32_e32 v1, 4, v2
	s_cselect_b32 s33, ttmp9, s3
	v_cmp_eq_u32_e64 s0, 0, v0
	v_cmp_gt_u32_e64 s1, 32, v0
	s_wait_kmcnt 0x0
	s_ashr_i32 s3, s5, 31
	v_cmp_gt_i32_e32 vcc_lo, s5, v0
	s_lshr_b32 s3, s3, 24
	s_mul_i32 s34, s4, s33
	s_add_co_i32 s30, s5, s3
	v_cmp_eq_u32_e64 s3, 0, v2
	s_and_b32 s30, s30, 0xffffff00
	s_delay_alu instid0(SALU_CYCLE_1)
	v_dual_cndmask_b32 v2, 0, v0, vcc_lo :: v_dual_bitop2_b32 v4, s30, v0 bitop3:0x54
	s_ashr_i32 s35, s34, 31
	v_mul_lo_u32 v29, v0, s6
	s_mul_i32 s36, s31, s33
	v_cmp_gt_u32_e64 s2, 8, v0
	v_mul_lo_u32 v20, s6, v4
	v_lshlrev_b32_e32 v18, 4, v2
	v_and_b32_e32 v28, 0x70, v3
	v_cmp_gt_i32_e64 s4, s30, v0
	v_cmp_gt_i32_e64 s5, s5, v4
	v_mbcnt_lo_u32_b32 v30, -1, 0
	s_ashr_i32 s37, s36, 31
	s_lshl_b32 s33, s6, 8
	s_lshl_b64 s[14:15], s[14:15], 4
	s_ashr_i32 s31, s30, 31
	s_lshl_b64 s[26:27], s[26:27], 4
	v_ashrrev_i32_e32 v21, 31, v20
	v_lshl_add_u64 v[22:23], s[34:35], 4, v[18:19]
	v_lshlrev_b32_e32 v18, 4, v2
	s_lshl_b64 s[22:23], s[22:23], 4
	s_lshl_b64 s[36:37], s[36:37], 4
	s_delay_alu instid0(VALU_DEP_2)
	v_or_b32_e32 v22, 8, v22
	s_branch .LBB358_4
.LBB358_2:                              ;   in Loop: Header=BB358_4 Depth=1
	s_wait_xcnt 0x0
	s_or_b32 exec_lo, exec_lo, s6
.LBB358_3:                              ;   in Loop: Header=BB358_4 Depth=1
	s_add_co_i32 s28, s28, 0x10000
	s_delay_alu instid0(SALU_CYCLE_1)
	s_cmp_lt_u32 s28, s7
	s_cbranch_scc0 .LBB358_39
.LBB358_4:                              ; =>This Loop Header: Depth=1
                                        ;     Child Loop BB358_28 Depth 2
	s_mul_u64 s[38:39], s[10:11], s[28:29]
	s_delay_alu instid0(SALU_CYCLE_1) | instskip(NEXT) | instid1(SALU_CYCLE_1)
	s_lshl_b64 s[38:39], s[38:39], 4
	s_add_nc_u64 s[38:39], s[8:9], s[38:39]
	global_load_b128 v[6:9], v19, s[38:39]
	s_wait_xcnt 0x0
	s_mul_u64 s[38:39], s[18:19], s[28:29]
	s_delay_alu instid0(SALU_CYCLE_1) | instskip(NEXT) | instid1(SALU_CYCLE_1)
	s_lshl_b64 s[38:39], s[38:39], 4
	s_add_nc_u64 s[38:39], s[16:17], s[38:39]
	s_wait_loadcnt 0x1
	global_load_b128 v[2:5], v19, s[38:39]
	s_wait_xcnt 0x0
	s_mov_b32 s39, -1
	s_wait_loadcnt 0x1
	v_cmp_neq_f64_e32 vcc_lo, 0, v[6:7]
	v_cmp_neq_f64_e64 s6, 0, v[8:9]
	s_or_b32 s38, vcc_lo, s6
	s_mov_b32 s6, 0
	s_and_b32 vcc_lo, exec_lo, s38
	s_cbranch_vccz .LBB358_7
; %bb.5:                                ;   in Loop: Header=BB358_4 Depth=1
	s_wait_dscnt 0x0
	v_mov_b64_e32 v[14:15], 0
	s_and_not1_b32 vcc_lo, exec_lo, s39
	s_cbranch_vccz .LBB358_8
.LBB358_6:                              ;   in Loop: Header=BB358_4 Depth=1
	s_and_not1_b32 vcc_lo, exec_lo, s6
	s_cbranch_vccnz .LBB358_3
	s_branch .LBB358_9
.LBB358_7:                              ;   in Loop: Header=BB358_4 Depth=1
	s_wait_loadcnt 0x0
	v_cmp_neq_f64_e32 vcc_lo, 1.0, v[2:3]
	v_cmp_neq_f64_e64 s6, 0, v[4:5]
	s_or_b32 s6, vcc_lo, s6
	s_wait_dscnt 0x0
	v_mov_b64_e32 v[14:15], 0
	s_cbranch_execnz .LBB358_6
.LBB358_8:                              ;   in Loop: Header=BB358_4 Depth=1
	s_lshl_b64 s[40:41], s[28:29], 3
	s_delay_alu instid0(SALU_CYCLE_1)
	s_add_nc_u64 s[40:41], s[12:13], s[40:41]
	global_load_b64 v[10:11], v19, s[40:41]
	s_wait_loadcnt 0x0
	v_add_nc_u64_e32 v[14:15], s[14:15], v[10:11]
.LBB358_9:                              ;   in Loop: Header=BB358_4 Depth=1
	v_mov_b64_e32 v[16:17], 0
	s_and_not1_b32 vcc_lo, exec_lo, s38
	s_cbranch_vccnz .LBB358_11
; %bb.10:                               ;   in Loop: Header=BB358_4 Depth=1
	s_wait_xcnt 0x0
	s_lshl_b64 s[40:41], s[28:29], 3
	s_delay_alu instid0(SALU_CYCLE_1)
	s_add_nc_u64 s[40:41], s[24:25], s[40:41]
	global_load_b64 v[10:11], v19, s[40:41]
	s_wait_loadcnt 0x0
	v_add_nc_u64_e32 v[16:17], s[26:27], v[10:11]
.LBB358_11:                             ;   in Loop: Header=BB358_4 Depth=1
	s_wait_xcnt 0x0
	s_lshl_b64 s[40:41], s[28:29], 3
	s_xor_b32 s6, s38, -1
	s_add_nc_u64 s[40:41], s[20:21], s[40:41]
	s_and_not1_b32 vcc_lo, exec_lo, s6
	global_load_b64 v[10:11], v19, s[40:41]
	s_wait_loadcnt 0x0
	v_add_nc_u64_e32 v[24:25], s[22:23], v[10:11]
	s_cbranch_vccnz .LBB358_16
; %bb.12:                               ;   in Loop: Header=BB358_4 Depth=1
	s_mov_b32 s39, 0
	s_mov_b32 s38, 0
                                        ; implicit-def: $vgpr12_vgpr13
	s_wait_xcnt 0x0
	s_and_saveexec_b32 s40, s0
	s_cbranch_execz .LBB358_17
; %bb.13:                               ;   in Loop: Header=BB358_4 Depth=1
	v_cmp_neq_f64_e32 vcc_lo, 0, v[2:3]
	v_cmp_neq_f64_e64 s6, 0, v[4:5]
	v_mov_b64_e32 v[12:13], 0
	v_mov_b64_e32 v[10:11], 0
	s_or_b32 s6, vcc_lo, s6
	s_delay_alu instid0(SALU_CYCLE_1)
	s_and_not1_b32 vcc_lo, exec_lo, s6
	s_cbranch_vccnz .LBB358_15
; %bb.14:                               ;   in Loop: Header=BB358_4 Depth=1
	v_add_nc_u64_e32 v[10:11], s[36:37], v[24:25]
	flat_load_b128 v[32:35], v[10:11]
	s_wait_loadcnt_dscnt 0x0
	s_wait_xcnt 0x0
	v_mul_f64_e32 v[10:11], v[4:5], v[34:35]
	v_mul_f64_e32 v[12:13], v[2:3], v[34:35]
	s_delay_alu instid0(VALU_DEP_2) | instskip(NEXT) | instid1(VALU_DEP_2)
	v_fma_f64 v[10:11], v[2:3], v[32:33], -v[10:11]
	v_fmac_f64_e32 v[12:13], v[4:5], v[32:33]
.LBB358_15:                             ;   in Loop: Header=BB358_4 Depth=1
	s_mov_b32 s38, exec_lo
	s_or_b32 exec_lo, exec_lo, s40
	s_delay_alu instid0(SALU_CYCLE_1)
	s_and_b32 vcc_lo, exec_lo, s39
	s_cbranch_vccnz .LBB358_18
	s_branch .LBB358_37
.LBB358_16:                             ;   in Loop: Header=BB358_4 Depth=1
	s_mov_b32 s38, 0
                                        ; implicit-def: $vgpr12_vgpr13
	s_cbranch_execnz .LBB358_18
	s_branch .LBB358_37
.LBB358_17:                             ;   in Loop: Header=BB358_4 Depth=1
	s_or_b32 exec_lo, exec_lo, s40
	s_delay_alu instid0(SALU_CYCLE_1)
	s_and_b32 vcc_lo, exec_lo, s39
	s_cbranch_vccz .LBB358_37
.LBB358_18:                             ;   in Loop: Header=BB358_4 Depth=1
	v_mov_b64_e32 v[10:11], 0
	v_mov_b64_e32 v[12:13], 0
	s_wait_xcnt 0x0
	s_and_saveexec_b32 s6, s4
	s_cbranch_execnz .LBB358_27
; %bb.19:                               ;   in Loop: Header=BB358_4 Depth=1
	s_or_b32 exec_lo, exec_lo, s6
	s_and_saveexec_b32 s6, s5
	s_cbranch_execnz .LBB358_30
.LBB358_20:                             ;   in Loop: Header=BB358_4 Depth=1
	s_or_b32 exec_lo, exec_lo, s6
	s_and_saveexec_b32 s6, s1
.LBB358_21:                             ;   in Loop: Header=BB358_4 Depth=1
	v_dual_mov_b32 v14, v19 :: v_dual_mov_b32 v15, v19
	v_dual_mov_b32 v16, v19 :: v_dual_mov_b32 v17, v19
	ds_store_b128 v1, v[14:17]
.LBB358_22:                             ;   in Loop: Header=BB358_4 Depth=1
	s_or_b32 exec_lo, exec_lo, s6
	v_lshl_or_b32 v17, v30, 2, 64
	v_cmp_gt_u32_e32 vcc_lo, 24, v30
	s_wait_dscnt 0x0
	s_barrier_signal -1
	s_barrier_wait -1
	ds_bpermute_b32 v14, v17, v12
	ds_bpermute_b32 v15, v17, v13
	;; [unrolled: 1-line block ×4, first 2 shown]
	s_wait_dscnt 0x0
	v_add_f64_e32 v[12:13], v[12:13], v[14:15]
	v_cndmask_b32_e64 v14, 0, 8, vcc_lo
	v_add_f64_e32 v[10:11], v[10:11], v[16:17]
	v_cmp_gt_u32_e32 vcc_lo, 28, v30
	s_delay_alu instid0(VALU_DEP_3)
	v_add_lshl_u32 v17, v14, v30, 2
	ds_bpermute_b32 v14, v17, v12
	ds_bpermute_b32 v15, v17, v13
	ds_bpermute_b32 v16, v17, v10
	ds_bpermute_b32 v17, v17, v11
	s_wait_dscnt 0x2
	v_add_f64_e32 v[12:13], v[12:13], v[14:15]
	v_cndmask_b32_e64 v14, 0, 4, vcc_lo
	s_wait_dscnt 0x0
	v_add_f64_e32 v[10:11], v[10:11], v[16:17]
	v_cmp_gt_u32_e32 vcc_lo, 30, v30
	s_delay_alu instid0(VALU_DEP_3)
	v_add_lshl_u32 v26, v14, v30, 2
	ds_bpermute_b32 v14, v26, v12
	ds_bpermute_b32 v15, v26, v13
	;; [unrolled: 1-line block ×4, first 2 shown]
	s_wait_dscnt 0x2
	v_add_f64_e32 v[12:13], v[12:13], v[14:15]
	s_wait_dscnt 0x0
	v_add_f64_e32 v[14:15], v[10:11], v[16:17]
	v_cndmask_b32_e64 v10, 0, 2, vcc_lo
	v_cmp_ne_u32_e32 vcc_lo, 31, v30
	s_delay_alu instid0(VALU_DEP_2)
	v_add_lshl_u32 v27, v10, v30, 2
	ds_bpermute_b32 v10, v27, v12
	ds_bpermute_b32 v11, v27, v13
	;; [unrolled: 1-line block ×4, first 2 shown]
	s_wait_dscnt 0x2
	v_add_f64_e32 v[10:11], v[12:13], v[10:11]
	s_wait_dscnt 0x0
	v_add_f64_e32 v[12:13], v[14:15], v[16:17]
	v_add_co_ci_u32_e64 v14, null, 0, v30, vcc_lo
	s_delay_alu instid0(VALU_DEP_1)
	v_lshlrev_b32_e32 v31, 2, v14
	ds_bpermute_b32 v14, v31, v10
	ds_bpermute_b32 v15, v31, v11
	;; [unrolled: 1-line block ×4, first 2 shown]
	s_and_saveexec_b32 s6, s3
	s_cbranch_execz .LBB358_24
; %bb.23:                               ;   in Loop: Header=BB358_4 Depth=1
	s_wait_dscnt 0x0
	v_add_f64_e32 v[12:13], v[12:13], v[16:17]
	v_add_f64_e32 v[10:11], v[10:11], v[14:15]
	ds_store_b128 v28, v[10:13]
.LBB358_24:                             ;   in Loop: Header=BB358_4 Depth=1
	s_or_b32 exec_lo, exec_lo, s6
	s_wait_dscnt 0x0
	v_mov_b64_e32 v[16:17], 0
	v_mov_b64_e32 v[14:15], 0
	s_barrier_signal -1
	s_barrier_wait -1
	s_and_saveexec_b32 s6, s2
	s_cbranch_execnz .LBB358_31
; %bb.25:                               ;   in Loop: Header=BB358_4 Depth=1
	s_or_b32 exec_lo, exec_lo, s6
	s_and_saveexec_b32 s6, s1
	s_cbranch_execnz .LBB358_32
.LBB358_26:                             ;   in Loop: Header=BB358_4 Depth=1
	s_or_b32 exec_lo, exec_lo, s6
                                        ; implicit-def: $vgpr12_vgpr13
	s_and_saveexec_b32 s39, s0
	s_cbranch_execnz .LBB358_33
	s_branch .LBB358_36
.LBB358_27:                             ;   in Loop: Header=BB358_4 Depth=1
	v_add_nc_u64_e32 v[26:27], v[14:15], v[22:23]
	v_mov_b64_e32 v[10:11], 0
	v_mov_b64_e32 v[12:13], 0
	v_dual_mov_b32 v31, v29 :: v_dual_mov_b32 v32, v0
	s_mov_b32 s39, 0
.LBB358_28:                             ;   Parent Loop BB358_4 Depth=1
                                        ; =>  This Inner Loop Header: Depth=2
	v_readfirstlane_b32 s40, v16
	v_readfirstlane_b32 s41, v17
	s_delay_alu instid0(VALU_DEP_3)
	v_add_nc_u32_e32 v32, 0x100, v32
	flat_load_b128 v[34:37], v[26:27] offset:-8
	flat_load_b128 v[38:41], v31, s[40:41] scale_offset
	s_wait_xcnt 0x1
	v_add_nc_u64_e32 v[26:27], 0x1000, v[26:27]
	v_cmp_le_i32_e32 vcc_lo, s30, v32
	s_wait_xcnt 0x0
	v_add_nc_u32_e32 v31, s33, v31
	s_or_b32 s39, vcc_lo, s39
	s_wait_loadcnt_dscnt 0x0
	v_mul_f64_e32 v[42:43], v[36:37], v[40:41]
	v_mul_f64_e32 v[40:41], v[34:35], v[40:41]
	s_delay_alu instid0(VALU_DEP_2) | instskip(NEXT) | instid1(VALU_DEP_2)
	v_fma_f64 v[34:35], v[34:35], v[38:39], -v[42:43]
	v_fmac_f64_e32 v[40:41], v[36:37], v[38:39]
	s_delay_alu instid0(VALU_DEP_2) | instskip(NEXT) | instid1(VALU_DEP_2)
	v_add_f64_e32 v[12:13], v[12:13], v[34:35]
	v_add_f64_e32 v[10:11], v[10:11], v[40:41]
	s_and_not1_b32 exec_lo, exec_lo, s39
	s_cbranch_execnz .LBB358_28
; %bb.29:                               ;   in Loop: Header=BB358_4 Depth=1
	s_or_b32 exec_lo, exec_lo, s39
	s_delay_alu instid0(SALU_CYCLE_1)
	s_or_b32 exec_lo, exec_lo, s6
	s_and_saveexec_b32 s6, s5
	s_cbranch_execz .LBB358_20
.LBB358_30:                             ;   in Loop: Header=BB358_4 Depth=1
	v_add_nc_u64_e32 v[14:15], v[14:15], v[18:19]
	v_lshl_add_u64 v[26:27], v[20:21], 4, v[16:17]
	s_delay_alu instid0(VALU_DEP_2) | instskip(NEXT) | instid1(VALU_DEP_1)
	v_lshl_add_u64 v[14:15], s[34:35], 4, v[14:15]
	v_lshl_add_u64 v[36:37], s[30:31], 4, v[14:15]
	flat_load_b128 v[14:17], v[26:27]
	flat_load_b128 v[32:35], v[36:37]
	s_wait_loadcnt_dscnt 0x0
	s_wait_xcnt 0x1
	v_mul_f64_e32 v[26:27], v[34:35], v[16:17]
	v_mul_f64_e32 v[16:17], v[32:33], v[16:17]
	s_delay_alu instid0(VALU_DEP_2) | instskip(NEXT) | instid1(VALU_DEP_2)
	v_fma_f64 v[26:27], v[32:33], v[14:15], -v[26:27]
	v_fmac_f64_e32 v[16:17], v[34:35], v[14:15]
	s_delay_alu instid0(VALU_DEP_2) | instskip(NEXT) | instid1(VALU_DEP_2)
	v_add_f64_e32 v[12:13], v[12:13], v[26:27]
	v_add_f64_e32 v[10:11], v[10:11], v[16:17]
	s_wait_xcnt 0x0
	s_or_b32 exec_lo, exec_lo, s6
	s_and_saveexec_b32 s6, s1
	s_cbranch_execnz .LBB358_21
	s_branch .LBB358_22
.LBB358_31:                             ;   in Loop: Header=BB358_4 Depth=1
	ds_load_b128 v[14:17], v1
	s_or_b32 exec_lo, exec_lo, s6
	s_and_saveexec_b32 s6, s1
	s_cbranch_execz .LBB358_26
.LBB358_32:                             ;   in Loop: Header=BB358_4 Depth=1
	s_wait_dscnt 0x0
	ds_bpermute_b32 v10, v26, v14
	ds_bpermute_b32 v11, v26, v15
	ds_bpermute_b32 v12, v26, v16
	ds_bpermute_b32 v13, v26, v17
	s_wait_dscnt 0x2
	v_add_f64_e32 v[10:11], v[14:15], v[10:11]
	s_wait_dscnt 0x0
	v_add_f64_e32 v[12:13], v[16:17], v[12:13]
	ds_bpermute_b32 v14, v27, v10
	ds_bpermute_b32 v15, v27, v11
	ds_bpermute_b32 v16, v27, v12
	ds_bpermute_b32 v17, v27, v13
	s_wait_dscnt 0x2
	v_add_f64_e32 v[10:11], v[10:11], v[14:15]
	s_wait_dscnt 0x0
	v_add_f64_e32 v[12:13], v[12:13], v[16:17]
	;; [unrolled: 8-line block ×3, first 2 shown]
	s_or_b32 exec_lo, exec_lo, s6
                                        ; implicit-def: $vgpr12_vgpr13
	s_and_saveexec_b32 s39, s0
	s_cbranch_execz .LBB358_36
.LBB358_33:                             ;   in Loop: Header=BB358_4 Depth=1
	s_wait_dscnt 0x0
	s_delay_alu instid0(VALU_DEP_1) | instskip(SKIP_3) | instid1(VALU_DEP_4)
	v_mul_f64_e32 v[10:11], v[8:9], v[16:17]
	v_mul_f64_e32 v[12:13], v[6:7], v[16:17]
	v_cmp_neq_f64_e32 vcc_lo, 0, v[2:3]
	v_cmp_neq_f64_e64 s6, 0, v[4:5]
	v_fma_f64 v[10:11], v[6:7], v[14:15], -v[10:11]
	s_delay_alu instid0(VALU_DEP_4) | instskip(SKIP_1) | instid1(SALU_CYCLE_1)
	v_fmac_f64_e32 v[12:13], v[8:9], v[14:15]
	s_or_b32 s6, vcc_lo, s6
	s_and_not1_b32 vcc_lo, exec_lo, s6
	s_cbranch_vccnz .LBB358_35
; %bb.34:                               ;   in Loop: Header=BB358_4 Depth=1
	v_add_nc_u64_e32 v[6:7], s[36:37], v[24:25]
	flat_load_b128 v[6:9], v[6:7]
	s_wait_loadcnt_dscnt 0x0
	v_mul_f64_e32 v[14:15], v[4:5], v[8:9]
	v_mul_f64_e32 v[8:9], v[2:3], v[8:9]
	s_delay_alu instid0(VALU_DEP_2) | instskip(NEXT) | instid1(VALU_DEP_2)
	v_fma_f64 v[2:3], v[2:3], v[6:7], -v[14:15]
	v_fmac_f64_e32 v[8:9], v[4:5], v[6:7]
	s_delay_alu instid0(VALU_DEP_2) | instskip(NEXT) | instid1(VALU_DEP_2)
	v_add_f64_e32 v[10:11], v[10:11], v[2:3]
	v_add_f64_e32 v[12:13], v[12:13], v[8:9]
.LBB358_35:                             ;   in Loop: Header=BB358_4 Depth=1
	s_or_b32 s38, s38, exec_lo
.LBB358_36:                             ;   in Loop: Header=BB358_4 Depth=1
	s_wait_xcnt 0x0
	s_or_b32 exec_lo, exec_lo, s39
.LBB358_37:                             ;   in Loop: Header=BB358_4 Depth=1
	s_wait_xcnt 0x0
	s_and_saveexec_b32 s6, s38
	s_cbranch_execz .LBB358_2
; %bb.38:                               ;   in Loop: Header=BB358_4 Depth=1
	v_add_nc_u64_e32 v[2:3], s[36:37], v[24:25]
	flat_store_b128 v[2:3], v[10:13]
	s_branch .LBB358_2
.LBB358_39:
	s_endpgm
	.section	.rodata,"a",@progbits
	.p2align	6, 0x0
	.amdhsa_kernel _ZL32rocblas_gemvt_warp_reduce_kernelILb0ELi256EiPK19rocblas_complex_numIdES3_KPS1_EviiT3_lPKT2_lT1_lS9_lSA_lS6_lPT4_lSA_li
		.amdhsa_group_segment_fixed_size 512
		.amdhsa_private_segment_fixed_size 0
		.amdhsa_kernarg_size 140
		.amdhsa_user_sgpr_count 2
		.amdhsa_user_sgpr_dispatch_ptr 0
		.amdhsa_user_sgpr_queue_ptr 0
		.amdhsa_user_sgpr_kernarg_segment_ptr 1
		.amdhsa_user_sgpr_dispatch_id 0
		.amdhsa_user_sgpr_kernarg_preload_length 0
		.amdhsa_user_sgpr_kernarg_preload_offset 0
		.amdhsa_user_sgpr_private_segment_size 0
		.amdhsa_wavefront_size32 1
		.amdhsa_uses_dynamic_stack 0
		.amdhsa_enable_private_segment 0
		.amdhsa_system_sgpr_workgroup_id_x 1
		.amdhsa_system_sgpr_workgroup_id_y 0
		.amdhsa_system_sgpr_workgroup_id_z 1
		.amdhsa_system_sgpr_workgroup_info 0
		.amdhsa_system_vgpr_workitem_id 0
		.amdhsa_next_free_vgpr 44
		.amdhsa_next_free_sgpr 42
		.amdhsa_named_barrier_count 0
		.amdhsa_reserve_vcc 1
		.amdhsa_float_round_mode_32 0
		.amdhsa_float_round_mode_16_64 0
		.amdhsa_float_denorm_mode_32 3
		.amdhsa_float_denorm_mode_16_64 3
		.amdhsa_fp16_overflow 0
		.amdhsa_memory_ordered 1
		.amdhsa_forward_progress 1
		.amdhsa_inst_pref_size 16
		.amdhsa_round_robin_scheduling 0
		.amdhsa_exception_fp_ieee_invalid_op 0
		.amdhsa_exception_fp_denorm_src 0
		.amdhsa_exception_fp_ieee_div_zero 0
		.amdhsa_exception_fp_ieee_overflow 0
		.amdhsa_exception_fp_ieee_underflow 0
		.amdhsa_exception_fp_ieee_inexact 0
		.amdhsa_exception_int_div_zero 0
	.end_amdhsa_kernel
	.section	.text._ZL32rocblas_gemvt_warp_reduce_kernelILb0ELi256EiPK19rocblas_complex_numIdES3_KPS1_EviiT3_lPKT2_lT1_lS9_lSA_lS6_lPT4_lSA_li,"axG",@progbits,_ZL32rocblas_gemvt_warp_reduce_kernelILb0ELi256EiPK19rocblas_complex_numIdES3_KPS1_EviiT3_lPKT2_lT1_lS9_lSA_lS6_lPT4_lSA_li,comdat
.Lfunc_end358:
	.size	_ZL32rocblas_gemvt_warp_reduce_kernelILb0ELi256EiPK19rocblas_complex_numIdES3_KPS1_EviiT3_lPKT2_lT1_lS9_lSA_lS6_lPT4_lSA_li, .Lfunc_end358-_ZL32rocblas_gemvt_warp_reduce_kernelILb0ELi256EiPK19rocblas_complex_numIdES3_KPS1_EviiT3_lPKT2_lT1_lS9_lSA_lS6_lPT4_lSA_li
                                        ; -- End function
	.set _ZL32rocblas_gemvt_warp_reduce_kernelILb0ELi256EiPK19rocblas_complex_numIdES3_KPS1_EviiT3_lPKT2_lT1_lS9_lSA_lS6_lPT4_lSA_li.num_vgpr, 44
	.set _ZL32rocblas_gemvt_warp_reduce_kernelILb0ELi256EiPK19rocblas_complex_numIdES3_KPS1_EviiT3_lPKT2_lT1_lS9_lSA_lS6_lPT4_lSA_li.num_agpr, 0
	.set _ZL32rocblas_gemvt_warp_reduce_kernelILb0ELi256EiPK19rocblas_complex_numIdES3_KPS1_EviiT3_lPKT2_lT1_lS9_lSA_lS6_lPT4_lSA_li.numbered_sgpr, 42
	.set _ZL32rocblas_gemvt_warp_reduce_kernelILb0ELi256EiPK19rocblas_complex_numIdES3_KPS1_EviiT3_lPKT2_lT1_lS9_lSA_lS6_lPT4_lSA_li.num_named_barrier, 0
	.set _ZL32rocblas_gemvt_warp_reduce_kernelILb0ELi256EiPK19rocblas_complex_numIdES3_KPS1_EviiT3_lPKT2_lT1_lS9_lSA_lS6_lPT4_lSA_li.private_seg_size, 0
	.set _ZL32rocblas_gemvt_warp_reduce_kernelILb0ELi256EiPK19rocblas_complex_numIdES3_KPS1_EviiT3_lPKT2_lT1_lS9_lSA_lS6_lPT4_lSA_li.uses_vcc, 1
	.set _ZL32rocblas_gemvt_warp_reduce_kernelILb0ELi256EiPK19rocblas_complex_numIdES3_KPS1_EviiT3_lPKT2_lT1_lS9_lSA_lS6_lPT4_lSA_li.uses_flat_scratch, 0
	.set _ZL32rocblas_gemvt_warp_reduce_kernelILb0ELi256EiPK19rocblas_complex_numIdES3_KPS1_EviiT3_lPKT2_lT1_lS9_lSA_lS6_lPT4_lSA_li.has_dyn_sized_stack, 0
	.set _ZL32rocblas_gemvt_warp_reduce_kernelILb0ELi256EiPK19rocblas_complex_numIdES3_KPS1_EviiT3_lPKT2_lT1_lS9_lSA_lS6_lPT4_lSA_li.has_recursion, 0
	.set _ZL32rocblas_gemvt_warp_reduce_kernelILb0ELi256EiPK19rocblas_complex_numIdES3_KPS1_EviiT3_lPKT2_lT1_lS9_lSA_lS6_lPT4_lSA_li.has_indirect_call, 0
	.section	.AMDGPU.csdata,"",@progbits
; Kernel info:
; codeLenInByte = 1964
; TotalNumSgprs: 44
; NumVgprs: 44
; ScratchSize: 0
; MemoryBound: 0
; FloatMode: 240
; IeeeMode: 1
; LDSByteSize: 512 bytes/workgroup (compile time only)
; SGPRBlocks: 0
; VGPRBlocks: 2
; NumSGPRsForWavesPerEU: 44
; NumVGPRsForWavesPerEU: 44
; NamedBarCnt: 0
; Occupancy: 16
; WaveLimiterHint : 1
; COMPUTE_PGM_RSRC2:SCRATCH_EN: 0
; COMPUTE_PGM_RSRC2:USER_SGPR: 2
; COMPUTE_PGM_RSRC2:TRAP_HANDLER: 0
; COMPUTE_PGM_RSRC2:TGID_X_EN: 1
; COMPUTE_PGM_RSRC2:TGID_Y_EN: 0
; COMPUTE_PGM_RSRC2:TGID_Z_EN: 1
; COMPUTE_PGM_RSRC2:TIDIG_COMP_CNT: 0
	.section	.text._ZL32rocblas_gemvt_warp_reduce_kernelILb0ELi256ElPK19rocblas_complex_numIdES3_KPS1_EviiT3_lPKT2_lT1_lS9_lSA_lS6_lPT4_lSA_li,"axG",@progbits,_ZL32rocblas_gemvt_warp_reduce_kernelILb0ELi256ElPK19rocblas_complex_numIdES3_KPS1_EviiT3_lPKT2_lT1_lS9_lSA_lS6_lPT4_lSA_li,comdat
	.globl	_ZL32rocblas_gemvt_warp_reduce_kernelILb0ELi256ElPK19rocblas_complex_numIdES3_KPS1_EviiT3_lPKT2_lT1_lS9_lSA_lS6_lPT4_lSA_li ; -- Begin function _ZL32rocblas_gemvt_warp_reduce_kernelILb0ELi256ElPK19rocblas_complex_numIdES3_KPS1_EviiT3_lPKT2_lT1_lS9_lSA_lS6_lPT4_lSA_li
	.p2align	8
	.type	_ZL32rocblas_gemvt_warp_reduce_kernelILb0ELi256ElPK19rocblas_complex_numIdES3_KPS1_EviiT3_lPKT2_lT1_lS9_lSA_lS6_lPT4_lSA_li,@function
_ZL32rocblas_gemvt_warp_reduce_kernelILb0ELi256ElPK19rocblas_complex_numIdES3_KPS1_EviiT3_lPKT2_lT1_lS9_lSA_lS6_lPT4_lSA_li: ; @_ZL32rocblas_gemvt_warp_reduce_kernelILb0ELi256ElPK19rocblas_complex_numIdES3_KPS1_EviiT3_lPKT2_lT1_lS9_lSA_lS6_lPT4_lSA_li
; %bb.0:
	s_load_b32 s33, s[0:1], 0x88
	s_bfe_u32 s2, ttmp6, 0x40014
	s_lshr_b32 s3, ttmp7, 16
	s_add_co_i32 s2, s2, 1
	s_bfe_u32 s5, ttmp6, 0x40008
	s_mul_i32 s4, s3, s2
	s_getreg_b32 s2, hwreg(HW_REG_IB_STS2, 6, 4)
	s_add_co_i32 s5, s5, s4
	s_cmp_eq_u32 s2, 0
	s_mov_b32 s29, 0
	s_cselect_b32 s28, s3, s5
	s_wait_kmcnt 0x0
	s_cmp_ge_u32 s28, s33
	s_cbranch_scc1 .LBB359_39
; %bb.1:
	s_clause 0x1
	s_load_b32 s31, s[0:1], 0x0
	s_load_b64 s[6:7], s[0:1], 0x48
	s_bfe_u32 s3, ttmp6, 0x4000c
	s_and_b32 s4, ttmp6, 15
	s_add_co_i32 s3, s3, 1
	s_load_b256 s[8:15], s[0:1], 0x8
	s_mul_i32 s3, ttmp9, s3
	s_clause 0x1
	s_load_b128 s[24:27], s[0:1], 0x38
	s_load_b256 s[16:23], s[0:1], 0x58
	s_add_co_i32 s4, s4, s3
	s_cmp_eq_u32 s2, 0
	s_load_b64 s[34:35], s[0:1], 0x28
	s_cselect_b32 s2, ttmp9, s4
	s_load_b64 s[4:5], s[0:1], 0x78
	s_wait_xcnt 0x0
	v_cmp_eq_u32_e64 s0, 0, v0
	v_mbcnt_lo_u32_b32 v33, -1, 0
	s_wait_kmcnt 0x0
	s_ashr_i32 s3, s31, 31
	v_cmp_gt_i32_e32 vcc_lo, s31, v0
	s_lshr_b32 s3, s3, 24
	s_lshl_b64 s[36:37], s[6:7], 12
	s_add_co_i32 s3, s31, s3
	s_lshl_b64 s[14:15], s[14:15], 4
	s_and_b32 s30, s3, 0xffffff00
	s_delay_alu instid0(SALU_CYCLE_1) | instskip(SKIP_3) | instid1(VALU_DEP_3)
	v_dual_mov_b32 v19, 0 :: v_dual_bitop2_b32 v4, s30, v0 bitop3:0x54
	v_cndmask_b32_e32 v6, 0, v0, vcc_lo
	s_ashr_i32 s3, s2, 31
	v_cmp_gt_i32_e64 s1, s30, v0
	v_dual_mov_b32 v1, v19 :: v_dual_ashrrev_i32 v5, 31, v4
	s_mul_u64 s[38:39], s[4:5], s[2:3]
	s_mul_u64 s[34:35], s[34:35], s[2:3]
	v_cmp_gt_i32_e64 s2, s31, v4
	s_delay_alu instid0(VALU_DEP_2)
	v_mul_u64_e32 v[2:3], s[6:7], v[0:1]
	v_mul_u64_e32 v[20:21], s[6:7], v[4:5]
	v_dual_lshlrev_b32 v18, 4, v6 :: v_dual_bitop2_b32 v4, 31, v0 bitop3:0x40
	v_lshrrev_b32_e32 v5, 1, v0
	v_cmp_gt_u32_e64 s3, 32, v0
	v_cmp_gt_u32_e64 s5, 8, v0
	s_delay_alu instid0(VALU_DEP_4)
	v_cmp_eq_u32_e64 s4, 0, v4
	v_lshl_add_u64 v[24:25], s[34:35], 4, v[18:19]
	v_and_b32_e32 v32, 0x70, v5
	s_ashr_i32 s31, s30, 31
	v_lshlrev_b32_e32 v18, 4, v6
	s_lshl_b64 s[26:27], s[26:27], 4
	v_or_b32_e32 v24, 8, v24
	s_lshl_b64 s[22:23], s[22:23], 4
	s_lshl_b64 s[38:39], s[38:39], 4
	v_lshlrev_b64_e32 v[22:23], 4, v[2:3]
	s_delay_alu instid0(VALU_DEP_1)
	v_dual_lshlrev_b32 v1, 4, v4 :: v_dual_bitop2_b32 v22, 8, v22 bitop3:0x54
	s_branch .LBB359_4
.LBB359_2:                              ;   in Loop: Header=BB359_4 Depth=1
	s_wait_xcnt 0x0
	s_or_b32 exec_lo, exec_lo, s6
.LBB359_3:                              ;   in Loop: Header=BB359_4 Depth=1
	s_add_co_i32 s28, s28, 0x10000
	s_delay_alu instid0(SALU_CYCLE_1)
	s_cmp_lt_u32 s28, s33
	s_cbranch_scc0 .LBB359_39
.LBB359_4:                              ; =>This Loop Header: Depth=1
                                        ;     Child Loop BB359_28 Depth 2
	s_mul_u64 s[6:7], s[10:11], s[28:29]
	s_wait_xcnt 0x0
	s_mov_b32 s40, -1
	s_lshl_b64 s[6:7], s[6:7], 4
	s_delay_alu instid0(SALU_CYCLE_1) | instskip(SKIP_3) | instid1(SALU_CYCLE_1)
	s_add_nc_u64 s[6:7], s[8:9], s[6:7]
	global_load_b128 v[6:9], v19, s[6:7]
	s_wait_xcnt 0x0
	s_mul_u64 s[6:7], s[18:19], s[28:29]
	s_lshl_b64 s[6:7], s[6:7], 4
	s_delay_alu instid0(SALU_CYCLE_1)
	s_add_nc_u64 s[6:7], s[16:17], s[6:7]
	s_wait_loadcnt 0x1
	global_load_b128 v[2:5], v19, s[6:7]
	s_wait_loadcnt 0x1
	v_cmp_neq_f64_e32 vcc_lo, 0, v[6:7]
	s_wait_xcnt 0x0
	v_cmp_neq_f64_e64 s6, 0, v[8:9]
	s_or_b32 s7, vcc_lo, s6
	s_mov_b32 s6, 0
	s_and_b32 vcc_lo, exec_lo, s7
	s_cbranch_vccz .LBB359_7
; %bb.5:                                ;   in Loop: Header=BB359_4 Depth=1
	s_wait_dscnt 0x0
	v_mov_b64_e32 v[14:15], 0
	s_and_not1_b32 vcc_lo, exec_lo, s40
	s_cbranch_vccz .LBB359_8
.LBB359_6:                              ;   in Loop: Header=BB359_4 Depth=1
	s_and_not1_b32 vcc_lo, exec_lo, s6
	s_cbranch_vccnz .LBB359_3
	s_branch .LBB359_9
.LBB359_7:                              ;   in Loop: Header=BB359_4 Depth=1
	s_wait_loadcnt 0x0
	v_cmp_neq_f64_e32 vcc_lo, 1.0, v[2:3]
	v_cmp_neq_f64_e64 s6, 0, v[4:5]
	s_or_b32 s6, vcc_lo, s6
	s_wait_dscnt 0x0
	v_mov_b64_e32 v[14:15], 0
	s_cbranch_execnz .LBB359_6
.LBB359_8:                              ;   in Loop: Header=BB359_4 Depth=1
	s_lshl_b64 s[40:41], s[28:29], 3
	s_delay_alu instid0(SALU_CYCLE_1)
	s_add_nc_u64 s[40:41], s[12:13], s[40:41]
	global_load_b64 v[10:11], v19, s[40:41]
	s_wait_loadcnt 0x0
	v_add_nc_u64_e32 v[14:15], s[14:15], v[10:11]
.LBB359_9:                              ;   in Loop: Header=BB359_4 Depth=1
	v_mov_b64_e32 v[16:17], 0
	s_and_not1_b32 vcc_lo, exec_lo, s7
	s_cbranch_vccnz .LBB359_11
; %bb.10:                               ;   in Loop: Header=BB359_4 Depth=1
	s_wait_xcnt 0x0
	s_lshl_b64 s[40:41], s[28:29], 3
	s_delay_alu instid0(SALU_CYCLE_1)
	s_add_nc_u64 s[40:41], s[24:25], s[40:41]
	global_load_b64 v[10:11], v19, s[40:41]
	s_wait_loadcnt 0x0
	v_add_nc_u64_e32 v[16:17], s[26:27], v[10:11]
.LBB359_11:                             ;   in Loop: Header=BB359_4 Depth=1
	s_wait_xcnt 0x0
	s_lshl_b64 s[40:41], s[28:29], 3
	s_xor_b32 s6, s7, -1
	s_add_nc_u64 s[40:41], s[20:21], s[40:41]
	s_and_not1_b32 vcc_lo, exec_lo, s6
	global_load_b64 v[10:11], v19, s[40:41]
	s_wait_loadcnt 0x0
	v_add_nc_u64_e32 v[26:27], s[22:23], v[10:11]
	s_cbranch_vccnz .LBB359_16
; %bb.12:                               ;   in Loop: Header=BB359_4 Depth=1
	s_wait_xcnt 0x0
	s_mov_b32 s40, 0
	s_mov_b32 s7, 0
                                        ; implicit-def: $vgpr12_vgpr13
	s_and_saveexec_b32 s41, s0
	s_cbranch_execz .LBB359_17
; %bb.13:                               ;   in Loop: Header=BB359_4 Depth=1
	v_cmp_neq_f64_e32 vcc_lo, 0, v[2:3]
	v_cmp_neq_f64_e64 s6, 0, v[4:5]
	v_mov_b64_e32 v[12:13], 0
	v_mov_b64_e32 v[10:11], 0
	s_or_b32 s6, vcc_lo, s6
	s_delay_alu instid0(SALU_CYCLE_1)
	s_and_not1_b32 vcc_lo, exec_lo, s6
	s_cbranch_vccnz .LBB359_15
; %bb.14:                               ;   in Loop: Header=BB359_4 Depth=1
	v_add_nc_u64_e32 v[10:11], s[38:39], v[26:27]
	flat_load_b128 v[28:31], v[10:11]
	s_wait_loadcnt_dscnt 0x0
	s_wait_xcnt 0x0
	v_mul_f64_e32 v[10:11], v[4:5], v[30:31]
	v_mul_f64_e32 v[12:13], v[2:3], v[30:31]
	s_delay_alu instid0(VALU_DEP_2) | instskip(NEXT) | instid1(VALU_DEP_2)
	v_fma_f64 v[10:11], v[2:3], v[28:29], -v[10:11]
	v_fmac_f64_e32 v[12:13], v[4:5], v[28:29]
.LBB359_15:                             ;   in Loop: Header=BB359_4 Depth=1
	s_mov_b32 s7, exec_lo
	s_or_b32 exec_lo, exec_lo, s41
	s_delay_alu instid0(SALU_CYCLE_1)
	s_and_b32 vcc_lo, exec_lo, s40
	s_cbranch_vccnz .LBB359_18
	s_branch .LBB359_37
.LBB359_16:                             ;   in Loop: Header=BB359_4 Depth=1
	s_wait_xcnt 0x0
	s_mov_b32 s7, 0
                                        ; implicit-def: $vgpr12_vgpr13
	s_cbranch_execnz .LBB359_18
	s_branch .LBB359_37
.LBB359_17:                             ;   in Loop: Header=BB359_4 Depth=1
	s_or_b32 exec_lo, exec_lo, s41
	s_delay_alu instid0(SALU_CYCLE_1)
	s_and_b32 vcc_lo, exec_lo, s40
	s_cbranch_vccz .LBB359_37
.LBB359_18:                             ;   in Loop: Header=BB359_4 Depth=1
	v_mov_b64_e32 v[10:11], 0
	v_mov_b64_e32 v[12:13], 0
	s_and_saveexec_b32 s6, s1
	s_cbranch_execnz .LBB359_27
; %bb.19:                               ;   in Loop: Header=BB359_4 Depth=1
	s_or_b32 exec_lo, exec_lo, s6
	s_and_saveexec_b32 s6, s2
	s_cbranch_execnz .LBB359_30
.LBB359_20:                             ;   in Loop: Header=BB359_4 Depth=1
	s_or_b32 exec_lo, exec_lo, s6
	s_and_saveexec_b32 s6, s3
.LBB359_21:                             ;   in Loop: Header=BB359_4 Depth=1
	v_dual_mov_b32 v14, v19 :: v_dual_mov_b32 v15, v19
	v_dual_mov_b32 v16, v19 :: v_dual_mov_b32 v17, v19
	ds_store_b128 v1, v[14:17]
.LBB359_22:                             ;   in Loop: Header=BB359_4 Depth=1
	s_or_b32 exec_lo, exec_lo, s6
	v_lshl_or_b32 v17, v33, 2, 64
	v_cmp_gt_u32_e32 vcc_lo, 24, v33
	s_wait_dscnt 0x0
	s_barrier_signal -1
	s_barrier_wait -1
	ds_bpermute_b32 v14, v17, v12
	ds_bpermute_b32 v15, v17, v13
	;; [unrolled: 1-line block ×4, first 2 shown]
	s_wait_dscnt 0x0
	v_add_f64_e32 v[12:13], v[12:13], v[14:15]
	v_cndmask_b32_e64 v14, 0, 8, vcc_lo
	v_add_f64_e32 v[10:11], v[10:11], v[16:17]
	v_cmp_gt_u32_e32 vcc_lo, 28, v33
	s_delay_alu instid0(VALU_DEP_3)
	v_add_lshl_u32 v17, v14, v33, 2
	ds_bpermute_b32 v14, v17, v12
	ds_bpermute_b32 v15, v17, v13
	;; [unrolled: 1-line block ×4, first 2 shown]
	s_wait_dscnt 0x2
	v_add_f64_e32 v[12:13], v[12:13], v[14:15]
	v_cndmask_b32_e64 v14, 0, 4, vcc_lo
	s_wait_dscnt 0x0
	v_add_f64_e32 v[10:11], v[10:11], v[16:17]
	v_cmp_gt_u32_e32 vcc_lo, 30, v33
	s_delay_alu instid0(VALU_DEP_3)
	v_add_lshl_u32 v28, v14, v33, 2
	ds_bpermute_b32 v14, v28, v12
	ds_bpermute_b32 v15, v28, v13
	ds_bpermute_b32 v16, v28, v10
	ds_bpermute_b32 v17, v28, v11
	s_wait_dscnt 0x2
	v_add_f64_e32 v[12:13], v[12:13], v[14:15]
	s_wait_dscnt 0x0
	v_add_f64_e32 v[14:15], v[10:11], v[16:17]
	v_cndmask_b32_e64 v10, 0, 2, vcc_lo
	v_cmp_ne_u32_e32 vcc_lo, 31, v33
	s_delay_alu instid0(VALU_DEP_2)
	v_add_lshl_u32 v29, v10, v33, 2
	ds_bpermute_b32 v10, v29, v12
	ds_bpermute_b32 v11, v29, v13
	;; [unrolled: 1-line block ×4, first 2 shown]
	s_wait_dscnt 0x2
	v_add_f64_e32 v[10:11], v[12:13], v[10:11]
	s_wait_dscnt 0x0
	v_add_f64_e32 v[12:13], v[14:15], v[16:17]
	v_add_co_ci_u32_e64 v14, null, 0, v33, vcc_lo
	s_delay_alu instid0(VALU_DEP_1)
	v_lshlrev_b32_e32 v30, 2, v14
	ds_bpermute_b32 v14, v30, v10
	ds_bpermute_b32 v15, v30, v11
	;; [unrolled: 1-line block ×4, first 2 shown]
	s_and_saveexec_b32 s6, s4
	s_cbranch_execz .LBB359_24
; %bb.23:                               ;   in Loop: Header=BB359_4 Depth=1
	s_wait_dscnt 0x0
	v_add_f64_e32 v[12:13], v[12:13], v[16:17]
	v_add_f64_e32 v[10:11], v[10:11], v[14:15]
	ds_store_b128 v32, v[10:13]
.LBB359_24:                             ;   in Loop: Header=BB359_4 Depth=1
	s_or_b32 exec_lo, exec_lo, s6
	s_wait_dscnt 0x0
	v_mov_b64_e32 v[16:17], 0
	v_mov_b64_e32 v[14:15], 0
	s_barrier_signal -1
	s_barrier_wait -1
	s_and_saveexec_b32 s6, s5
	s_cbranch_execnz .LBB359_31
; %bb.25:                               ;   in Loop: Header=BB359_4 Depth=1
	s_or_b32 exec_lo, exec_lo, s6
	s_and_saveexec_b32 s6, s3
	s_cbranch_execnz .LBB359_32
.LBB359_26:                             ;   in Loop: Header=BB359_4 Depth=1
	s_or_b32 exec_lo, exec_lo, s6
                                        ; implicit-def: $vgpr12_vgpr13
	s_and_saveexec_b32 s40, s0
	s_cbranch_execnz .LBB359_33
	s_branch .LBB359_36
.LBB359_27:                             ;   in Loop: Header=BB359_4 Depth=1
	v_add_nc_u64_e32 v[28:29], v[14:15], v[24:25]
	v_add_nc_u64_e32 v[30:31], v[16:17], v[22:23]
	v_mov_b64_e32 v[10:11], 0
	v_mov_b64_e32 v[12:13], 0
	v_mov_b32_e32 v34, v0
	s_mov_b32 s40, 0
.LBB359_28:                             ;   Parent Loop BB359_4 Depth=1
                                        ; =>  This Inner Loop Header: Depth=2
	flat_load_b128 v[36:39], v[28:29] offset:-8
	flat_load_b128 v[40:43], v[30:31] offset:-8
	v_add_nc_u32_e32 v34, 0x100, v34
	s_wait_xcnt 0x1
	v_add_nc_u64_e32 v[28:29], 0x1000, v[28:29]
	s_wait_xcnt 0x0
	v_add_nc_u64_e32 v[30:31], s[36:37], v[30:31]
	v_cmp_le_i32_e32 vcc_lo, s30, v34
	s_or_b32 s40, vcc_lo, s40
	s_wait_loadcnt_dscnt 0x0
	v_mul_f64_e32 v[44:45], v[38:39], v[42:43]
	v_mul_f64_e32 v[42:43], v[36:37], v[42:43]
	s_delay_alu instid0(VALU_DEP_2) | instskip(NEXT) | instid1(VALU_DEP_2)
	v_fma_f64 v[36:37], v[36:37], v[40:41], -v[44:45]
	v_fmac_f64_e32 v[42:43], v[38:39], v[40:41]
	s_delay_alu instid0(VALU_DEP_2) | instskip(NEXT) | instid1(VALU_DEP_2)
	v_add_f64_e32 v[12:13], v[12:13], v[36:37]
	v_add_f64_e32 v[10:11], v[10:11], v[42:43]
	s_and_not1_b32 exec_lo, exec_lo, s40
	s_cbranch_execnz .LBB359_28
; %bb.29:                               ;   in Loop: Header=BB359_4 Depth=1
	s_or_b32 exec_lo, exec_lo, s40
	s_delay_alu instid0(SALU_CYCLE_1)
	s_or_b32 exec_lo, exec_lo, s6
	s_and_saveexec_b32 s6, s2
	s_cbranch_execz .LBB359_20
.LBB359_30:                             ;   in Loop: Header=BB359_4 Depth=1
	v_add_nc_u64_e32 v[14:15], v[14:15], v[18:19]
	v_lshl_add_u64 v[34:35], v[20:21], 4, v[16:17]
	s_delay_alu instid0(VALU_DEP_2) | instskip(NEXT) | instid1(VALU_DEP_1)
	v_lshl_add_u64 v[14:15], s[34:35], 4, v[14:15]
	v_lshl_add_u64 v[36:37], s[30:31], 4, v[14:15]
	flat_load_b128 v[14:17], v[34:35]
	flat_load_b128 v[28:31], v[36:37]
	s_wait_loadcnt_dscnt 0x0
	s_wait_xcnt 0x1
	v_mul_f64_e32 v[34:35], v[30:31], v[16:17]
	v_mul_f64_e32 v[16:17], v[28:29], v[16:17]
	s_delay_alu instid0(VALU_DEP_2) | instskip(NEXT) | instid1(VALU_DEP_2)
	v_fma_f64 v[28:29], v[28:29], v[14:15], -v[34:35]
	v_fmac_f64_e32 v[16:17], v[30:31], v[14:15]
	s_delay_alu instid0(VALU_DEP_2) | instskip(NEXT) | instid1(VALU_DEP_2)
	v_add_f64_e32 v[12:13], v[12:13], v[28:29]
	v_add_f64_e32 v[10:11], v[10:11], v[16:17]
	s_wait_xcnt 0x0
	s_or_b32 exec_lo, exec_lo, s6
	s_and_saveexec_b32 s6, s3
	s_cbranch_execnz .LBB359_21
	s_branch .LBB359_22
.LBB359_31:                             ;   in Loop: Header=BB359_4 Depth=1
	ds_load_b128 v[14:17], v1
	s_or_b32 exec_lo, exec_lo, s6
	s_and_saveexec_b32 s6, s3
	s_cbranch_execz .LBB359_26
.LBB359_32:                             ;   in Loop: Header=BB359_4 Depth=1
	s_wait_dscnt 0x0
	ds_bpermute_b32 v10, v28, v14
	ds_bpermute_b32 v11, v28, v15
	ds_bpermute_b32 v12, v28, v16
	ds_bpermute_b32 v13, v28, v17
	s_wait_dscnt 0x2
	v_add_f64_e32 v[10:11], v[14:15], v[10:11]
	s_wait_dscnt 0x0
	v_add_f64_e32 v[12:13], v[16:17], v[12:13]
	ds_bpermute_b32 v14, v29, v10
	ds_bpermute_b32 v15, v29, v11
	ds_bpermute_b32 v16, v29, v12
	ds_bpermute_b32 v17, v29, v13
	s_wait_dscnt 0x2
	v_add_f64_e32 v[10:11], v[10:11], v[14:15]
	s_wait_dscnt 0x0
	v_add_f64_e32 v[12:13], v[12:13], v[16:17]
	ds_bpermute_b32 v14, v30, v10
	ds_bpermute_b32 v15, v30, v11
	ds_bpermute_b32 v16, v30, v12
	ds_bpermute_b32 v17, v30, v13
	s_wait_dscnt 0x2
	v_add_f64_e32 v[14:15], v[10:11], v[14:15]
	s_wait_dscnt 0x0
	v_add_f64_e32 v[16:17], v[12:13], v[16:17]
	s_or_b32 exec_lo, exec_lo, s6
                                        ; implicit-def: $vgpr12_vgpr13
	s_and_saveexec_b32 s40, s0
	s_cbranch_execz .LBB359_36
.LBB359_33:                             ;   in Loop: Header=BB359_4 Depth=1
	s_wait_dscnt 0x0
	s_delay_alu instid0(VALU_DEP_1) | instskip(SKIP_3) | instid1(VALU_DEP_4)
	v_mul_f64_e32 v[10:11], v[8:9], v[16:17]
	v_mul_f64_e32 v[12:13], v[6:7], v[16:17]
	v_cmp_neq_f64_e32 vcc_lo, 0, v[2:3]
	v_cmp_neq_f64_e64 s6, 0, v[4:5]
	v_fma_f64 v[10:11], v[6:7], v[14:15], -v[10:11]
	s_delay_alu instid0(VALU_DEP_4) | instskip(SKIP_1) | instid1(SALU_CYCLE_1)
	v_fmac_f64_e32 v[12:13], v[8:9], v[14:15]
	s_or_b32 s6, vcc_lo, s6
	s_and_not1_b32 vcc_lo, exec_lo, s6
	s_cbranch_vccnz .LBB359_35
; %bb.34:                               ;   in Loop: Header=BB359_4 Depth=1
	v_add_nc_u64_e32 v[6:7], s[38:39], v[26:27]
	flat_load_b128 v[6:9], v[6:7]
	s_wait_loadcnt_dscnt 0x0
	v_mul_f64_e32 v[14:15], v[4:5], v[8:9]
	v_mul_f64_e32 v[8:9], v[2:3], v[8:9]
	s_delay_alu instid0(VALU_DEP_2) | instskip(NEXT) | instid1(VALU_DEP_2)
	v_fma_f64 v[2:3], v[2:3], v[6:7], -v[14:15]
	v_fmac_f64_e32 v[8:9], v[4:5], v[6:7]
	s_delay_alu instid0(VALU_DEP_2) | instskip(NEXT) | instid1(VALU_DEP_2)
	v_add_f64_e32 v[10:11], v[10:11], v[2:3]
	v_add_f64_e32 v[12:13], v[12:13], v[8:9]
.LBB359_35:                             ;   in Loop: Header=BB359_4 Depth=1
	s_or_b32 s7, s7, exec_lo
.LBB359_36:                             ;   in Loop: Header=BB359_4 Depth=1
	s_wait_xcnt 0x0
	s_or_b32 exec_lo, exec_lo, s40
.LBB359_37:                             ;   in Loop: Header=BB359_4 Depth=1
	s_and_saveexec_b32 s6, s7
	s_cbranch_execz .LBB359_2
; %bb.38:                               ;   in Loop: Header=BB359_4 Depth=1
	v_add_nc_u64_e32 v[2:3], s[38:39], v[26:27]
	flat_store_b128 v[2:3], v[10:13]
	s_branch .LBB359_2
.LBB359_39:
	s_endpgm
	.section	.rodata,"a",@progbits
	.p2align	6, 0x0
	.amdhsa_kernel _ZL32rocblas_gemvt_warp_reduce_kernelILb0ELi256ElPK19rocblas_complex_numIdES3_KPS1_EviiT3_lPKT2_lT1_lS9_lSA_lS6_lPT4_lSA_li
		.amdhsa_group_segment_fixed_size 512
		.amdhsa_private_segment_fixed_size 0
		.amdhsa_kernarg_size 140
		.amdhsa_user_sgpr_count 2
		.amdhsa_user_sgpr_dispatch_ptr 0
		.amdhsa_user_sgpr_queue_ptr 0
		.amdhsa_user_sgpr_kernarg_segment_ptr 1
		.amdhsa_user_sgpr_dispatch_id 0
		.amdhsa_user_sgpr_kernarg_preload_length 0
		.amdhsa_user_sgpr_kernarg_preload_offset 0
		.amdhsa_user_sgpr_private_segment_size 0
		.amdhsa_wavefront_size32 1
		.amdhsa_uses_dynamic_stack 0
		.amdhsa_enable_private_segment 0
		.amdhsa_system_sgpr_workgroup_id_x 1
		.amdhsa_system_sgpr_workgroup_id_y 0
		.amdhsa_system_sgpr_workgroup_id_z 1
		.amdhsa_system_sgpr_workgroup_info 0
		.amdhsa_system_vgpr_workitem_id 0
		.amdhsa_next_free_vgpr 46
		.amdhsa_next_free_sgpr 42
		.amdhsa_named_barrier_count 0
		.amdhsa_reserve_vcc 1
		.amdhsa_float_round_mode_32 0
		.amdhsa_float_round_mode_16_64 0
		.amdhsa_float_denorm_mode_32 3
		.amdhsa_float_denorm_mode_16_64 3
		.amdhsa_fp16_overflow 0
		.amdhsa_memory_ordered 1
		.amdhsa_forward_progress 1
		.amdhsa_inst_pref_size 16
		.amdhsa_round_robin_scheduling 0
		.amdhsa_exception_fp_ieee_invalid_op 0
		.amdhsa_exception_fp_denorm_src 0
		.amdhsa_exception_fp_ieee_div_zero 0
		.amdhsa_exception_fp_ieee_overflow 0
		.amdhsa_exception_fp_ieee_underflow 0
		.amdhsa_exception_fp_ieee_inexact 0
		.amdhsa_exception_int_div_zero 0
	.end_amdhsa_kernel
	.section	.text._ZL32rocblas_gemvt_warp_reduce_kernelILb0ELi256ElPK19rocblas_complex_numIdES3_KPS1_EviiT3_lPKT2_lT1_lS9_lSA_lS6_lPT4_lSA_li,"axG",@progbits,_ZL32rocblas_gemvt_warp_reduce_kernelILb0ELi256ElPK19rocblas_complex_numIdES3_KPS1_EviiT3_lPKT2_lT1_lS9_lSA_lS6_lPT4_lSA_li,comdat
.Lfunc_end359:
	.size	_ZL32rocblas_gemvt_warp_reduce_kernelILb0ELi256ElPK19rocblas_complex_numIdES3_KPS1_EviiT3_lPKT2_lT1_lS9_lSA_lS6_lPT4_lSA_li, .Lfunc_end359-_ZL32rocblas_gemvt_warp_reduce_kernelILb0ELi256ElPK19rocblas_complex_numIdES3_KPS1_EviiT3_lPKT2_lT1_lS9_lSA_lS6_lPT4_lSA_li
                                        ; -- End function
	.set _ZL32rocblas_gemvt_warp_reduce_kernelILb0ELi256ElPK19rocblas_complex_numIdES3_KPS1_EviiT3_lPKT2_lT1_lS9_lSA_lS6_lPT4_lSA_li.num_vgpr, 46
	.set _ZL32rocblas_gemvt_warp_reduce_kernelILb0ELi256ElPK19rocblas_complex_numIdES3_KPS1_EviiT3_lPKT2_lT1_lS9_lSA_lS6_lPT4_lSA_li.num_agpr, 0
	.set _ZL32rocblas_gemvt_warp_reduce_kernelILb0ELi256ElPK19rocblas_complex_numIdES3_KPS1_EviiT3_lPKT2_lT1_lS9_lSA_lS6_lPT4_lSA_li.numbered_sgpr, 42
	.set _ZL32rocblas_gemvt_warp_reduce_kernelILb0ELi256ElPK19rocblas_complex_numIdES3_KPS1_EviiT3_lPKT2_lT1_lS9_lSA_lS6_lPT4_lSA_li.num_named_barrier, 0
	.set _ZL32rocblas_gemvt_warp_reduce_kernelILb0ELi256ElPK19rocblas_complex_numIdES3_KPS1_EviiT3_lPKT2_lT1_lS9_lSA_lS6_lPT4_lSA_li.private_seg_size, 0
	.set _ZL32rocblas_gemvt_warp_reduce_kernelILb0ELi256ElPK19rocblas_complex_numIdES3_KPS1_EviiT3_lPKT2_lT1_lS9_lSA_lS6_lPT4_lSA_li.uses_vcc, 1
	.set _ZL32rocblas_gemvt_warp_reduce_kernelILb0ELi256ElPK19rocblas_complex_numIdES3_KPS1_EviiT3_lPKT2_lT1_lS9_lSA_lS6_lPT4_lSA_li.uses_flat_scratch, 0
	.set _ZL32rocblas_gemvt_warp_reduce_kernelILb0ELi256ElPK19rocblas_complex_numIdES3_KPS1_EviiT3_lPKT2_lT1_lS9_lSA_lS6_lPT4_lSA_li.has_dyn_sized_stack, 0
	.set _ZL32rocblas_gemvt_warp_reduce_kernelILb0ELi256ElPK19rocblas_complex_numIdES3_KPS1_EviiT3_lPKT2_lT1_lS9_lSA_lS6_lPT4_lSA_li.has_recursion, 0
	.set _ZL32rocblas_gemvt_warp_reduce_kernelILb0ELi256ElPK19rocblas_complex_numIdES3_KPS1_EviiT3_lPKT2_lT1_lS9_lSA_lS6_lPT4_lSA_li.has_indirect_call, 0
	.section	.AMDGPU.csdata,"",@progbits
; Kernel info:
; codeLenInByte = 1972
; TotalNumSgprs: 44
; NumVgprs: 46
; ScratchSize: 0
; MemoryBound: 0
; FloatMode: 240
; IeeeMode: 1
; LDSByteSize: 512 bytes/workgroup (compile time only)
; SGPRBlocks: 0
; VGPRBlocks: 2
; NumSGPRsForWavesPerEU: 44
; NumVGPRsForWavesPerEU: 46
; NamedBarCnt: 0
; Occupancy: 16
; WaveLimiterHint : 1
; COMPUTE_PGM_RSRC2:SCRATCH_EN: 0
; COMPUTE_PGM_RSRC2:USER_SGPR: 2
; COMPUTE_PGM_RSRC2:TRAP_HANDLER: 0
; COMPUTE_PGM_RSRC2:TGID_X_EN: 1
; COMPUTE_PGM_RSRC2:TGID_Y_EN: 0
; COMPUTE_PGM_RSRC2:TGID_Z_EN: 1
; COMPUTE_PGM_RSRC2:TIDIG_COMP_CNT: 0
	.section	.text._ZL32rocblas_gemvt_warp_reduce_kernelILb0ELi256EiPK19rocblas_complex_numIdES1_KPS1_EviiT3_lPKT2_lT1_lS9_lSA_lS6_lPT4_lSA_li,"axG",@progbits,_ZL32rocblas_gemvt_warp_reduce_kernelILb0ELi256EiPK19rocblas_complex_numIdES1_KPS1_EviiT3_lPKT2_lT1_lS9_lSA_lS6_lPT4_lSA_li,comdat
	.globl	_ZL32rocblas_gemvt_warp_reduce_kernelILb0ELi256EiPK19rocblas_complex_numIdES1_KPS1_EviiT3_lPKT2_lT1_lS9_lSA_lS6_lPT4_lSA_li ; -- Begin function _ZL32rocblas_gemvt_warp_reduce_kernelILb0ELi256EiPK19rocblas_complex_numIdES1_KPS1_EviiT3_lPKT2_lT1_lS9_lSA_lS6_lPT4_lSA_li
	.p2align	8
	.type	_ZL32rocblas_gemvt_warp_reduce_kernelILb0ELi256EiPK19rocblas_complex_numIdES1_KPS1_EviiT3_lPKT2_lT1_lS9_lSA_lS6_lPT4_lSA_li,@function
_ZL32rocblas_gemvt_warp_reduce_kernelILb0ELi256EiPK19rocblas_complex_numIdES1_KPS1_EviiT3_lPKT2_lT1_lS9_lSA_lS6_lPT4_lSA_li: ; @_ZL32rocblas_gemvt_warp_reduce_kernelILb0ELi256EiPK19rocblas_complex_numIdES1_KPS1_EviiT3_lPKT2_lT1_lS9_lSA_lS6_lPT4_lSA_li
; %bb.0:
	s_load_b32 s33, s[0:1], 0x98
	s_bfe_u32 s2, ttmp6, 0x40014
	s_lshr_b32 s4, ttmp7, 16
	s_add_co_i32 s2, s2, 1
	s_bfe_u32 s5, ttmp6, 0x40008
	s_mul_i32 s2, s4, s2
	s_getreg_b32 s3, hwreg(HW_REG_IB_STS2, 6, 4)
	s_add_co_i32 s5, s5, s2
	s_cmp_eq_u32 s3, 0
	s_mov_b32 s7, 0
	s_cselect_b32 s6, s4, s5
	s_wait_kmcnt 0x0
	s_cmp_ge_u32 s6, s33
	s_cbranch_scc1 .LBB360_41
; %bb.1:
	s_clause 0x8
	s_load_b128 s[8:11], s[0:1], 0x8
	s_load_b128 s[12:15], s[0:1], 0x60
	s_load_b32 s40, s[0:1], 0x0
	s_load_b128 s[16:19], s[0:1], 0x78
	s_load_b128 s[20:23], s[0:1], 0x20
	s_load_b32 s31, s[0:1], 0x30
	s_load_b128 s[24:27], s[0:1], 0x40
	s_load_b32 s34, s[0:1], 0x50
	s_load_b32 s35, s[0:1], 0x88
	s_bfe_u32 s2, ttmp6, 0x4000c
	s_and_b32 s36, ttmp6, 15
	s_add_co_i32 s37, s2, 1
	v_dual_mov_b32 v11, 0 :: v_dual_bitop2_b32 v2, 31, v0 bitop3:0x40
	s_mul_i32 s37, ttmp9, s37
	v_lshrrev_b32_e32 v3, 1, v0
	s_add_co_i32 s39, s36, s37
	s_wait_xcnt 0x0
	v_cmp_eq_u32_e64 s0, 0, v0
	v_lshlrev_b32_e32 v1, 4, v2
	v_cmp_gt_u32_e64 s1, 32, v0
	v_and_b32_e32 v21, 0x70, v3
	v_cmp_gt_u32_e64 s2, 8, v0
	s_wait_kmcnt 0x0
	v_cmp_gt_i32_e32 vcc_lo, s40, v0
	v_mbcnt_lo_u32_b32 v23, -1, 0
	v_cmp_neq_f64_e64 s4, s[8:9], 0
	v_cmp_neq_f64_e64 s30, s[10:11], 0
	v_cmp_neq_f64_e64 s5, s[12:13], 1.0
	v_cmp_neq_f64_e64 s28, s[14:15], 0
	v_cmp_neq_f64_e64 s29, s[12:13], 0
	v_mul_lo_u32 v22, v0, s34
	s_or_b32 s4, s4, s30
	s_or_b32 s36, s5, s28
	;; [unrolled: 1-line block ×3, first 2 shown]
	s_xor_b32 s38, s4, -1
	s_cmp_eq_u32 s3, 0
	v_cndmask_b32_e64 v20, 0, 1, s4
	s_cselect_b32 s4, ttmp9, s39
	s_ashr_i32 s5, s40, 31
	v_cmp_eq_u32_e64 s3, 0, v2
	s_lshr_b32 s5, s5, 24
	s_mul_i32 s30, s31, s4
	s_add_co_i32 s5, s40, s5
	s_ashr_i32 s31, s30, 31
	s_and_b32 s28, s5, 0xffffff00
	s_delay_alu instid0(SALU_CYCLE_1)
	v_dual_cndmask_b32 v2, 0, v0, vcc_lo :: v_dual_bitop2_b32 v3, s28, v0 bitop3:0x54
	s_lshl_b32 s39, s34, 8
	s_lshl_b64 s[22:23], s[22:23], 4
	s_ashr_i32 s29, s28, 31
	s_lshl_b64 s[26:27], s[26:27], 4
	v_mul_lo_u32 v12, s34, v3
	v_lshlrev_b32_e32 v10, 4, v2
	s_mul_i32 s34, s35, s4
	v_cmp_gt_i32_e64 s4, s28, v0
	v_cmp_gt_i32_e64 s5, s40, v3
	s_ashr_i32 s35, s34, 31
	s_lshl_b64 s[18:19], s[18:19], 4
	s_lshl_b64 s[34:35], s[34:35], 4
	v_ashrrev_i32_e32 v13, 31, v12
	v_lshl_add_u64 v[14:15], s[30:31], 4, v[10:11]
	v_lshlrev_b32_e32 v10, 4, v2
	s_delay_alu instid0(VALU_DEP_2)
	v_or_b32_e32 v14, 8, v14
	s_branch .LBB360_4
.LBB360_2:                              ;   in Loop: Header=BB360_4 Depth=1
	s_wait_xcnt 0x0
	s_or_b32 exec_lo, exec_lo, s41
.LBB360_3:                              ;   in Loop: Header=BB360_4 Depth=1
	s_add_co_i32 s6, s6, 0x10000
	s_delay_alu instid0(SALU_CYCLE_1)
	s_cmp_lt_u32 s6, s33
	s_cbranch_scc0 .LBB360_41
.LBB360_4:                              ; =>This Loop Header: Depth=1
                                        ;     Child Loop BB360_30 Depth 2
	s_and_not1_b32 vcc_lo, exec_lo, s38
	s_cbranch_vccnz .LBB360_7
; %bb.5:                                ;   in Loop: Header=BB360_4 Depth=1
	s_mov_b32 s41, 0
	s_and_b32 vcc_lo, exec_lo, s36
	s_mov_b32 s40, 0
	s_cbranch_vccz .LBB360_8
; %bb.6:                                ;   in Loop: Header=BB360_4 Depth=1
	s_mov_b32 s40, -1
	s_branch .LBB360_8
.LBB360_7:                              ;   in Loop: Header=BB360_4 Depth=1
	s_mov_b32 s40, 0
	s_mov_b32 s41, -1
.LBB360_8:                              ;   in Loop: Header=BB360_4 Depth=1
	s_wait_dscnt 0x0
	v_mov_b64_e32 v[6:7], 0
	s_and_b32 vcc_lo, exec_lo, s41
	s_cbranch_vccnz .LBB360_10
; %bb.9:                                ;   in Loop: Header=BB360_4 Depth=1
	s_and_not1_b32 vcc_lo, exec_lo, s40
	s_cbranch_vccnz .LBB360_3
	s_branch .LBB360_11
.LBB360_10:                             ;   in Loop: Header=BB360_4 Depth=1
	s_lshl_b64 s[40:41], s[6:7], 3
	s_delay_alu instid0(SALU_CYCLE_1)
	s_add_nc_u64 s[40:41], s[20:21], s[40:41]
	global_load_b64 v[2:3], v11, s[40:41]
	s_wait_xcnt 0x0
	s_wait_loadcnt 0x0
	v_add_nc_u64_e32 v[6:7], s[22:23], v[2:3]
.LBB360_11:                             ;   in Loop: Header=BB360_4 Depth=1
	v_cmp_ne_u32_e32 vcc_lo, 1, v20
	v_mov_b64_e32 v[8:9], 0
	s_cbranch_vccnz .LBB360_13
; %bb.12:                               ;   in Loop: Header=BB360_4 Depth=1
	s_lshl_b64 s[40:41], s[6:7], 3
	s_delay_alu instid0(SALU_CYCLE_1)
	s_add_nc_u64 s[40:41], s[24:25], s[40:41]
	global_load_b64 v[2:3], v11, s[40:41]
	s_wait_loadcnt 0x0
	v_add_nc_u64_e32 v[8:9], s[26:27], v[2:3]
.LBB360_13:                             ;   in Loop: Header=BB360_4 Depth=1
	s_wait_xcnt 0x0
	s_lshl_b64 s[40:41], s[6:7], 3
	s_and_not1_b32 vcc_lo, exec_lo, s38
	s_add_nc_u64 s[40:41], s[16:17], s[40:41]
	global_load_b64 v[2:3], v11, s[40:41]
	s_wait_loadcnt 0x0
	v_add_nc_u64_e32 v[16:17], s[18:19], v[2:3]
	s_cbranch_vccnz .LBB360_18
; %bb.14:                               ;   in Loop: Header=BB360_4 Depth=1
	s_wait_xcnt 0x0
	s_mov_b32 s41, 0
	s_mov_b32 s40, 0
                                        ; implicit-def: $vgpr4_vgpr5
	s_and_saveexec_b32 s42, s0
	s_cbranch_execz .LBB360_19
; %bb.15:                               ;   in Loop: Header=BB360_4 Depth=1
	v_mov_b64_e32 v[4:5], 0
	v_mov_b64_e32 v[2:3], 0
	s_and_not1_b32 vcc_lo, exec_lo, s37
	s_cbranch_vccnz .LBB360_17
; %bb.16:                               ;   in Loop: Header=BB360_4 Depth=1
	v_add_nc_u64_e32 v[2:3], s[34:35], v[16:17]
	flat_load_b128 v[24:27], v[2:3]
	s_wait_loadcnt_dscnt 0x0
	s_wait_xcnt 0x0
	v_mul_f64_e32 v[2:3], s[14:15], v[26:27]
	v_mul_f64_e32 v[4:5], s[12:13], v[26:27]
	s_delay_alu instid0(VALU_DEP_2) | instskip(NEXT) | instid1(VALU_DEP_2)
	v_fma_f64 v[2:3], s[12:13], v[24:25], -v[2:3]
	v_fmac_f64_e32 v[4:5], s[14:15], v[24:25]
.LBB360_17:                             ;   in Loop: Header=BB360_4 Depth=1
	s_mov_b32 s40, exec_lo
	s_or_b32 exec_lo, exec_lo, s42
	s_delay_alu instid0(SALU_CYCLE_1)
	s_and_b32 vcc_lo, exec_lo, s41
	s_cbranch_vccnz .LBB360_20
	s_branch .LBB360_39
.LBB360_18:                             ;   in Loop: Header=BB360_4 Depth=1
	s_wait_xcnt 0x0
	s_mov_b32 s40, 0
                                        ; implicit-def: $vgpr4_vgpr5
	s_cbranch_execnz .LBB360_20
	s_branch .LBB360_39
.LBB360_19:                             ;   in Loop: Header=BB360_4 Depth=1
	s_or_b32 exec_lo, exec_lo, s42
	s_delay_alu instid0(SALU_CYCLE_1)
	s_and_b32 vcc_lo, exec_lo, s41
	s_cbranch_vccz .LBB360_39
.LBB360_20:                             ;   in Loop: Header=BB360_4 Depth=1
	v_mov_b64_e32 v[2:3], 0
	v_mov_b64_e32 v[4:5], 0
	s_and_saveexec_b32 s41, s4
	s_cbranch_execnz .LBB360_29
; %bb.21:                               ;   in Loop: Header=BB360_4 Depth=1
	s_or_b32 exec_lo, exec_lo, s41
	s_and_saveexec_b32 s41, s5
	s_cbranch_execnz .LBB360_32
.LBB360_22:                             ;   in Loop: Header=BB360_4 Depth=1
	s_or_b32 exec_lo, exec_lo, s41
	s_and_saveexec_b32 s41, s1
.LBB360_23:                             ;   in Loop: Header=BB360_4 Depth=1
	v_dual_mov_b32 v6, v11 :: v_dual_mov_b32 v7, v11
	v_dual_mov_b32 v8, v11 :: v_dual_mov_b32 v9, v11
	ds_store_b128 v1, v[6:9]
.LBB360_24:                             ;   in Loop: Header=BB360_4 Depth=1
	s_or_b32 exec_lo, exec_lo, s41
	v_lshl_or_b32 v9, v23, 2, 64
	v_cmp_gt_u32_e32 vcc_lo, 24, v23
	s_wait_dscnt 0x0
	s_barrier_signal -1
	s_barrier_wait -1
	ds_bpermute_b32 v6, v9, v4
	ds_bpermute_b32 v7, v9, v5
	;; [unrolled: 1-line block ×4, first 2 shown]
	s_wait_dscnt 0x0
	v_add_f64_e32 v[4:5], v[4:5], v[6:7]
	v_cndmask_b32_e64 v6, 0, 8, vcc_lo
	v_add_f64_e32 v[2:3], v[2:3], v[8:9]
	v_cmp_gt_u32_e32 vcc_lo, 28, v23
	s_delay_alu instid0(VALU_DEP_3)
	v_add_lshl_u32 v9, v6, v23, 2
	ds_bpermute_b32 v6, v9, v4
	ds_bpermute_b32 v7, v9, v5
	;; [unrolled: 1-line block ×4, first 2 shown]
	s_wait_dscnt 0x2
	v_add_f64_e32 v[4:5], v[4:5], v[6:7]
	v_cndmask_b32_e64 v6, 0, 4, vcc_lo
	s_wait_dscnt 0x0
	v_add_f64_e32 v[2:3], v[2:3], v[8:9]
	v_cmp_gt_u32_e32 vcc_lo, 30, v23
	s_delay_alu instid0(VALU_DEP_3)
	v_add_lshl_u32 v18, v6, v23, 2
	ds_bpermute_b32 v6, v18, v4
	ds_bpermute_b32 v7, v18, v5
	;; [unrolled: 1-line block ×4, first 2 shown]
	s_wait_dscnt 0x2
	v_add_f64_e32 v[4:5], v[4:5], v[6:7]
	s_wait_dscnt 0x0
	v_add_f64_e32 v[6:7], v[2:3], v[8:9]
	v_cndmask_b32_e64 v2, 0, 2, vcc_lo
	v_cmp_ne_u32_e32 vcc_lo, 31, v23
	s_delay_alu instid0(VALU_DEP_2)
	v_add_lshl_u32 v19, v2, v23, 2
	ds_bpermute_b32 v2, v19, v4
	ds_bpermute_b32 v3, v19, v5
	ds_bpermute_b32 v8, v19, v6
	ds_bpermute_b32 v9, v19, v7
	s_wait_dscnt 0x2
	v_add_f64_e32 v[2:3], v[4:5], v[2:3]
	s_wait_dscnt 0x0
	v_add_f64_e32 v[4:5], v[6:7], v[8:9]
	v_add_co_ci_u32_e64 v6, null, 0, v23, vcc_lo
	s_delay_alu instid0(VALU_DEP_1)
	v_lshlrev_b32_e32 v24, 2, v6
	ds_bpermute_b32 v6, v24, v2
	ds_bpermute_b32 v7, v24, v3
	;; [unrolled: 1-line block ×4, first 2 shown]
	s_and_saveexec_b32 s41, s3
	s_cbranch_execz .LBB360_26
; %bb.25:                               ;   in Loop: Header=BB360_4 Depth=1
	s_wait_dscnt 0x0
	v_add_f64_e32 v[4:5], v[4:5], v[8:9]
	v_add_f64_e32 v[2:3], v[2:3], v[6:7]
	ds_store_b128 v21, v[2:5]
.LBB360_26:                             ;   in Loop: Header=BB360_4 Depth=1
	s_or_b32 exec_lo, exec_lo, s41
	s_wait_dscnt 0x0
	v_mov_b64_e32 v[8:9], 0
	v_mov_b64_e32 v[6:7], 0
	s_barrier_signal -1
	s_barrier_wait -1
	s_and_saveexec_b32 s41, s2
	s_cbranch_execnz .LBB360_33
; %bb.27:                               ;   in Loop: Header=BB360_4 Depth=1
	s_or_b32 exec_lo, exec_lo, s41
	s_and_saveexec_b32 s41, s1
	s_cbranch_execnz .LBB360_34
.LBB360_28:                             ;   in Loop: Header=BB360_4 Depth=1
	s_or_b32 exec_lo, exec_lo, s41
                                        ; implicit-def: $vgpr4_vgpr5
	s_and_saveexec_b32 s41, s0
	s_cbranch_execnz .LBB360_35
	s_branch .LBB360_38
.LBB360_29:                             ;   in Loop: Header=BB360_4 Depth=1
	v_add_nc_u64_e32 v[18:19], v[6:7], v[14:15]
	v_mov_b64_e32 v[2:3], 0
	v_mov_b64_e32 v[4:5], 0
	v_dual_mov_b32 v24, v22 :: v_dual_mov_b32 v25, v0
	s_mov_b32 s42, 0
.LBB360_30:                             ;   Parent Loop BB360_4 Depth=1
                                        ; =>  This Inner Loop Header: Depth=2
	v_readfirstlane_b32 s44, v8
	v_readfirstlane_b32 s45, v9
	s_delay_alu instid0(VALU_DEP_3)
	v_add_nc_u32_e32 v25, 0x100, v25
	flat_load_b128 v[26:29], v[18:19] offset:-8
	flat_load_b128 v[30:33], v24, s[44:45] scale_offset
	s_wait_xcnt 0x1
	v_add_nc_u64_e32 v[18:19], 0x1000, v[18:19]
	v_cmp_le_i32_e32 vcc_lo, s28, v25
	s_wait_xcnt 0x0
	v_add_nc_u32_e32 v24, s39, v24
	s_or_b32 s42, vcc_lo, s42
	s_wait_loadcnt_dscnt 0x0
	v_mul_f64_e32 v[34:35], v[28:29], v[32:33]
	v_mul_f64_e32 v[32:33], v[26:27], v[32:33]
	s_delay_alu instid0(VALU_DEP_2) | instskip(NEXT) | instid1(VALU_DEP_2)
	v_fma_f64 v[26:27], v[26:27], v[30:31], -v[34:35]
	v_fmac_f64_e32 v[32:33], v[28:29], v[30:31]
	s_delay_alu instid0(VALU_DEP_2) | instskip(NEXT) | instid1(VALU_DEP_2)
	v_add_f64_e32 v[4:5], v[4:5], v[26:27]
	v_add_f64_e32 v[2:3], v[2:3], v[32:33]
	s_and_not1_b32 exec_lo, exec_lo, s42
	s_cbranch_execnz .LBB360_30
; %bb.31:                               ;   in Loop: Header=BB360_4 Depth=1
	s_or_b32 exec_lo, exec_lo, s42
	s_delay_alu instid0(SALU_CYCLE_1)
	s_or_b32 exec_lo, exec_lo, s41
	s_and_saveexec_b32 s41, s5
	s_cbranch_execz .LBB360_22
.LBB360_32:                             ;   in Loop: Header=BB360_4 Depth=1
	v_add_nc_u64_e32 v[6:7], v[6:7], v[10:11]
	v_lshl_add_u64 v[18:19], v[12:13], 4, v[8:9]
	s_delay_alu instid0(VALU_DEP_2) | instskip(NEXT) | instid1(VALU_DEP_1)
	v_lshl_add_u64 v[6:7], s[30:31], 4, v[6:7]
	v_lshl_add_u64 v[28:29], s[28:29], 4, v[6:7]
	flat_load_b128 v[6:9], v[18:19]
	flat_load_b128 v[24:27], v[28:29]
	s_wait_loadcnt_dscnt 0x0
	s_wait_xcnt 0x1
	v_mul_f64_e32 v[18:19], v[26:27], v[8:9]
	v_mul_f64_e32 v[8:9], v[24:25], v[8:9]
	s_delay_alu instid0(VALU_DEP_2) | instskip(NEXT) | instid1(VALU_DEP_2)
	v_fma_f64 v[18:19], v[24:25], v[6:7], -v[18:19]
	v_fmac_f64_e32 v[8:9], v[26:27], v[6:7]
	s_delay_alu instid0(VALU_DEP_2) | instskip(NEXT) | instid1(VALU_DEP_2)
	v_add_f64_e32 v[4:5], v[4:5], v[18:19]
	v_add_f64_e32 v[2:3], v[2:3], v[8:9]
	s_wait_xcnt 0x0
	s_or_b32 exec_lo, exec_lo, s41
	s_and_saveexec_b32 s41, s1
	s_cbranch_execnz .LBB360_23
	s_branch .LBB360_24
.LBB360_33:                             ;   in Loop: Header=BB360_4 Depth=1
	ds_load_b128 v[6:9], v1
	s_or_b32 exec_lo, exec_lo, s41
	s_and_saveexec_b32 s41, s1
	s_cbranch_execz .LBB360_28
.LBB360_34:                             ;   in Loop: Header=BB360_4 Depth=1
	s_wait_dscnt 0x0
	ds_bpermute_b32 v2, v18, v6
	ds_bpermute_b32 v3, v18, v7
	ds_bpermute_b32 v4, v18, v8
	ds_bpermute_b32 v5, v18, v9
	s_wait_dscnt 0x2
	v_add_f64_e32 v[2:3], v[6:7], v[2:3]
	s_wait_dscnt 0x0
	v_add_f64_e32 v[4:5], v[8:9], v[4:5]
	ds_bpermute_b32 v6, v19, v2
	ds_bpermute_b32 v7, v19, v3
	ds_bpermute_b32 v8, v19, v4
	ds_bpermute_b32 v9, v19, v5
	s_wait_dscnt 0x2
	v_add_f64_e32 v[2:3], v[2:3], v[6:7]
	s_wait_dscnt 0x0
	v_add_f64_e32 v[4:5], v[4:5], v[8:9]
	;; [unrolled: 8-line block ×3, first 2 shown]
	s_or_b32 exec_lo, exec_lo, s41
                                        ; implicit-def: $vgpr4_vgpr5
	s_and_saveexec_b32 s41, s0
	s_cbranch_execz .LBB360_38
.LBB360_35:                             ;   in Loop: Header=BB360_4 Depth=1
	s_wait_dscnt 0x0
	s_delay_alu instid0(VALU_DEP_1) | instskip(SKIP_2) | instid1(VALU_DEP_2)
	v_mul_f64_e32 v[2:3], s[10:11], v[8:9]
	v_mul_f64_e32 v[4:5], s[8:9], v[8:9]
	s_and_not1_b32 vcc_lo, exec_lo, s37
	v_fma_f64 v[2:3], s[8:9], v[6:7], -v[2:3]
	s_delay_alu instid0(VALU_DEP_2)
	v_fmac_f64_e32 v[4:5], s[10:11], v[6:7]
	s_cbranch_vccnz .LBB360_37
; %bb.36:                               ;   in Loop: Header=BB360_4 Depth=1
	v_add_nc_u64_e32 v[6:7], s[34:35], v[16:17]
	flat_load_b128 v[6:9], v[6:7]
	s_wait_loadcnt_dscnt 0x0
	v_mul_f64_e32 v[18:19], s[14:15], v[8:9]
	v_mul_f64_e32 v[8:9], s[12:13], v[8:9]
	s_delay_alu instid0(VALU_DEP_2) | instskip(NEXT) | instid1(VALU_DEP_2)
	v_fma_f64 v[18:19], s[12:13], v[6:7], -v[18:19]
	v_fmac_f64_e32 v[8:9], s[14:15], v[6:7]
	s_delay_alu instid0(VALU_DEP_2) | instskip(NEXT) | instid1(VALU_DEP_2)
	v_add_f64_e32 v[2:3], v[2:3], v[18:19]
	v_add_f64_e32 v[4:5], v[4:5], v[8:9]
.LBB360_37:                             ;   in Loop: Header=BB360_4 Depth=1
	s_or_b32 s40, s40, exec_lo
.LBB360_38:                             ;   in Loop: Header=BB360_4 Depth=1
	s_wait_xcnt 0x0
	s_or_b32 exec_lo, exec_lo, s41
.LBB360_39:                             ;   in Loop: Header=BB360_4 Depth=1
	s_and_saveexec_b32 s41, s40
	s_cbranch_execz .LBB360_2
; %bb.40:                               ;   in Loop: Header=BB360_4 Depth=1
	s_wait_dscnt 0x0
	v_add_nc_u64_e32 v[6:7], s[34:35], v[16:17]
	flat_store_b128 v[6:7], v[2:5]
	s_branch .LBB360_2
.LBB360_41:
	s_endpgm
	.section	.rodata,"a",@progbits
	.p2align	6, 0x0
	.amdhsa_kernel _ZL32rocblas_gemvt_warp_reduce_kernelILb0ELi256EiPK19rocblas_complex_numIdES1_KPS1_EviiT3_lPKT2_lT1_lS9_lSA_lS6_lPT4_lSA_li
		.amdhsa_group_segment_fixed_size 512
		.amdhsa_private_segment_fixed_size 0
		.amdhsa_kernarg_size 156
		.amdhsa_user_sgpr_count 2
		.amdhsa_user_sgpr_dispatch_ptr 0
		.amdhsa_user_sgpr_queue_ptr 0
		.amdhsa_user_sgpr_kernarg_segment_ptr 1
		.amdhsa_user_sgpr_dispatch_id 0
		.amdhsa_user_sgpr_kernarg_preload_length 0
		.amdhsa_user_sgpr_kernarg_preload_offset 0
		.amdhsa_user_sgpr_private_segment_size 0
		.amdhsa_wavefront_size32 1
		.amdhsa_uses_dynamic_stack 0
		.amdhsa_enable_private_segment 0
		.amdhsa_system_sgpr_workgroup_id_x 1
		.amdhsa_system_sgpr_workgroup_id_y 0
		.amdhsa_system_sgpr_workgroup_id_z 1
		.amdhsa_system_sgpr_workgroup_info 0
		.amdhsa_system_vgpr_workitem_id 0
		.amdhsa_next_free_vgpr 36
		.amdhsa_next_free_sgpr 46
		.amdhsa_named_barrier_count 0
		.amdhsa_reserve_vcc 1
		.amdhsa_float_round_mode_32 0
		.amdhsa_float_round_mode_16_64 0
		.amdhsa_float_denorm_mode_32 3
		.amdhsa_float_denorm_mode_16_64 3
		.amdhsa_fp16_overflow 0
		.amdhsa_memory_ordered 1
		.amdhsa_forward_progress 1
		.amdhsa_inst_pref_size 15
		.amdhsa_round_robin_scheduling 0
		.amdhsa_exception_fp_ieee_invalid_op 0
		.amdhsa_exception_fp_denorm_src 0
		.amdhsa_exception_fp_ieee_div_zero 0
		.amdhsa_exception_fp_ieee_overflow 0
		.amdhsa_exception_fp_ieee_underflow 0
		.amdhsa_exception_fp_ieee_inexact 0
		.amdhsa_exception_int_div_zero 0
	.end_amdhsa_kernel
	.section	.text._ZL32rocblas_gemvt_warp_reduce_kernelILb0ELi256EiPK19rocblas_complex_numIdES1_KPS1_EviiT3_lPKT2_lT1_lS9_lSA_lS6_lPT4_lSA_li,"axG",@progbits,_ZL32rocblas_gemvt_warp_reduce_kernelILb0ELi256EiPK19rocblas_complex_numIdES1_KPS1_EviiT3_lPKT2_lT1_lS9_lSA_lS6_lPT4_lSA_li,comdat
.Lfunc_end360:
	.size	_ZL32rocblas_gemvt_warp_reduce_kernelILb0ELi256EiPK19rocblas_complex_numIdES1_KPS1_EviiT3_lPKT2_lT1_lS9_lSA_lS6_lPT4_lSA_li, .Lfunc_end360-_ZL32rocblas_gemvt_warp_reduce_kernelILb0ELi256EiPK19rocblas_complex_numIdES1_KPS1_EviiT3_lPKT2_lT1_lS9_lSA_lS6_lPT4_lSA_li
                                        ; -- End function
	.set _ZL32rocblas_gemvt_warp_reduce_kernelILb0ELi256EiPK19rocblas_complex_numIdES1_KPS1_EviiT3_lPKT2_lT1_lS9_lSA_lS6_lPT4_lSA_li.num_vgpr, 36
	.set _ZL32rocblas_gemvt_warp_reduce_kernelILb0ELi256EiPK19rocblas_complex_numIdES1_KPS1_EviiT3_lPKT2_lT1_lS9_lSA_lS6_lPT4_lSA_li.num_agpr, 0
	.set _ZL32rocblas_gemvt_warp_reduce_kernelILb0ELi256EiPK19rocblas_complex_numIdES1_KPS1_EviiT3_lPKT2_lT1_lS9_lSA_lS6_lPT4_lSA_li.numbered_sgpr, 46
	.set _ZL32rocblas_gemvt_warp_reduce_kernelILb0ELi256EiPK19rocblas_complex_numIdES1_KPS1_EviiT3_lPKT2_lT1_lS9_lSA_lS6_lPT4_lSA_li.num_named_barrier, 0
	.set _ZL32rocblas_gemvt_warp_reduce_kernelILb0ELi256EiPK19rocblas_complex_numIdES1_KPS1_EviiT3_lPKT2_lT1_lS9_lSA_lS6_lPT4_lSA_li.private_seg_size, 0
	.set _ZL32rocblas_gemvt_warp_reduce_kernelILb0ELi256EiPK19rocblas_complex_numIdES1_KPS1_EviiT3_lPKT2_lT1_lS9_lSA_lS6_lPT4_lSA_li.uses_vcc, 1
	.set _ZL32rocblas_gemvt_warp_reduce_kernelILb0ELi256EiPK19rocblas_complex_numIdES1_KPS1_EviiT3_lPKT2_lT1_lS9_lSA_lS6_lPT4_lSA_li.uses_flat_scratch, 0
	.set _ZL32rocblas_gemvt_warp_reduce_kernelILb0ELi256EiPK19rocblas_complex_numIdES1_KPS1_EviiT3_lPKT2_lT1_lS9_lSA_lS6_lPT4_lSA_li.has_dyn_sized_stack, 0
	.set _ZL32rocblas_gemvt_warp_reduce_kernelILb0ELi256EiPK19rocblas_complex_numIdES1_KPS1_EviiT3_lPKT2_lT1_lS9_lSA_lS6_lPT4_lSA_li.has_recursion, 0
	.set _ZL32rocblas_gemvt_warp_reduce_kernelILb0ELi256EiPK19rocblas_complex_numIdES1_KPS1_EviiT3_lPKT2_lT1_lS9_lSA_lS6_lPT4_lSA_li.has_indirect_call, 0
	.section	.AMDGPU.csdata,"",@progbits
; Kernel info:
; codeLenInByte = 1908
; TotalNumSgprs: 48
; NumVgprs: 36
; ScratchSize: 0
; MemoryBound: 0
; FloatMode: 240
; IeeeMode: 1
; LDSByteSize: 512 bytes/workgroup (compile time only)
; SGPRBlocks: 0
; VGPRBlocks: 2
; NumSGPRsForWavesPerEU: 48
; NumVGPRsForWavesPerEU: 36
; NamedBarCnt: 0
; Occupancy: 16
; WaveLimiterHint : 1
; COMPUTE_PGM_RSRC2:SCRATCH_EN: 0
; COMPUTE_PGM_RSRC2:USER_SGPR: 2
; COMPUTE_PGM_RSRC2:TRAP_HANDLER: 0
; COMPUTE_PGM_RSRC2:TGID_X_EN: 1
; COMPUTE_PGM_RSRC2:TGID_Y_EN: 0
; COMPUTE_PGM_RSRC2:TGID_Z_EN: 1
; COMPUTE_PGM_RSRC2:TIDIG_COMP_CNT: 0
	.section	.text._ZL32rocblas_gemvt_warp_reduce_kernelILb0ELi256ElPK19rocblas_complex_numIdES1_KPS1_EviiT3_lPKT2_lT1_lS9_lSA_lS6_lPT4_lSA_li,"axG",@progbits,_ZL32rocblas_gemvt_warp_reduce_kernelILb0ELi256ElPK19rocblas_complex_numIdES1_KPS1_EviiT3_lPKT2_lT1_lS9_lSA_lS6_lPT4_lSA_li,comdat
	.globl	_ZL32rocblas_gemvt_warp_reduce_kernelILb0ELi256ElPK19rocblas_complex_numIdES1_KPS1_EviiT3_lPKT2_lT1_lS9_lSA_lS6_lPT4_lSA_li ; -- Begin function _ZL32rocblas_gemvt_warp_reduce_kernelILb0ELi256ElPK19rocblas_complex_numIdES1_KPS1_EviiT3_lPKT2_lT1_lS9_lSA_lS6_lPT4_lSA_li
	.p2align	8
	.type	_ZL32rocblas_gemvt_warp_reduce_kernelILb0ELi256ElPK19rocblas_complex_numIdES1_KPS1_EviiT3_lPKT2_lT1_lS9_lSA_lS6_lPT4_lSA_li,@function
_ZL32rocblas_gemvt_warp_reduce_kernelILb0ELi256ElPK19rocblas_complex_numIdES1_KPS1_EviiT3_lPKT2_lT1_lS9_lSA_lS6_lPT4_lSA_li: ; @_ZL32rocblas_gemvt_warp_reduce_kernelILb0ELi256ElPK19rocblas_complex_numIdES1_KPS1_EviiT3_lPKT2_lT1_lS9_lSA_lS6_lPT4_lSA_li
; %bb.0:
	s_load_b32 s33, s[0:1], 0x98
	s_bfe_u32 s2, ttmp6, 0x40014
	s_lshr_b32 s3, ttmp7, 16
	s_add_co_i32 s2, s2, 1
	s_bfe_u32 s5, ttmp6, 0x40008
	s_mul_i32 s4, s3, s2
	s_getreg_b32 s2, hwreg(HW_REG_IB_STS2, 6, 4)
	s_add_co_i32 s5, s5, s4
	s_cmp_eq_u32 s2, 0
	s_mov_b32 s7, 0
	s_cselect_b32 s6, s3, s5
	s_wait_kmcnt 0x0
	s_cmp_ge_u32 s6, s33
	s_cbranch_scc1 .LBB361_41
; %bb.1:
	s_clause 0x3
	s_load_b128 s[8:11], s[0:1], 0x8
	s_load_b128 s[12:15], s[0:1], 0x60
	s_load_b32 s29, s[0:1], 0x0
	s_load_b64 s[34:35], s[0:1], 0x50
	s_bfe_u32 s18, ttmp6, 0x4000c
	s_and_b32 s19, ttmp6, 15
	s_add_co_i32 s18, s18, 1
	v_mbcnt_lo_u32_b32 v26, -1, 0
	s_mul_i32 s18, ttmp9, s18
	s_load_b64 s[30:31], s[0:1], 0x30
	s_add_co_i32 s20, s19, s18
	s_wait_kmcnt 0x0
	v_cmp_neq_f64_e64 s3, s[8:9], 0
	v_cmp_neq_f64_e64 s17, s[10:11], 0
	v_cmp_neq_f64_e64 s4, s[12:13], 1.0
	v_cmp_neq_f64_e64 s5, s[14:15], 0
	v_cmp_neq_f64_e64 s16, s[12:13], 0
	v_cmp_gt_i32_e32 vcc_lo, s29, v0
	v_cndmask_b32_e32 v6, 0, v0, vcc_lo
	s_or_b32 s3, s3, s17
	s_or_b32 s38, s4, s5
	;; [unrolled: 1-line block ×3, first 2 shown]
	s_xor_b32 s40, s3, -1
	s_cmp_eq_u32 s2, 0
	v_cndmask_b32_e64 v24, 0, 1, s3
	s_cselect_b32 s2, ttmp9, s20
	s_ashr_i32 s3, s29, 31
	s_load_b128 s[16:19], s[0:1], 0x40
	s_lshr_b32 s3, s3, 24
	s_load_b64 s[4:5], s[0:1], 0x88
	s_add_co_i32 s3, s29, s3
	s_clause 0x1
	s_load_b128 s[20:23], s[0:1], 0x20
	s_load_b128 s[24:27], s[0:1], 0x78
	s_and_b32 s28, s3, 0xffffff00
	s_delay_alu instid0(SALU_CYCLE_1)
	v_dual_mov_b32 v11, 0 :: v_dual_bitop2_b32 v4, s28, v0 bitop3:0x54
	s_ashr_i32 s3, s2, 31
	s_wait_xcnt 0x0
	v_cmp_eq_u32_e64 s0, 0, v0
	v_cmp_gt_i32_e64 s1, s28, v0
	v_dual_mov_b32 v1, v11 :: v_dual_ashrrev_i32 v5, 31, v4
	s_mul_u64 s[30:31], s[30:31], s[2:3]
	s_delay_alu instid0(VALU_DEP_1) | instskip(NEXT) | instid1(VALU_DEP_2)
	v_mul_u64_e32 v[2:3], s[34:35], v[0:1]
	v_mul_u64_e32 v[12:13], s[34:35], v[4:5]
	v_lshrrev_b32_e32 v5, 1, v0
	s_lshl_b64 s[34:35], s[34:35], 12
	s_wait_kmcnt 0x0
	s_lshl_b64 s[18:19], s[18:19], 4
	s_mul_u64 s[36:37], s[4:5], s[2:3]
	v_cmp_gt_i32_e64 s2, s29, v4
	v_dual_lshlrev_b32 v10, 4, v6 :: v_dual_bitop2_b32 v4, 31, v0 bitop3:0x40
	v_cmp_gt_u32_e64 s3, 32, v0
	v_and_b32_e32 v25, 0x70, v5
	v_cmp_gt_u32_e64 s5, 8, v0
	s_delay_alu instid0(VALU_DEP_4)
	v_cmp_eq_u32_e64 s4, 0, v4
	v_lshl_add_u64 v[16:17], s[30:31], 4, v[10:11]
	v_lshlrev_b32_e32 v10, 4, v6
	s_ashr_i32 s29, s28, 31
	s_lshl_b64 s[22:23], s[22:23], 4
	s_lshl_b64 s[26:27], s[26:27], 4
	v_or_b32_e32 v16, 8, v16
	s_lshl_b64 s[36:37], s[36:37], 4
	v_lshlrev_b64_e32 v[14:15], 4, v[2:3]
	s_delay_alu instid0(VALU_DEP_1)
	v_dual_lshlrev_b32 v1, 4, v4 :: v_dual_bitop2_b32 v14, 8, v14 bitop3:0x54
	s_branch .LBB361_4
.LBB361_2:                              ;   in Loop: Header=BB361_4 Depth=1
	s_wait_xcnt 0x0
	s_or_b32 exec_lo, exec_lo, s42
.LBB361_3:                              ;   in Loop: Header=BB361_4 Depth=1
	s_add_co_i32 s6, s6, 0x10000
	s_delay_alu instid0(SALU_CYCLE_1)
	s_cmp_lt_u32 s6, s33
	s_cbranch_scc0 .LBB361_41
.LBB361_4:                              ; =>This Loop Header: Depth=1
                                        ;     Child Loop BB361_30 Depth 2
	s_and_not1_b32 vcc_lo, exec_lo, s40
	s_cbranch_vccnz .LBB361_7
; %bb.5:                                ;   in Loop: Header=BB361_4 Depth=1
	s_wait_xcnt 0x0
	s_mov_b32 s42, 0
	s_and_b32 vcc_lo, exec_lo, s38
	s_mov_b32 s41, 0
	s_cbranch_vccz .LBB361_8
; %bb.6:                                ;   in Loop: Header=BB361_4 Depth=1
	s_mov_b32 s41, -1
	s_branch .LBB361_8
.LBB361_7:                              ;   in Loop: Header=BB361_4 Depth=1
	s_mov_b32 s41, 0
	s_wait_xcnt 0x0
	s_mov_b32 s42, -1
.LBB361_8:                              ;   in Loop: Header=BB361_4 Depth=1
	s_wait_dscnt 0x0
	v_mov_b64_e32 v[6:7], 0
	s_and_b32 vcc_lo, exec_lo, s42
	s_cbranch_vccnz .LBB361_10
; %bb.9:                                ;   in Loop: Header=BB361_4 Depth=1
	s_and_not1_b32 vcc_lo, exec_lo, s41
	s_cbranch_vccnz .LBB361_3
	s_branch .LBB361_11
.LBB361_10:                             ;   in Loop: Header=BB361_4 Depth=1
	s_lshl_b64 s[42:43], s[6:7], 3
	s_delay_alu instid0(SALU_CYCLE_1)
	s_add_nc_u64 s[42:43], s[20:21], s[42:43]
	global_load_b64 v[2:3], v11, s[42:43]
	s_wait_loadcnt 0x0
	v_add_nc_u64_e32 v[6:7], s[22:23], v[2:3]
.LBB361_11:                             ;   in Loop: Header=BB361_4 Depth=1
	v_cmp_ne_u32_e32 vcc_lo, 1, v24
	v_mov_b64_e32 v[8:9], 0
	s_cbranch_vccnz .LBB361_13
; %bb.12:                               ;   in Loop: Header=BB361_4 Depth=1
	s_wait_xcnt 0x0
	s_lshl_b64 s[42:43], s[6:7], 3
	s_delay_alu instid0(SALU_CYCLE_1)
	s_add_nc_u64 s[42:43], s[16:17], s[42:43]
	global_load_b64 v[2:3], v11, s[42:43]
	s_wait_loadcnt 0x0
	v_add_nc_u64_e32 v[8:9], s[18:19], v[2:3]
.LBB361_13:                             ;   in Loop: Header=BB361_4 Depth=1
	s_wait_xcnt 0x0
	s_lshl_b64 s[42:43], s[6:7], 3
	s_and_not1_b32 vcc_lo, exec_lo, s40
	s_add_nc_u64 s[42:43], s[24:25], s[42:43]
	global_load_b64 v[2:3], v11, s[42:43]
	s_wait_loadcnt 0x0
	v_add_nc_u64_e32 v[18:19], s[26:27], v[2:3]
	s_cbranch_vccnz .LBB361_18
; %bb.14:                               ;   in Loop: Header=BB361_4 Depth=1
	s_wait_xcnt 0x0
	s_mov_b32 s42, 0
	s_mov_b32 s41, 0
                                        ; implicit-def: $vgpr4_vgpr5
	s_and_saveexec_b32 s43, s0
	s_cbranch_execz .LBB361_19
; %bb.15:                               ;   in Loop: Header=BB361_4 Depth=1
	v_mov_b64_e32 v[4:5], 0
	v_mov_b64_e32 v[2:3], 0
	s_and_not1_b32 vcc_lo, exec_lo, s39
	s_cbranch_vccnz .LBB361_17
; %bb.16:                               ;   in Loop: Header=BB361_4 Depth=1
	v_add_nc_u64_e32 v[2:3], s[36:37], v[18:19]
	flat_load_b128 v[20:23], v[2:3]
	s_wait_loadcnt_dscnt 0x0
	s_wait_xcnt 0x0
	v_mul_f64_e32 v[2:3], s[14:15], v[22:23]
	v_mul_f64_e32 v[4:5], s[12:13], v[22:23]
	s_delay_alu instid0(VALU_DEP_2) | instskip(NEXT) | instid1(VALU_DEP_2)
	v_fma_f64 v[2:3], s[12:13], v[20:21], -v[2:3]
	v_fmac_f64_e32 v[4:5], s[14:15], v[20:21]
.LBB361_17:                             ;   in Loop: Header=BB361_4 Depth=1
	s_mov_b32 s41, exec_lo
	s_or_b32 exec_lo, exec_lo, s43
	s_delay_alu instid0(SALU_CYCLE_1)
	s_and_b32 vcc_lo, exec_lo, s42
	s_cbranch_vccnz .LBB361_20
	s_branch .LBB361_39
.LBB361_18:                             ;   in Loop: Header=BB361_4 Depth=1
	s_wait_xcnt 0x0
	s_mov_b32 s41, 0
                                        ; implicit-def: $vgpr4_vgpr5
	s_cbranch_execnz .LBB361_20
	s_branch .LBB361_39
.LBB361_19:                             ;   in Loop: Header=BB361_4 Depth=1
	s_or_b32 exec_lo, exec_lo, s43
	s_delay_alu instid0(SALU_CYCLE_1)
	s_and_b32 vcc_lo, exec_lo, s42
	s_cbranch_vccz .LBB361_39
.LBB361_20:                             ;   in Loop: Header=BB361_4 Depth=1
	v_mov_b64_e32 v[2:3], 0
	v_mov_b64_e32 v[4:5], 0
	s_and_saveexec_b32 s42, s1
	s_cbranch_execnz .LBB361_29
; %bb.21:                               ;   in Loop: Header=BB361_4 Depth=1
	s_or_b32 exec_lo, exec_lo, s42
	s_and_saveexec_b32 s42, s2
	s_cbranch_execnz .LBB361_32
.LBB361_22:                             ;   in Loop: Header=BB361_4 Depth=1
	s_or_b32 exec_lo, exec_lo, s42
	s_and_saveexec_b32 s42, s3
.LBB361_23:                             ;   in Loop: Header=BB361_4 Depth=1
	v_dual_mov_b32 v6, v11 :: v_dual_mov_b32 v7, v11
	v_dual_mov_b32 v8, v11 :: v_dual_mov_b32 v9, v11
	ds_store_b128 v1, v[6:9]
.LBB361_24:                             ;   in Loop: Header=BB361_4 Depth=1
	s_or_b32 exec_lo, exec_lo, s42
	v_lshl_or_b32 v9, v26, 2, 64
	v_cmp_gt_u32_e32 vcc_lo, 24, v26
	s_wait_dscnt 0x0
	s_barrier_signal -1
	s_barrier_wait -1
	ds_bpermute_b32 v6, v9, v4
	ds_bpermute_b32 v7, v9, v5
	;; [unrolled: 1-line block ×4, first 2 shown]
	s_wait_dscnt 0x0
	v_add_f64_e32 v[4:5], v[4:5], v[6:7]
	v_cndmask_b32_e64 v6, 0, 8, vcc_lo
	v_add_f64_e32 v[2:3], v[2:3], v[8:9]
	v_cmp_gt_u32_e32 vcc_lo, 28, v26
	s_delay_alu instid0(VALU_DEP_3)
	v_add_lshl_u32 v9, v6, v26, 2
	ds_bpermute_b32 v6, v9, v4
	ds_bpermute_b32 v7, v9, v5
	;; [unrolled: 1-line block ×4, first 2 shown]
	s_wait_dscnt 0x2
	v_add_f64_e32 v[4:5], v[4:5], v[6:7]
	v_cndmask_b32_e64 v6, 0, 4, vcc_lo
	s_wait_dscnt 0x0
	v_add_f64_e32 v[2:3], v[2:3], v[8:9]
	v_cmp_gt_u32_e32 vcc_lo, 30, v26
	s_delay_alu instid0(VALU_DEP_3)
	v_add_lshl_u32 v20, v6, v26, 2
	ds_bpermute_b32 v6, v20, v4
	ds_bpermute_b32 v7, v20, v5
	;; [unrolled: 1-line block ×4, first 2 shown]
	s_wait_dscnt 0x2
	v_add_f64_e32 v[4:5], v[4:5], v[6:7]
	s_wait_dscnt 0x0
	v_add_f64_e32 v[6:7], v[2:3], v[8:9]
	v_cndmask_b32_e64 v2, 0, 2, vcc_lo
	v_cmp_ne_u32_e32 vcc_lo, 31, v26
	s_delay_alu instid0(VALU_DEP_2)
	v_add_lshl_u32 v21, v2, v26, 2
	ds_bpermute_b32 v2, v21, v4
	ds_bpermute_b32 v3, v21, v5
	;; [unrolled: 1-line block ×4, first 2 shown]
	s_wait_dscnt 0x2
	v_add_f64_e32 v[2:3], v[4:5], v[2:3]
	s_wait_dscnt 0x0
	v_add_f64_e32 v[4:5], v[6:7], v[8:9]
	v_add_co_ci_u32_e64 v6, null, 0, v26, vcc_lo
	s_delay_alu instid0(VALU_DEP_1)
	v_lshlrev_b32_e32 v22, 2, v6
	ds_bpermute_b32 v6, v22, v2
	ds_bpermute_b32 v7, v22, v3
	;; [unrolled: 1-line block ×4, first 2 shown]
	s_and_saveexec_b32 s42, s4
	s_cbranch_execz .LBB361_26
; %bb.25:                               ;   in Loop: Header=BB361_4 Depth=1
	s_wait_dscnt 0x0
	v_add_f64_e32 v[4:5], v[4:5], v[8:9]
	v_add_f64_e32 v[2:3], v[2:3], v[6:7]
	ds_store_b128 v25, v[2:5]
.LBB361_26:                             ;   in Loop: Header=BB361_4 Depth=1
	s_or_b32 exec_lo, exec_lo, s42
	s_wait_dscnt 0x0
	v_mov_b64_e32 v[8:9], 0
	v_mov_b64_e32 v[6:7], 0
	s_barrier_signal -1
	s_barrier_wait -1
	s_and_saveexec_b32 s42, s5
	s_cbranch_execnz .LBB361_33
; %bb.27:                               ;   in Loop: Header=BB361_4 Depth=1
	s_or_b32 exec_lo, exec_lo, s42
	s_and_saveexec_b32 s42, s3
	s_cbranch_execnz .LBB361_34
.LBB361_28:                             ;   in Loop: Header=BB361_4 Depth=1
	s_or_b32 exec_lo, exec_lo, s42
                                        ; implicit-def: $vgpr4_vgpr5
	s_and_saveexec_b32 s42, s0
	s_cbranch_execnz .LBB361_35
	s_branch .LBB361_38
.LBB361_29:                             ;   in Loop: Header=BB361_4 Depth=1
	v_add_nc_u64_e32 v[20:21], v[6:7], v[16:17]
	v_add_nc_u64_e32 v[22:23], v[8:9], v[14:15]
	v_mov_b64_e32 v[2:3], 0
	v_mov_b64_e32 v[4:5], 0
	v_mov_b32_e32 v27, v0
	s_mov_b32 s43, 0
.LBB361_30:                             ;   Parent Loop BB361_4 Depth=1
                                        ; =>  This Inner Loop Header: Depth=2
	flat_load_b128 v[28:31], v[20:21] offset:-8
	flat_load_b128 v[32:35], v[22:23] offset:-8
	v_add_nc_u32_e32 v27, 0x100, v27
	s_wait_xcnt 0x1
	v_add_nc_u64_e32 v[20:21], 0x1000, v[20:21]
	s_wait_xcnt 0x0
	v_add_nc_u64_e32 v[22:23], s[34:35], v[22:23]
	v_cmp_le_i32_e32 vcc_lo, s28, v27
	s_or_b32 s43, vcc_lo, s43
	s_wait_loadcnt_dscnt 0x0
	v_mul_f64_e32 v[36:37], v[30:31], v[34:35]
	v_mul_f64_e32 v[34:35], v[28:29], v[34:35]
	s_delay_alu instid0(VALU_DEP_2) | instskip(NEXT) | instid1(VALU_DEP_2)
	v_fma_f64 v[28:29], v[28:29], v[32:33], -v[36:37]
	v_fmac_f64_e32 v[34:35], v[30:31], v[32:33]
	s_delay_alu instid0(VALU_DEP_2) | instskip(NEXT) | instid1(VALU_DEP_2)
	v_add_f64_e32 v[4:5], v[4:5], v[28:29]
	v_add_f64_e32 v[2:3], v[2:3], v[34:35]
	s_and_not1_b32 exec_lo, exec_lo, s43
	s_cbranch_execnz .LBB361_30
; %bb.31:                               ;   in Loop: Header=BB361_4 Depth=1
	s_or_b32 exec_lo, exec_lo, s43
	s_delay_alu instid0(SALU_CYCLE_1)
	s_or_b32 exec_lo, exec_lo, s42
	s_and_saveexec_b32 s42, s2
	s_cbranch_execz .LBB361_22
.LBB361_32:                             ;   in Loop: Header=BB361_4 Depth=1
	v_add_nc_u64_e32 v[6:7], v[6:7], v[10:11]
	v_lshl_add_u64 v[28:29], v[12:13], 4, v[8:9]
	s_delay_alu instid0(VALU_DEP_2) | instskip(NEXT) | instid1(VALU_DEP_1)
	v_lshl_add_u64 v[6:7], s[30:31], 4, v[6:7]
	v_lshl_add_u64 v[30:31], s[28:29], 4, v[6:7]
	flat_load_b128 v[6:9], v[28:29]
	flat_load_b128 v[20:23], v[30:31]
	s_wait_loadcnt_dscnt 0x0
	s_wait_xcnt 0x1
	v_mul_f64_e32 v[28:29], v[22:23], v[8:9]
	v_mul_f64_e32 v[8:9], v[20:21], v[8:9]
	s_delay_alu instid0(VALU_DEP_2) | instskip(NEXT) | instid1(VALU_DEP_2)
	v_fma_f64 v[20:21], v[20:21], v[6:7], -v[28:29]
	v_fmac_f64_e32 v[8:9], v[22:23], v[6:7]
	s_delay_alu instid0(VALU_DEP_2) | instskip(NEXT) | instid1(VALU_DEP_2)
	v_add_f64_e32 v[4:5], v[4:5], v[20:21]
	v_add_f64_e32 v[2:3], v[2:3], v[8:9]
	s_wait_xcnt 0x0
	s_or_b32 exec_lo, exec_lo, s42
	s_and_saveexec_b32 s42, s3
	s_cbranch_execnz .LBB361_23
	s_branch .LBB361_24
.LBB361_33:                             ;   in Loop: Header=BB361_4 Depth=1
	ds_load_b128 v[6:9], v1
	s_or_b32 exec_lo, exec_lo, s42
	s_and_saveexec_b32 s42, s3
	s_cbranch_execz .LBB361_28
.LBB361_34:                             ;   in Loop: Header=BB361_4 Depth=1
	s_wait_dscnt 0x0
	ds_bpermute_b32 v2, v20, v6
	ds_bpermute_b32 v3, v20, v7
	ds_bpermute_b32 v4, v20, v8
	ds_bpermute_b32 v5, v20, v9
	s_wait_dscnt 0x2
	v_add_f64_e32 v[2:3], v[6:7], v[2:3]
	s_wait_dscnt 0x0
	v_add_f64_e32 v[4:5], v[8:9], v[4:5]
	ds_bpermute_b32 v6, v21, v2
	ds_bpermute_b32 v7, v21, v3
	ds_bpermute_b32 v8, v21, v4
	ds_bpermute_b32 v9, v21, v5
	s_wait_dscnt 0x2
	v_add_f64_e32 v[2:3], v[2:3], v[6:7]
	s_wait_dscnt 0x0
	v_add_f64_e32 v[4:5], v[4:5], v[8:9]
	;; [unrolled: 8-line block ×3, first 2 shown]
	s_or_b32 exec_lo, exec_lo, s42
                                        ; implicit-def: $vgpr4_vgpr5
	s_and_saveexec_b32 s42, s0
	s_cbranch_execz .LBB361_38
.LBB361_35:                             ;   in Loop: Header=BB361_4 Depth=1
	s_wait_dscnt 0x0
	s_delay_alu instid0(VALU_DEP_1) | instskip(SKIP_2) | instid1(VALU_DEP_2)
	v_mul_f64_e32 v[2:3], s[10:11], v[8:9]
	v_mul_f64_e32 v[4:5], s[8:9], v[8:9]
	s_and_not1_b32 vcc_lo, exec_lo, s39
	v_fma_f64 v[2:3], s[8:9], v[6:7], -v[2:3]
	s_delay_alu instid0(VALU_DEP_2)
	v_fmac_f64_e32 v[4:5], s[10:11], v[6:7]
	s_cbranch_vccnz .LBB361_37
; %bb.36:                               ;   in Loop: Header=BB361_4 Depth=1
	v_add_nc_u64_e32 v[6:7], s[36:37], v[18:19]
	flat_load_b128 v[6:9], v[6:7]
	s_wait_loadcnt_dscnt 0x0
	v_mul_f64_e32 v[20:21], s[14:15], v[8:9]
	v_mul_f64_e32 v[8:9], s[12:13], v[8:9]
	s_delay_alu instid0(VALU_DEP_2) | instskip(NEXT) | instid1(VALU_DEP_2)
	v_fma_f64 v[20:21], s[12:13], v[6:7], -v[20:21]
	v_fmac_f64_e32 v[8:9], s[14:15], v[6:7]
	s_delay_alu instid0(VALU_DEP_2) | instskip(NEXT) | instid1(VALU_DEP_2)
	v_add_f64_e32 v[2:3], v[2:3], v[20:21]
	v_add_f64_e32 v[4:5], v[4:5], v[8:9]
.LBB361_37:                             ;   in Loop: Header=BB361_4 Depth=1
	s_or_b32 s41, s41, exec_lo
.LBB361_38:                             ;   in Loop: Header=BB361_4 Depth=1
	s_wait_xcnt 0x0
	s_or_b32 exec_lo, exec_lo, s42
.LBB361_39:                             ;   in Loop: Header=BB361_4 Depth=1
	s_and_saveexec_b32 s42, s41
	s_cbranch_execz .LBB361_2
; %bb.40:                               ;   in Loop: Header=BB361_4 Depth=1
	s_wait_dscnt 0x0
	v_add_nc_u64_e32 v[6:7], s[36:37], v[18:19]
	flat_store_b128 v[6:7], v[2:5]
	s_branch .LBB361_2
.LBB361_41:
	s_endpgm
	.section	.rodata,"a",@progbits
	.p2align	6, 0x0
	.amdhsa_kernel _ZL32rocblas_gemvt_warp_reduce_kernelILb0ELi256ElPK19rocblas_complex_numIdES1_KPS1_EviiT3_lPKT2_lT1_lS9_lSA_lS6_lPT4_lSA_li
		.amdhsa_group_segment_fixed_size 512
		.amdhsa_private_segment_fixed_size 0
		.amdhsa_kernarg_size 156
		.amdhsa_user_sgpr_count 2
		.amdhsa_user_sgpr_dispatch_ptr 0
		.amdhsa_user_sgpr_queue_ptr 0
		.amdhsa_user_sgpr_kernarg_segment_ptr 1
		.amdhsa_user_sgpr_dispatch_id 0
		.amdhsa_user_sgpr_kernarg_preload_length 0
		.amdhsa_user_sgpr_kernarg_preload_offset 0
		.amdhsa_user_sgpr_private_segment_size 0
		.amdhsa_wavefront_size32 1
		.amdhsa_uses_dynamic_stack 0
		.amdhsa_enable_private_segment 0
		.amdhsa_system_sgpr_workgroup_id_x 1
		.amdhsa_system_sgpr_workgroup_id_y 0
		.amdhsa_system_sgpr_workgroup_id_z 1
		.amdhsa_system_sgpr_workgroup_info 0
		.amdhsa_system_vgpr_workitem_id 0
		.amdhsa_next_free_vgpr 38
		.amdhsa_next_free_sgpr 44
		.amdhsa_named_barrier_count 0
		.amdhsa_reserve_vcc 1
		.amdhsa_float_round_mode_32 0
		.amdhsa_float_round_mode_16_64 0
		.amdhsa_float_denorm_mode_32 3
		.amdhsa_float_denorm_mode_16_64 3
		.amdhsa_fp16_overflow 0
		.amdhsa_memory_ordered 1
		.amdhsa_forward_progress 1
		.amdhsa_inst_pref_size 16
		.amdhsa_round_robin_scheduling 0
		.amdhsa_exception_fp_ieee_invalid_op 0
		.amdhsa_exception_fp_denorm_src 0
		.amdhsa_exception_fp_ieee_div_zero 0
		.amdhsa_exception_fp_ieee_overflow 0
		.amdhsa_exception_fp_ieee_underflow 0
		.amdhsa_exception_fp_ieee_inexact 0
		.amdhsa_exception_int_div_zero 0
	.end_amdhsa_kernel
	.section	.text._ZL32rocblas_gemvt_warp_reduce_kernelILb0ELi256ElPK19rocblas_complex_numIdES1_KPS1_EviiT3_lPKT2_lT1_lS9_lSA_lS6_lPT4_lSA_li,"axG",@progbits,_ZL32rocblas_gemvt_warp_reduce_kernelILb0ELi256ElPK19rocblas_complex_numIdES1_KPS1_EviiT3_lPKT2_lT1_lS9_lSA_lS6_lPT4_lSA_li,comdat
.Lfunc_end361:
	.size	_ZL32rocblas_gemvt_warp_reduce_kernelILb0ELi256ElPK19rocblas_complex_numIdES1_KPS1_EviiT3_lPKT2_lT1_lS9_lSA_lS6_lPT4_lSA_li, .Lfunc_end361-_ZL32rocblas_gemvt_warp_reduce_kernelILb0ELi256ElPK19rocblas_complex_numIdES1_KPS1_EviiT3_lPKT2_lT1_lS9_lSA_lS6_lPT4_lSA_li
                                        ; -- End function
	.set _ZL32rocblas_gemvt_warp_reduce_kernelILb0ELi256ElPK19rocblas_complex_numIdES1_KPS1_EviiT3_lPKT2_lT1_lS9_lSA_lS6_lPT4_lSA_li.num_vgpr, 38
	.set _ZL32rocblas_gemvt_warp_reduce_kernelILb0ELi256ElPK19rocblas_complex_numIdES1_KPS1_EviiT3_lPKT2_lT1_lS9_lSA_lS6_lPT4_lSA_li.num_agpr, 0
	.set _ZL32rocblas_gemvt_warp_reduce_kernelILb0ELi256ElPK19rocblas_complex_numIdES1_KPS1_EviiT3_lPKT2_lT1_lS9_lSA_lS6_lPT4_lSA_li.numbered_sgpr, 44
	.set _ZL32rocblas_gemvt_warp_reduce_kernelILb0ELi256ElPK19rocblas_complex_numIdES1_KPS1_EviiT3_lPKT2_lT1_lS9_lSA_lS6_lPT4_lSA_li.num_named_barrier, 0
	.set _ZL32rocblas_gemvt_warp_reduce_kernelILb0ELi256ElPK19rocblas_complex_numIdES1_KPS1_EviiT3_lPKT2_lT1_lS9_lSA_lS6_lPT4_lSA_li.private_seg_size, 0
	.set _ZL32rocblas_gemvt_warp_reduce_kernelILb0ELi256ElPK19rocblas_complex_numIdES1_KPS1_EviiT3_lPKT2_lT1_lS9_lSA_lS6_lPT4_lSA_li.uses_vcc, 1
	.set _ZL32rocblas_gemvt_warp_reduce_kernelILb0ELi256ElPK19rocblas_complex_numIdES1_KPS1_EviiT3_lPKT2_lT1_lS9_lSA_lS6_lPT4_lSA_li.uses_flat_scratch, 0
	.set _ZL32rocblas_gemvt_warp_reduce_kernelILb0ELi256ElPK19rocblas_complex_numIdES1_KPS1_EviiT3_lPKT2_lT1_lS9_lSA_lS6_lPT4_lSA_li.has_dyn_sized_stack, 0
	.set _ZL32rocblas_gemvt_warp_reduce_kernelILb0ELi256ElPK19rocblas_complex_numIdES1_KPS1_EviiT3_lPKT2_lT1_lS9_lSA_lS6_lPT4_lSA_li.has_recursion, 0
	.set _ZL32rocblas_gemvt_warp_reduce_kernelILb0ELi256ElPK19rocblas_complex_numIdES1_KPS1_EviiT3_lPKT2_lT1_lS9_lSA_lS6_lPT4_lSA_li.has_indirect_call, 0
	.section	.AMDGPU.csdata,"",@progbits
; Kernel info:
; codeLenInByte = 1928
; TotalNumSgprs: 46
; NumVgprs: 38
; ScratchSize: 0
; MemoryBound: 0
; FloatMode: 240
; IeeeMode: 1
; LDSByteSize: 512 bytes/workgroup (compile time only)
; SGPRBlocks: 0
; VGPRBlocks: 2
; NumSGPRsForWavesPerEU: 46
; NumVGPRsForWavesPerEU: 38
; NamedBarCnt: 0
; Occupancy: 16
; WaveLimiterHint : 1
; COMPUTE_PGM_RSRC2:SCRATCH_EN: 0
; COMPUTE_PGM_RSRC2:USER_SGPR: 2
; COMPUTE_PGM_RSRC2:TRAP_HANDLER: 0
; COMPUTE_PGM_RSRC2:TGID_X_EN: 1
; COMPUTE_PGM_RSRC2:TGID_Y_EN: 0
; COMPUTE_PGM_RSRC2:TGID_Z_EN: 1
; COMPUTE_PGM_RSRC2:TIDIG_COMP_CNT: 0
	.section	.text._ZL20rocblas_gemvt_kernelILb0ELi256EPK19rocblas_complex_numIdES3_KPS1_EviiT2_lPKT1_lilS9_lilS6_lPT3_lili,"axG",@progbits,_ZL20rocblas_gemvt_kernelILb0ELi256EPK19rocblas_complex_numIdES3_KPS1_EviiT2_lPKT1_lilS9_lilS6_lPT3_lili,comdat
	.globl	_ZL20rocblas_gemvt_kernelILb0ELi256EPK19rocblas_complex_numIdES3_KPS1_EviiT2_lPKT1_lilS9_lilS6_lPT3_lili ; -- Begin function _ZL20rocblas_gemvt_kernelILb0ELi256EPK19rocblas_complex_numIdES3_KPS1_EviiT2_lPKT1_lilS9_lilS6_lPT3_lili
	.p2align	8
	.type	_ZL20rocblas_gemvt_kernelILb0ELi256EPK19rocblas_complex_numIdES3_KPS1_EviiT2_lPKT1_lilS9_lilS6_lPT3_lili,@function
_ZL20rocblas_gemvt_kernelILb0ELi256EPK19rocblas_complex_numIdES3_KPS1_EviiT2_lPKT1_lilS9_lilS6_lPT3_lili: ; @_ZL20rocblas_gemvt_kernelILb0ELi256EPK19rocblas_complex_numIdES3_KPS1_EviiT2_lPKT1_lilS9_lilS6_lPT3_lili
; %bb.0:
	s_load_b32 s33, s[0:1], 0x88
	s_bfe_u32 s2, ttmp6, 0x40014
	s_lshr_b32 s3, ttmp7, 16
	s_add_co_i32 s2, s2, 1
	s_bfe_u32 s5, ttmp6, 0x40008
	s_mul_i32 s4, s3, s2
	s_getreg_b32 s2, hwreg(HW_REG_IB_STS2, 6, 4)
	s_add_co_i32 s5, s5, s4
	s_cmp_eq_u32 s2, 0
	s_mov_b32 s11, 0
	s_cselect_b32 s10, s3, s5
	s_wait_kmcnt 0x0
	s_cmp_ge_u32 s10, s33
	s_cbranch_scc1 .LBB362_46
; %bb.1:
	s_clause 0x3
	s_load_b32 s8, s[0:1], 0x28
	s_load_b32 s38, s[0:1], 0x48
	;; [unrolled: 1-line block ×4, first 2 shown]
	s_bfe_u32 s3, ttmp6, 0x4000c
	s_and_b32 s5, ttmp6, 15
	s_add_co_i32 s3, s3, 1
	s_load_b128 s[28:31], s[0:1], 0x38
	s_mul_i32 s3, ttmp9, s3
	s_load_b256 s[12:19], s[0:1], 0x8
	s_add_co_i32 s3, s5, s3
	s_load_b256 s[20:27], s[0:1], 0x58
	s_wait_xcnt 0x0
	v_cmp_eq_u32_e64 s0, 0, v0
	v_cmp_gt_u32_e64 s1, 0x80, v0
	v_cmp_gt_u32_e64 s6, 4, v0
	;; [unrolled: 1-line block ×3, first 2 shown]
	v_lshlrev_b32_e32 v30, 4, v0
	s_wait_kmcnt 0x0
	s_ashr_i32 s9, s8, 31
	s_ashr_i32 s39, s38, 31
	;; [unrolled: 1-line block ×3, first 2 shown]
	s_cmp_eq_u32 s2, 0
	v_cmp_gt_i32_e32 vcc_lo, s35, v0
	s_cselect_b32 s36, ttmp9, s3
	s_ashr_i32 s2, s35, 31
	s_ashr_i32 s37, s36, 31
	s_lshr_b32 s2, s2, 24
	v_cndmask_b32_e32 v6, 0, v0, vcc_lo
	s_add_co_i32 s2, s35, s2
	s_mul_u64 s[40:41], s[4:5], s[36:37]
	s_and_b32 s34, s2, 0xffffff00
	s_delay_alu instid0(SALU_CYCLE_1) | instskip(SKIP_3) | instid1(VALU_DEP_4)
	v_dual_mov_b32 v1, 0 :: v_dual_bitop2_b32 v4, s34, v0 bitop3:0x54
	v_cmp_gt_u32_e64 s2, 64, v0
	v_cmp_gt_u32_e64 s3, 32, v0
	;; [unrolled: 1-line block ×3, first 2 shown]
	v_mul_u64_e32 v[2:3], s[38:39], v[0:1]
	v_ashrrev_i32_e32 v5, 31, v4
	v_cmp_gt_u32_e64 s5, 8, v0
	v_lshlrev_b32_e32 v0, 4, v6
	s_mul_u64 s[36:37], s[8:9], s[36:37]
	v_cmp_gt_i32_e64 s8, s35, v4
	v_mul_u64_e32 v[14:15], s[38:39], v[4:5]
	s_cmp_gt_i32 s35, 0xff
	v_lshl_add_u64 v[18:19], s[36:37], 4, v[0:1]
	s_cselect_b32 s42, -1, 0
	s_ashr_i32 s35, s34, 31
	s_lshl_b64 s[38:39], s[38:39], 12
	s_lshl_b64 s[18:19], s[18:19], 4
	v_or_b32_e32 v18, 8, v18
	s_lshl_b64 s[30:31], s[30:31], 4
	s_lshl_b64 s[26:27], s[26:27], 4
	;; [unrolled: 1-line block ×3, first 2 shown]
	v_lshlrev_b32_e32 v0, 4, v6
	v_lshlrev_b64_e32 v[16:17], 4, v[2:3]
	s_delay_alu instid0(VALU_DEP_1)
	v_or_b32_e32 v16, 8, v16
	s_branch .LBB362_4
.LBB362_2:                              ;   in Loop: Header=BB362_4 Depth=1
	s_wait_xcnt 0x0
	s_or_b32 exec_lo, exec_lo, s9
.LBB362_3:                              ;   in Loop: Header=BB362_4 Depth=1
	s_add_co_i32 s10, s10, 0x10000
	s_delay_alu instid0(SALU_CYCLE_1)
	s_cmp_lt_u32 s10, s33
	s_cbranch_scc0 .LBB362_46
.LBB362_4:                              ; =>This Loop Header: Depth=1
                                        ;     Child Loop BB362_20 Depth 2
	s_wait_xcnt 0x0
	s_mul_u64 s[44:45], s[14:15], s[10:11]
	s_delay_alu instid0(SALU_CYCLE_1) | instskip(NEXT) | instid1(SALU_CYCLE_1)
	s_lshl_b64 s[44:45], s[44:45], 4
	s_add_nc_u64 s[44:45], s[12:13], s[44:45]
	global_load_b128 v[6:9], v1, s[44:45]
	s_wait_xcnt 0x0
	s_mul_u64 s[44:45], s[22:23], s[10:11]
	s_delay_alu instid0(SALU_CYCLE_1) | instskip(NEXT) | instid1(SALU_CYCLE_1)
	s_lshl_b64 s[44:45], s[44:45], 4
	s_add_nc_u64 s[44:45], s[20:21], s[44:45]
	s_wait_loadcnt 0x1
	global_load_b128 v[2:5], v1, s[44:45]
	s_wait_xcnt 0x0
	s_mov_b32 s44, -1
	s_wait_loadcnt 0x1
	v_cmp_neq_f64_e32 vcc_lo, 0, v[6:7]
	v_cmp_neq_f64_e64 s9, 0, v[8:9]
	s_or_b32 s43, vcc_lo, s9
	s_mov_b32 s9, 0
	s_and_b32 vcc_lo, exec_lo, s43
	s_cbranch_vccz .LBB362_7
; %bb.5:                                ;   in Loop: Header=BB362_4 Depth=1
	v_mov_b64_e32 v[22:23], 0
	s_and_not1_b32 vcc_lo, exec_lo, s44
	s_cbranch_vccz .LBB362_8
.LBB362_6:                              ;   in Loop: Header=BB362_4 Depth=1
	s_and_not1_b32 vcc_lo, exec_lo, s9
	s_cbranch_vccnz .LBB362_3
	s_branch .LBB362_9
.LBB362_7:                              ;   in Loop: Header=BB362_4 Depth=1
	s_wait_loadcnt 0x0
	v_cmp_neq_f64_e32 vcc_lo, 1.0, v[2:3]
	v_cmp_neq_f64_e64 s9, 0, v[4:5]
	s_or_b32 s9, vcc_lo, s9
	v_mov_b64_e32 v[22:23], 0
	s_cbranch_execnz .LBB362_6
.LBB362_8:                              ;   in Loop: Header=BB362_4 Depth=1
	s_lshl_b64 s[44:45], s[10:11], 3
	s_delay_alu instid0(SALU_CYCLE_1)
	s_add_nc_u64 s[44:45], s[16:17], s[44:45]
	global_load_b64 v[10:11], v1, s[44:45]
	s_wait_loadcnt 0x0
	v_add_nc_u64_e32 v[22:23], s[18:19], v[10:11]
.LBB362_9:                              ;   in Loop: Header=BB362_4 Depth=1
	v_mov_b64_e32 v[24:25], 0
	s_and_not1_b32 vcc_lo, exec_lo, s43
	s_cbranch_vccnz .LBB362_11
; %bb.10:                               ;   in Loop: Header=BB362_4 Depth=1
	s_wait_xcnt 0x0
	s_lshl_b64 s[44:45], s[10:11], 3
	s_delay_alu instid0(SALU_CYCLE_1)
	s_add_nc_u64 s[44:45], s[28:29], s[44:45]
	global_load_b64 v[10:11], v1, s[44:45]
	s_wait_loadcnt 0x0
	v_add_nc_u64_e32 v[24:25], s[30:31], v[10:11]
.LBB362_11:                             ;   in Loop: Header=BB362_4 Depth=1
	s_wait_xcnt 0x0
	s_lshl_b64 s[44:45], s[10:11], 3
	s_xor_b32 s9, s43, -1
	s_add_nc_u64 s[44:45], s[24:25], s[44:45]
	s_and_not1_b32 vcc_lo, exec_lo, s9
	global_load_b64 v[10:11], v1, s[44:45]
	s_wait_loadcnt 0x0
	v_add_nc_u64_e32 v[20:21], s[26:27], v[10:11]
	s_cbranch_vccnz .LBB362_16
; %bb.12:                               ;   in Loop: Header=BB362_4 Depth=1
	s_wait_xcnt 0x0
	s_mov_b32 s44, 0
	s_mov_b32 s43, 0
                                        ; implicit-def: $vgpr12_vgpr13
	s_and_saveexec_b32 s45, s0
	s_cbranch_execz .LBB362_17
; %bb.13:                               ;   in Loop: Header=BB362_4 Depth=1
	v_cmp_neq_f64_e32 vcc_lo, 0, v[2:3]
	v_cmp_neq_f64_e64 s9, 0, v[4:5]
	v_mov_b64_e32 v[12:13], 0
	v_mov_b64_e32 v[10:11], 0
	s_or_b32 s9, vcc_lo, s9
	s_delay_alu instid0(SALU_CYCLE_1)
	s_and_not1_b32 vcc_lo, exec_lo, s9
	s_cbranch_vccnz .LBB362_15
; %bb.14:                               ;   in Loop: Header=BB362_4 Depth=1
	v_add_nc_u64_e32 v[10:11], s[40:41], v[20:21]
	flat_load_b128 v[26:29], v[10:11]
	s_wait_loadcnt_dscnt 0x0
	s_wait_xcnt 0x0
	v_mul_f64_e32 v[10:11], v[4:5], v[28:29]
	v_mul_f64_e32 v[12:13], v[2:3], v[28:29]
	s_delay_alu instid0(VALU_DEP_2) | instskip(NEXT) | instid1(VALU_DEP_2)
	v_fma_f64 v[10:11], v[2:3], v[26:27], -v[10:11]
	v_fmac_f64_e32 v[12:13], v[4:5], v[26:27]
.LBB362_15:                             ;   in Loop: Header=BB362_4 Depth=1
	s_mov_b32 s43, exec_lo
	s_or_b32 exec_lo, exec_lo, s45
	s_delay_alu instid0(SALU_CYCLE_1)
	s_and_b32 vcc_lo, exec_lo, s44
	s_cbranch_vccnz .LBB362_18
	s_branch .LBB362_44
.LBB362_16:                             ;   in Loop: Header=BB362_4 Depth=1
	s_wait_xcnt 0x0
	s_mov_b32 s43, 0
                                        ; implicit-def: $vgpr12_vgpr13
	s_cbranch_execnz .LBB362_18
	s_branch .LBB362_44
.LBB362_17:                             ;   in Loop: Header=BB362_4 Depth=1
	s_or_b32 exec_lo, exec_lo, s45
	s_delay_alu instid0(SALU_CYCLE_1)
	s_and_b32 vcc_lo, exec_lo, s44
	s_cbranch_vccz .LBB362_44
.LBB362_18:                             ;   in Loop: Header=BB362_4 Depth=1
	v_mov_b64_e32 v[12:13], 0
	s_and_not1_b32 vcc_lo, exec_lo, s42
	s_delay_alu instid0(VALU_DEP_1)
	v_mov_b64_e32 v[10:11], v[12:13]
	s_cbranch_vccnz .LBB362_21
; %bb.19:                               ;   in Loop: Header=BB362_4 Depth=1
	v_mov_b64_e32 v[12:13], 0
	v_add_nc_u64_e32 v[26:27], v[24:25], v[16:17]
	v_add_nc_u64_e32 v[28:29], v[22:23], v[18:19]
	s_mov_b32 s9, 0
	s_delay_alu instid0(VALU_DEP_3)
	v_mov_b64_e32 v[10:11], v[12:13]
.LBB362_20:                             ;   Parent Loop BB362_4 Depth=1
                                        ; =>  This Inner Loop Header: Depth=2
	flat_load_b128 v[32:35], v[28:29] offset:-8
	flat_load_b128 v[36:39], v[26:27] offset:-8
	s_wait_xcnt 0x0
	v_add_nc_u64_e32 v[26:27], s[38:39], v[26:27]
	v_add_nc_u64_e32 v[28:29], 0x1000, v[28:29]
	s_addk_co_i32 s9, 0x100
	s_delay_alu instid0(SALU_CYCLE_1) | instskip(SKIP_3) | instid1(VALU_DEP_2)
	s_cmp_ge_i32 s9, s34
	s_wait_loadcnt_dscnt 0x0
	v_mul_f64_e32 v[40:41], v[34:35], v[38:39]
	v_mul_f64_e32 v[38:39], v[32:33], v[38:39]
	v_fma_f64 v[32:33], v[32:33], v[36:37], -v[40:41]
	s_delay_alu instid0(VALU_DEP_2) | instskip(NEXT) | instid1(VALU_DEP_2)
	v_fmac_f64_e32 v[38:39], v[34:35], v[36:37]
	v_add_f64_e32 v[10:11], v[10:11], v[32:33]
	s_delay_alu instid0(VALU_DEP_2)
	v_add_f64_e32 v[12:13], v[12:13], v[38:39]
	s_cbranch_scc0 .LBB362_20
.LBB362_21:                             ;   in Loop: Header=BB362_4 Depth=1
	s_and_saveexec_b32 s9, s8
	s_cbranch_execz .LBB362_23
; %bb.22:                               ;   in Loop: Header=BB362_4 Depth=1
	v_add_nc_u64_e32 v[22:23], v[22:23], v[0:1]
	v_lshl_add_u64 v[32:33], v[14:15], 4, v[24:25]
	s_delay_alu instid0(VALU_DEP_2) | instskip(NEXT) | instid1(VALU_DEP_1)
	v_lshl_add_u64 v[22:23], s[36:37], 4, v[22:23]
	v_lshl_add_u64 v[34:35], s[34:35], 4, v[22:23]
	flat_load_b128 v[22:25], v[32:33]
	flat_load_b128 v[26:29], v[34:35]
	s_wait_loadcnt_dscnt 0x0
	s_wait_xcnt 0x1
	v_mul_f64_e32 v[32:33], v[28:29], v[24:25]
	v_mul_f64_e32 v[24:25], v[26:27], v[24:25]
	s_delay_alu instid0(VALU_DEP_2) | instskip(NEXT) | instid1(VALU_DEP_2)
	v_fma_f64 v[26:27], v[26:27], v[22:23], -v[32:33]
	v_fmac_f64_e32 v[24:25], v[28:29], v[22:23]
	s_delay_alu instid0(VALU_DEP_2) | instskip(NEXT) | instid1(VALU_DEP_2)
	v_add_f64_e32 v[10:11], v[10:11], v[26:27]
	v_add_f64_e32 v[12:13], v[12:13], v[24:25]
.LBB362_23:                             ;   in Loop: Header=BB362_4 Depth=1
	s_wait_xcnt 0x0
	s_or_b32 exec_lo, exec_lo, s9
	ds_store_b128 v30, v[10:13]
	s_wait_dscnt 0x0
	s_barrier_signal -1
	s_barrier_wait -1
	s_and_saveexec_b32 s9, s1
	s_cbranch_execz .LBB362_25
; %bb.24:                               ;   in Loop: Header=BB362_4 Depth=1
	ds_load_b128 v[10:13], v30 offset:2048
	ds_load_b128 v[22:25], v30
	s_wait_dscnt 0x0
	v_add_f64_e32 v[10:11], v[10:11], v[22:23]
	v_add_f64_e32 v[12:13], v[12:13], v[24:25]
	ds_store_b128 v30, v[10:13]
.LBB362_25:                             ;   in Loop: Header=BB362_4 Depth=1
	s_or_b32 exec_lo, exec_lo, s9
	s_wait_dscnt 0x0
	s_barrier_signal -1
	s_barrier_wait -1
	s_and_saveexec_b32 s9, s2
	s_cbranch_execz .LBB362_27
; %bb.26:                               ;   in Loop: Header=BB362_4 Depth=1
	ds_load_b128 v[10:13], v30 offset:1024
	ds_load_b128 v[22:25], v30
	s_wait_dscnt 0x0
	v_add_f64_e32 v[10:11], v[10:11], v[22:23]
	v_add_f64_e32 v[12:13], v[12:13], v[24:25]
	ds_store_b128 v30, v[10:13]
.LBB362_27:                             ;   in Loop: Header=BB362_4 Depth=1
	s_or_b32 exec_lo, exec_lo, s9
	;; [unrolled: 14-line block ×6, first 2 shown]
	s_wait_dscnt 0x0
	s_barrier_signal -1
	s_barrier_wait -1
	s_and_saveexec_b32 s9, s7
	s_cbranch_execz .LBB362_37
; %bb.36:                               ;   in Loop: Header=BB362_4 Depth=1
	ds_load_b128 v[10:13], v30
	ds_load_b128 v[22:25], v30 offset:32
	s_wait_dscnt 0x0
	v_add_f64_e32 v[10:11], v[22:23], v[10:11]
	v_add_f64_e32 v[12:13], v[24:25], v[12:13]
	ds_store_b128 v30, v[10:13]
.LBB362_37:                             ;   in Loop: Header=BB362_4 Depth=1
	s_or_b32 exec_lo, exec_lo, s9
	s_wait_dscnt 0x0
	s_barrier_signal -1
	s_barrier_wait -1
	s_and_saveexec_b32 s9, s0
	s_cbranch_execz .LBB362_39
; %bb.38:                               ;   in Loop: Header=BB362_4 Depth=1
	ds_load_b128 v[10:13], v1
	ds_load_b128 v[22:25], v1 offset:16
	s_wait_dscnt 0x0
	v_add_f64_e32 v[10:11], v[22:23], v[10:11]
	v_add_f64_e32 v[12:13], v[24:25], v[12:13]
	ds_store_b128 v1, v[10:13]
.LBB362_39:                             ;   in Loop: Header=BB362_4 Depth=1
	s_or_b32 exec_lo, exec_lo, s9
	s_wait_dscnt 0x0
	s_barrier_signal -1
	s_barrier_wait -1
                                        ; implicit-def: $vgpr12_vgpr13
	s_and_saveexec_b32 s44, s0
	s_cbranch_execz .LBB362_43
; %bb.40:                               ;   in Loop: Header=BB362_4 Depth=1
	ds_load_b128 v[22:25], v1
	v_cmp_neq_f64_e32 vcc_lo, 0, v[2:3]
	v_cmp_neq_f64_e64 s9, 0, v[4:5]
	s_wait_dscnt 0x0
	v_mul_f64_e32 v[10:11], v[8:9], v[24:25]
	v_mul_f64_e32 v[12:13], v[6:7], v[24:25]
	s_or_b32 s9, vcc_lo, s9
	s_delay_alu instid0(SALU_CYCLE_1) | instskip(NEXT) | instid1(VALU_DEP_2)
	s_and_not1_b32 vcc_lo, exec_lo, s9
	v_fma_f64 v[10:11], v[6:7], v[22:23], -v[10:11]
	s_delay_alu instid0(VALU_DEP_2)
	v_fmac_f64_e32 v[12:13], v[8:9], v[22:23]
	s_cbranch_vccnz .LBB362_42
; %bb.41:                               ;   in Loop: Header=BB362_4 Depth=1
	v_add_nc_u64_e32 v[6:7], s[40:41], v[20:21]
	flat_load_b128 v[6:9], v[6:7]
	s_wait_loadcnt_dscnt 0x0
	v_mul_f64_e32 v[22:23], v[4:5], v[8:9]
	v_mul_f64_e32 v[8:9], v[2:3], v[8:9]
	s_delay_alu instid0(VALU_DEP_2) | instskip(NEXT) | instid1(VALU_DEP_2)
	v_fma_f64 v[2:3], v[2:3], v[6:7], -v[22:23]
	v_fmac_f64_e32 v[8:9], v[4:5], v[6:7]
	s_delay_alu instid0(VALU_DEP_2) | instskip(NEXT) | instid1(VALU_DEP_2)
	v_add_f64_e32 v[10:11], v[10:11], v[2:3]
	v_add_f64_e32 v[12:13], v[12:13], v[8:9]
.LBB362_42:                             ;   in Loop: Header=BB362_4 Depth=1
	s_or_b32 s43, s43, exec_lo
.LBB362_43:                             ;   in Loop: Header=BB362_4 Depth=1
	s_wait_xcnt 0x0
	s_or_b32 exec_lo, exec_lo, s44
.LBB362_44:                             ;   in Loop: Header=BB362_4 Depth=1
	s_and_saveexec_b32 s9, s43
	s_cbranch_execz .LBB362_2
; %bb.45:                               ;   in Loop: Header=BB362_4 Depth=1
	v_add_nc_u64_e32 v[2:3], s[40:41], v[20:21]
	flat_store_b128 v[2:3], v[10:13]
	s_branch .LBB362_2
.LBB362_46:
	s_endpgm
	.section	.rodata,"a",@progbits
	.p2align	6, 0x0
	.amdhsa_kernel _ZL20rocblas_gemvt_kernelILb0ELi256EPK19rocblas_complex_numIdES3_KPS1_EviiT2_lPKT1_lilS9_lilS6_lPT3_lili
		.amdhsa_group_segment_fixed_size 4096
		.amdhsa_private_segment_fixed_size 0
		.amdhsa_kernarg_size 140
		.amdhsa_user_sgpr_count 2
		.amdhsa_user_sgpr_dispatch_ptr 0
		.amdhsa_user_sgpr_queue_ptr 0
		.amdhsa_user_sgpr_kernarg_segment_ptr 1
		.amdhsa_user_sgpr_dispatch_id 0
		.amdhsa_user_sgpr_kernarg_preload_length 0
		.amdhsa_user_sgpr_kernarg_preload_offset 0
		.amdhsa_user_sgpr_private_segment_size 0
		.amdhsa_wavefront_size32 1
		.amdhsa_uses_dynamic_stack 0
		.amdhsa_enable_private_segment 0
		.amdhsa_system_sgpr_workgroup_id_x 1
		.amdhsa_system_sgpr_workgroup_id_y 0
		.amdhsa_system_sgpr_workgroup_id_z 1
		.amdhsa_system_sgpr_workgroup_info 0
		.amdhsa_system_vgpr_workitem_id 0
		.amdhsa_next_free_vgpr 42
		.amdhsa_next_free_sgpr 46
		.amdhsa_named_barrier_count 0
		.amdhsa_reserve_vcc 1
		.amdhsa_float_round_mode_32 0
		.amdhsa_float_round_mode_16_64 0
		.amdhsa_float_denorm_mode_32 3
		.amdhsa_float_denorm_mode_16_64 3
		.amdhsa_fp16_overflow 0
		.amdhsa_memory_ordered 1
		.amdhsa_forward_progress 1
		.amdhsa_inst_pref_size 15
		.amdhsa_round_robin_scheduling 0
		.amdhsa_exception_fp_ieee_invalid_op 0
		.amdhsa_exception_fp_denorm_src 0
		.amdhsa_exception_fp_ieee_div_zero 0
		.amdhsa_exception_fp_ieee_overflow 0
		.amdhsa_exception_fp_ieee_underflow 0
		.amdhsa_exception_fp_ieee_inexact 0
		.amdhsa_exception_int_div_zero 0
	.end_amdhsa_kernel
	.section	.text._ZL20rocblas_gemvt_kernelILb0ELi256EPK19rocblas_complex_numIdES3_KPS1_EviiT2_lPKT1_lilS9_lilS6_lPT3_lili,"axG",@progbits,_ZL20rocblas_gemvt_kernelILb0ELi256EPK19rocblas_complex_numIdES3_KPS1_EviiT2_lPKT1_lilS9_lilS6_lPT3_lili,comdat
.Lfunc_end362:
	.size	_ZL20rocblas_gemvt_kernelILb0ELi256EPK19rocblas_complex_numIdES3_KPS1_EviiT2_lPKT1_lilS9_lilS6_lPT3_lili, .Lfunc_end362-_ZL20rocblas_gemvt_kernelILb0ELi256EPK19rocblas_complex_numIdES3_KPS1_EviiT2_lPKT1_lilS9_lilS6_lPT3_lili
                                        ; -- End function
	.set _ZL20rocblas_gemvt_kernelILb0ELi256EPK19rocblas_complex_numIdES3_KPS1_EviiT2_lPKT1_lilS9_lilS6_lPT3_lili.num_vgpr, 42
	.set _ZL20rocblas_gemvt_kernelILb0ELi256EPK19rocblas_complex_numIdES3_KPS1_EviiT2_lPKT1_lilS9_lilS6_lPT3_lili.num_agpr, 0
	.set _ZL20rocblas_gemvt_kernelILb0ELi256EPK19rocblas_complex_numIdES3_KPS1_EviiT2_lPKT1_lilS9_lilS6_lPT3_lili.numbered_sgpr, 46
	.set _ZL20rocblas_gemvt_kernelILb0ELi256EPK19rocblas_complex_numIdES3_KPS1_EviiT2_lPKT1_lilS9_lilS6_lPT3_lili.num_named_barrier, 0
	.set _ZL20rocblas_gemvt_kernelILb0ELi256EPK19rocblas_complex_numIdES3_KPS1_EviiT2_lPKT1_lilS9_lilS6_lPT3_lili.private_seg_size, 0
	.set _ZL20rocblas_gemvt_kernelILb0ELi256EPK19rocblas_complex_numIdES3_KPS1_EviiT2_lPKT1_lilS9_lilS6_lPT3_lili.uses_vcc, 1
	.set _ZL20rocblas_gemvt_kernelILb0ELi256EPK19rocblas_complex_numIdES3_KPS1_EviiT2_lPKT1_lilS9_lilS6_lPT3_lili.uses_flat_scratch, 0
	.set _ZL20rocblas_gemvt_kernelILb0ELi256EPK19rocblas_complex_numIdES3_KPS1_EviiT2_lPKT1_lilS9_lilS6_lPT3_lili.has_dyn_sized_stack, 0
	.set _ZL20rocblas_gemvt_kernelILb0ELi256EPK19rocblas_complex_numIdES3_KPS1_EviiT2_lPKT1_lilS9_lilS6_lPT3_lili.has_recursion, 0
	.set _ZL20rocblas_gemvt_kernelILb0ELi256EPK19rocblas_complex_numIdES3_KPS1_EviiT2_lPKT1_lilS9_lilS6_lPT3_lili.has_indirect_call, 0
	.section	.AMDGPU.csdata,"",@progbits
; Kernel info:
; codeLenInByte = 1800
; TotalNumSgprs: 48
; NumVgprs: 42
; ScratchSize: 0
; MemoryBound: 0
; FloatMode: 240
; IeeeMode: 1
; LDSByteSize: 4096 bytes/workgroup (compile time only)
; SGPRBlocks: 0
; VGPRBlocks: 2
; NumSGPRsForWavesPerEU: 48
; NumVGPRsForWavesPerEU: 42
; NamedBarCnt: 0
; Occupancy: 16
; WaveLimiterHint : 1
; COMPUTE_PGM_RSRC2:SCRATCH_EN: 0
; COMPUTE_PGM_RSRC2:USER_SGPR: 2
; COMPUTE_PGM_RSRC2:TRAP_HANDLER: 0
; COMPUTE_PGM_RSRC2:TGID_X_EN: 1
; COMPUTE_PGM_RSRC2:TGID_Y_EN: 0
; COMPUTE_PGM_RSRC2:TGID_Z_EN: 1
; COMPUTE_PGM_RSRC2:TIDIG_COMP_CNT: 0
	.section	.text._ZL20rocblas_gemvt_kernelILb0ELi256EPK19rocblas_complex_numIdES1_KPS1_EviiT2_lPKT1_lilS9_lilS6_lPT3_lili,"axG",@progbits,_ZL20rocblas_gemvt_kernelILb0ELi256EPK19rocblas_complex_numIdES1_KPS1_EviiT2_lPKT1_lilS9_lilS6_lPT3_lili,comdat
	.globl	_ZL20rocblas_gemvt_kernelILb0ELi256EPK19rocblas_complex_numIdES1_KPS1_EviiT2_lPKT1_lilS9_lilS6_lPT3_lili ; -- Begin function _ZL20rocblas_gemvt_kernelILb0ELi256EPK19rocblas_complex_numIdES1_KPS1_EviiT2_lPKT1_lilS9_lilS6_lPT3_lili
	.p2align	8
	.type	_ZL20rocblas_gemvt_kernelILb0ELi256EPK19rocblas_complex_numIdES1_KPS1_EviiT2_lPKT1_lilS9_lilS6_lPT3_lili,@function
_ZL20rocblas_gemvt_kernelILb0ELi256EPK19rocblas_complex_numIdES1_KPS1_EviiT2_lPKT1_lilS9_lilS6_lPT3_lili: ; @_ZL20rocblas_gemvt_kernelILb0ELi256EPK19rocblas_complex_numIdES1_KPS1_EviiT2_lPKT1_lilS9_lilS6_lPT3_lili
; %bb.0:
	s_load_b32 s9, s[0:1], 0x98
	s_bfe_u32 s2, ttmp6, 0x40014
	s_lshr_b32 s3, ttmp7, 16
	s_add_co_i32 s2, s2, 1
	s_bfe_u32 s5, ttmp6, 0x40008
	s_mul_i32 s4, s3, s2
	s_getreg_b32 s2, hwreg(HW_REG_IB_STS2, 6, 4)
	s_add_co_i32 s5, s5, s4
	s_cmp_eq_u32 s2, 0
	s_mov_b32 s11, 0
	s_cselect_b32 s10, s3, s5
	s_wait_kmcnt 0x0
	s_cmp_ge_u32 s10, s9
	s_cbranch_scc1 .LBB363_48
; %bb.1:
	s_clause 0x5
	s_load_b128 s[12:15], s[0:1], 0x8
	s_load_b128 s[16:19], s[0:1], 0x60
	s_load_b32 s36, s[0:1], 0x30
	s_load_b32 s38, s[0:1], 0x50
	;; [unrolled: 1-line block ×4, first 2 shown]
	s_bfe_u32 s5, ttmp6, 0x4000c
	s_and_b32 s21, ttmp6, 15
	s_add_co_i32 s5, s5, 1
	s_clause 0x1
	s_load_b128 s[24:27], s[0:1], 0x40
	s_load_b128 s[28:31], s[0:1], 0x78
	s_mul_i32 s5, ttmp9, s5
	v_lshlrev_b32_e32 v23, 4, v0
	s_add_co_i32 s21, s21, s5
	s_wait_kmcnt 0x0
	s_ashr_i32 s37, s36, 31
	v_cmp_neq_f64_e64 s3, s[12:13], 0
	v_cmp_neq_f64_e64 s20, s[14:15], 0
	v_cmp_neq_f64_e64 s6, s[16:17], 1.0
	v_cmp_neq_f64_e64 s7, s[18:19], 0
	v_cmp_neq_f64_e64 s8, s[16:17], 0
	s_ashr_i32 s39, s38, 31
	s_ashr_i32 s5, s4, 31
	v_cmp_gt_i32_e32 vcc_lo, s35, v0
	v_cndmask_b32_e32 v12, 0, v0, vcc_lo
	s_or_b32 s3, s3, s20
	s_or_b32 s33, s6, s7
	;; [unrolled: 1-line block ×3, first 2 shown]
	s_xor_b32 s43, s3, -1
	s_cmp_eq_u32 s2, 0
	v_cndmask_b32_e64 v22, 0, 1, s3
	s_cselect_b32 s40, ttmp9, s21
	s_ashr_i32 s2, s35, 31
	s_ashr_i32 s41, s40, 31
	s_lshr_b32 s2, s2, 24
	s_load_b128 s[20:23], s[0:1], 0x20
	s_add_co_i32 s2, s35, s2
	s_wait_xcnt 0x0
	v_cmp_eq_u32_e64 s0, 0, v0
	s_and_b32 s34, s2, 0xffffff00
	s_delay_alu instid0(SALU_CYCLE_1) | instskip(SKIP_3) | instid1(VALU_DEP_3)
	v_dual_mov_b32 v1, 0 :: v_dual_bitop2_b32 v4, s34, v0 bitop3:0x54
	s_mul_u64 s[46:47], s[4:5], s[40:41]
	v_cmp_gt_u32_e64 s1, 0x80, v0
	v_cmp_gt_u32_e64 s2, 64, v0
	v_mul_u64_e32 v[2:3], s[38:39], v[0:1]
	v_cmp_gt_u32_e64 s3, 32, v0
	v_cmp_gt_u32_e64 s4, 16, v0
	;; [unrolled: 1-line block ×5, first 2 shown]
	v_lshlrev_b32_e32 v0, 4, v12
	s_mul_u64 s[36:37], s[36:37], s[40:41]
	v_cmp_gt_i32_e64 s8, s35, v4
	s_cmp_gt_i32 s35, 0xff
	v_lshl_add_u64 v[10:11], s[36:37], 4, v[0:1]
	v_ashrrev_i32_e32 v5, 31, v4
	v_lshlrev_b32_e32 v0, 4, v12
	s_cselect_b32 s44, -1, 0
	s_ashr_i32 s35, s34, 31
	v_or_b32_e32 v10, 8, v10
	v_mul_u64_e32 v[6:7], s[38:39], v[4:5]
	s_lshl_b64 s[38:39], s[38:39], 12
	s_wait_kmcnt 0x0
	s_lshl_b64 s[22:23], s[22:23], 4
	s_lshl_b64 s[26:27], s[26:27], 4
	;; [unrolled: 1-line block ×4, first 2 shown]
	v_lshlrev_b64_e32 v[8:9], 4, v[2:3]
	s_delay_alu instid0(VALU_DEP_1)
	v_or_b32_e32 v8, 8, v8
	s_branch .LBB363_4
.LBB363_2:                              ;   in Loop: Header=BB363_4 Depth=1
	s_wait_xcnt 0x0
	s_or_b32 exec_lo, exec_lo, s46
.LBB363_3:                              ;   in Loop: Header=BB363_4 Depth=1
	s_add_co_i32 s10, s10, 0x10000
	s_delay_alu instid0(SALU_CYCLE_1)
	s_cmp_lt_u32 s10, s9
	s_cbranch_scc0 .LBB363_48
.LBB363_4:                              ; =>This Loop Header: Depth=1
                                        ;     Child Loop BB363_22 Depth 2
	s_and_not1_b32 vcc_lo, exec_lo, s43
	s_cbranch_vccnz .LBB363_7
; %bb.5:                                ;   in Loop: Header=BB363_4 Depth=1
	s_wait_xcnt 0x0
	s_mov_b32 s46, 0
	s_and_b32 vcc_lo, exec_lo, s33
	s_mov_b32 s45, 0
	s_cbranch_vccz .LBB363_8
; %bb.6:                                ;   in Loop: Header=BB363_4 Depth=1
	s_mov_b32 s45, -1
	s_branch .LBB363_8
.LBB363_7:                              ;   in Loop: Header=BB363_4 Depth=1
	s_mov_b32 s45, 0
	s_wait_xcnt 0x0
	s_mov_b32 s46, -1
.LBB363_8:                              ;   in Loop: Header=BB363_4 Depth=1
	v_mov_b64_e32 v[14:15], 0
	s_and_b32 vcc_lo, exec_lo, s46
	s_cbranch_vccnz .LBB363_10
; %bb.9:                                ;   in Loop: Header=BB363_4 Depth=1
	s_and_not1_b32 vcc_lo, exec_lo, s45
	s_cbranch_vccnz .LBB363_3
	s_branch .LBB363_11
.LBB363_10:                             ;   in Loop: Header=BB363_4 Depth=1
	s_lshl_b64 s[46:47], s[10:11], 3
	s_delay_alu instid0(SALU_CYCLE_1)
	s_add_nc_u64 s[46:47], s[20:21], s[46:47]
	global_load_b64 v[2:3], v1, s[46:47]
	s_wait_loadcnt 0x0
	v_add_nc_u64_e32 v[14:15], s[22:23], v[2:3]
.LBB363_11:                             ;   in Loop: Header=BB363_4 Depth=1
	v_cmp_ne_u32_e32 vcc_lo, 1, v22
	v_mov_b64_e32 v[16:17], 0
	s_cbranch_vccnz .LBB363_13
; %bb.12:                               ;   in Loop: Header=BB363_4 Depth=1
	s_wait_xcnt 0x0
	s_lshl_b64 s[46:47], s[10:11], 3
	s_delay_alu instid0(SALU_CYCLE_1)
	s_add_nc_u64 s[46:47], s[24:25], s[46:47]
	global_load_b64 v[2:3], v1, s[46:47]
	s_wait_loadcnt 0x0
	v_add_nc_u64_e32 v[16:17], s[26:27], v[2:3]
.LBB363_13:                             ;   in Loop: Header=BB363_4 Depth=1
	s_wait_xcnt 0x0
	s_lshl_b64 s[46:47], s[10:11], 3
	s_and_not1_b32 vcc_lo, exec_lo, s43
	s_add_nc_u64 s[46:47], s[28:29], s[46:47]
	global_load_b64 v[2:3], v1, s[46:47]
	s_wait_loadcnt 0x0
	v_add_nc_u64_e32 v[12:13], s[30:31], v[2:3]
	s_cbranch_vccnz .LBB363_18
; %bb.14:                               ;   in Loop: Header=BB363_4 Depth=1
	s_wait_xcnt 0x0
	s_mov_b32 s46, 0
	s_mov_b32 s45, 0
                                        ; implicit-def: $vgpr4_vgpr5
	s_and_saveexec_b32 s47, s0
	s_cbranch_execz .LBB363_19
; %bb.15:                               ;   in Loop: Header=BB363_4 Depth=1
	v_mov_b64_e32 v[4:5], 0
	v_mov_b64_e32 v[2:3], 0
	s_and_not1_b32 vcc_lo, exec_lo, s42
	s_cbranch_vccnz .LBB363_17
; %bb.16:                               ;   in Loop: Header=BB363_4 Depth=1
	v_add_nc_u64_e32 v[2:3], s[40:41], v[12:13]
	flat_load_b128 v[18:21], v[2:3]
	s_wait_loadcnt_dscnt 0x0
	s_wait_xcnt 0x0
	v_mul_f64_e32 v[2:3], s[18:19], v[20:21]
	v_mul_f64_e32 v[4:5], s[16:17], v[20:21]
	s_delay_alu instid0(VALU_DEP_2) | instskip(NEXT) | instid1(VALU_DEP_2)
	v_fma_f64 v[2:3], s[16:17], v[18:19], -v[2:3]
	v_fmac_f64_e32 v[4:5], s[18:19], v[18:19]
.LBB363_17:                             ;   in Loop: Header=BB363_4 Depth=1
	s_mov_b32 s45, exec_lo
	s_or_b32 exec_lo, exec_lo, s47
	s_delay_alu instid0(SALU_CYCLE_1)
	s_and_b32 vcc_lo, exec_lo, s46
	s_cbranch_vccnz .LBB363_20
	s_branch .LBB363_46
.LBB363_18:                             ;   in Loop: Header=BB363_4 Depth=1
	s_wait_xcnt 0x0
	s_mov_b32 s45, 0
                                        ; implicit-def: $vgpr4_vgpr5
	s_cbranch_execnz .LBB363_20
	s_branch .LBB363_46
.LBB363_19:                             ;   in Loop: Header=BB363_4 Depth=1
	s_or_b32 exec_lo, exec_lo, s47
	s_delay_alu instid0(SALU_CYCLE_1)
	s_and_b32 vcc_lo, exec_lo, s46
	s_cbranch_vccz .LBB363_46
.LBB363_20:                             ;   in Loop: Header=BB363_4 Depth=1
	v_mov_b64_e32 v[4:5], 0
	s_and_not1_b32 vcc_lo, exec_lo, s44
	s_delay_alu instid0(VALU_DEP_1)
	v_mov_b64_e32 v[2:3], v[4:5]
	s_cbranch_vccnz .LBB363_23
; %bb.21:                               ;   in Loop: Header=BB363_4 Depth=1
	v_mov_b64_e32 v[4:5], 0
	v_add_nc_u64_e32 v[18:19], v[16:17], v[8:9]
	v_add_nc_u64_e32 v[20:21], v[14:15], v[10:11]
	s_mov_b32 s46, 0
	s_delay_alu instid0(VALU_DEP_3)
	v_mov_b64_e32 v[2:3], v[4:5]
.LBB363_22:                             ;   Parent Loop BB363_4 Depth=1
                                        ; =>  This Inner Loop Header: Depth=2
	flat_load_b128 v[24:27], v[20:21] offset:-8
	flat_load_b128 v[28:31], v[18:19] offset:-8
	s_wait_xcnt 0x0
	v_add_nc_u64_e32 v[18:19], s[38:39], v[18:19]
	v_add_nc_u64_e32 v[20:21], 0x1000, v[20:21]
	s_addk_co_i32 s46, 0x100
	s_delay_alu instid0(SALU_CYCLE_1) | instskip(SKIP_3) | instid1(VALU_DEP_2)
	s_cmp_ge_i32 s46, s34
	s_wait_loadcnt_dscnt 0x0
	v_mul_f64_e32 v[32:33], v[26:27], v[30:31]
	v_mul_f64_e32 v[30:31], v[24:25], v[30:31]
	v_fma_f64 v[24:25], v[24:25], v[28:29], -v[32:33]
	s_delay_alu instid0(VALU_DEP_2) | instskip(NEXT) | instid1(VALU_DEP_2)
	v_fmac_f64_e32 v[30:31], v[26:27], v[28:29]
	v_add_f64_e32 v[2:3], v[2:3], v[24:25]
	s_delay_alu instid0(VALU_DEP_2)
	v_add_f64_e32 v[4:5], v[4:5], v[30:31]
	s_cbranch_scc0 .LBB363_22
.LBB363_23:                             ;   in Loop: Header=BB363_4 Depth=1
	s_and_saveexec_b32 s46, s8
	s_cbranch_execz .LBB363_25
; %bb.24:                               ;   in Loop: Header=BB363_4 Depth=1
	v_add_nc_u64_e32 v[14:15], v[14:15], v[0:1]
	v_lshl_add_u64 v[24:25], v[6:7], 4, v[16:17]
	s_delay_alu instid0(VALU_DEP_2) | instskip(NEXT) | instid1(VALU_DEP_1)
	v_lshl_add_u64 v[14:15], s[36:37], 4, v[14:15]
	v_lshl_add_u64 v[26:27], s[34:35], 4, v[14:15]
	flat_load_b128 v[14:17], v[24:25]
	flat_load_b128 v[18:21], v[26:27]
	s_wait_loadcnt_dscnt 0x0
	s_wait_xcnt 0x1
	v_mul_f64_e32 v[24:25], v[20:21], v[16:17]
	v_mul_f64_e32 v[16:17], v[18:19], v[16:17]
	s_delay_alu instid0(VALU_DEP_2) | instskip(NEXT) | instid1(VALU_DEP_2)
	v_fma_f64 v[18:19], v[18:19], v[14:15], -v[24:25]
	v_fmac_f64_e32 v[16:17], v[20:21], v[14:15]
	s_delay_alu instid0(VALU_DEP_2) | instskip(NEXT) | instid1(VALU_DEP_2)
	v_add_f64_e32 v[2:3], v[2:3], v[18:19]
	v_add_f64_e32 v[4:5], v[4:5], v[16:17]
.LBB363_25:                             ;   in Loop: Header=BB363_4 Depth=1
	s_wait_xcnt 0x0
	s_or_b32 exec_lo, exec_lo, s46
	ds_store_b128 v23, v[2:5]
	s_wait_dscnt 0x0
	s_barrier_signal -1
	s_barrier_wait -1
	s_and_saveexec_b32 s46, s1
	s_cbranch_execz .LBB363_27
; %bb.26:                               ;   in Loop: Header=BB363_4 Depth=1
	ds_load_b128 v[2:5], v23 offset:2048
	ds_load_b128 v[14:17], v23
	s_wait_dscnt 0x0
	v_add_f64_e32 v[2:3], v[2:3], v[14:15]
	v_add_f64_e32 v[4:5], v[4:5], v[16:17]
	ds_store_b128 v23, v[2:5]
.LBB363_27:                             ;   in Loop: Header=BB363_4 Depth=1
	s_or_b32 exec_lo, exec_lo, s46
	s_wait_dscnt 0x0
	s_barrier_signal -1
	s_barrier_wait -1
	s_and_saveexec_b32 s46, s2
	s_cbranch_execz .LBB363_29
; %bb.28:                               ;   in Loop: Header=BB363_4 Depth=1
	ds_load_b128 v[2:5], v23 offset:1024
	ds_load_b128 v[14:17], v23
	s_wait_dscnt 0x0
	v_add_f64_e32 v[2:3], v[2:3], v[14:15]
	v_add_f64_e32 v[4:5], v[4:5], v[16:17]
	ds_store_b128 v23, v[2:5]
.LBB363_29:                             ;   in Loop: Header=BB363_4 Depth=1
	s_or_b32 exec_lo, exec_lo, s46
	;; [unrolled: 14-line block ×6, first 2 shown]
	s_wait_dscnt 0x0
	s_barrier_signal -1
	s_barrier_wait -1
	s_and_saveexec_b32 s46, s7
	s_cbranch_execz .LBB363_39
; %bb.38:                               ;   in Loop: Header=BB363_4 Depth=1
	ds_load_b128 v[2:5], v23
	ds_load_b128 v[14:17], v23 offset:32
	s_wait_dscnt 0x0
	v_add_f64_e32 v[2:3], v[14:15], v[2:3]
	v_add_f64_e32 v[4:5], v[16:17], v[4:5]
	ds_store_b128 v23, v[2:5]
.LBB363_39:                             ;   in Loop: Header=BB363_4 Depth=1
	s_or_b32 exec_lo, exec_lo, s46
	s_wait_dscnt 0x0
	s_barrier_signal -1
	s_barrier_wait -1
	s_and_saveexec_b32 s46, s0
	s_cbranch_execz .LBB363_41
; %bb.40:                               ;   in Loop: Header=BB363_4 Depth=1
	ds_load_b128 v[2:5], v1
	ds_load_b128 v[14:17], v1 offset:16
	s_wait_dscnt 0x0
	v_add_f64_e32 v[2:3], v[14:15], v[2:3]
	v_add_f64_e32 v[4:5], v[16:17], v[4:5]
	ds_store_b128 v1, v[2:5]
.LBB363_41:                             ;   in Loop: Header=BB363_4 Depth=1
	s_or_b32 exec_lo, exec_lo, s46
	s_wait_dscnt 0x0
	s_barrier_signal -1
	s_barrier_wait -1
                                        ; implicit-def: $vgpr4_vgpr5
	s_and_saveexec_b32 s46, s0
	s_cbranch_execz .LBB363_45
; %bb.42:                               ;   in Loop: Header=BB363_4 Depth=1
	ds_load_b128 v[14:17], v1
	s_and_not1_b32 vcc_lo, exec_lo, s42
	s_wait_dscnt 0x0
	v_mul_f64_e32 v[2:3], s[14:15], v[16:17]
	v_mul_f64_e32 v[4:5], s[12:13], v[16:17]
	s_delay_alu instid0(VALU_DEP_2) | instskip(NEXT) | instid1(VALU_DEP_2)
	v_fma_f64 v[2:3], s[12:13], v[14:15], -v[2:3]
	v_fmac_f64_e32 v[4:5], s[14:15], v[14:15]
	s_cbranch_vccnz .LBB363_44
; %bb.43:                               ;   in Loop: Header=BB363_4 Depth=1
	v_add_nc_u64_e32 v[14:15], s[40:41], v[12:13]
	flat_load_b128 v[14:17], v[14:15]
	s_wait_loadcnt_dscnt 0x0
	v_mul_f64_e32 v[18:19], s[18:19], v[16:17]
	v_mul_f64_e32 v[16:17], s[16:17], v[16:17]
	s_delay_alu instid0(VALU_DEP_2) | instskip(NEXT) | instid1(VALU_DEP_2)
	v_fma_f64 v[18:19], s[16:17], v[14:15], -v[18:19]
	v_fmac_f64_e32 v[16:17], s[18:19], v[14:15]
	s_delay_alu instid0(VALU_DEP_2) | instskip(NEXT) | instid1(VALU_DEP_2)
	v_add_f64_e32 v[2:3], v[2:3], v[18:19]
	v_add_f64_e32 v[4:5], v[4:5], v[16:17]
.LBB363_44:                             ;   in Loop: Header=BB363_4 Depth=1
	s_or_b32 s45, s45, exec_lo
.LBB363_45:                             ;   in Loop: Header=BB363_4 Depth=1
	s_wait_xcnt 0x0
	s_or_b32 exec_lo, exec_lo, s46
.LBB363_46:                             ;   in Loop: Header=BB363_4 Depth=1
	s_and_saveexec_b32 s46, s45
	s_cbranch_execz .LBB363_2
; %bb.47:                               ;   in Loop: Header=BB363_4 Depth=1
	v_add_nc_u64_e32 v[12:13], s[40:41], v[12:13]
	flat_store_b128 v[12:13], v[2:5]
	s_branch .LBB363_2
.LBB363_48:
	s_endpgm
	.section	.rodata,"a",@progbits
	.p2align	6, 0x0
	.amdhsa_kernel _ZL20rocblas_gemvt_kernelILb0ELi256EPK19rocblas_complex_numIdES1_KPS1_EviiT2_lPKT1_lilS9_lilS6_lPT3_lili
		.amdhsa_group_segment_fixed_size 4096
		.amdhsa_private_segment_fixed_size 0
		.amdhsa_kernarg_size 156
		.amdhsa_user_sgpr_count 2
		.amdhsa_user_sgpr_dispatch_ptr 0
		.amdhsa_user_sgpr_queue_ptr 0
		.amdhsa_user_sgpr_kernarg_segment_ptr 1
		.amdhsa_user_sgpr_dispatch_id 0
		.amdhsa_user_sgpr_kernarg_preload_length 0
		.amdhsa_user_sgpr_kernarg_preload_offset 0
		.amdhsa_user_sgpr_private_segment_size 0
		.amdhsa_wavefront_size32 1
		.amdhsa_uses_dynamic_stack 0
		.amdhsa_enable_private_segment 0
		.amdhsa_system_sgpr_workgroup_id_x 1
		.amdhsa_system_sgpr_workgroup_id_y 0
		.amdhsa_system_sgpr_workgroup_id_z 1
		.amdhsa_system_sgpr_workgroup_info 0
		.amdhsa_system_vgpr_workitem_id 0
		.amdhsa_next_free_vgpr 34
		.amdhsa_next_free_sgpr 48
		.amdhsa_named_barrier_count 0
		.amdhsa_reserve_vcc 1
		.amdhsa_float_round_mode_32 0
		.amdhsa_float_round_mode_16_64 0
		.amdhsa_float_denorm_mode_32 3
		.amdhsa_float_denorm_mode_16_64 3
		.amdhsa_fp16_overflow 0
		.amdhsa_memory_ordered 1
		.amdhsa_forward_progress 1
		.amdhsa_inst_pref_size 14
		.amdhsa_round_robin_scheduling 0
		.amdhsa_exception_fp_ieee_invalid_op 0
		.amdhsa_exception_fp_denorm_src 0
		.amdhsa_exception_fp_ieee_div_zero 0
		.amdhsa_exception_fp_ieee_overflow 0
		.amdhsa_exception_fp_ieee_underflow 0
		.amdhsa_exception_fp_ieee_inexact 0
		.amdhsa_exception_int_div_zero 0
	.end_amdhsa_kernel
	.section	.text._ZL20rocblas_gemvt_kernelILb0ELi256EPK19rocblas_complex_numIdES1_KPS1_EviiT2_lPKT1_lilS9_lilS6_lPT3_lili,"axG",@progbits,_ZL20rocblas_gemvt_kernelILb0ELi256EPK19rocblas_complex_numIdES1_KPS1_EviiT2_lPKT1_lilS9_lilS6_lPT3_lili,comdat
.Lfunc_end363:
	.size	_ZL20rocblas_gemvt_kernelILb0ELi256EPK19rocblas_complex_numIdES1_KPS1_EviiT2_lPKT1_lilS9_lilS6_lPT3_lili, .Lfunc_end363-_ZL20rocblas_gemvt_kernelILb0ELi256EPK19rocblas_complex_numIdES1_KPS1_EviiT2_lPKT1_lilS9_lilS6_lPT3_lili
                                        ; -- End function
	.set _ZL20rocblas_gemvt_kernelILb0ELi256EPK19rocblas_complex_numIdES1_KPS1_EviiT2_lPKT1_lilS9_lilS6_lPT3_lili.num_vgpr, 34
	.set _ZL20rocblas_gemvt_kernelILb0ELi256EPK19rocblas_complex_numIdES1_KPS1_EviiT2_lPKT1_lilS9_lilS6_lPT3_lili.num_agpr, 0
	.set _ZL20rocblas_gemvt_kernelILb0ELi256EPK19rocblas_complex_numIdES1_KPS1_EviiT2_lPKT1_lilS9_lilS6_lPT3_lili.numbered_sgpr, 48
	.set _ZL20rocblas_gemvt_kernelILb0ELi256EPK19rocblas_complex_numIdES1_KPS1_EviiT2_lPKT1_lilS9_lilS6_lPT3_lili.num_named_barrier, 0
	.set _ZL20rocblas_gemvt_kernelILb0ELi256EPK19rocblas_complex_numIdES1_KPS1_EviiT2_lPKT1_lilS9_lilS6_lPT3_lili.private_seg_size, 0
	.set _ZL20rocblas_gemvt_kernelILb0ELi256EPK19rocblas_complex_numIdES1_KPS1_EviiT2_lPKT1_lilS9_lilS6_lPT3_lili.uses_vcc, 1
	.set _ZL20rocblas_gemvt_kernelILb0ELi256EPK19rocblas_complex_numIdES1_KPS1_EviiT2_lPKT1_lilS9_lilS6_lPT3_lili.uses_flat_scratch, 0
	.set _ZL20rocblas_gemvt_kernelILb0ELi256EPK19rocblas_complex_numIdES1_KPS1_EviiT2_lPKT1_lilS9_lilS6_lPT3_lili.has_dyn_sized_stack, 0
	.set _ZL20rocblas_gemvt_kernelILb0ELi256EPK19rocblas_complex_numIdES1_KPS1_EviiT2_lPKT1_lilS9_lilS6_lPT3_lili.has_recursion, 0
	.set _ZL20rocblas_gemvt_kernelILb0ELi256EPK19rocblas_complex_numIdES1_KPS1_EviiT2_lPKT1_lilS9_lilS6_lPT3_lili.has_indirect_call, 0
	.section	.AMDGPU.csdata,"",@progbits
; Kernel info:
; codeLenInByte = 1756
; TotalNumSgprs: 50
; NumVgprs: 34
; ScratchSize: 0
; MemoryBound: 0
; FloatMode: 240
; IeeeMode: 1
; LDSByteSize: 4096 bytes/workgroup (compile time only)
; SGPRBlocks: 0
; VGPRBlocks: 2
; NumSGPRsForWavesPerEU: 50
; NumVGPRsForWavesPerEU: 34
; NamedBarCnt: 0
; Occupancy: 16
; WaveLimiterHint : 1
; COMPUTE_PGM_RSRC2:SCRATCH_EN: 0
; COMPUTE_PGM_RSRC2:USER_SGPR: 2
; COMPUTE_PGM_RSRC2:TRAP_HANDLER: 0
; COMPUTE_PGM_RSRC2:TGID_X_EN: 1
; COMPUTE_PGM_RSRC2:TGID_Y_EN: 0
; COMPUTE_PGM_RSRC2:TGID_Z_EN: 1
; COMPUTE_PGM_RSRC2:TIDIG_COMP_CNT: 0
	.section	.text._ZL32rocblas_gemvt_warp_reduce_kernelILb0ELi1024EiPK19rocblas_complex_numIdES3_KPS1_EviiT3_lPKT2_lT1_lS9_lSA_lS6_lPT4_lSA_li,"axG",@progbits,_ZL32rocblas_gemvt_warp_reduce_kernelILb0ELi1024EiPK19rocblas_complex_numIdES3_KPS1_EviiT3_lPKT2_lT1_lS9_lSA_lS6_lPT4_lSA_li,comdat
	.globl	_ZL32rocblas_gemvt_warp_reduce_kernelILb0ELi1024EiPK19rocblas_complex_numIdES3_KPS1_EviiT3_lPKT2_lT1_lS9_lSA_lS6_lPT4_lSA_li ; -- Begin function _ZL32rocblas_gemvt_warp_reduce_kernelILb0ELi1024EiPK19rocblas_complex_numIdES3_KPS1_EviiT3_lPKT2_lT1_lS9_lSA_lS6_lPT4_lSA_li
	.p2align	8
	.type	_ZL32rocblas_gemvt_warp_reduce_kernelILb0ELi1024EiPK19rocblas_complex_numIdES3_KPS1_EviiT3_lPKT2_lT1_lS9_lSA_lS6_lPT4_lSA_li,@function
_ZL32rocblas_gemvt_warp_reduce_kernelILb0ELi1024EiPK19rocblas_complex_numIdES3_KPS1_EviiT3_lPKT2_lT1_lS9_lSA_lS6_lPT4_lSA_li: ; @_ZL32rocblas_gemvt_warp_reduce_kernelILb0ELi1024EiPK19rocblas_complex_numIdES3_KPS1_EviiT3_lPKT2_lT1_lS9_lSA_lS6_lPT4_lSA_li
; %bb.0:
	s_load_b32 s33, s[0:1], 0x88
	s_bfe_u32 s2, ttmp6, 0x40014
	s_lshr_b32 s3, ttmp7, 16
	s_add_co_i32 s2, s2, 1
	s_bfe_u32 s5, ttmp6, 0x40008
	s_mul_i32 s4, s3, s2
	s_getreg_b32 s2, hwreg(HW_REG_IB_STS2, 6, 4)
	s_add_co_i32 s5, s5, s4
	s_cmp_eq_u32 s2, 0
	s_mov_b32 s7, 0
	s_cselect_b32 s6, s3, s5
	s_wait_kmcnt 0x0
	s_cmp_ge_u32 s6, s33
	s_cbranch_scc1 .LBB364_39
; %bb.1:
	s_clause 0x6
	s_load_b32 s4, s[0:1], 0x0
	s_load_b256 s[8:15], s[0:1], 0x8
	s_load_b32 s3, s[0:1], 0x28
	s_load_b128 s[24:27], s[0:1], 0x38
	s_load_b32 s5, s[0:1], 0x48
	s_load_b256 s[16:23], s[0:1], 0x58
	s_load_b32 s29, s[0:1], 0x78
	s_wait_xcnt 0x0
	s_bfe_u32 s1, ttmp6, 0x4000c
	s_and_b32 s28, ttmp6, 15
	s_add_co_i32 s1, s1, 1
	v_dual_mov_b32 v19, 0 :: v_dual_bitop2_b32 v2, 31, v0 bitop3:0x40
	s_mul_i32 s30, ttmp9, s1
	v_lshrrev_b32_e32 v3, 1, v0
	s_add_co_i32 s28, s28, s30
	s_cmp_eq_u32 s2, 0
	v_lshlrev_b32_e32 v1, 4, v2
	s_cselect_b32 s30, ttmp9, s28
	v_and_b32_e32 v28, 0x1f0, v3
	v_cmp_eq_u32_e64 s0, 0, v0
	s_wait_kmcnt 0x0
	s_ashr_i32 s2, s4, 31
	v_cmp_gt_i32_e32 vcc_lo, s4, v0
	s_lshr_b32 s28, s2, 22
	v_cmp_eq_u32_e64 s2, 0, v2
	s_add_co_i32 s28, s4, s28
	v_mul_lo_u32 v29, v0, s5
	s_and_b32 s28, s28, 0xfffffc00
	s_delay_alu instid0(SALU_CYCLE_1)
	v_dual_cndmask_b32 v2, 0, v0, vcc_lo :: v_dual_bitop2_b32 v3, s28, v0 bitop3:0x54
	s_mul_i32 s34, s29, s30
	s_mul_i32 s30, s3, s30
	v_cmp_gt_u32_e64 s1, 32, v0
	s_ashr_i32 s31, s30, 31
	v_mul_lo_u32 v20, s5, v3
	v_lshlrev_b32_e32 v18, 4, v2
	v_cmp_gt_i32_e64 s3, s28, v0
	v_cmp_gt_i32_e64 s4, s4, v3
	v_mbcnt_lo_u32_b32 v30, -1, 0
	s_ashr_i32 s35, s34, 31
	s_lshl_b32 s36, s5, 10
	s_lshl_b64 s[14:15], s[14:15], 4
	s_ashr_i32 s29, s28, 31
	s_lshl_b64 s[26:27], s[26:27], 4
	s_lshl_b64 s[22:23], s[22:23], 4
	v_ashrrev_i32_e32 v21, 31, v20
	v_lshl_add_u64 v[22:23], s[30:31], 4, v[18:19]
	v_lshlrev_b32_e32 v18, 4, v2
	s_lshl_b64 s[34:35], s[34:35], 4
	s_delay_alu instid0(VALU_DEP_2)
	v_or_b32_e32 v22, 8, v22
	s_branch .LBB364_4
.LBB364_2:                              ;   in Loop: Header=BB364_4 Depth=1
	s_wait_xcnt 0x0
	s_or_b32 exec_lo, exec_lo, s5
.LBB364_3:                              ;   in Loop: Header=BB364_4 Depth=1
	s_add_co_i32 s6, s6, 0x10000
	s_delay_alu instid0(SALU_CYCLE_1)
	s_cmp_lt_u32 s6, s33
	s_cbranch_scc0 .LBB364_39
.LBB364_4:                              ; =>This Loop Header: Depth=1
                                        ;     Child Loop BB364_28 Depth 2
	s_wait_xcnt 0x0
	s_mul_u64 s[38:39], s[10:11], s[6:7]
	s_delay_alu instid0(SALU_CYCLE_1) | instskip(NEXT) | instid1(SALU_CYCLE_1)
	s_lshl_b64 s[38:39], s[38:39], 4
	s_add_nc_u64 s[38:39], s[8:9], s[38:39]
	global_load_b128 v[6:9], v19, s[38:39]
	s_wait_xcnt 0x0
	s_mul_u64 s[38:39], s[18:19], s[6:7]
	s_delay_alu instid0(SALU_CYCLE_1) | instskip(NEXT) | instid1(SALU_CYCLE_1)
	s_lshl_b64 s[38:39], s[38:39], 4
	s_add_nc_u64 s[38:39], s[16:17], s[38:39]
	s_wait_loadcnt 0x1
	global_load_b128 v[2:5], v19, s[38:39]
	s_wait_xcnt 0x0
	s_mov_b32 s38, -1
	s_wait_loadcnt 0x1
	v_cmp_neq_f64_e32 vcc_lo, 0, v[6:7]
	v_cmp_neq_f64_e64 s5, 0, v[8:9]
	s_or_b32 s37, vcc_lo, s5
	s_mov_b32 s5, 0
	s_and_b32 vcc_lo, exec_lo, s37
	s_cbranch_vccz .LBB364_7
; %bb.5:                                ;   in Loop: Header=BB364_4 Depth=1
	s_wait_dscnt 0x0
	v_mov_b64_e32 v[14:15], 0
	s_and_not1_b32 vcc_lo, exec_lo, s38
	s_cbranch_vccz .LBB364_8
.LBB364_6:                              ;   in Loop: Header=BB364_4 Depth=1
	s_and_not1_b32 vcc_lo, exec_lo, s5
	s_cbranch_vccnz .LBB364_3
	s_branch .LBB364_9
.LBB364_7:                              ;   in Loop: Header=BB364_4 Depth=1
	s_wait_loadcnt 0x0
	v_cmp_neq_f64_e32 vcc_lo, 1.0, v[2:3]
	v_cmp_neq_f64_e64 s5, 0, v[4:5]
	s_or_b32 s5, vcc_lo, s5
	s_wait_dscnt 0x0
	v_mov_b64_e32 v[14:15], 0
	s_cbranch_execnz .LBB364_6
.LBB364_8:                              ;   in Loop: Header=BB364_4 Depth=1
	s_lshl_b64 s[38:39], s[6:7], 3
	s_delay_alu instid0(SALU_CYCLE_1)
	s_add_nc_u64 s[38:39], s[12:13], s[38:39]
	global_load_b64 v[10:11], v19, s[38:39]
	s_wait_loadcnt 0x0
	v_add_nc_u64_e32 v[14:15], s[14:15], v[10:11]
.LBB364_9:                              ;   in Loop: Header=BB364_4 Depth=1
	v_mov_b64_e32 v[16:17], 0
	s_and_not1_b32 vcc_lo, exec_lo, s37
	s_cbranch_vccnz .LBB364_11
; %bb.10:                               ;   in Loop: Header=BB364_4 Depth=1
	s_wait_xcnt 0x0
	s_lshl_b64 s[38:39], s[6:7], 3
	s_delay_alu instid0(SALU_CYCLE_1)
	s_add_nc_u64 s[38:39], s[24:25], s[38:39]
	global_load_b64 v[10:11], v19, s[38:39]
	s_wait_loadcnt 0x0
	v_add_nc_u64_e32 v[16:17], s[26:27], v[10:11]
.LBB364_11:                             ;   in Loop: Header=BB364_4 Depth=1
	s_wait_xcnt 0x0
	s_lshl_b64 s[38:39], s[6:7], 3
	s_xor_b32 s5, s37, -1
	s_add_nc_u64 s[38:39], s[20:21], s[38:39]
	s_and_not1_b32 vcc_lo, exec_lo, s5
	global_load_b64 v[10:11], v19, s[38:39]
	s_wait_loadcnt 0x0
	v_add_nc_u64_e32 v[24:25], s[22:23], v[10:11]
	s_cbranch_vccnz .LBB364_16
; %bb.12:                               ;   in Loop: Header=BB364_4 Depth=1
	s_wait_xcnt 0x0
	s_mov_b32 s38, 0
	s_mov_b32 s37, 0
                                        ; implicit-def: $vgpr12_vgpr13
	s_and_saveexec_b32 s39, s0
	s_cbranch_execz .LBB364_17
; %bb.13:                               ;   in Loop: Header=BB364_4 Depth=1
	v_cmp_neq_f64_e32 vcc_lo, 0, v[2:3]
	v_cmp_neq_f64_e64 s5, 0, v[4:5]
	v_mov_b64_e32 v[12:13], 0
	v_mov_b64_e32 v[10:11], 0
	s_or_b32 s5, vcc_lo, s5
	s_delay_alu instid0(SALU_CYCLE_1)
	s_and_not1_b32 vcc_lo, exec_lo, s5
	s_cbranch_vccnz .LBB364_15
; %bb.14:                               ;   in Loop: Header=BB364_4 Depth=1
	v_add_nc_u64_e32 v[10:11], s[34:35], v[24:25]
	flat_load_b128 v[32:35], v[10:11]
	s_wait_loadcnt_dscnt 0x0
	s_wait_xcnt 0x0
	v_mul_f64_e32 v[10:11], v[4:5], v[34:35]
	v_mul_f64_e32 v[12:13], v[2:3], v[34:35]
	s_delay_alu instid0(VALU_DEP_2) | instskip(NEXT) | instid1(VALU_DEP_2)
	v_fma_f64 v[10:11], v[2:3], v[32:33], -v[10:11]
	v_fmac_f64_e32 v[12:13], v[4:5], v[32:33]
.LBB364_15:                             ;   in Loop: Header=BB364_4 Depth=1
	s_mov_b32 s37, exec_lo
	s_or_b32 exec_lo, exec_lo, s39
	s_delay_alu instid0(SALU_CYCLE_1)
	s_and_b32 vcc_lo, exec_lo, s38
	s_cbranch_vccnz .LBB364_18
	s_branch .LBB364_37
.LBB364_16:                             ;   in Loop: Header=BB364_4 Depth=1
	s_wait_xcnt 0x0
	s_mov_b32 s37, 0
                                        ; implicit-def: $vgpr12_vgpr13
	s_cbranch_execnz .LBB364_18
	s_branch .LBB364_37
.LBB364_17:                             ;   in Loop: Header=BB364_4 Depth=1
	s_or_b32 exec_lo, exec_lo, s39
	s_delay_alu instid0(SALU_CYCLE_1)
	s_and_b32 vcc_lo, exec_lo, s38
	s_cbranch_vccz .LBB364_37
.LBB364_18:                             ;   in Loop: Header=BB364_4 Depth=1
	v_mov_b64_e32 v[10:11], 0
	v_mov_b64_e32 v[12:13], 0
	s_and_saveexec_b32 s5, s3
	s_cbranch_execnz .LBB364_27
; %bb.19:                               ;   in Loop: Header=BB364_4 Depth=1
	s_or_b32 exec_lo, exec_lo, s5
	s_and_saveexec_b32 s5, s4
	s_cbranch_execnz .LBB364_30
.LBB364_20:                             ;   in Loop: Header=BB364_4 Depth=1
	s_or_b32 exec_lo, exec_lo, s5
	s_and_saveexec_b32 s5, s1
.LBB364_21:                             ;   in Loop: Header=BB364_4 Depth=1
	v_dual_mov_b32 v14, v19 :: v_dual_mov_b32 v15, v19
	v_dual_mov_b32 v16, v19 :: v_dual_mov_b32 v17, v19
	ds_store_b128 v1, v[14:17]
.LBB364_22:                             ;   in Loop: Header=BB364_4 Depth=1
	s_or_b32 exec_lo, exec_lo, s5
	v_lshl_or_b32 v26, v30, 2, 64
	v_cmp_gt_u32_e32 vcc_lo, 24, v30
	s_wait_dscnt 0x0
	s_barrier_signal -1
	s_barrier_wait -1
	ds_bpermute_b32 v14, v26, v12
	ds_bpermute_b32 v15, v26, v13
	;; [unrolled: 1-line block ×4, first 2 shown]
	s_wait_dscnt 0x0
	v_add_f64_e32 v[12:13], v[12:13], v[14:15]
	v_cndmask_b32_e64 v14, 0, 8, vcc_lo
	v_add_f64_e32 v[10:11], v[10:11], v[16:17]
	v_cmp_gt_u32_e32 vcc_lo, 28, v30
	s_delay_alu instid0(VALU_DEP_3)
	v_add_lshl_u32 v27, v14, v30, 2
	ds_bpermute_b32 v14, v27, v12
	ds_bpermute_b32 v15, v27, v13
	;; [unrolled: 1-line block ×4, first 2 shown]
	s_wait_dscnt 0x2
	v_add_f64_e32 v[12:13], v[12:13], v[14:15]
	v_cndmask_b32_e64 v14, 0, 4, vcc_lo
	s_wait_dscnt 0x0
	v_add_f64_e32 v[10:11], v[10:11], v[16:17]
	v_cmp_gt_u32_e32 vcc_lo, 30, v30
	s_delay_alu instid0(VALU_DEP_3)
	v_add_lshl_u32 v31, v14, v30, 2
	ds_bpermute_b32 v14, v31, v12
	ds_bpermute_b32 v15, v31, v13
	;; [unrolled: 1-line block ×4, first 2 shown]
	s_wait_dscnt 0x2
	v_add_f64_e32 v[12:13], v[12:13], v[14:15]
	s_wait_dscnt 0x0
	v_add_f64_e32 v[14:15], v[10:11], v[16:17]
	v_cndmask_b32_e64 v10, 0, 2, vcc_lo
	v_cmp_ne_u32_e32 vcc_lo, 31, v30
	s_delay_alu instid0(VALU_DEP_2)
	v_add_lshl_u32 v32, v10, v30, 2
	ds_bpermute_b32 v10, v32, v12
	ds_bpermute_b32 v11, v32, v13
	ds_bpermute_b32 v16, v32, v14
	ds_bpermute_b32 v17, v32, v15
	s_wait_dscnt 0x2
	v_add_f64_e32 v[10:11], v[12:13], v[10:11]
	s_wait_dscnt 0x0
	v_add_f64_e32 v[12:13], v[14:15], v[16:17]
	v_add_co_ci_u32_e64 v14, null, 0, v30, vcc_lo
	s_delay_alu instid0(VALU_DEP_1)
	v_lshlrev_b32_e32 v33, 2, v14
	ds_bpermute_b32 v14, v33, v10
	ds_bpermute_b32 v15, v33, v11
	;; [unrolled: 1-line block ×4, first 2 shown]
	s_and_saveexec_b32 s5, s2
	s_cbranch_execz .LBB364_24
; %bb.23:                               ;   in Loop: Header=BB364_4 Depth=1
	s_wait_dscnt 0x0
	v_add_f64_e32 v[12:13], v[12:13], v[16:17]
	v_add_f64_e32 v[10:11], v[10:11], v[14:15]
	ds_store_b128 v28, v[10:13]
.LBB364_24:                             ;   in Loop: Header=BB364_4 Depth=1
	s_or_b32 exec_lo, exec_lo, s5
	s_wait_dscnt 0x0
	v_mov_b64_e32 v[16:17], 0
	v_mov_b64_e32 v[14:15], 0
	s_barrier_signal -1
	s_barrier_wait -1
	s_and_saveexec_b32 s5, s1
	s_cbranch_execnz .LBB364_31
; %bb.25:                               ;   in Loop: Header=BB364_4 Depth=1
	s_or_b32 exec_lo, exec_lo, s5
	s_and_saveexec_b32 s5, s1
	s_cbranch_execnz .LBB364_32
.LBB364_26:                             ;   in Loop: Header=BB364_4 Depth=1
	s_or_b32 exec_lo, exec_lo, s5
                                        ; implicit-def: $vgpr12_vgpr13
	s_and_saveexec_b32 s38, s0
	s_cbranch_execnz .LBB364_33
	s_branch .LBB364_36
.LBB364_27:                             ;   in Loop: Header=BB364_4 Depth=1
	v_add_nc_u64_e32 v[26:27], v[14:15], v[22:23]
	v_mov_b64_e32 v[10:11], 0
	v_mov_b64_e32 v[12:13], 0
	v_dual_mov_b32 v31, v0 :: v_dual_mov_b32 v32, v29
	s_mov_b32 s38, 0
.LBB364_28:                             ;   Parent Loop BB364_4 Depth=1
                                        ; =>  This Inner Loop Header: Depth=2
	v_readfirstlane_b32 s40, v16
	v_readfirstlane_b32 s41, v17
	s_delay_alu instid0(VALU_DEP_3)
	v_add_nc_u32_e32 v31, 0x400, v31
	flat_load_b128 v[34:37], v[26:27] offset:-8
	flat_load_b128 v[38:41], v32, s[40:41] scale_offset
	s_wait_xcnt 0x1
	v_add_nc_u64_e32 v[26:27], 0x4000, v[26:27]
	v_cmp_le_i32_e32 vcc_lo, s28, v31
	s_wait_xcnt 0x0
	v_add_nc_u32_e32 v32, s36, v32
	s_or_b32 s38, vcc_lo, s38
	s_wait_loadcnt_dscnt 0x0
	v_mul_f64_e32 v[42:43], v[36:37], v[40:41]
	v_mul_f64_e32 v[40:41], v[34:35], v[40:41]
	s_delay_alu instid0(VALU_DEP_2) | instskip(NEXT) | instid1(VALU_DEP_2)
	v_fma_f64 v[34:35], v[34:35], v[38:39], -v[42:43]
	v_fmac_f64_e32 v[40:41], v[36:37], v[38:39]
	s_delay_alu instid0(VALU_DEP_2) | instskip(NEXT) | instid1(VALU_DEP_2)
	v_add_f64_e32 v[12:13], v[12:13], v[34:35]
	v_add_f64_e32 v[10:11], v[10:11], v[40:41]
	s_and_not1_b32 exec_lo, exec_lo, s38
	s_cbranch_execnz .LBB364_28
; %bb.29:                               ;   in Loop: Header=BB364_4 Depth=1
	s_or_b32 exec_lo, exec_lo, s38
	s_delay_alu instid0(SALU_CYCLE_1)
	s_or_b32 exec_lo, exec_lo, s5
	s_and_saveexec_b32 s5, s4
	s_cbranch_execz .LBB364_20
.LBB364_30:                             ;   in Loop: Header=BB364_4 Depth=1
	v_add_nc_u64_e32 v[14:15], v[14:15], v[18:19]
	v_lshl_add_u64 v[26:27], v[20:21], 4, v[16:17]
	s_delay_alu instid0(VALU_DEP_2) | instskip(NEXT) | instid1(VALU_DEP_1)
	v_lshl_add_u64 v[14:15], s[30:31], 4, v[14:15]
	v_lshl_add_u64 v[36:37], s[28:29], 4, v[14:15]
	flat_load_b128 v[14:17], v[26:27]
	flat_load_b128 v[32:35], v[36:37]
	s_wait_loadcnt_dscnt 0x0
	s_wait_xcnt 0x1
	v_mul_f64_e32 v[26:27], v[34:35], v[16:17]
	v_mul_f64_e32 v[16:17], v[32:33], v[16:17]
	s_delay_alu instid0(VALU_DEP_2) | instskip(NEXT) | instid1(VALU_DEP_2)
	v_fma_f64 v[26:27], v[32:33], v[14:15], -v[26:27]
	v_fmac_f64_e32 v[16:17], v[34:35], v[14:15]
	s_delay_alu instid0(VALU_DEP_2) | instskip(NEXT) | instid1(VALU_DEP_2)
	v_add_f64_e32 v[12:13], v[12:13], v[26:27]
	v_add_f64_e32 v[10:11], v[10:11], v[16:17]
	s_wait_xcnt 0x0
	s_or_b32 exec_lo, exec_lo, s5
	s_and_saveexec_b32 s5, s1
	s_cbranch_execnz .LBB364_21
	s_branch .LBB364_22
.LBB364_31:                             ;   in Loop: Header=BB364_4 Depth=1
	ds_load_b128 v[14:17], v1
	s_or_b32 exec_lo, exec_lo, s5
	s_and_saveexec_b32 s5, s1
	s_cbranch_execz .LBB364_26
.LBB364_32:                             ;   in Loop: Header=BB364_4 Depth=1
	s_wait_dscnt 0x0
	ds_bpermute_b32 v10, v26, v14
	ds_bpermute_b32 v11, v26, v15
	ds_bpermute_b32 v12, v26, v16
	ds_bpermute_b32 v13, v26, v17
	s_wait_dscnt 0x2
	v_add_f64_e32 v[10:11], v[14:15], v[10:11]
	s_wait_dscnt 0x0
	v_add_f64_e32 v[12:13], v[16:17], v[12:13]
	ds_bpermute_b32 v14, v27, v10
	ds_bpermute_b32 v15, v27, v11
	ds_bpermute_b32 v16, v27, v12
	ds_bpermute_b32 v17, v27, v13
	s_wait_dscnt 0x2
	v_add_f64_e32 v[10:11], v[10:11], v[14:15]
	s_wait_dscnt 0x0
	v_add_f64_e32 v[12:13], v[12:13], v[16:17]
	;; [unrolled: 8-line block ×5, first 2 shown]
	s_or_b32 exec_lo, exec_lo, s5
                                        ; implicit-def: $vgpr12_vgpr13
	s_and_saveexec_b32 s38, s0
	s_cbranch_execz .LBB364_36
.LBB364_33:                             ;   in Loop: Header=BB364_4 Depth=1
	s_wait_dscnt 0x0
	s_delay_alu instid0(VALU_DEP_1) | instskip(SKIP_3) | instid1(VALU_DEP_4)
	v_mul_f64_e32 v[10:11], v[8:9], v[16:17]
	v_mul_f64_e32 v[12:13], v[6:7], v[16:17]
	v_cmp_neq_f64_e32 vcc_lo, 0, v[2:3]
	v_cmp_neq_f64_e64 s5, 0, v[4:5]
	v_fma_f64 v[10:11], v[6:7], v[14:15], -v[10:11]
	s_delay_alu instid0(VALU_DEP_4) | instskip(SKIP_1) | instid1(SALU_CYCLE_1)
	v_fmac_f64_e32 v[12:13], v[8:9], v[14:15]
	s_or_b32 s5, vcc_lo, s5
	s_and_not1_b32 vcc_lo, exec_lo, s5
	s_cbranch_vccnz .LBB364_35
; %bb.34:                               ;   in Loop: Header=BB364_4 Depth=1
	v_add_nc_u64_e32 v[6:7], s[34:35], v[24:25]
	flat_load_b128 v[6:9], v[6:7]
	s_wait_loadcnt_dscnt 0x0
	v_mul_f64_e32 v[14:15], v[4:5], v[8:9]
	v_mul_f64_e32 v[8:9], v[2:3], v[8:9]
	s_delay_alu instid0(VALU_DEP_2) | instskip(NEXT) | instid1(VALU_DEP_2)
	v_fma_f64 v[2:3], v[2:3], v[6:7], -v[14:15]
	v_fmac_f64_e32 v[8:9], v[4:5], v[6:7]
	s_delay_alu instid0(VALU_DEP_2) | instskip(NEXT) | instid1(VALU_DEP_2)
	v_add_f64_e32 v[10:11], v[10:11], v[2:3]
	v_add_f64_e32 v[12:13], v[12:13], v[8:9]
.LBB364_35:                             ;   in Loop: Header=BB364_4 Depth=1
	s_or_b32 s37, s37, exec_lo
.LBB364_36:                             ;   in Loop: Header=BB364_4 Depth=1
	s_wait_xcnt 0x0
	s_or_b32 exec_lo, exec_lo, s38
.LBB364_37:                             ;   in Loop: Header=BB364_4 Depth=1
	s_and_saveexec_b32 s5, s37
	s_cbranch_execz .LBB364_2
; %bb.38:                               ;   in Loop: Header=BB364_4 Depth=1
	v_add_nc_u64_e32 v[2:3], s[34:35], v[24:25]
	flat_store_b128 v[2:3], v[10:13]
	s_branch .LBB364_2
.LBB364_39:
	s_endpgm
	.section	.rodata,"a",@progbits
	.p2align	6, 0x0
	.amdhsa_kernel _ZL32rocblas_gemvt_warp_reduce_kernelILb0ELi1024EiPK19rocblas_complex_numIdES3_KPS1_EviiT3_lPKT2_lT1_lS9_lSA_lS6_lPT4_lSA_li
		.amdhsa_group_segment_fixed_size 512
		.amdhsa_private_segment_fixed_size 0
		.amdhsa_kernarg_size 140
		.amdhsa_user_sgpr_count 2
		.amdhsa_user_sgpr_dispatch_ptr 0
		.amdhsa_user_sgpr_queue_ptr 0
		.amdhsa_user_sgpr_kernarg_segment_ptr 1
		.amdhsa_user_sgpr_dispatch_id 0
		.amdhsa_user_sgpr_kernarg_preload_length 0
		.amdhsa_user_sgpr_kernarg_preload_offset 0
		.amdhsa_user_sgpr_private_segment_size 0
		.amdhsa_wavefront_size32 1
		.amdhsa_uses_dynamic_stack 0
		.amdhsa_enable_private_segment 0
		.amdhsa_system_sgpr_workgroup_id_x 1
		.amdhsa_system_sgpr_workgroup_id_y 0
		.amdhsa_system_sgpr_workgroup_id_z 1
		.amdhsa_system_sgpr_workgroup_info 0
		.amdhsa_system_vgpr_workitem_id 0
		.amdhsa_next_free_vgpr 44
		.amdhsa_next_free_sgpr 42
		.amdhsa_named_barrier_count 0
		.amdhsa_reserve_vcc 1
		.amdhsa_float_round_mode_32 0
		.amdhsa_float_round_mode_16_64 0
		.amdhsa_float_denorm_mode_32 3
		.amdhsa_float_denorm_mode_16_64 3
		.amdhsa_fp16_overflow 0
		.amdhsa_memory_ordered 1
		.amdhsa_forward_progress 1
		.amdhsa_inst_pref_size 17
		.amdhsa_round_robin_scheduling 0
		.amdhsa_exception_fp_ieee_invalid_op 0
		.amdhsa_exception_fp_denorm_src 0
		.amdhsa_exception_fp_ieee_div_zero 0
		.amdhsa_exception_fp_ieee_overflow 0
		.amdhsa_exception_fp_ieee_underflow 0
		.amdhsa_exception_fp_ieee_inexact 0
		.amdhsa_exception_int_div_zero 0
	.end_amdhsa_kernel
	.section	.text._ZL32rocblas_gemvt_warp_reduce_kernelILb0ELi1024EiPK19rocblas_complex_numIdES3_KPS1_EviiT3_lPKT2_lT1_lS9_lSA_lS6_lPT4_lSA_li,"axG",@progbits,_ZL32rocblas_gemvt_warp_reduce_kernelILb0ELi1024EiPK19rocblas_complex_numIdES3_KPS1_EviiT3_lPKT2_lT1_lS9_lSA_lS6_lPT4_lSA_li,comdat
.Lfunc_end364:
	.size	_ZL32rocblas_gemvt_warp_reduce_kernelILb0ELi1024EiPK19rocblas_complex_numIdES3_KPS1_EviiT3_lPKT2_lT1_lS9_lSA_lS6_lPT4_lSA_li, .Lfunc_end364-_ZL32rocblas_gemvt_warp_reduce_kernelILb0ELi1024EiPK19rocblas_complex_numIdES3_KPS1_EviiT3_lPKT2_lT1_lS9_lSA_lS6_lPT4_lSA_li
                                        ; -- End function
	.set _ZL32rocblas_gemvt_warp_reduce_kernelILb0ELi1024EiPK19rocblas_complex_numIdES3_KPS1_EviiT3_lPKT2_lT1_lS9_lSA_lS6_lPT4_lSA_li.num_vgpr, 44
	.set _ZL32rocblas_gemvt_warp_reduce_kernelILb0ELi1024EiPK19rocblas_complex_numIdES3_KPS1_EviiT3_lPKT2_lT1_lS9_lSA_lS6_lPT4_lSA_li.num_agpr, 0
	.set _ZL32rocblas_gemvt_warp_reduce_kernelILb0ELi1024EiPK19rocblas_complex_numIdES3_KPS1_EviiT3_lPKT2_lT1_lS9_lSA_lS6_lPT4_lSA_li.numbered_sgpr, 42
	.set _ZL32rocblas_gemvt_warp_reduce_kernelILb0ELi1024EiPK19rocblas_complex_numIdES3_KPS1_EviiT3_lPKT2_lT1_lS9_lSA_lS6_lPT4_lSA_li.num_named_barrier, 0
	.set _ZL32rocblas_gemvt_warp_reduce_kernelILb0ELi1024EiPK19rocblas_complex_numIdES3_KPS1_EviiT3_lPKT2_lT1_lS9_lSA_lS6_lPT4_lSA_li.private_seg_size, 0
	.set _ZL32rocblas_gemvt_warp_reduce_kernelILb0ELi1024EiPK19rocblas_complex_numIdES3_KPS1_EviiT3_lPKT2_lT1_lS9_lSA_lS6_lPT4_lSA_li.uses_vcc, 1
	.set _ZL32rocblas_gemvt_warp_reduce_kernelILb0ELi1024EiPK19rocblas_complex_numIdES3_KPS1_EviiT3_lPKT2_lT1_lS9_lSA_lS6_lPT4_lSA_li.uses_flat_scratch, 0
	.set _ZL32rocblas_gemvt_warp_reduce_kernelILb0ELi1024EiPK19rocblas_complex_numIdES3_KPS1_EviiT3_lPKT2_lT1_lS9_lSA_lS6_lPT4_lSA_li.has_dyn_sized_stack, 0
	.set _ZL32rocblas_gemvt_warp_reduce_kernelILb0ELi1024EiPK19rocblas_complex_numIdES3_KPS1_EviiT3_lPKT2_lT1_lS9_lSA_lS6_lPT4_lSA_li.has_recursion, 0
	.set _ZL32rocblas_gemvt_warp_reduce_kernelILb0ELi1024EiPK19rocblas_complex_numIdES3_KPS1_EviiT3_lPKT2_lT1_lS9_lSA_lS6_lPT4_lSA_li.has_indirect_call, 0
	.section	.AMDGPU.csdata,"",@progbits
; Kernel info:
; codeLenInByte = 2052
; TotalNumSgprs: 44
; NumVgprs: 44
; ScratchSize: 0
; MemoryBound: 0
; FloatMode: 240
; IeeeMode: 1
; LDSByteSize: 512 bytes/workgroup (compile time only)
; SGPRBlocks: 0
; VGPRBlocks: 2
; NumSGPRsForWavesPerEU: 44
; NumVGPRsForWavesPerEU: 44
; NamedBarCnt: 0
; Occupancy: 16
; WaveLimiterHint : 1
; COMPUTE_PGM_RSRC2:SCRATCH_EN: 0
; COMPUTE_PGM_RSRC2:USER_SGPR: 2
; COMPUTE_PGM_RSRC2:TRAP_HANDLER: 0
; COMPUTE_PGM_RSRC2:TGID_X_EN: 1
; COMPUTE_PGM_RSRC2:TGID_Y_EN: 0
; COMPUTE_PGM_RSRC2:TGID_Z_EN: 1
; COMPUTE_PGM_RSRC2:TIDIG_COMP_CNT: 0
	.section	.text._ZL32rocblas_gemvt_warp_reduce_kernelILb0ELi1024ElPK19rocblas_complex_numIdES3_KPS1_EviiT3_lPKT2_lT1_lS9_lSA_lS6_lPT4_lSA_li,"axG",@progbits,_ZL32rocblas_gemvt_warp_reduce_kernelILb0ELi1024ElPK19rocblas_complex_numIdES3_KPS1_EviiT3_lPKT2_lT1_lS9_lSA_lS6_lPT4_lSA_li,comdat
	.globl	_ZL32rocblas_gemvt_warp_reduce_kernelILb0ELi1024ElPK19rocblas_complex_numIdES3_KPS1_EviiT3_lPKT2_lT1_lS9_lSA_lS6_lPT4_lSA_li ; -- Begin function _ZL32rocblas_gemvt_warp_reduce_kernelILb0ELi1024ElPK19rocblas_complex_numIdES3_KPS1_EviiT3_lPKT2_lT1_lS9_lSA_lS6_lPT4_lSA_li
	.p2align	8
	.type	_ZL32rocblas_gemvt_warp_reduce_kernelILb0ELi1024ElPK19rocblas_complex_numIdES3_KPS1_EviiT3_lPKT2_lT1_lS9_lSA_lS6_lPT4_lSA_li,@function
_ZL32rocblas_gemvt_warp_reduce_kernelILb0ELi1024ElPK19rocblas_complex_numIdES3_KPS1_EviiT3_lPKT2_lT1_lS9_lSA_lS6_lPT4_lSA_li: ; @_ZL32rocblas_gemvt_warp_reduce_kernelILb0ELi1024ElPK19rocblas_complex_numIdES3_KPS1_EviiT3_lPKT2_lT1_lS9_lSA_lS6_lPT4_lSA_li
; %bb.0:
	s_load_b32 s33, s[0:1], 0x88
	s_bfe_u32 s2, ttmp6, 0x40014
	s_lshr_b32 s3, ttmp7, 16
	s_add_co_i32 s2, s2, 1
	s_bfe_u32 s5, ttmp6, 0x40008
	s_mul_i32 s4, s3, s2
	s_getreg_b32 s2, hwreg(HW_REG_IB_STS2, 6, 4)
	s_add_co_i32 s5, s5, s4
	s_cmp_eq_u32 s2, 0
	s_mov_b32 s7, 0
	s_cselect_b32 s6, s3, s5
	s_wait_kmcnt 0x0
	s_cmp_ge_u32 s6, s33
	s_cbranch_scc1 .LBB365_39
; %bb.1:
	s_clause 0x1
	s_load_b32 s29, s[0:1], 0x0
	s_load_b64 s[34:35], s[0:1], 0x48
	s_bfe_u32 s3, ttmp6, 0x4000c
	s_and_b32 s4, ttmp6, 15
	s_add_co_i32 s3, s3, 1
	s_clause 0x2
	s_load_b256 s[8:15], s[0:1], 0x8
	s_load_b128 s[24:27], s[0:1], 0x38
	s_load_b256 s[16:23], s[0:1], 0x58
	s_mul_i32 s3, ttmp9, s3
	v_mbcnt_lo_u32_b32 v33, -1, 0
	s_add_co_i32 s4, s4, s3
	s_cmp_eq_u32 s2, 0
	s_load_b64 s[30:31], s[0:1], 0x28
	s_cselect_b32 s2, ttmp9, s4
	s_load_b64 s[4:5], s[0:1], 0x78
	s_wait_xcnt 0x0
	v_cmp_eq_u32_e64 s0, 0, v0
	s_wait_kmcnt 0x0
	s_ashr_i32 s3, s29, 31
	v_cmp_gt_i32_e32 vcc_lo, s29, v0
	s_lshr_b32 s3, s3, 22
	s_lshl_b64 s[14:15], s[14:15], 4
	s_add_co_i32 s3, s29, s3
	s_lshl_b64 s[26:27], s[26:27], 4
	s_and_b32 s28, s3, 0xfffffc00
	s_delay_alu instid0(SALU_CYCLE_1) | instskip(SKIP_3) | instid1(VALU_DEP_3)
	v_dual_mov_b32 v19, 0 :: v_dual_bitop2_b32 v4, s28, v0 bitop3:0x54
	v_cndmask_b32_e32 v6, 0, v0, vcc_lo
	s_ashr_i32 s3, s2, 31
	v_cmp_gt_i32_e64 s1, s28, v0
	v_dual_mov_b32 v1, v19 :: v_dual_ashrrev_i32 v5, 31, v4
	s_mul_u64 s[36:37], s[4:5], s[2:3]
	s_mul_u64 s[30:31], s[30:31], s[2:3]
	v_cmp_gt_i32_e64 s2, s29, v4
	s_delay_alu instid0(VALU_DEP_2)
	v_mul_u64_e32 v[2:3], s[34:35], v[0:1]
	v_mul_u64_e32 v[20:21], s[34:35], v[4:5]
	v_dual_lshlrev_b32 v18, 4, v6 :: v_dual_bitop2_b32 v4, 31, v0 bitop3:0x40
	v_lshrrev_b32_e32 v5, 1, v0
	v_cmp_gt_u32_e64 s3, 32, v0
	s_ashr_i32 s29, s28, 31
	v_cmp_eq_u32_e64 s4, 0, v4
	v_lshl_add_u64 v[24:25], s[30:31], 4, v[18:19]
	v_and_b32_e32 v32, 0x1f0, v5
	s_lshl_b64 s[34:35], s[34:35], 14
	v_lshlrev_b32_e32 v18, 4, v6
	s_lshl_b64 s[22:23], s[22:23], 4
	v_or_b32_e32 v24, 8, v24
	s_lshl_b64 s[36:37], s[36:37], 4
	v_lshlrev_b64_e32 v[22:23], 4, v[2:3]
	s_delay_alu instid0(VALU_DEP_1)
	v_dual_lshlrev_b32 v1, 4, v4 :: v_dual_bitop2_b32 v22, 8, v22 bitop3:0x54
	s_branch .LBB365_4
.LBB365_2:                              ;   in Loop: Header=BB365_4 Depth=1
	s_wait_xcnt 0x0
	s_or_b32 exec_lo, exec_lo, s5
.LBB365_3:                              ;   in Loop: Header=BB365_4 Depth=1
	s_add_co_i32 s6, s6, 0x10000
	s_delay_alu instid0(SALU_CYCLE_1)
	s_cmp_lt_u32 s6, s33
	s_cbranch_scc0 .LBB365_39
.LBB365_4:                              ; =>This Loop Header: Depth=1
                                        ;     Child Loop BB365_28 Depth 2
	s_mul_u64 s[38:39], s[10:11], s[6:7]
	s_delay_alu instid0(SALU_CYCLE_1) | instskip(NEXT) | instid1(SALU_CYCLE_1)
	s_lshl_b64 s[38:39], s[38:39], 4
	s_add_nc_u64 s[38:39], s[8:9], s[38:39]
	global_load_b128 v[6:9], v19, s[38:39]
	s_wait_xcnt 0x0
	s_mul_u64 s[38:39], s[18:19], s[6:7]
	s_delay_alu instid0(SALU_CYCLE_1) | instskip(NEXT) | instid1(SALU_CYCLE_1)
	s_lshl_b64 s[38:39], s[38:39], 4
	s_add_nc_u64 s[38:39], s[16:17], s[38:39]
	s_wait_loadcnt 0x1
	global_load_b128 v[2:5], v19, s[38:39]
	s_wait_xcnt 0x0
	s_mov_b32 s39, -1
	s_wait_loadcnt 0x1
	v_cmp_neq_f64_e32 vcc_lo, 0, v[6:7]
	v_cmp_neq_f64_e64 s5, 0, v[8:9]
	s_or_b32 s38, vcc_lo, s5
	s_mov_b32 s5, 0
	s_and_b32 vcc_lo, exec_lo, s38
	s_cbranch_vccz .LBB365_7
; %bb.5:                                ;   in Loop: Header=BB365_4 Depth=1
	s_wait_dscnt 0x0
	v_mov_b64_e32 v[14:15], 0
	s_and_not1_b32 vcc_lo, exec_lo, s39
	s_cbranch_vccz .LBB365_8
.LBB365_6:                              ;   in Loop: Header=BB365_4 Depth=1
	s_and_not1_b32 vcc_lo, exec_lo, s5
	s_cbranch_vccnz .LBB365_3
	s_branch .LBB365_9
.LBB365_7:                              ;   in Loop: Header=BB365_4 Depth=1
	s_wait_loadcnt 0x0
	v_cmp_neq_f64_e32 vcc_lo, 1.0, v[2:3]
	v_cmp_neq_f64_e64 s5, 0, v[4:5]
	s_or_b32 s5, vcc_lo, s5
	s_wait_dscnt 0x0
	v_mov_b64_e32 v[14:15], 0
	s_cbranch_execnz .LBB365_6
.LBB365_8:                              ;   in Loop: Header=BB365_4 Depth=1
	s_lshl_b64 s[40:41], s[6:7], 3
	s_delay_alu instid0(SALU_CYCLE_1)
	s_add_nc_u64 s[40:41], s[12:13], s[40:41]
	global_load_b64 v[10:11], v19, s[40:41]
	s_wait_loadcnt 0x0
	v_add_nc_u64_e32 v[14:15], s[14:15], v[10:11]
.LBB365_9:                              ;   in Loop: Header=BB365_4 Depth=1
	v_mov_b64_e32 v[16:17], 0
	s_and_not1_b32 vcc_lo, exec_lo, s38
	s_cbranch_vccnz .LBB365_11
; %bb.10:                               ;   in Loop: Header=BB365_4 Depth=1
	s_wait_xcnt 0x0
	s_lshl_b64 s[40:41], s[6:7], 3
	s_delay_alu instid0(SALU_CYCLE_1)
	s_add_nc_u64 s[40:41], s[24:25], s[40:41]
	global_load_b64 v[10:11], v19, s[40:41]
	s_wait_loadcnt 0x0
	v_add_nc_u64_e32 v[16:17], s[26:27], v[10:11]
.LBB365_11:                             ;   in Loop: Header=BB365_4 Depth=1
	s_wait_xcnt 0x0
	s_lshl_b64 s[40:41], s[6:7], 3
	s_xor_b32 s5, s38, -1
	s_add_nc_u64 s[40:41], s[20:21], s[40:41]
	s_and_not1_b32 vcc_lo, exec_lo, s5
	global_load_b64 v[10:11], v19, s[40:41]
	s_wait_loadcnt 0x0
	v_add_nc_u64_e32 v[26:27], s[22:23], v[10:11]
	s_cbranch_vccnz .LBB365_16
; %bb.12:                               ;   in Loop: Header=BB365_4 Depth=1
	s_mov_b32 s39, 0
	s_mov_b32 s38, 0
                                        ; implicit-def: $vgpr12_vgpr13
	s_wait_xcnt 0x0
	s_and_saveexec_b32 s40, s0
	s_cbranch_execz .LBB365_17
; %bb.13:                               ;   in Loop: Header=BB365_4 Depth=1
	v_cmp_neq_f64_e32 vcc_lo, 0, v[2:3]
	v_cmp_neq_f64_e64 s5, 0, v[4:5]
	v_mov_b64_e32 v[12:13], 0
	v_mov_b64_e32 v[10:11], 0
	s_or_b32 s5, vcc_lo, s5
	s_delay_alu instid0(SALU_CYCLE_1)
	s_and_not1_b32 vcc_lo, exec_lo, s5
	s_cbranch_vccnz .LBB365_15
; %bb.14:                               ;   in Loop: Header=BB365_4 Depth=1
	v_add_nc_u64_e32 v[10:11], s[36:37], v[26:27]
	flat_load_b128 v[28:31], v[10:11]
	s_wait_loadcnt_dscnt 0x0
	s_wait_xcnt 0x0
	v_mul_f64_e32 v[10:11], v[4:5], v[30:31]
	v_mul_f64_e32 v[12:13], v[2:3], v[30:31]
	s_delay_alu instid0(VALU_DEP_2) | instskip(NEXT) | instid1(VALU_DEP_2)
	v_fma_f64 v[10:11], v[2:3], v[28:29], -v[10:11]
	v_fmac_f64_e32 v[12:13], v[4:5], v[28:29]
.LBB365_15:                             ;   in Loop: Header=BB365_4 Depth=1
	s_mov_b32 s38, exec_lo
	s_or_b32 exec_lo, exec_lo, s40
	s_delay_alu instid0(SALU_CYCLE_1)
	s_and_b32 vcc_lo, exec_lo, s39
	s_cbranch_vccnz .LBB365_18
	s_branch .LBB365_37
.LBB365_16:                             ;   in Loop: Header=BB365_4 Depth=1
	s_mov_b32 s38, 0
                                        ; implicit-def: $vgpr12_vgpr13
	s_cbranch_execnz .LBB365_18
	s_branch .LBB365_37
.LBB365_17:                             ;   in Loop: Header=BB365_4 Depth=1
	s_or_b32 exec_lo, exec_lo, s40
	s_delay_alu instid0(SALU_CYCLE_1)
	s_and_b32 vcc_lo, exec_lo, s39
	s_cbranch_vccz .LBB365_37
.LBB365_18:                             ;   in Loop: Header=BB365_4 Depth=1
	v_mov_b64_e32 v[10:11], 0
	v_mov_b64_e32 v[12:13], 0
	s_wait_xcnt 0x0
	s_and_saveexec_b32 s5, s1
	s_cbranch_execnz .LBB365_27
; %bb.19:                               ;   in Loop: Header=BB365_4 Depth=1
	s_or_b32 exec_lo, exec_lo, s5
	s_and_saveexec_b32 s5, s2
	s_cbranch_execnz .LBB365_30
.LBB365_20:                             ;   in Loop: Header=BB365_4 Depth=1
	s_or_b32 exec_lo, exec_lo, s5
	s_and_saveexec_b32 s5, s3
.LBB365_21:                             ;   in Loop: Header=BB365_4 Depth=1
	v_dual_mov_b32 v14, v19 :: v_dual_mov_b32 v15, v19
	v_dual_mov_b32 v16, v19 :: v_dual_mov_b32 v17, v19
	ds_store_b128 v1, v[14:17]
.LBB365_22:                             ;   in Loop: Header=BB365_4 Depth=1
	s_or_b32 exec_lo, exec_lo, s5
	v_lshl_or_b32 v28, v33, 2, 64
	v_cmp_gt_u32_e32 vcc_lo, 24, v33
	s_wait_dscnt 0x0
	s_barrier_signal -1
	s_barrier_wait -1
	ds_bpermute_b32 v14, v28, v12
	ds_bpermute_b32 v15, v28, v13
	;; [unrolled: 1-line block ×4, first 2 shown]
	s_wait_dscnt 0x0
	v_add_f64_e32 v[12:13], v[12:13], v[14:15]
	v_cndmask_b32_e64 v14, 0, 8, vcc_lo
	v_add_f64_e32 v[10:11], v[10:11], v[16:17]
	v_cmp_gt_u32_e32 vcc_lo, 28, v33
	s_delay_alu instid0(VALU_DEP_3)
	v_add_lshl_u32 v29, v14, v33, 2
	ds_bpermute_b32 v14, v29, v12
	ds_bpermute_b32 v15, v29, v13
	;; [unrolled: 1-line block ×4, first 2 shown]
	s_wait_dscnt 0x2
	v_add_f64_e32 v[12:13], v[12:13], v[14:15]
	v_cndmask_b32_e64 v14, 0, 4, vcc_lo
	s_wait_dscnt 0x0
	v_add_f64_e32 v[10:11], v[10:11], v[16:17]
	v_cmp_gt_u32_e32 vcc_lo, 30, v33
	s_delay_alu instid0(VALU_DEP_3)
	v_add_lshl_u32 v30, v14, v33, 2
	ds_bpermute_b32 v14, v30, v12
	ds_bpermute_b32 v15, v30, v13
	;; [unrolled: 1-line block ×4, first 2 shown]
	s_wait_dscnt 0x2
	v_add_f64_e32 v[12:13], v[12:13], v[14:15]
	s_wait_dscnt 0x0
	v_add_f64_e32 v[14:15], v[10:11], v[16:17]
	v_cndmask_b32_e64 v10, 0, 2, vcc_lo
	v_cmp_ne_u32_e32 vcc_lo, 31, v33
	s_delay_alu instid0(VALU_DEP_2)
	v_add_lshl_u32 v31, v10, v33, 2
	ds_bpermute_b32 v10, v31, v12
	ds_bpermute_b32 v11, v31, v13
	;; [unrolled: 1-line block ×4, first 2 shown]
	s_wait_dscnt 0x2
	v_add_f64_e32 v[10:11], v[12:13], v[10:11]
	s_wait_dscnt 0x0
	v_add_f64_e32 v[12:13], v[14:15], v[16:17]
	v_add_co_ci_u32_e64 v14, null, 0, v33, vcc_lo
	s_delay_alu instid0(VALU_DEP_1)
	v_lshlrev_b32_e32 v34, 2, v14
	ds_bpermute_b32 v14, v34, v10
	ds_bpermute_b32 v15, v34, v11
	;; [unrolled: 1-line block ×4, first 2 shown]
	s_and_saveexec_b32 s5, s4
	s_cbranch_execz .LBB365_24
; %bb.23:                               ;   in Loop: Header=BB365_4 Depth=1
	s_wait_dscnt 0x0
	v_add_f64_e32 v[12:13], v[12:13], v[16:17]
	v_add_f64_e32 v[10:11], v[10:11], v[14:15]
	ds_store_b128 v32, v[10:13]
.LBB365_24:                             ;   in Loop: Header=BB365_4 Depth=1
	s_or_b32 exec_lo, exec_lo, s5
	s_wait_dscnt 0x0
	v_mov_b64_e32 v[16:17], 0
	v_mov_b64_e32 v[14:15], 0
	s_barrier_signal -1
	s_barrier_wait -1
	s_and_saveexec_b32 s5, s3
	s_cbranch_execnz .LBB365_31
; %bb.25:                               ;   in Loop: Header=BB365_4 Depth=1
	s_or_b32 exec_lo, exec_lo, s5
	s_and_saveexec_b32 s5, s3
	s_cbranch_execnz .LBB365_32
.LBB365_26:                             ;   in Loop: Header=BB365_4 Depth=1
	s_or_b32 exec_lo, exec_lo, s5
                                        ; implicit-def: $vgpr12_vgpr13
	s_and_saveexec_b32 s39, s0
	s_cbranch_execnz .LBB365_33
	s_branch .LBB365_36
.LBB365_27:                             ;   in Loop: Header=BB365_4 Depth=1
	v_add_nc_u64_e32 v[28:29], v[14:15], v[24:25]
	v_add_nc_u64_e32 v[30:31], v[16:17], v[22:23]
	v_mov_b64_e32 v[10:11], 0
	v_mov_b64_e32 v[12:13], 0
	v_mov_b32_e32 v34, v0
	s_mov_b32 s39, 0
.LBB365_28:                             ;   Parent Loop BB365_4 Depth=1
                                        ; =>  This Inner Loop Header: Depth=2
	flat_load_b128 v[36:39], v[28:29] offset:-8
	flat_load_b128 v[40:43], v[30:31] offset:-8
	v_add_nc_u32_e32 v34, 0x400, v34
	s_wait_xcnt 0x1
	v_add_nc_u64_e32 v[28:29], 0x4000, v[28:29]
	s_wait_xcnt 0x0
	v_add_nc_u64_e32 v[30:31], s[34:35], v[30:31]
	v_cmp_le_i32_e32 vcc_lo, s28, v34
	s_or_b32 s39, vcc_lo, s39
	s_wait_loadcnt_dscnt 0x0
	v_mul_f64_e32 v[44:45], v[38:39], v[42:43]
	v_mul_f64_e32 v[42:43], v[36:37], v[42:43]
	s_delay_alu instid0(VALU_DEP_2) | instskip(NEXT) | instid1(VALU_DEP_2)
	v_fma_f64 v[36:37], v[36:37], v[40:41], -v[44:45]
	v_fmac_f64_e32 v[42:43], v[38:39], v[40:41]
	s_delay_alu instid0(VALU_DEP_2) | instskip(NEXT) | instid1(VALU_DEP_2)
	v_add_f64_e32 v[12:13], v[12:13], v[36:37]
	v_add_f64_e32 v[10:11], v[10:11], v[42:43]
	s_and_not1_b32 exec_lo, exec_lo, s39
	s_cbranch_execnz .LBB365_28
; %bb.29:                               ;   in Loop: Header=BB365_4 Depth=1
	s_or_b32 exec_lo, exec_lo, s39
	s_delay_alu instid0(SALU_CYCLE_1)
	s_or_b32 exec_lo, exec_lo, s5
	s_and_saveexec_b32 s5, s2
	s_cbranch_execz .LBB365_20
.LBB365_30:                             ;   in Loop: Header=BB365_4 Depth=1
	v_add_nc_u64_e32 v[14:15], v[14:15], v[18:19]
	v_lshl_add_u64 v[34:35], v[20:21], 4, v[16:17]
	s_delay_alu instid0(VALU_DEP_2) | instskip(NEXT) | instid1(VALU_DEP_1)
	v_lshl_add_u64 v[14:15], s[30:31], 4, v[14:15]
	v_lshl_add_u64 v[36:37], s[28:29], 4, v[14:15]
	flat_load_b128 v[14:17], v[34:35]
	flat_load_b128 v[28:31], v[36:37]
	s_wait_loadcnt_dscnt 0x0
	s_wait_xcnt 0x1
	v_mul_f64_e32 v[34:35], v[30:31], v[16:17]
	v_mul_f64_e32 v[16:17], v[28:29], v[16:17]
	s_delay_alu instid0(VALU_DEP_2) | instskip(NEXT) | instid1(VALU_DEP_2)
	v_fma_f64 v[28:29], v[28:29], v[14:15], -v[34:35]
	v_fmac_f64_e32 v[16:17], v[30:31], v[14:15]
	s_delay_alu instid0(VALU_DEP_2) | instskip(NEXT) | instid1(VALU_DEP_2)
	v_add_f64_e32 v[12:13], v[12:13], v[28:29]
	v_add_f64_e32 v[10:11], v[10:11], v[16:17]
	s_wait_xcnt 0x0
	s_or_b32 exec_lo, exec_lo, s5
	s_and_saveexec_b32 s5, s3
	s_cbranch_execnz .LBB365_21
	s_branch .LBB365_22
.LBB365_31:                             ;   in Loop: Header=BB365_4 Depth=1
	ds_load_b128 v[14:17], v1
	s_or_b32 exec_lo, exec_lo, s5
	s_and_saveexec_b32 s5, s3
	s_cbranch_execz .LBB365_26
.LBB365_32:                             ;   in Loop: Header=BB365_4 Depth=1
	s_wait_dscnt 0x0
	ds_bpermute_b32 v10, v28, v14
	ds_bpermute_b32 v11, v28, v15
	ds_bpermute_b32 v12, v28, v16
	ds_bpermute_b32 v13, v28, v17
	s_wait_dscnt 0x2
	v_add_f64_e32 v[10:11], v[14:15], v[10:11]
	s_wait_dscnt 0x0
	v_add_f64_e32 v[12:13], v[16:17], v[12:13]
	ds_bpermute_b32 v14, v29, v10
	ds_bpermute_b32 v15, v29, v11
	ds_bpermute_b32 v16, v29, v12
	ds_bpermute_b32 v17, v29, v13
	s_wait_dscnt 0x2
	v_add_f64_e32 v[10:11], v[10:11], v[14:15]
	s_wait_dscnt 0x0
	v_add_f64_e32 v[12:13], v[12:13], v[16:17]
	;; [unrolled: 8-line block ×5, first 2 shown]
	s_or_b32 exec_lo, exec_lo, s5
                                        ; implicit-def: $vgpr12_vgpr13
	s_and_saveexec_b32 s39, s0
	s_cbranch_execz .LBB365_36
.LBB365_33:                             ;   in Loop: Header=BB365_4 Depth=1
	s_wait_dscnt 0x0
	s_delay_alu instid0(VALU_DEP_1) | instskip(SKIP_3) | instid1(VALU_DEP_4)
	v_mul_f64_e32 v[10:11], v[8:9], v[16:17]
	v_mul_f64_e32 v[12:13], v[6:7], v[16:17]
	v_cmp_neq_f64_e32 vcc_lo, 0, v[2:3]
	v_cmp_neq_f64_e64 s5, 0, v[4:5]
	v_fma_f64 v[10:11], v[6:7], v[14:15], -v[10:11]
	s_delay_alu instid0(VALU_DEP_4) | instskip(SKIP_1) | instid1(SALU_CYCLE_1)
	v_fmac_f64_e32 v[12:13], v[8:9], v[14:15]
	s_or_b32 s5, vcc_lo, s5
	s_and_not1_b32 vcc_lo, exec_lo, s5
	s_cbranch_vccnz .LBB365_35
; %bb.34:                               ;   in Loop: Header=BB365_4 Depth=1
	v_add_nc_u64_e32 v[6:7], s[36:37], v[26:27]
	flat_load_b128 v[6:9], v[6:7]
	s_wait_loadcnt_dscnt 0x0
	v_mul_f64_e32 v[14:15], v[4:5], v[8:9]
	v_mul_f64_e32 v[8:9], v[2:3], v[8:9]
	s_delay_alu instid0(VALU_DEP_2) | instskip(NEXT) | instid1(VALU_DEP_2)
	v_fma_f64 v[2:3], v[2:3], v[6:7], -v[14:15]
	v_fmac_f64_e32 v[8:9], v[4:5], v[6:7]
	s_delay_alu instid0(VALU_DEP_2) | instskip(NEXT) | instid1(VALU_DEP_2)
	v_add_f64_e32 v[10:11], v[10:11], v[2:3]
	v_add_f64_e32 v[12:13], v[12:13], v[8:9]
.LBB365_35:                             ;   in Loop: Header=BB365_4 Depth=1
	s_or_b32 s38, s38, exec_lo
.LBB365_36:                             ;   in Loop: Header=BB365_4 Depth=1
	s_wait_xcnt 0x0
	s_or_b32 exec_lo, exec_lo, s39
.LBB365_37:                             ;   in Loop: Header=BB365_4 Depth=1
	s_wait_xcnt 0x0
	s_and_saveexec_b32 s5, s38
	s_cbranch_execz .LBB365_2
; %bb.38:                               ;   in Loop: Header=BB365_4 Depth=1
	v_add_nc_u64_e32 v[2:3], s[36:37], v[26:27]
	flat_store_b128 v[2:3], v[10:13]
	s_branch .LBB365_2
.LBB365_39:
	s_endpgm
	.section	.rodata,"a",@progbits
	.p2align	6, 0x0
	.amdhsa_kernel _ZL32rocblas_gemvt_warp_reduce_kernelILb0ELi1024ElPK19rocblas_complex_numIdES3_KPS1_EviiT3_lPKT2_lT1_lS9_lSA_lS6_lPT4_lSA_li
		.amdhsa_group_segment_fixed_size 512
		.amdhsa_private_segment_fixed_size 0
		.amdhsa_kernarg_size 140
		.amdhsa_user_sgpr_count 2
		.amdhsa_user_sgpr_dispatch_ptr 0
		.amdhsa_user_sgpr_queue_ptr 0
		.amdhsa_user_sgpr_kernarg_segment_ptr 1
		.amdhsa_user_sgpr_dispatch_id 0
		.amdhsa_user_sgpr_kernarg_preload_length 0
		.amdhsa_user_sgpr_kernarg_preload_offset 0
		.amdhsa_user_sgpr_private_segment_size 0
		.amdhsa_wavefront_size32 1
		.amdhsa_uses_dynamic_stack 0
		.amdhsa_enable_private_segment 0
		.amdhsa_system_sgpr_workgroup_id_x 1
		.amdhsa_system_sgpr_workgroup_id_y 0
		.amdhsa_system_sgpr_workgroup_id_z 1
		.amdhsa_system_sgpr_workgroup_info 0
		.amdhsa_system_vgpr_workitem_id 0
		.amdhsa_next_free_vgpr 46
		.amdhsa_next_free_sgpr 42
		.amdhsa_named_barrier_count 0
		.amdhsa_reserve_vcc 1
		.amdhsa_float_round_mode_32 0
		.amdhsa_float_round_mode_16_64 0
		.amdhsa_float_denorm_mode_32 3
		.amdhsa_float_denorm_mode_16_64 3
		.amdhsa_fp16_overflow 0
		.amdhsa_memory_ordered 1
		.amdhsa_forward_progress 1
		.amdhsa_inst_pref_size 17
		.amdhsa_round_robin_scheduling 0
		.amdhsa_exception_fp_ieee_invalid_op 0
		.amdhsa_exception_fp_denorm_src 0
		.amdhsa_exception_fp_ieee_div_zero 0
		.amdhsa_exception_fp_ieee_overflow 0
		.amdhsa_exception_fp_ieee_underflow 0
		.amdhsa_exception_fp_ieee_inexact 0
		.amdhsa_exception_int_div_zero 0
	.end_amdhsa_kernel
	.section	.text._ZL32rocblas_gemvt_warp_reduce_kernelILb0ELi1024ElPK19rocblas_complex_numIdES3_KPS1_EviiT3_lPKT2_lT1_lS9_lSA_lS6_lPT4_lSA_li,"axG",@progbits,_ZL32rocblas_gemvt_warp_reduce_kernelILb0ELi1024ElPK19rocblas_complex_numIdES3_KPS1_EviiT3_lPKT2_lT1_lS9_lSA_lS6_lPT4_lSA_li,comdat
.Lfunc_end365:
	.size	_ZL32rocblas_gemvt_warp_reduce_kernelILb0ELi1024ElPK19rocblas_complex_numIdES3_KPS1_EviiT3_lPKT2_lT1_lS9_lSA_lS6_lPT4_lSA_li, .Lfunc_end365-_ZL32rocblas_gemvt_warp_reduce_kernelILb0ELi1024ElPK19rocblas_complex_numIdES3_KPS1_EviiT3_lPKT2_lT1_lS9_lSA_lS6_lPT4_lSA_li
                                        ; -- End function
	.set _ZL32rocblas_gemvt_warp_reduce_kernelILb0ELi1024ElPK19rocblas_complex_numIdES3_KPS1_EviiT3_lPKT2_lT1_lS9_lSA_lS6_lPT4_lSA_li.num_vgpr, 46
	.set _ZL32rocblas_gemvt_warp_reduce_kernelILb0ELi1024ElPK19rocblas_complex_numIdES3_KPS1_EviiT3_lPKT2_lT1_lS9_lSA_lS6_lPT4_lSA_li.num_agpr, 0
	.set _ZL32rocblas_gemvt_warp_reduce_kernelILb0ELi1024ElPK19rocblas_complex_numIdES3_KPS1_EviiT3_lPKT2_lT1_lS9_lSA_lS6_lPT4_lSA_li.numbered_sgpr, 42
	.set _ZL32rocblas_gemvt_warp_reduce_kernelILb0ELi1024ElPK19rocblas_complex_numIdES3_KPS1_EviiT3_lPKT2_lT1_lS9_lSA_lS6_lPT4_lSA_li.num_named_barrier, 0
	.set _ZL32rocblas_gemvt_warp_reduce_kernelILb0ELi1024ElPK19rocblas_complex_numIdES3_KPS1_EviiT3_lPKT2_lT1_lS9_lSA_lS6_lPT4_lSA_li.private_seg_size, 0
	.set _ZL32rocblas_gemvt_warp_reduce_kernelILb0ELi1024ElPK19rocblas_complex_numIdES3_KPS1_EviiT3_lPKT2_lT1_lS9_lSA_lS6_lPT4_lSA_li.uses_vcc, 1
	.set _ZL32rocblas_gemvt_warp_reduce_kernelILb0ELi1024ElPK19rocblas_complex_numIdES3_KPS1_EviiT3_lPKT2_lT1_lS9_lSA_lS6_lPT4_lSA_li.uses_flat_scratch, 0
	.set _ZL32rocblas_gemvt_warp_reduce_kernelILb0ELi1024ElPK19rocblas_complex_numIdES3_KPS1_EviiT3_lPKT2_lT1_lS9_lSA_lS6_lPT4_lSA_li.has_dyn_sized_stack, 0
	.set _ZL32rocblas_gemvt_warp_reduce_kernelILb0ELi1024ElPK19rocblas_complex_numIdES3_KPS1_EviiT3_lPKT2_lT1_lS9_lSA_lS6_lPT4_lSA_li.has_recursion, 0
	.set _ZL32rocblas_gemvt_warp_reduce_kernelILb0ELi1024ElPK19rocblas_complex_numIdES3_KPS1_EviiT3_lPKT2_lT1_lS9_lSA_lS6_lPT4_lSA_li.has_indirect_call, 0
	.section	.AMDGPU.csdata,"",@progbits
; Kernel info:
; codeLenInByte = 2056
; TotalNumSgprs: 44
; NumVgprs: 46
; ScratchSize: 0
; MemoryBound: 0
; FloatMode: 240
; IeeeMode: 1
; LDSByteSize: 512 bytes/workgroup (compile time only)
; SGPRBlocks: 0
; VGPRBlocks: 2
; NumSGPRsForWavesPerEU: 44
; NumVGPRsForWavesPerEU: 46
; NamedBarCnt: 0
; Occupancy: 16
; WaveLimiterHint : 1
; COMPUTE_PGM_RSRC2:SCRATCH_EN: 0
; COMPUTE_PGM_RSRC2:USER_SGPR: 2
; COMPUTE_PGM_RSRC2:TRAP_HANDLER: 0
; COMPUTE_PGM_RSRC2:TGID_X_EN: 1
; COMPUTE_PGM_RSRC2:TGID_Y_EN: 0
; COMPUTE_PGM_RSRC2:TGID_Z_EN: 1
; COMPUTE_PGM_RSRC2:TIDIG_COMP_CNT: 0
	.section	.text._ZL32rocblas_gemvt_warp_reduce_kernelILb0ELi1024EiPK19rocblas_complex_numIdES1_KPS1_EviiT3_lPKT2_lT1_lS9_lSA_lS6_lPT4_lSA_li,"axG",@progbits,_ZL32rocblas_gemvt_warp_reduce_kernelILb0ELi1024EiPK19rocblas_complex_numIdES1_KPS1_EviiT3_lPKT2_lT1_lS9_lSA_lS6_lPT4_lSA_li,comdat
	.globl	_ZL32rocblas_gemvt_warp_reduce_kernelILb0ELi1024EiPK19rocblas_complex_numIdES1_KPS1_EviiT3_lPKT2_lT1_lS9_lSA_lS6_lPT4_lSA_li ; -- Begin function _ZL32rocblas_gemvt_warp_reduce_kernelILb0ELi1024EiPK19rocblas_complex_numIdES1_KPS1_EviiT3_lPKT2_lT1_lS9_lSA_lS6_lPT4_lSA_li
	.p2align	8
	.type	_ZL32rocblas_gemvt_warp_reduce_kernelILb0ELi1024EiPK19rocblas_complex_numIdES1_KPS1_EviiT3_lPKT2_lT1_lS9_lSA_lS6_lPT4_lSA_li,@function
_ZL32rocblas_gemvt_warp_reduce_kernelILb0ELi1024EiPK19rocblas_complex_numIdES1_KPS1_EviiT3_lPKT2_lT1_lS9_lSA_lS6_lPT4_lSA_li: ; @_ZL32rocblas_gemvt_warp_reduce_kernelILb0ELi1024EiPK19rocblas_complex_numIdES1_KPS1_EviiT3_lPKT2_lT1_lS9_lSA_lS6_lPT4_lSA_li
; %bb.0:
	s_load_b32 s5, s[0:1], 0x98
	s_bfe_u32 s2, ttmp6, 0x40014
	s_lshr_b32 s3, ttmp7, 16
	s_add_co_i32 s2, s2, 1
	s_bfe_u32 s6, ttmp6, 0x40008
	s_mul_i32 s4, s3, s2
	s_getreg_b32 s2, hwreg(HW_REG_IB_STS2, 6, 4)
	s_add_co_i32 s6, s6, s4
	s_cmp_eq_u32 s2, 0
	s_mov_b32 s7, 0
	s_cselect_b32 s6, s3, s6
	s_wait_kmcnt 0x0
	s_cmp_ge_u32 s6, s5
	s_cbranch_scc1 .LBB366_41
; %bb.1:
	s_clause 0x8
	s_load_b128 s[8:11], s[0:1], 0x8
	s_load_b128 s[12:15], s[0:1], 0x60
	s_load_b32 s39, s[0:1], 0x0
	s_load_b128 s[16:19], s[0:1], 0x78
	s_load_b128 s[20:23], s[0:1], 0x20
	s_load_b32 s31, s[0:1], 0x30
	s_load_b128 s[24:27], s[0:1], 0x40
	s_load_b32 s34, s[0:1], 0x50
	s_load_b32 s35, s[0:1], 0x88
	s_bfe_u32 s36, ttmp6, 0x4000c
	s_and_b32 s33, ttmp6, 15
	s_add_co_i32 s36, s36, 1
	v_dual_mov_b32 v11, 0 :: v_dual_bitop2_b32 v2, 31, v0 bitop3:0x40
	s_mul_i32 s36, ttmp9, s36
	v_lshrrev_b32_e32 v3, 1, v0
	s_add_co_i32 s38, s33, s36
	s_wait_xcnt 0x0
	v_cmp_eq_u32_e64 s0, 0, v0
	v_lshlrev_b32_e32 v1, 4, v2
	v_cmp_gt_u32_e64 s1, 32, v0
	v_and_b32_e32 v21, 0x1f0, v3
	v_mbcnt_lo_u32_b32 v23, -1, 0
	s_wait_kmcnt 0x0
	v_cmp_gt_i32_e32 vcc_lo, s39, v0
	v_cmp_neq_f64_e64 s3, s[8:9], 0
	v_cmp_neq_f64_e64 s30, s[10:11], 0
	v_cmp_neq_f64_e64 s4, s[12:13], 1.0
	v_cmp_neq_f64_e64 s28, s[14:15], 0
	v_cmp_neq_f64_e64 s29, s[12:13], 0
	v_mul_lo_u32 v22, v0, s34
	s_or_b32 s3, s3, s30
	s_or_b32 s33, s4, s28
	;; [unrolled: 1-line block ×3, first 2 shown]
	s_xor_b32 s37, s3, -1
	s_cmp_eq_u32 s2, 0
	v_cndmask_b32_e64 v20, 0, 1, s3
	s_cselect_b32 s3, ttmp9, s38
	s_ashr_i32 s4, s39, 31
	v_cmp_eq_u32_e64 s2, 0, v2
	s_lshr_b32 s4, s4, 22
	s_mul_i32 s30, s31, s3
	s_add_co_i32 s4, s39, s4
	s_ashr_i32 s31, s30, 31
	s_and_b32 s28, s4, 0xfffffc00
	s_delay_alu instid0(SALU_CYCLE_1)
	v_dual_cndmask_b32 v2, 0, v0, vcc_lo :: v_dual_bitop2_b32 v3, s28, v0 bitop3:0x54
	s_lshl_b32 s38, s34, 10
	s_lshl_b64 s[22:23], s[22:23], 4
	s_ashr_i32 s29, s28, 31
	s_lshl_b64 s[26:27], s[26:27], 4
	v_mul_lo_u32 v12, s34, v3
	v_lshlrev_b32_e32 v10, 4, v2
	s_mul_i32 s34, s35, s3
	v_cmp_gt_i32_e64 s3, s28, v0
	v_cmp_gt_i32_e64 s4, s39, v3
	s_ashr_i32 s35, s34, 31
	s_lshl_b64 s[18:19], s[18:19], 4
	s_lshl_b64 s[34:35], s[34:35], 4
	v_ashrrev_i32_e32 v13, 31, v12
	v_lshl_add_u64 v[14:15], s[30:31], 4, v[10:11]
	v_lshlrev_b32_e32 v10, 4, v2
	s_delay_alu instid0(VALU_DEP_2)
	v_or_b32_e32 v14, 8, v14
	s_branch .LBB366_4
.LBB366_2:                              ;   in Loop: Header=BB366_4 Depth=1
	s_wait_xcnt 0x0
	s_or_b32 exec_lo, exec_lo, s40
.LBB366_3:                              ;   in Loop: Header=BB366_4 Depth=1
	s_add_co_i32 s6, s6, 0x10000
	s_delay_alu instid0(SALU_CYCLE_1)
	s_cmp_lt_u32 s6, s5
	s_cbranch_scc0 .LBB366_41
.LBB366_4:                              ; =>This Loop Header: Depth=1
                                        ;     Child Loop BB366_30 Depth 2
	s_and_not1_b32 vcc_lo, exec_lo, s37
	s_cbranch_vccnz .LBB366_7
; %bb.5:                                ;   in Loop: Header=BB366_4 Depth=1
	s_wait_xcnt 0x0
	s_mov_b32 s40, 0
	s_and_b32 vcc_lo, exec_lo, s33
	s_mov_b32 s39, 0
	s_cbranch_vccz .LBB366_8
; %bb.6:                                ;   in Loop: Header=BB366_4 Depth=1
	s_mov_b32 s39, -1
	s_branch .LBB366_8
.LBB366_7:                              ;   in Loop: Header=BB366_4 Depth=1
	s_mov_b32 s39, 0
	s_wait_xcnt 0x0
	s_mov_b32 s40, -1
.LBB366_8:                              ;   in Loop: Header=BB366_4 Depth=1
	s_wait_dscnt 0x0
	v_mov_b64_e32 v[6:7], 0
	s_and_b32 vcc_lo, exec_lo, s40
	s_cbranch_vccnz .LBB366_10
; %bb.9:                                ;   in Loop: Header=BB366_4 Depth=1
	s_and_not1_b32 vcc_lo, exec_lo, s39
	s_cbranch_vccnz .LBB366_3
	s_branch .LBB366_11
.LBB366_10:                             ;   in Loop: Header=BB366_4 Depth=1
	s_lshl_b64 s[40:41], s[6:7], 3
	s_delay_alu instid0(SALU_CYCLE_1)
	s_add_nc_u64 s[40:41], s[20:21], s[40:41]
	global_load_b64 v[2:3], v11, s[40:41]
	s_wait_loadcnt 0x0
	v_add_nc_u64_e32 v[6:7], s[22:23], v[2:3]
.LBB366_11:                             ;   in Loop: Header=BB366_4 Depth=1
	v_cmp_ne_u32_e32 vcc_lo, 1, v20
	v_mov_b64_e32 v[8:9], 0
	s_cbranch_vccnz .LBB366_13
; %bb.12:                               ;   in Loop: Header=BB366_4 Depth=1
	s_wait_xcnt 0x0
	s_lshl_b64 s[40:41], s[6:7], 3
	s_delay_alu instid0(SALU_CYCLE_1)
	s_add_nc_u64 s[40:41], s[24:25], s[40:41]
	global_load_b64 v[2:3], v11, s[40:41]
	s_wait_loadcnt 0x0
	v_add_nc_u64_e32 v[8:9], s[26:27], v[2:3]
.LBB366_13:                             ;   in Loop: Header=BB366_4 Depth=1
	s_wait_xcnt 0x0
	s_lshl_b64 s[40:41], s[6:7], 3
	s_and_not1_b32 vcc_lo, exec_lo, s37
	s_add_nc_u64 s[40:41], s[16:17], s[40:41]
	global_load_b64 v[2:3], v11, s[40:41]
	s_wait_loadcnt 0x0
	v_add_nc_u64_e32 v[16:17], s[18:19], v[2:3]
	s_cbranch_vccnz .LBB366_18
; %bb.14:                               ;   in Loop: Header=BB366_4 Depth=1
	s_wait_xcnt 0x0
	s_mov_b32 s40, 0
	s_mov_b32 s39, 0
                                        ; implicit-def: $vgpr4_vgpr5
	s_and_saveexec_b32 s41, s0
	s_cbranch_execz .LBB366_19
; %bb.15:                               ;   in Loop: Header=BB366_4 Depth=1
	v_mov_b64_e32 v[4:5], 0
	v_mov_b64_e32 v[2:3], 0
	s_and_not1_b32 vcc_lo, exec_lo, s36
	s_cbranch_vccnz .LBB366_17
; %bb.16:                               ;   in Loop: Header=BB366_4 Depth=1
	v_add_nc_u64_e32 v[2:3], s[34:35], v[16:17]
	flat_load_b128 v[24:27], v[2:3]
	s_wait_loadcnt_dscnt 0x0
	s_wait_xcnt 0x0
	v_mul_f64_e32 v[2:3], s[14:15], v[26:27]
	v_mul_f64_e32 v[4:5], s[12:13], v[26:27]
	s_delay_alu instid0(VALU_DEP_2) | instskip(NEXT) | instid1(VALU_DEP_2)
	v_fma_f64 v[2:3], s[12:13], v[24:25], -v[2:3]
	v_fmac_f64_e32 v[4:5], s[14:15], v[24:25]
.LBB366_17:                             ;   in Loop: Header=BB366_4 Depth=1
	s_mov_b32 s39, exec_lo
	s_or_b32 exec_lo, exec_lo, s41
	s_delay_alu instid0(SALU_CYCLE_1)
	s_and_b32 vcc_lo, exec_lo, s40
	s_cbranch_vccnz .LBB366_20
	s_branch .LBB366_39
.LBB366_18:                             ;   in Loop: Header=BB366_4 Depth=1
	s_wait_xcnt 0x0
	s_mov_b32 s39, 0
                                        ; implicit-def: $vgpr4_vgpr5
	s_cbranch_execnz .LBB366_20
	s_branch .LBB366_39
.LBB366_19:                             ;   in Loop: Header=BB366_4 Depth=1
	s_or_b32 exec_lo, exec_lo, s41
	s_delay_alu instid0(SALU_CYCLE_1)
	s_and_b32 vcc_lo, exec_lo, s40
	s_cbranch_vccz .LBB366_39
.LBB366_20:                             ;   in Loop: Header=BB366_4 Depth=1
	v_mov_b64_e32 v[2:3], 0
	v_mov_b64_e32 v[4:5], 0
	s_and_saveexec_b32 s40, s3
	s_cbranch_execnz .LBB366_29
; %bb.21:                               ;   in Loop: Header=BB366_4 Depth=1
	s_or_b32 exec_lo, exec_lo, s40
	s_and_saveexec_b32 s40, s4
	s_cbranch_execnz .LBB366_32
.LBB366_22:                             ;   in Loop: Header=BB366_4 Depth=1
	s_or_b32 exec_lo, exec_lo, s40
	s_and_saveexec_b32 s40, s1
.LBB366_23:                             ;   in Loop: Header=BB366_4 Depth=1
	v_dual_mov_b32 v6, v11 :: v_dual_mov_b32 v7, v11
	v_dual_mov_b32 v8, v11 :: v_dual_mov_b32 v9, v11
	ds_store_b128 v1, v[6:9]
.LBB366_24:                             ;   in Loop: Header=BB366_4 Depth=1
	s_or_b32 exec_lo, exec_lo, s40
	v_lshl_or_b32 v18, v23, 2, 64
	v_cmp_gt_u32_e32 vcc_lo, 24, v23
	s_wait_dscnt 0x0
	s_barrier_signal -1
	s_barrier_wait -1
	ds_bpermute_b32 v6, v18, v4
	ds_bpermute_b32 v7, v18, v5
	;; [unrolled: 1-line block ×4, first 2 shown]
	s_wait_dscnt 0x0
	v_add_f64_e32 v[4:5], v[4:5], v[6:7]
	v_cndmask_b32_e64 v6, 0, 8, vcc_lo
	v_add_f64_e32 v[2:3], v[2:3], v[8:9]
	v_cmp_gt_u32_e32 vcc_lo, 28, v23
	s_delay_alu instid0(VALU_DEP_3)
	v_add_lshl_u32 v19, v6, v23, 2
	ds_bpermute_b32 v6, v19, v4
	ds_bpermute_b32 v7, v19, v5
	;; [unrolled: 1-line block ×4, first 2 shown]
	s_wait_dscnt 0x2
	v_add_f64_e32 v[4:5], v[4:5], v[6:7]
	v_cndmask_b32_e64 v6, 0, 4, vcc_lo
	s_wait_dscnt 0x0
	v_add_f64_e32 v[2:3], v[2:3], v[8:9]
	v_cmp_gt_u32_e32 vcc_lo, 30, v23
	s_delay_alu instid0(VALU_DEP_3)
	v_add_lshl_u32 v24, v6, v23, 2
	ds_bpermute_b32 v6, v24, v4
	ds_bpermute_b32 v7, v24, v5
	;; [unrolled: 1-line block ×4, first 2 shown]
	s_wait_dscnt 0x2
	v_add_f64_e32 v[4:5], v[4:5], v[6:7]
	s_wait_dscnt 0x0
	v_add_f64_e32 v[6:7], v[2:3], v[8:9]
	v_cndmask_b32_e64 v2, 0, 2, vcc_lo
	v_cmp_ne_u32_e32 vcc_lo, 31, v23
	s_delay_alu instid0(VALU_DEP_2)
	v_add_lshl_u32 v25, v2, v23, 2
	ds_bpermute_b32 v2, v25, v4
	ds_bpermute_b32 v3, v25, v5
	ds_bpermute_b32 v8, v25, v6
	ds_bpermute_b32 v9, v25, v7
	s_wait_dscnt 0x2
	v_add_f64_e32 v[2:3], v[4:5], v[2:3]
	s_wait_dscnt 0x0
	v_add_f64_e32 v[4:5], v[6:7], v[8:9]
	v_add_co_ci_u32_e64 v6, null, 0, v23, vcc_lo
	s_delay_alu instid0(VALU_DEP_1)
	v_lshlrev_b32_e32 v26, 2, v6
	ds_bpermute_b32 v6, v26, v2
	ds_bpermute_b32 v7, v26, v3
	ds_bpermute_b32 v8, v26, v4
	ds_bpermute_b32 v9, v26, v5
	s_and_saveexec_b32 s40, s2
	s_cbranch_execz .LBB366_26
; %bb.25:                               ;   in Loop: Header=BB366_4 Depth=1
	s_wait_dscnt 0x0
	v_add_f64_e32 v[4:5], v[4:5], v[8:9]
	v_add_f64_e32 v[2:3], v[2:3], v[6:7]
	ds_store_b128 v21, v[2:5]
.LBB366_26:                             ;   in Loop: Header=BB366_4 Depth=1
	s_or_b32 exec_lo, exec_lo, s40
	s_wait_dscnt 0x0
	v_mov_b64_e32 v[8:9], 0
	v_mov_b64_e32 v[6:7], 0
	s_barrier_signal -1
	s_barrier_wait -1
	s_and_saveexec_b32 s40, s1
	s_cbranch_execnz .LBB366_33
; %bb.27:                               ;   in Loop: Header=BB366_4 Depth=1
	s_or_b32 exec_lo, exec_lo, s40
	s_and_saveexec_b32 s40, s1
	s_cbranch_execnz .LBB366_34
.LBB366_28:                             ;   in Loop: Header=BB366_4 Depth=1
	s_or_b32 exec_lo, exec_lo, s40
                                        ; implicit-def: $vgpr4_vgpr5
	s_and_saveexec_b32 s40, s0
	s_cbranch_execnz .LBB366_35
	s_branch .LBB366_38
.LBB366_29:                             ;   in Loop: Header=BB366_4 Depth=1
	v_add_nc_u64_e32 v[18:19], v[6:7], v[14:15]
	v_mov_b64_e32 v[2:3], 0
	v_mov_b64_e32 v[4:5], 0
	v_dual_mov_b32 v24, v0 :: v_dual_mov_b32 v25, v22
	s_mov_b32 s41, 0
.LBB366_30:                             ;   Parent Loop BB366_4 Depth=1
                                        ; =>  This Inner Loop Header: Depth=2
	v_readfirstlane_b32 s42, v8
	v_readfirstlane_b32 s43, v9
	s_delay_alu instid0(VALU_DEP_3)
	v_add_nc_u32_e32 v24, 0x400, v24
	flat_load_b128 v[26:29], v[18:19] offset:-8
	flat_load_b128 v[30:33], v25, s[42:43] scale_offset
	s_wait_xcnt 0x1
	v_add_nc_u64_e32 v[18:19], 0x4000, v[18:19]
	v_cmp_le_i32_e32 vcc_lo, s28, v24
	s_wait_xcnt 0x0
	v_add_nc_u32_e32 v25, s38, v25
	s_or_b32 s41, vcc_lo, s41
	s_wait_loadcnt_dscnt 0x0
	v_mul_f64_e32 v[34:35], v[28:29], v[32:33]
	v_mul_f64_e32 v[32:33], v[26:27], v[32:33]
	s_delay_alu instid0(VALU_DEP_2) | instskip(NEXT) | instid1(VALU_DEP_2)
	v_fma_f64 v[26:27], v[26:27], v[30:31], -v[34:35]
	v_fmac_f64_e32 v[32:33], v[28:29], v[30:31]
	s_delay_alu instid0(VALU_DEP_2) | instskip(NEXT) | instid1(VALU_DEP_2)
	v_add_f64_e32 v[4:5], v[4:5], v[26:27]
	v_add_f64_e32 v[2:3], v[2:3], v[32:33]
	s_and_not1_b32 exec_lo, exec_lo, s41
	s_cbranch_execnz .LBB366_30
; %bb.31:                               ;   in Loop: Header=BB366_4 Depth=1
	s_or_b32 exec_lo, exec_lo, s41
	s_delay_alu instid0(SALU_CYCLE_1)
	s_or_b32 exec_lo, exec_lo, s40
	s_and_saveexec_b32 s40, s4
	s_cbranch_execz .LBB366_22
.LBB366_32:                             ;   in Loop: Header=BB366_4 Depth=1
	v_add_nc_u64_e32 v[6:7], v[6:7], v[10:11]
	v_lshl_add_u64 v[18:19], v[12:13], 4, v[8:9]
	s_delay_alu instid0(VALU_DEP_2) | instskip(NEXT) | instid1(VALU_DEP_1)
	v_lshl_add_u64 v[6:7], s[30:31], 4, v[6:7]
	v_lshl_add_u64 v[28:29], s[28:29], 4, v[6:7]
	flat_load_b128 v[6:9], v[18:19]
	flat_load_b128 v[24:27], v[28:29]
	s_wait_loadcnt_dscnt 0x0
	s_wait_xcnt 0x1
	v_mul_f64_e32 v[18:19], v[26:27], v[8:9]
	v_mul_f64_e32 v[8:9], v[24:25], v[8:9]
	s_delay_alu instid0(VALU_DEP_2) | instskip(NEXT) | instid1(VALU_DEP_2)
	v_fma_f64 v[18:19], v[24:25], v[6:7], -v[18:19]
	v_fmac_f64_e32 v[8:9], v[26:27], v[6:7]
	s_delay_alu instid0(VALU_DEP_2) | instskip(NEXT) | instid1(VALU_DEP_2)
	v_add_f64_e32 v[4:5], v[4:5], v[18:19]
	v_add_f64_e32 v[2:3], v[2:3], v[8:9]
	s_wait_xcnt 0x0
	s_or_b32 exec_lo, exec_lo, s40
	s_and_saveexec_b32 s40, s1
	s_cbranch_execnz .LBB366_23
	s_branch .LBB366_24
.LBB366_33:                             ;   in Loop: Header=BB366_4 Depth=1
	ds_load_b128 v[6:9], v1
	s_or_b32 exec_lo, exec_lo, s40
	s_and_saveexec_b32 s40, s1
	s_cbranch_execz .LBB366_28
.LBB366_34:                             ;   in Loop: Header=BB366_4 Depth=1
	s_wait_dscnt 0x0
	ds_bpermute_b32 v2, v18, v6
	ds_bpermute_b32 v3, v18, v7
	ds_bpermute_b32 v4, v18, v8
	ds_bpermute_b32 v5, v18, v9
	s_wait_dscnt 0x2
	v_add_f64_e32 v[2:3], v[6:7], v[2:3]
	s_wait_dscnt 0x0
	v_add_f64_e32 v[4:5], v[8:9], v[4:5]
	ds_bpermute_b32 v6, v19, v2
	ds_bpermute_b32 v7, v19, v3
	ds_bpermute_b32 v8, v19, v4
	ds_bpermute_b32 v9, v19, v5
	s_wait_dscnt 0x2
	v_add_f64_e32 v[2:3], v[2:3], v[6:7]
	s_wait_dscnt 0x0
	v_add_f64_e32 v[4:5], v[4:5], v[8:9]
	;; [unrolled: 8-line block ×5, first 2 shown]
	s_or_b32 exec_lo, exec_lo, s40
                                        ; implicit-def: $vgpr4_vgpr5
	s_and_saveexec_b32 s40, s0
	s_cbranch_execz .LBB366_38
.LBB366_35:                             ;   in Loop: Header=BB366_4 Depth=1
	s_wait_dscnt 0x0
	s_delay_alu instid0(VALU_DEP_1) | instskip(SKIP_2) | instid1(VALU_DEP_2)
	v_mul_f64_e32 v[2:3], s[10:11], v[8:9]
	v_mul_f64_e32 v[4:5], s[8:9], v[8:9]
	s_and_not1_b32 vcc_lo, exec_lo, s36
	v_fma_f64 v[2:3], s[8:9], v[6:7], -v[2:3]
	s_delay_alu instid0(VALU_DEP_2)
	v_fmac_f64_e32 v[4:5], s[10:11], v[6:7]
	s_cbranch_vccnz .LBB366_37
; %bb.36:                               ;   in Loop: Header=BB366_4 Depth=1
	v_add_nc_u64_e32 v[6:7], s[34:35], v[16:17]
	flat_load_b128 v[6:9], v[6:7]
	s_wait_loadcnt_dscnt 0x0
	v_mul_f64_e32 v[18:19], s[14:15], v[8:9]
	v_mul_f64_e32 v[8:9], s[12:13], v[8:9]
	s_delay_alu instid0(VALU_DEP_2) | instskip(NEXT) | instid1(VALU_DEP_2)
	v_fma_f64 v[18:19], s[12:13], v[6:7], -v[18:19]
	v_fmac_f64_e32 v[8:9], s[14:15], v[6:7]
	s_delay_alu instid0(VALU_DEP_2) | instskip(NEXT) | instid1(VALU_DEP_2)
	v_add_f64_e32 v[2:3], v[2:3], v[18:19]
	v_add_f64_e32 v[4:5], v[4:5], v[8:9]
.LBB366_37:                             ;   in Loop: Header=BB366_4 Depth=1
	s_or_b32 s39, s39, exec_lo
.LBB366_38:                             ;   in Loop: Header=BB366_4 Depth=1
	s_wait_xcnt 0x0
	s_or_b32 exec_lo, exec_lo, s40
.LBB366_39:                             ;   in Loop: Header=BB366_4 Depth=1
	s_and_saveexec_b32 s40, s39
	s_cbranch_execz .LBB366_2
; %bb.40:                               ;   in Loop: Header=BB366_4 Depth=1
	s_wait_dscnt 0x0
	v_add_nc_u64_e32 v[6:7], s[34:35], v[16:17]
	flat_store_b128 v[6:7], v[2:5]
	s_branch .LBB366_2
.LBB366_41:
	s_endpgm
	.section	.rodata,"a",@progbits
	.p2align	6, 0x0
	.amdhsa_kernel _ZL32rocblas_gemvt_warp_reduce_kernelILb0ELi1024EiPK19rocblas_complex_numIdES1_KPS1_EviiT3_lPKT2_lT1_lS9_lSA_lS6_lPT4_lSA_li
		.amdhsa_group_segment_fixed_size 512
		.amdhsa_private_segment_fixed_size 0
		.amdhsa_kernarg_size 156
		.amdhsa_user_sgpr_count 2
		.amdhsa_user_sgpr_dispatch_ptr 0
		.amdhsa_user_sgpr_queue_ptr 0
		.amdhsa_user_sgpr_kernarg_segment_ptr 1
		.amdhsa_user_sgpr_dispatch_id 0
		.amdhsa_user_sgpr_kernarg_preload_length 0
		.amdhsa_user_sgpr_kernarg_preload_offset 0
		.amdhsa_user_sgpr_private_segment_size 0
		.amdhsa_wavefront_size32 1
		.amdhsa_uses_dynamic_stack 0
		.amdhsa_enable_private_segment 0
		.amdhsa_system_sgpr_workgroup_id_x 1
		.amdhsa_system_sgpr_workgroup_id_y 0
		.amdhsa_system_sgpr_workgroup_id_z 1
		.amdhsa_system_sgpr_workgroup_info 0
		.amdhsa_system_vgpr_workitem_id 0
		.amdhsa_next_free_vgpr 36
		.amdhsa_next_free_sgpr 44
		.amdhsa_named_barrier_count 0
		.amdhsa_reserve_vcc 1
		.amdhsa_float_round_mode_32 0
		.amdhsa_float_round_mode_16_64 0
		.amdhsa_float_denorm_mode_32 3
		.amdhsa_float_denorm_mode_16_64 3
		.amdhsa_fp16_overflow 0
		.amdhsa_memory_ordered 1
		.amdhsa_forward_progress 1
		.amdhsa_inst_pref_size 16
		.amdhsa_round_robin_scheduling 0
		.amdhsa_exception_fp_ieee_invalid_op 0
		.amdhsa_exception_fp_denorm_src 0
		.amdhsa_exception_fp_ieee_div_zero 0
		.amdhsa_exception_fp_ieee_overflow 0
		.amdhsa_exception_fp_ieee_underflow 0
		.amdhsa_exception_fp_ieee_inexact 0
		.amdhsa_exception_int_div_zero 0
	.end_amdhsa_kernel
	.section	.text._ZL32rocblas_gemvt_warp_reduce_kernelILb0ELi1024EiPK19rocblas_complex_numIdES1_KPS1_EviiT3_lPKT2_lT1_lS9_lSA_lS6_lPT4_lSA_li,"axG",@progbits,_ZL32rocblas_gemvt_warp_reduce_kernelILb0ELi1024EiPK19rocblas_complex_numIdES1_KPS1_EviiT3_lPKT2_lT1_lS9_lSA_lS6_lPT4_lSA_li,comdat
.Lfunc_end366:
	.size	_ZL32rocblas_gemvt_warp_reduce_kernelILb0ELi1024EiPK19rocblas_complex_numIdES1_KPS1_EviiT3_lPKT2_lT1_lS9_lSA_lS6_lPT4_lSA_li, .Lfunc_end366-_ZL32rocblas_gemvt_warp_reduce_kernelILb0ELi1024EiPK19rocblas_complex_numIdES1_KPS1_EviiT3_lPKT2_lT1_lS9_lSA_lS6_lPT4_lSA_li
                                        ; -- End function
	.set _ZL32rocblas_gemvt_warp_reduce_kernelILb0ELi1024EiPK19rocblas_complex_numIdES1_KPS1_EviiT3_lPKT2_lT1_lS9_lSA_lS6_lPT4_lSA_li.num_vgpr, 36
	.set _ZL32rocblas_gemvt_warp_reduce_kernelILb0ELi1024EiPK19rocblas_complex_numIdES1_KPS1_EviiT3_lPKT2_lT1_lS9_lSA_lS6_lPT4_lSA_li.num_agpr, 0
	.set _ZL32rocblas_gemvt_warp_reduce_kernelILb0ELi1024EiPK19rocblas_complex_numIdES1_KPS1_EviiT3_lPKT2_lT1_lS9_lSA_lS6_lPT4_lSA_li.numbered_sgpr, 44
	.set _ZL32rocblas_gemvt_warp_reduce_kernelILb0ELi1024EiPK19rocblas_complex_numIdES1_KPS1_EviiT3_lPKT2_lT1_lS9_lSA_lS6_lPT4_lSA_li.num_named_barrier, 0
	.set _ZL32rocblas_gemvt_warp_reduce_kernelILb0ELi1024EiPK19rocblas_complex_numIdES1_KPS1_EviiT3_lPKT2_lT1_lS9_lSA_lS6_lPT4_lSA_li.private_seg_size, 0
	.set _ZL32rocblas_gemvt_warp_reduce_kernelILb0ELi1024EiPK19rocblas_complex_numIdES1_KPS1_EviiT3_lPKT2_lT1_lS9_lSA_lS6_lPT4_lSA_li.uses_vcc, 1
	.set _ZL32rocblas_gemvt_warp_reduce_kernelILb0ELi1024EiPK19rocblas_complex_numIdES1_KPS1_EviiT3_lPKT2_lT1_lS9_lSA_lS6_lPT4_lSA_li.uses_flat_scratch, 0
	.set _ZL32rocblas_gemvt_warp_reduce_kernelILb0ELi1024EiPK19rocblas_complex_numIdES1_KPS1_EviiT3_lPKT2_lT1_lS9_lSA_lS6_lPT4_lSA_li.has_dyn_sized_stack, 0
	.set _ZL32rocblas_gemvt_warp_reduce_kernelILb0ELi1024EiPK19rocblas_complex_numIdES1_KPS1_EviiT3_lPKT2_lT1_lS9_lSA_lS6_lPT4_lSA_li.has_recursion, 0
	.set _ZL32rocblas_gemvt_warp_reduce_kernelILb0ELi1024EiPK19rocblas_complex_numIdES1_KPS1_EviiT3_lPKT2_lT1_lS9_lSA_lS6_lPT4_lSA_li.has_indirect_call, 0
	.section	.AMDGPU.csdata,"",@progbits
; Kernel info:
; codeLenInByte = 2004
; TotalNumSgprs: 46
; NumVgprs: 36
; ScratchSize: 0
; MemoryBound: 0
; FloatMode: 240
; IeeeMode: 1
; LDSByteSize: 512 bytes/workgroup (compile time only)
; SGPRBlocks: 0
; VGPRBlocks: 2
; NumSGPRsForWavesPerEU: 46
; NumVGPRsForWavesPerEU: 36
; NamedBarCnt: 0
; Occupancy: 16
; WaveLimiterHint : 1
; COMPUTE_PGM_RSRC2:SCRATCH_EN: 0
; COMPUTE_PGM_RSRC2:USER_SGPR: 2
; COMPUTE_PGM_RSRC2:TRAP_HANDLER: 0
; COMPUTE_PGM_RSRC2:TGID_X_EN: 1
; COMPUTE_PGM_RSRC2:TGID_Y_EN: 0
; COMPUTE_PGM_RSRC2:TGID_Z_EN: 1
; COMPUTE_PGM_RSRC2:TIDIG_COMP_CNT: 0
	.section	.text._ZL32rocblas_gemvt_warp_reduce_kernelILb0ELi1024ElPK19rocblas_complex_numIdES1_KPS1_EviiT3_lPKT2_lT1_lS9_lSA_lS6_lPT4_lSA_li,"axG",@progbits,_ZL32rocblas_gemvt_warp_reduce_kernelILb0ELi1024ElPK19rocblas_complex_numIdES1_KPS1_EviiT3_lPKT2_lT1_lS9_lSA_lS6_lPT4_lSA_li,comdat
	.globl	_ZL32rocblas_gemvt_warp_reduce_kernelILb0ELi1024ElPK19rocblas_complex_numIdES1_KPS1_EviiT3_lPKT2_lT1_lS9_lSA_lS6_lPT4_lSA_li ; -- Begin function _ZL32rocblas_gemvt_warp_reduce_kernelILb0ELi1024ElPK19rocblas_complex_numIdES1_KPS1_EviiT3_lPKT2_lT1_lS9_lSA_lS6_lPT4_lSA_li
	.p2align	8
	.type	_ZL32rocblas_gemvt_warp_reduce_kernelILb0ELi1024ElPK19rocblas_complex_numIdES1_KPS1_EviiT3_lPKT2_lT1_lS9_lSA_lS6_lPT4_lSA_li,@function
_ZL32rocblas_gemvt_warp_reduce_kernelILb0ELi1024ElPK19rocblas_complex_numIdES1_KPS1_EviiT3_lPKT2_lT1_lS9_lSA_lS6_lPT4_lSA_li: ; @_ZL32rocblas_gemvt_warp_reduce_kernelILb0ELi1024ElPK19rocblas_complex_numIdES1_KPS1_EviiT3_lPKT2_lT1_lS9_lSA_lS6_lPT4_lSA_li
; %bb.0:
	s_load_b32 s5, s[0:1], 0x98
	s_bfe_u32 s2, ttmp6, 0x40014
	s_lshr_b32 s3, ttmp7, 16
	s_add_co_i32 s2, s2, 1
	s_bfe_u32 s6, ttmp6, 0x40008
	s_mul_i32 s4, s3, s2
	s_getreg_b32 s2, hwreg(HW_REG_IB_STS2, 6, 4)
	s_add_co_i32 s6, s6, s4
	s_cmp_eq_u32 s2, 0
	s_mov_b32 s7, 0
	s_cselect_b32 s6, s3, s6
	s_wait_kmcnt 0x0
	s_cmp_ge_u32 s6, s5
	s_cbranch_scc1 .LBB367_41
; %bb.1:
	s_clause 0x3
	s_load_b128 s[8:11], s[0:1], 0x8
	s_load_b128 s[12:15], s[0:1], 0x60
	s_load_b32 s29, s[0:1], 0x0
	s_load_b64 s[34:35], s[0:1], 0x50
	s_bfe_u32 s19, ttmp6, 0x4000c
	s_and_b32 s20, ttmp6, 15
	s_add_co_i32 s19, s19, 1
	s_load_b64 s[30:31], s[0:1], 0x88
	s_mul_i32 s19, ttmp9, s19
	s_load_b64 s[36:37], s[0:1], 0x30
	s_add_co_i32 s20, s20, s19
	v_mbcnt_lo_u32_b32 v26, -1, 0
	s_load_b128 s[24:27], s[0:1], 0x78
	s_wait_kmcnt 0x0
	v_cmp_neq_f64_e64 s3, s[8:9], 0
	v_cmp_neq_f64_e64 s18, s[10:11], 0
	v_cmp_neq_f64_e64 s4, s[12:13], 1.0
	v_cmp_neq_f64_e64 s16, s[14:15], 0
	v_cmp_neq_f64_e64 s17, s[12:13], 0
	v_cmp_gt_i32_e32 vcc_lo, s29, v0
	v_cndmask_b32_e32 v6, 0, v0, vcc_lo
	s_or_b32 s3, s3, s18
	s_or_b32 s33, s4, s16
	;; [unrolled: 1-line block ×3, first 2 shown]
	s_xor_b32 s39, s3, -1
	s_cmp_eq_u32 s2, 0
	v_cndmask_b32_e64 v24, 0, 1, s3
	s_cselect_b32 s2, ttmp9, s20
	s_ashr_i32 s3, s29, 31
	s_load_b128 s[16:19], s[0:1], 0x40
	s_lshr_b32 s3, s3, 22
	s_load_b128 s[20:23], s[0:1], 0x20
	s_add_co_i32 s3, s29, s3
	s_wait_xcnt 0x0
	v_cmp_eq_u32_e64 s0, 0, v0
	s_and_b32 s28, s3, 0xfffffc00
	s_delay_alu instid0(SALU_CYCLE_1)
	v_dual_mov_b32 v11, 0 :: v_dual_bitop2_b32 v4, s28, v0 bitop3:0x54
	s_ashr_i32 s3, s2, 31
	v_cmp_gt_i32_e64 s1, s28, v0
	s_mul_u64 s[40:41], s[30:31], s[2:3]
	v_dual_mov_b32 v1, v11 :: v_dual_ashrrev_i32 v5, 31, v4
	s_mul_u64 s[30:31], s[36:37], s[2:3]
	v_cmp_gt_i32_e64 s2, s29, v4
	v_cmp_gt_u32_e64 s3, 32, v0
	s_delay_alu instid0(VALU_DEP_3)
	v_mul_u64_e32 v[2:3], s[34:35], v[0:1]
	v_mul_u64_e32 v[12:13], s[34:35], v[4:5]
	v_dual_lshlrev_b32 v10, 4, v6 :: v_dual_bitop2_b32 v4, 31, v0 bitop3:0x40
	v_lshrrev_b32_e32 v5, 1, v0
	s_ashr_i32 s29, s28, 31
	s_lshl_b64 s[34:35], s[34:35], 14
	s_delay_alu instid0(VALU_DEP_2)
	v_cmp_eq_u32_e64 s4, 0, v4
	v_lshl_add_u64 v[16:17], s[30:31], 4, v[10:11]
	v_and_b32_e32 v25, 0x1f0, v5
	v_lshlrev_b32_e32 v10, 4, v6
	s_wait_kmcnt 0x0
	s_lshl_b64 s[22:23], s[22:23], 4
	s_lshl_b64 s[18:19], s[18:19], 4
	v_or_b32_e32 v16, 8, v16
	s_lshl_b64 s[26:27], s[26:27], 4
	s_lshl_b64 s[36:37], s[40:41], 4
	v_lshlrev_b64_e32 v[14:15], 4, v[2:3]
	s_delay_alu instid0(VALU_DEP_1)
	v_dual_lshlrev_b32 v1, 4, v4 :: v_dual_bitop2_b32 v14, 8, v14 bitop3:0x54
	s_branch .LBB367_4
.LBB367_2:                              ;   in Loop: Header=BB367_4 Depth=1
	s_wait_xcnt 0x0
	s_or_b32 exec_lo, exec_lo, s41
.LBB367_3:                              ;   in Loop: Header=BB367_4 Depth=1
	s_add_co_i32 s6, s6, 0x10000
	s_delay_alu instid0(SALU_CYCLE_1)
	s_cmp_lt_u32 s6, s5
	s_cbranch_scc0 .LBB367_41
.LBB367_4:                              ; =>This Loop Header: Depth=1
                                        ;     Child Loop BB367_30 Depth 2
	s_and_not1_b32 vcc_lo, exec_lo, s39
	s_cbranch_vccnz .LBB367_7
; %bb.5:                                ;   in Loop: Header=BB367_4 Depth=1
	s_mov_b32 s41, 0
	s_and_b32 vcc_lo, exec_lo, s33
	s_mov_b32 s40, 0
	s_cbranch_vccz .LBB367_8
; %bb.6:                                ;   in Loop: Header=BB367_4 Depth=1
	s_mov_b32 s40, -1
	s_branch .LBB367_8
.LBB367_7:                              ;   in Loop: Header=BB367_4 Depth=1
	s_mov_b32 s40, 0
	s_mov_b32 s41, -1
.LBB367_8:                              ;   in Loop: Header=BB367_4 Depth=1
	s_wait_dscnt 0x0
	v_mov_b64_e32 v[6:7], 0
	s_and_b32 vcc_lo, exec_lo, s41
	s_cbranch_vccnz .LBB367_10
; %bb.9:                                ;   in Loop: Header=BB367_4 Depth=1
	s_and_not1_b32 vcc_lo, exec_lo, s40
	s_cbranch_vccnz .LBB367_3
	s_branch .LBB367_11
.LBB367_10:                             ;   in Loop: Header=BB367_4 Depth=1
	s_lshl_b64 s[40:41], s[6:7], 3
	s_delay_alu instid0(SALU_CYCLE_1)
	s_add_nc_u64 s[40:41], s[20:21], s[40:41]
	global_load_b64 v[2:3], v11, s[40:41]
	s_wait_xcnt 0x0
	s_wait_loadcnt 0x0
	v_add_nc_u64_e32 v[6:7], s[22:23], v[2:3]
.LBB367_11:                             ;   in Loop: Header=BB367_4 Depth=1
	v_cmp_ne_u32_e32 vcc_lo, 1, v24
	v_mov_b64_e32 v[8:9], 0
	s_cbranch_vccnz .LBB367_13
; %bb.12:                               ;   in Loop: Header=BB367_4 Depth=1
	s_lshl_b64 s[40:41], s[6:7], 3
	s_delay_alu instid0(SALU_CYCLE_1)
	s_add_nc_u64 s[40:41], s[16:17], s[40:41]
	global_load_b64 v[2:3], v11, s[40:41]
	s_wait_loadcnt 0x0
	v_add_nc_u64_e32 v[8:9], s[18:19], v[2:3]
.LBB367_13:                             ;   in Loop: Header=BB367_4 Depth=1
	s_wait_xcnt 0x0
	s_lshl_b64 s[40:41], s[6:7], 3
	s_and_not1_b32 vcc_lo, exec_lo, s39
	s_add_nc_u64 s[40:41], s[24:25], s[40:41]
	global_load_b64 v[2:3], v11, s[40:41]
	s_wait_loadcnt 0x0
	v_add_nc_u64_e32 v[18:19], s[26:27], v[2:3]
	s_cbranch_vccnz .LBB367_18
; %bb.14:                               ;   in Loop: Header=BB367_4 Depth=1
	s_wait_xcnt 0x0
	s_mov_b32 s41, 0
	s_mov_b32 s40, 0
                                        ; implicit-def: $vgpr4_vgpr5
	s_and_saveexec_b32 s42, s0
	s_cbranch_execz .LBB367_19
; %bb.15:                               ;   in Loop: Header=BB367_4 Depth=1
	v_mov_b64_e32 v[4:5], 0
	v_mov_b64_e32 v[2:3], 0
	s_and_not1_b32 vcc_lo, exec_lo, s38
	s_cbranch_vccnz .LBB367_17
; %bb.16:                               ;   in Loop: Header=BB367_4 Depth=1
	v_add_nc_u64_e32 v[2:3], s[36:37], v[18:19]
	flat_load_b128 v[20:23], v[2:3]
	s_wait_loadcnt_dscnt 0x0
	s_wait_xcnt 0x0
	v_mul_f64_e32 v[2:3], s[14:15], v[22:23]
	v_mul_f64_e32 v[4:5], s[12:13], v[22:23]
	s_delay_alu instid0(VALU_DEP_2) | instskip(NEXT) | instid1(VALU_DEP_2)
	v_fma_f64 v[2:3], s[12:13], v[20:21], -v[2:3]
	v_fmac_f64_e32 v[4:5], s[14:15], v[20:21]
.LBB367_17:                             ;   in Loop: Header=BB367_4 Depth=1
	s_mov_b32 s40, exec_lo
	s_or_b32 exec_lo, exec_lo, s42
	s_delay_alu instid0(SALU_CYCLE_1)
	s_and_b32 vcc_lo, exec_lo, s41
	s_cbranch_vccnz .LBB367_20
	s_branch .LBB367_39
.LBB367_18:                             ;   in Loop: Header=BB367_4 Depth=1
	s_wait_xcnt 0x0
	s_mov_b32 s40, 0
                                        ; implicit-def: $vgpr4_vgpr5
	s_cbranch_execnz .LBB367_20
	s_branch .LBB367_39
.LBB367_19:                             ;   in Loop: Header=BB367_4 Depth=1
	s_or_b32 exec_lo, exec_lo, s42
	s_delay_alu instid0(SALU_CYCLE_1)
	s_and_b32 vcc_lo, exec_lo, s41
	s_cbranch_vccz .LBB367_39
.LBB367_20:                             ;   in Loop: Header=BB367_4 Depth=1
	v_mov_b64_e32 v[2:3], 0
	v_mov_b64_e32 v[4:5], 0
	s_and_saveexec_b32 s41, s1
	s_cbranch_execnz .LBB367_29
; %bb.21:                               ;   in Loop: Header=BB367_4 Depth=1
	s_or_b32 exec_lo, exec_lo, s41
	s_and_saveexec_b32 s41, s2
	s_cbranch_execnz .LBB367_32
.LBB367_22:                             ;   in Loop: Header=BB367_4 Depth=1
	s_or_b32 exec_lo, exec_lo, s41
	s_and_saveexec_b32 s41, s3
.LBB367_23:                             ;   in Loop: Header=BB367_4 Depth=1
	v_dual_mov_b32 v6, v11 :: v_dual_mov_b32 v7, v11
	v_dual_mov_b32 v8, v11 :: v_dual_mov_b32 v9, v11
	ds_store_b128 v1, v[6:9]
.LBB367_24:                             ;   in Loop: Header=BB367_4 Depth=1
	s_or_b32 exec_lo, exec_lo, s41
	v_lshl_or_b32 v20, v26, 2, 64
	v_cmp_gt_u32_e32 vcc_lo, 24, v26
	s_wait_dscnt 0x0
	s_barrier_signal -1
	s_barrier_wait -1
	ds_bpermute_b32 v6, v20, v4
	ds_bpermute_b32 v7, v20, v5
	;; [unrolled: 1-line block ×4, first 2 shown]
	s_wait_dscnt 0x0
	v_add_f64_e32 v[4:5], v[4:5], v[6:7]
	v_cndmask_b32_e64 v6, 0, 8, vcc_lo
	v_add_f64_e32 v[2:3], v[2:3], v[8:9]
	v_cmp_gt_u32_e32 vcc_lo, 28, v26
	s_delay_alu instid0(VALU_DEP_3)
	v_add_lshl_u32 v21, v6, v26, 2
	ds_bpermute_b32 v6, v21, v4
	ds_bpermute_b32 v7, v21, v5
	;; [unrolled: 1-line block ×4, first 2 shown]
	s_wait_dscnt 0x2
	v_add_f64_e32 v[4:5], v[4:5], v[6:7]
	v_cndmask_b32_e64 v6, 0, 4, vcc_lo
	s_wait_dscnt 0x0
	v_add_f64_e32 v[2:3], v[2:3], v[8:9]
	v_cmp_gt_u32_e32 vcc_lo, 30, v26
	s_delay_alu instid0(VALU_DEP_3)
	v_add_lshl_u32 v22, v6, v26, 2
	ds_bpermute_b32 v6, v22, v4
	ds_bpermute_b32 v7, v22, v5
	;; [unrolled: 1-line block ×4, first 2 shown]
	s_wait_dscnt 0x2
	v_add_f64_e32 v[4:5], v[4:5], v[6:7]
	s_wait_dscnt 0x0
	v_add_f64_e32 v[6:7], v[2:3], v[8:9]
	v_cndmask_b32_e64 v2, 0, 2, vcc_lo
	v_cmp_ne_u32_e32 vcc_lo, 31, v26
	s_delay_alu instid0(VALU_DEP_2)
	v_add_lshl_u32 v23, v2, v26, 2
	ds_bpermute_b32 v2, v23, v4
	ds_bpermute_b32 v3, v23, v5
	;; [unrolled: 1-line block ×4, first 2 shown]
	s_wait_dscnt 0x2
	v_add_f64_e32 v[2:3], v[4:5], v[2:3]
	s_wait_dscnt 0x0
	v_add_f64_e32 v[4:5], v[6:7], v[8:9]
	v_add_co_ci_u32_e64 v6, null, 0, v26, vcc_lo
	s_delay_alu instid0(VALU_DEP_1)
	v_lshlrev_b32_e32 v27, 2, v6
	ds_bpermute_b32 v6, v27, v2
	ds_bpermute_b32 v7, v27, v3
	;; [unrolled: 1-line block ×4, first 2 shown]
	s_and_saveexec_b32 s41, s4
	s_cbranch_execz .LBB367_26
; %bb.25:                               ;   in Loop: Header=BB367_4 Depth=1
	s_wait_dscnt 0x0
	v_add_f64_e32 v[4:5], v[4:5], v[8:9]
	v_add_f64_e32 v[2:3], v[2:3], v[6:7]
	ds_store_b128 v25, v[2:5]
.LBB367_26:                             ;   in Loop: Header=BB367_4 Depth=1
	s_or_b32 exec_lo, exec_lo, s41
	s_wait_dscnt 0x0
	v_mov_b64_e32 v[8:9], 0
	v_mov_b64_e32 v[6:7], 0
	s_barrier_signal -1
	s_barrier_wait -1
	s_and_saveexec_b32 s41, s3
	s_cbranch_execnz .LBB367_33
; %bb.27:                               ;   in Loop: Header=BB367_4 Depth=1
	s_or_b32 exec_lo, exec_lo, s41
	s_and_saveexec_b32 s41, s3
	s_cbranch_execnz .LBB367_34
.LBB367_28:                             ;   in Loop: Header=BB367_4 Depth=1
	s_or_b32 exec_lo, exec_lo, s41
                                        ; implicit-def: $vgpr4_vgpr5
	s_and_saveexec_b32 s41, s0
	s_cbranch_execnz .LBB367_35
	s_branch .LBB367_38
.LBB367_29:                             ;   in Loop: Header=BB367_4 Depth=1
	v_add_nc_u64_e32 v[20:21], v[6:7], v[16:17]
	v_add_nc_u64_e32 v[22:23], v[8:9], v[14:15]
	v_mov_b64_e32 v[2:3], 0
	v_mov_b64_e32 v[4:5], 0
	v_mov_b32_e32 v27, v0
	s_mov_b32 s42, 0
.LBB367_30:                             ;   Parent Loop BB367_4 Depth=1
                                        ; =>  This Inner Loop Header: Depth=2
	flat_load_b128 v[28:31], v[20:21] offset:-8
	flat_load_b128 v[32:35], v[22:23] offset:-8
	v_add_nc_u32_e32 v27, 0x400, v27
	s_wait_xcnt 0x1
	v_add_nc_u64_e32 v[20:21], 0x4000, v[20:21]
	s_wait_xcnt 0x0
	v_add_nc_u64_e32 v[22:23], s[34:35], v[22:23]
	v_cmp_le_i32_e32 vcc_lo, s28, v27
	s_or_b32 s42, vcc_lo, s42
	s_wait_loadcnt_dscnt 0x0
	v_mul_f64_e32 v[36:37], v[30:31], v[34:35]
	v_mul_f64_e32 v[34:35], v[28:29], v[34:35]
	s_delay_alu instid0(VALU_DEP_2) | instskip(NEXT) | instid1(VALU_DEP_2)
	v_fma_f64 v[28:29], v[28:29], v[32:33], -v[36:37]
	v_fmac_f64_e32 v[34:35], v[30:31], v[32:33]
	s_delay_alu instid0(VALU_DEP_2) | instskip(NEXT) | instid1(VALU_DEP_2)
	v_add_f64_e32 v[4:5], v[4:5], v[28:29]
	v_add_f64_e32 v[2:3], v[2:3], v[34:35]
	s_and_not1_b32 exec_lo, exec_lo, s42
	s_cbranch_execnz .LBB367_30
; %bb.31:                               ;   in Loop: Header=BB367_4 Depth=1
	s_or_b32 exec_lo, exec_lo, s42
	s_delay_alu instid0(SALU_CYCLE_1)
	s_or_b32 exec_lo, exec_lo, s41
	s_and_saveexec_b32 s41, s2
	s_cbranch_execz .LBB367_22
.LBB367_32:                             ;   in Loop: Header=BB367_4 Depth=1
	v_add_nc_u64_e32 v[6:7], v[6:7], v[10:11]
	v_lshl_add_u64 v[28:29], v[12:13], 4, v[8:9]
	s_delay_alu instid0(VALU_DEP_2) | instskip(NEXT) | instid1(VALU_DEP_1)
	v_lshl_add_u64 v[6:7], s[30:31], 4, v[6:7]
	v_lshl_add_u64 v[30:31], s[28:29], 4, v[6:7]
	flat_load_b128 v[6:9], v[28:29]
	flat_load_b128 v[20:23], v[30:31]
	s_wait_loadcnt_dscnt 0x0
	s_wait_xcnt 0x1
	v_mul_f64_e32 v[28:29], v[22:23], v[8:9]
	v_mul_f64_e32 v[8:9], v[20:21], v[8:9]
	s_delay_alu instid0(VALU_DEP_2) | instskip(NEXT) | instid1(VALU_DEP_2)
	v_fma_f64 v[20:21], v[20:21], v[6:7], -v[28:29]
	v_fmac_f64_e32 v[8:9], v[22:23], v[6:7]
	s_delay_alu instid0(VALU_DEP_2) | instskip(NEXT) | instid1(VALU_DEP_2)
	v_add_f64_e32 v[4:5], v[4:5], v[20:21]
	v_add_f64_e32 v[2:3], v[2:3], v[8:9]
	s_wait_xcnt 0x0
	s_or_b32 exec_lo, exec_lo, s41
	s_and_saveexec_b32 s41, s3
	s_cbranch_execnz .LBB367_23
	s_branch .LBB367_24
.LBB367_33:                             ;   in Loop: Header=BB367_4 Depth=1
	ds_load_b128 v[6:9], v1
	s_or_b32 exec_lo, exec_lo, s41
	s_and_saveexec_b32 s41, s3
	s_cbranch_execz .LBB367_28
.LBB367_34:                             ;   in Loop: Header=BB367_4 Depth=1
	s_wait_dscnt 0x0
	ds_bpermute_b32 v2, v20, v6
	ds_bpermute_b32 v3, v20, v7
	ds_bpermute_b32 v4, v20, v8
	ds_bpermute_b32 v5, v20, v9
	s_wait_dscnt 0x2
	v_add_f64_e32 v[2:3], v[6:7], v[2:3]
	s_wait_dscnt 0x0
	v_add_f64_e32 v[4:5], v[8:9], v[4:5]
	ds_bpermute_b32 v6, v21, v2
	ds_bpermute_b32 v7, v21, v3
	ds_bpermute_b32 v8, v21, v4
	ds_bpermute_b32 v9, v21, v5
	s_wait_dscnt 0x2
	v_add_f64_e32 v[2:3], v[2:3], v[6:7]
	s_wait_dscnt 0x0
	v_add_f64_e32 v[4:5], v[4:5], v[8:9]
	;; [unrolled: 8-line block ×5, first 2 shown]
	s_or_b32 exec_lo, exec_lo, s41
                                        ; implicit-def: $vgpr4_vgpr5
	s_and_saveexec_b32 s41, s0
	s_cbranch_execz .LBB367_38
.LBB367_35:                             ;   in Loop: Header=BB367_4 Depth=1
	s_wait_dscnt 0x0
	s_delay_alu instid0(VALU_DEP_1) | instskip(SKIP_2) | instid1(VALU_DEP_2)
	v_mul_f64_e32 v[2:3], s[10:11], v[8:9]
	v_mul_f64_e32 v[4:5], s[8:9], v[8:9]
	s_and_not1_b32 vcc_lo, exec_lo, s38
	v_fma_f64 v[2:3], s[8:9], v[6:7], -v[2:3]
	s_delay_alu instid0(VALU_DEP_2)
	v_fmac_f64_e32 v[4:5], s[10:11], v[6:7]
	s_cbranch_vccnz .LBB367_37
; %bb.36:                               ;   in Loop: Header=BB367_4 Depth=1
	v_add_nc_u64_e32 v[6:7], s[36:37], v[18:19]
	flat_load_b128 v[6:9], v[6:7]
	s_wait_loadcnt_dscnt 0x0
	v_mul_f64_e32 v[20:21], s[14:15], v[8:9]
	v_mul_f64_e32 v[8:9], s[12:13], v[8:9]
	s_delay_alu instid0(VALU_DEP_2) | instskip(NEXT) | instid1(VALU_DEP_2)
	v_fma_f64 v[20:21], s[12:13], v[6:7], -v[20:21]
	v_fmac_f64_e32 v[8:9], s[14:15], v[6:7]
	s_delay_alu instid0(VALU_DEP_2) | instskip(NEXT) | instid1(VALU_DEP_2)
	v_add_f64_e32 v[2:3], v[2:3], v[20:21]
	v_add_f64_e32 v[4:5], v[4:5], v[8:9]
.LBB367_37:                             ;   in Loop: Header=BB367_4 Depth=1
	s_or_b32 s40, s40, exec_lo
.LBB367_38:                             ;   in Loop: Header=BB367_4 Depth=1
	s_wait_xcnt 0x0
	s_or_b32 exec_lo, exec_lo, s41
.LBB367_39:                             ;   in Loop: Header=BB367_4 Depth=1
	s_and_saveexec_b32 s41, s40
	s_cbranch_execz .LBB367_2
; %bb.40:                               ;   in Loop: Header=BB367_4 Depth=1
	s_wait_dscnt 0x0
	v_add_nc_u64_e32 v[6:7], s[36:37], v[18:19]
	flat_store_b128 v[6:7], v[2:5]
	s_branch .LBB367_2
.LBB367_41:
	s_endpgm
	.section	.rodata,"a",@progbits
	.p2align	6, 0x0
	.amdhsa_kernel _ZL32rocblas_gemvt_warp_reduce_kernelILb0ELi1024ElPK19rocblas_complex_numIdES1_KPS1_EviiT3_lPKT2_lT1_lS9_lSA_lS6_lPT4_lSA_li
		.amdhsa_group_segment_fixed_size 512
		.amdhsa_private_segment_fixed_size 0
		.amdhsa_kernarg_size 156
		.amdhsa_user_sgpr_count 2
		.amdhsa_user_sgpr_dispatch_ptr 0
		.amdhsa_user_sgpr_queue_ptr 0
		.amdhsa_user_sgpr_kernarg_segment_ptr 1
		.amdhsa_user_sgpr_dispatch_id 0
		.amdhsa_user_sgpr_kernarg_preload_length 0
		.amdhsa_user_sgpr_kernarg_preload_offset 0
		.amdhsa_user_sgpr_private_segment_size 0
		.amdhsa_wavefront_size32 1
		.amdhsa_uses_dynamic_stack 0
		.amdhsa_enable_private_segment 0
		.amdhsa_system_sgpr_workgroup_id_x 1
		.amdhsa_system_sgpr_workgroup_id_y 0
		.amdhsa_system_sgpr_workgroup_id_z 1
		.amdhsa_system_sgpr_workgroup_info 0
		.amdhsa_system_vgpr_workitem_id 0
		.amdhsa_next_free_vgpr 38
		.amdhsa_next_free_sgpr 43
		.amdhsa_named_barrier_count 0
		.amdhsa_reserve_vcc 1
		.amdhsa_float_round_mode_32 0
		.amdhsa_float_round_mode_16_64 0
		.amdhsa_float_denorm_mode_32 3
		.amdhsa_float_denorm_mode_16_64 3
		.amdhsa_fp16_overflow 0
		.amdhsa_memory_ordered 1
		.amdhsa_forward_progress 1
		.amdhsa_inst_pref_size 16
		.amdhsa_round_robin_scheduling 0
		.amdhsa_exception_fp_ieee_invalid_op 0
		.amdhsa_exception_fp_denorm_src 0
		.amdhsa_exception_fp_ieee_div_zero 0
		.amdhsa_exception_fp_ieee_overflow 0
		.amdhsa_exception_fp_ieee_underflow 0
		.amdhsa_exception_fp_ieee_inexact 0
		.amdhsa_exception_int_div_zero 0
	.end_amdhsa_kernel
	.section	.text._ZL32rocblas_gemvt_warp_reduce_kernelILb0ELi1024ElPK19rocblas_complex_numIdES1_KPS1_EviiT3_lPKT2_lT1_lS9_lSA_lS6_lPT4_lSA_li,"axG",@progbits,_ZL32rocblas_gemvt_warp_reduce_kernelILb0ELi1024ElPK19rocblas_complex_numIdES1_KPS1_EviiT3_lPKT2_lT1_lS9_lSA_lS6_lPT4_lSA_li,comdat
.Lfunc_end367:
	.size	_ZL32rocblas_gemvt_warp_reduce_kernelILb0ELi1024ElPK19rocblas_complex_numIdES1_KPS1_EviiT3_lPKT2_lT1_lS9_lSA_lS6_lPT4_lSA_li, .Lfunc_end367-_ZL32rocblas_gemvt_warp_reduce_kernelILb0ELi1024ElPK19rocblas_complex_numIdES1_KPS1_EviiT3_lPKT2_lT1_lS9_lSA_lS6_lPT4_lSA_li
                                        ; -- End function
	.set _ZL32rocblas_gemvt_warp_reduce_kernelILb0ELi1024ElPK19rocblas_complex_numIdES1_KPS1_EviiT3_lPKT2_lT1_lS9_lSA_lS6_lPT4_lSA_li.num_vgpr, 38
	.set _ZL32rocblas_gemvt_warp_reduce_kernelILb0ELi1024ElPK19rocblas_complex_numIdES1_KPS1_EviiT3_lPKT2_lT1_lS9_lSA_lS6_lPT4_lSA_li.num_agpr, 0
	.set _ZL32rocblas_gemvt_warp_reduce_kernelILb0ELi1024ElPK19rocblas_complex_numIdES1_KPS1_EviiT3_lPKT2_lT1_lS9_lSA_lS6_lPT4_lSA_li.numbered_sgpr, 43
	.set _ZL32rocblas_gemvt_warp_reduce_kernelILb0ELi1024ElPK19rocblas_complex_numIdES1_KPS1_EviiT3_lPKT2_lT1_lS9_lSA_lS6_lPT4_lSA_li.num_named_barrier, 0
	.set _ZL32rocblas_gemvt_warp_reduce_kernelILb0ELi1024ElPK19rocblas_complex_numIdES1_KPS1_EviiT3_lPKT2_lT1_lS9_lSA_lS6_lPT4_lSA_li.private_seg_size, 0
	.set _ZL32rocblas_gemvt_warp_reduce_kernelILb0ELi1024ElPK19rocblas_complex_numIdES1_KPS1_EviiT3_lPKT2_lT1_lS9_lSA_lS6_lPT4_lSA_li.uses_vcc, 1
	.set _ZL32rocblas_gemvt_warp_reduce_kernelILb0ELi1024ElPK19rocblas_complex_numIdES1_KPS1_EviiT3_lPKT2_lT1_lS9_lSA_lS6_lPT4_lSA_li.uses_flat_scratch, 0
	.set _ZL32rocblas_gemvt_warp_reduce_kernelILb0ELi1024ElPK19rocblas_complex_numIdES1_KPS1_EviiT3_lPKT2_lT1_lS9_lSA_lS6_lPT4_lSA_li.has_dyn_sized_stack, 0
	.set _ZL32rocblas_gemvt_warp_reduce_kernelILb0ELi1024ElPK19rocblas_complex_numIdES1_KPS1_EviiT3_lPKT2_lT1_lS9_lSA_lS6_lPT4_lSA_li.has_recursion, 0
	.set _ZL32rocblas_gemvt_warp_reduce_kernelILb0ELi1024ElPK19rocblas_complex_numIdES1_KPS1_EviiT3_lPKT2_lT1_lS9_lSA_lS6_lPT4_lSA_li.has_indirect_call, 0
	.section	.AMDGPU.csdata,"",@progbits
; Kernel info:
; codeLenInByte = 2004
; TotalNumSgprs: 45
; NumVgprs: 38
; ScratchSize: 0
; MemoryBound: 0
; FloatMode: 240
; IeeeMode: 1
; LDSByteSize: 512 bytes/workgroup (compile time only)
; SGPRBlocks: 0
; VGPRBlocks: 2
; NumSGPRsForWavesPerEU: 45
; NumVGPRsForWavesPerEU: 38
; NamedBarCnt: 0
; Occupancy: 16
; WaveLimiterHint : 1
; COMPUTE_PGM_RSRC2:SCRATCH_EN: 0
; COMPUTE_PGM_RSRC2:USER_SGPR: 2
; COMPUTE_PGM_RSRC2:TRAP_HANDLER: 0
; COMPUTE_PGM_RSRC2:TGID_X_EN: 1
; COMPUTE_PGM_RSRC2:TGID_Y_EN: 0
; COMPUTE_PGM_RSRC2:TGID_Z_EN: 1
; COMPUTE_PGM_RSRC2:TIDIG_COMP_CNT: 0
	.section	.text._ZL22rocblas_gemvtsm_kernelILb1ELi256EPK19rocblas_complex_numIdES3_KPS1_EviiT2_lPKT1_lilS9_lilS6_lPT3_lil,"axG",@progbits,_ZL22rocblas_gemvtsm_kernelILb1ELi256EPK19rocblas_complex_numIdES3_KPS1_EviiT2_lPKT1_lilS9_lilS6_lPT3_lil,comdat
	.globl	_ZL22rocblas_gemvtsm_kernelILb1ELi256EPK19rocblas_complex_numIdES3_KPS1_EviiT2_lPKT1_lilS9_lilS6_lPT3_lil ; -- Begin function _ZL22rocblas_gemvtsm_kernelILb1ELi256EPK19rocblas_complex_numIdES3_KPS1_EviiT2_lPKT1_lilS9_lilS6_lPT3_lil
	.p2align	8
	.type	_ZL22rocblas_gemvtsm_kernelILb1ELi256EPK19rocblas_complex_numIdES3_KPS1_EviiT2_lPKT1_lilS9_lilS6_lPT3_lil,@function
_ZL22rocblas_gemvtsm_kernelILb1ELi256EPK19rocblas_complex_numIdES3_KPS1_EviiT2_lPKT1_lilS9_lilS6_lPT3_lil: ; @_ZL22rocblas_gemvtsm_kernelILb1ELi256EPK19rocblas_complex_numIdES3_KPS1_EviiT2_lPKT1_lilS9_lilS6_lPT3_lil
; %bb.0:
	s_load_b256 s[8:15], s[0:1], 0x8
	s_bfe_u32 s2, ttmp6, 0x4000c
	s_and_b32 s3, ttmp6, 15
	s_add_co_i32 s2, s2, 1
	s_getreg_b32 s4, hwreg(HW_REG_IB_STS2, 6, 4)
	s_mul_i32 s2, ttmp9, s2
	s_mov_b32 s24, -1
	s_add_co_i32 s2, s3, s2
	s_cmp_eq_u32 s4, 0
	s_mov_b32 s3, 0
	s_cselect_b32 s2, ttmp9, s2
	s_wait_kmcnt 0x0
	s_mul_u64 s[4:5], s[10:11], s[2:3]
	s_delay_alu instid0(SALU_CYCLE_1) | instskip(NEXT) | instid1(SALU_CYCLE_1)
	s_lshl_b64 s[4:5], s[4:5], 4
	s_add_nc_u64 s[20:21], s[8:9], s[4:5]
	s_load_b128 s[16:19], s[20:21], 0x0
	s_load_b256 s[4:11], s[0:1], 0x58
	s_wait_kmcnt 0x0
	v_cmp_neq_f64_e64 s22, s[16:17], 0
	v_cmp_neq_f64_e64 s23, s[18:19], 0
	s_mul_u64 s[6:7], s[6:7], s[2:3]
	s_delay_alu instid0(SALU_CYCLE_1) | instskip(NEXT) | instid1(SALU_CYCLE_1)
	s_lshl_b64 s[6:7], s[6:7], 4
	s_add_nc_u64 s[20:21], s[4:5], s[6:7]
	s_load_b128 s[4:7], s[20:21], 0x0
	s_wait_xcnt 0x0
	s_mov_b64 s[20:21], 0
	s_or_b32 s22, s22, s23
	s_mov_b32 s23, s3
	s_and_b32 vcc_lo, exec_lo, s22
	s_cbranch_vccz .LBB368_3
; %bb.1:
	s_and_not1_b32 vcc_lo, exec_lo, s24
	s_cbranch_vccz .LBB368_4
.LBB368_2:
	s_and_not1_b32 vcc_lo, exec_lo, s23
	s_cbranch_vccz .LBB368_5
	s_branch .LBB368_40
.LBB368_3:
	s_wait_kmcnt 0x0
	v_cmp_neq_f64_e64 s23, s[4:5], 1.0
	v_cmp_neq_f64_e64 s24, s[6:7], 0
	s_or_b32 s23, s23, s24
	s_cbranch_execnz .LBB368_2
.LBB368_4:
	s_lshl_b64 s[20:21], s[2:3], 3
	s_lshl_b64 s[14:15], s[14:15], 4
	s_add_nc_u64 s[12:13], s[12:13], s[20:21]
	s_load_b64 s[12:13], s[12:13], 0x0
	s_wait_kmcnt 0x0
	s_add_nc_u64 s[20:21], s[12:13], s[14:15]
.LBB368_5:
	v_cndmask_b32_e64 v1, 0, 1, s22
	s_xor_b32 s22, s22, -1
	s_mov_b64 s[14:15], 0
	s_delay_alu instid0(VALU_DEP_1)
	v_cmp_ne_u32_e32 vcc_lo, 1, v1
	s_cbranch_vccnz .LBB368_7
; %bb.6:
	s_load_b128 s[12:15], s[0:1], 0x38
	s_lshl_b64 s[24:25], s[2:3], 3
	s_wait_kmcnt 0x0
	s_add_nc_u64 s[12:13], s[12:13], s[24:25]
	s_lshl_b64 s[14:15], s[14:15], 4
	s_load_b64 s[12:13], s[12:13], 0x0
	s_wait_kmcnt 0x0
	s_add_nc_u64 s[14:15], s[12:13], s[14:15]
.LBB368_7:
	s_lshl_b64 s[2:3], s[2:3], 3
	s_and_not1_b32 vcc_lo, exec_lo, s22
	s_add_nc_u64 s[24:25], s[8:9], s[2:3]
	s_clause 0x1
	s_load_b64 s[2:3], s[0:1], 0x0
	s_load_b32 s8, s[0:1], 0x78
	s_load_b64 s[12:13], s[24:25], 0x0
	s_mov_b32 s9, -1
	s_cbranch_vccnz .LBB368_22
; %bb.8:
	s_wait_kmcnt 0x0
	v_cmp_neq_f64_e64 s9, s[4:5], 0
	v_cmp_neq_f64_e64 s22, s[6:7], 0
	s_or_b32 s9, s9, s22
	s_cmp_gt_i32 s3, 0
	s_cselect_b32 s24, -1, 0
	s_and_b32 vcc_lo, exec_lo, s9
	s_mov_b32 s9, -1
	s_cbranch_vccnz .LBB368_15
; %bb.9:
	s_and_not1_b32 vcc_lo, exec_lo, s24
	s_cbranch_vccnz .LBB368_14
; %bb.10:
	v_mov_b32_e32 v2, 0
	s_ashr_i32 s9, s8, 31
	s_lshl_b64 s[22:23], s[10:11], 4
	s_delay_alu instid0(SALU_CYCLE_1) | instskip(NEXT) | instid1(VALU_DEP_1)
	s_add_nc_u64 s[22:23], s[12:13], s[22:23]
	v_mov_b32_e32 v1, v2
	s_delay_alu instid0(VALU_DEP_1) | instskip(NEXT) | instid1(VALU_DEP_1)
	v_mul_u64_e32 v[4:5], s[8:9], v[0:1]
	v_lshl_add_u64 v[4:5], v[4:5], 4, s[22:23]
	s_lshl_b64 s[22:23], s[8:9], 12
	s_mov_b32 s9, 0
	s_delay_alu instid0(VALU_DEP_1)
	v_add_nc_u64_e32 v[6:7], 8, v[4:5]
	s_branch .LBB368_12
.LBB368_11:                             ;   in Loop: Header=BB368_12 Depth=1
	s_wait_xcnt 0x0
	s_or_b32 exec_lo, exec_lo, s25
	v_add_nc_u64_e32 v[6:7], s[22:23], v[6:7]
	s_addk_co_i32 s9, 0x100
	s_delay_alu instid0(SALU_CYCLE_1)
	s_cmp_ge_i32 s9, s3
	s_cbranch_scc1 .LBB368_14
.LBB368_12:                             ; =>This Inner Loop Header: Depth=1
	v_add_nc_u32_e32 v1, s9, v0
	s_mov_b32 s25, exec_lo
	s_delay_alu instid0(VALU_DEP_1)
	v_cmpx_gt_i32_e64 s3, v1
	s_cbranch_execz .LBB368_11
; %bb.13:                               ;   in Loop: Header=BB368_12 Depth=1
	v_dual_mov_b32 v3, v2 :: v_dual_mov_b32 v4, v2
	v_mov_b32_e32 v5, v2
	flat_store_b128 v[6:7], v[2:5] offset:-8
	s_branch .LBB368_11
.LBB368_14:
	s_mov_b32 s9, 0
.LBB368_15:
	s_delay_alu instid0(SALU_CYCLE_1)
	s_and_not1_b32 vcc_lo, exec_lo, s9
	s_cbranch_vccnz .LBB368_21
; %bb.16:
	s_and_not1_b32 vcc_lo, exec_lo, s24
	s_cbranch_vccnz .LBB368_21
; %bb.17:
	v_mov_b32_e32 v1, 0
	s_ashr_i32 s9, s8, 31
	s_lshl_b64 s[22:23], s[10:11], 4
	s_delay_alu instid0(SALU_CYCLE_1) | instskip(NEXT) | instid1(VALU_DEP_1)
	s_add_nc_u64 s[22:23], s[12:13], s[22:23]
	v_mul_u64_e32 v[2:3], s[8:9], v[0:1]
	s_delay_alu instid0(VALU_DEP_1) | instskip(SKIP_2) | instid1(VALU_DEP_1)
	v_lshl_add_u64 v[2:3], v[2:3], 4, s[22:23]
	s_lshl_b64 s[22:23], s[8:9], 12
	s_mov_b32 s9, 0
	v_add_nc_u64_e32 v[2:3], 8, v[2:3]
	s_branch .LBB368_19
.LBB368_18:                             ;   in Loop: Header=BB368_19 Depth=1
	s_wait_xcnt 0x0
	s_or_b32 exec_lo, exec_lo, s24
	v_add_nc_u64_e32 v[2:3], s[22:23], v[2:3]
	s_addk_co_i32 s9, 0x100
	s_delay_alu instid0(SALU_CYCLE_1)
	s_cmp_ge_i32 s9, s3
	s_cbranch_scc1 .LBB368_21
.LBB368_19:                             ; =>This Inner Loop Header: Depth=1
	v_add_nc_u32_e32 v1, s9, v0
	s_mov_b32 s24, exec_lo
	s_delay_alu instid0(VALU_DEP_1)
	v_cmpx_gt_i32_e64 s3, v1
	s_cbranch_execz .LBB368_18
; %bb.20:                               ;   in Loop: Header=BB368_19 Depth=1
	flat_load_b128 v[4:7], v[2:3] offset:-8
	s_wait_loadcnt_dscnt 0x0
	v_mul_f64_e32 v[10:11], s[6:7], v[6:7]
	v_mul_f64_e32 v[8:9], s[4:5], v[6:7]
	s_delay_alu instid0(VALU_DEP_2) | instskip(NEXT) | instid1(VALU_DEP_2)
	v_fma_f64 v[6:7], s[4:5], v[4:5], -v[10:11]
	v_fmac_f64_e32 v[8:9], s[6:7], v[4:5]
	flat_store_b128 v[2:3], v[6:9] offset:-8
	s_branch .LBB368_18
.LBB368_21:
	s_mov_b32 s9, 0
.LBB368_22:
	s_delay_alu instid0(SALU_CYCLE_1)
	s_and_not1_b32 vcc_lo, exec_lo, s9
	s_cbranch_vccnz .LBB368_40
; %bb.23:
	s_mov_b32 s9, exec_lo
	s_wait_kmcnt 0x0
	v_cmpx_gt_i32_e64 s2, v0
	s_cbranch_execz .LBB368_25
; %bb.24:
	s_load_b32 s22, s[0:1], 0x48
	v_mov_b32_e32 v1, 0
	s_wait_kmcnt 0x0
	s_ashr_i32 s23, s22, 31
	s_delay_alu instid0(VALU_DEP_1) | instid1(SALU_CYCLE_1)
	v_mul_u64_e32 v[2:3], s[22:23], v[0:1]
	v_lshlrev_b32_e32 v1, 4, v0
	s_delay_alu instid0(VALU_DEP_2) | instskip(SKIP_4) | instid1(VALU_DEP_2)
	v_lshl_add_u64 v[2:3], v[2:3], 4, s[14:15]
	flat_load_b128 v[2:5], v[2:3]
	s_wait_loadcnt_dscnt 0x0
	v_mul_f64_e32 v[8:9], s[18:19], v[4:5]
	v_mul_f64_e32 v[6:7], s[16:17], v[4:5]
	v_fma_f64 v[4:5], s[16:17], v[2:3], -v[8:9]
	s_delay_alu instid0(VALU_DEP_2)
	v_fmac_f64_e32 v[6:7], s[18:19], v[2:3]
	ds_store_b128 v1, v[4:7]
.LBB368_25:
	s_wait_xcnt 0x0
	s_or_b32 exec_lo, exec_lo, s9
	s_cmp_lt_i32 s3, 1
	s_wait_storecnt_dscnt 0x0
	s_barrier_signal -1
	s_barrier_wait -1
	s_cbranch_scc1 .LBB368_40
; %bb.26:
	s_load_b32 s14, s[0:1], 0x28
	v_mov_b32_e32 v7, 0
	s_wait_xcnt 0x0
	v_cmp_neq_f64_e64 s0, s[4:5], 0
	v_cmp_neq_f64_e64 s1, s[6:7], 0
	s_lshl_b64 s[10:11], s[10:11], 4
	s_ashr_i32 s9, s8, 31
	v_mov_b32_e32 v1, v7
	s_add_nc_u64 s[10:11], s[12:13], s[10:11]
	s_wait_kmcnt 0x0
	s_ashr_i32 s15, s14, 31
	s_delay_alu instid0(VALU_DEP_1) | instid1(SALU_CYCLE_1)
	v_mul_u64_e32 v[2:3], s[14:15], v[0:1]
	s_or_b32 s16, s0, s1
	s_cmp_gt_i32 s2, 0
	s_mov_b32 s1, 0
	s_cselect_b32 s17, -1, 0
	s_and_b32 s0, s2, 7
	s_cmp_gt_u32 s2, 7
	s_cselect_b32 s18, -1, 0
	s_and_b32 s2, s2, 0x7ffffff8
	s_cmp_lg_u32 s0, 0
	s_cselect_b32 s19, -1, 0
	s_lshl_b64 s[12:13], s[14:15], 12
	s_delay_alu instid0(VALU_DEP_1) | instskip(SKIP_2) | instid1(VALU_DEP_1)
	v_lshl_add_u64 v[8:9], v[2:3], 4, s[20:21]
	s_lshl_b32 s20, s0, 4
	s_mov_b32 s21, 0
	v_add_nc_u64_e32 v[10:11], 0x78, v[8:9]
	s_branch .LBB368_29
.LBB368_27:                             ;   in Loop: Header=BB368_29 Depth=1
	flat_store_b128 v[12:13], v[2:5]
.LBB368_28:                             ;   in Loop: Header=BB368_29 Depth=1
	s_wait_xcnt 0x0
	s_or_b32 exec_lo, exec_lo, s22
	v_add_nc_u64_e32 v[10:11], s[12:13], v[10:11]
	v_add_nc_u64_e32 v[8:9], s[12:13], v[8:9]
	s_addk_co_i32 s21, 0x100
	s_delay_alu instid0(SALU_CYCLE_1)
	s_cmp_ge_i32 s21, s3
	s_cbranch_scc1 .LBB368_40
.LBB368_29:                             ; =>This Loop Header: Depth=1
                                        ;     Child Loop BB368_35 Depth 2
                                        ;     Child Loop BB368_39 Depth 2
	v_add_nc_u32_e32 v6, s21, v0
	s_mov_b32 s22, exec_lo
	s_delay_alu instid0(VALU_DEP_1)
	v_cmpx_gt_i32_e64 s3, v6
	s_cbranch_execz .LBB368_28
; %bb.30:                               ;   in Loop: Header=BB368_29 Depth=1
	v_mul_u64_e32 v[12:13], s[8:9], v[6:7]
	v_mov_b64_e32 v[2:3], 0
	v_mov_b64_e32 v[4:5], 0
	s_and_not1_b32 vcc_lo, exec_lo, s16
	s_delay_alu instid0(VALU_DEP_3)
	v_lshl_add_u64 v[12:13], v[12:13], 4, s[10:11]
	s_cbranch_vccnz .LBB368_32
; %bb.31:                               ;   in Loop: Header=BB368_29 Depth=1
	flat_load_b128 v[14:17], v[12:13]
	s_wait_loadcnt_dscnt 0x0
	v_mul_f64_e32 v[2:3], s[6:7], v[16:17]
	v_mul_f64_e32 v[4:5], s[4:5], v[16:17]
	s_delay_alu instid0(VALU_DEP_2) | instskip(NEXT) | instid1(VALU_DEP_2)
	v_fma_f64 v[2:3], s[4:5], v[14:15], -v[2:3]
	v_fmac_f64_e32 v[4:5], s[6:7], v[14:15]
.LBB368_32:                             ;   in Loop: Header=BB368_29 Depth=1
	s_and_not1_b32 vcc_lo, exec_lo, s17
	s_cbranch_vccnz .LBB368_27
; %bb.33:                               ;   in Loop: Header=BB368_29 Depth=1
	s_and_not1_b32 vcc_lo, exec_lo, s18
	s_mov_b32 s0, 0
	s_cbranch_vccnz .LBB368_37
; %bb.34:                               ;   in Loop: Header=BB368_29 Depth=1
	v_mov_b64_e32 v[14:15], v[10:11]
	s_mov_b32 s14, 0
.LBB368_35:                             ;   Parent Loop BB368_29 Depth=1
                                        ; =>  This Inner Loop Header: Depth=2
	s_clause 0x7
	flat_load_b128 v[16:19], v[14:15] offset:-120
	flat_load_b128 v[20:23], v[14:15] offset:-104
	;; [unrolled: 1-line block ×8, first 2 shown]
	v_mov_b32_e32 v1, s0
	s_wait_xcnt 0x0
	v_add_nc_u64_e32 v[14:15], 0x80, v[14:15]
	s_add_co_i32 s14, s14, 8
	s_addk_co_i32 s0, 0x80
	ds_load_b128 v[48:51], v1
	ds_load_b128 v[52:55], v1 offset:16
	s_cmp_eq_u32 s2, s14
	s_wait_loadcnt_dscnt 0x701
	v_mul_f64_e32 v[56:57], v[18:19], v[50:51]
	v_mul_f64_e32 v[18:19], v[18:19], v[48:49]
	s_wait_loadcnt_dscnt 0x600
	v_mul_f64_e32 v[58:59], v[22:23], v[54:55]
	v_mul_f64_e32 v[22:23], v[22:23], v[52:53]
	s_delay_alu instid0(VALU_DEP_4) | instskip(NEXT) | instid1(VALU_DEP_4)
	v_fmac_f64_e32 v[56:57], v[16:17], v[48:49]
	v_fma_f64 v[60:61], v[16:17], v[50:51], -v[18:19]
	ds_load_b128 v[16:19], v1 offset:32
	ds_load_b128 v[48:51], v1 offset:48
	v_fmac_f64_e32 v[58:59], v[20:21], v[52:53]
	v_fma_f64 v[20:21], v[20:21], v[54:55], -v[22:23]
	s_wait_loadcnt_dscnt 0x501
	v_mul_f64_e32 v[62:63], v[26:27], v[18:19]
	v_mul_f64_e32 v[26:27], v[26:27], v[16:17]
	s_wait_loadcnt_dscnt 0x400
	v_mul_f64_e32 v[22:23], v[30:31], v[50:51]
	v_mul_f64_e32 v[30:31], v[30:31], v[48:49]
	v_add_f64_e32 v[2:3], v[2:3], v[56:57]
	v_add_f64_e32 v[4:5], v[4:5], v[60:61]
	v_fmac_f64_e32 v[62:63], v[24:25], v[16:17]
	v_fma_f64 v[24:25], v[24:25], v[18:19], -v[26:27]
	v_fmac_f64_e32 v[22:23], v[28:29], v[48:49]
	v_fma_f64 v[28:29], v[28:29], v[50:51], -v[30:31]
	v_add_f64_e32 v[26:27], v[2:3], v[58:59]
	v_add_f64_e32 v[20:21], v[4:5], v[20:21]
	ds_load_b128 v[2:5], v1 offset:64
	ds_load_b128 v[16:19], v1 offset:80
	s_wait_loadcnt_dscnt 0x301
	v_mul_f64_e32 v[52:53], v[34:35], v[4:5]
	v_mul_f64_e32 v[34:35], v[34:35], v[2:3]
	s_wait_loadcnt_dscnt 0x200
	v_mul_f64_e32 v[30:31], v[38:39], v[16:17]
	v_add_f64_e32 v[26:27], v[26:27], v[62:63]
	v_add_f64_e32 v[20:21], v[20:21], v[24:25]
	v_mul_f64_e32 v[24:25], v[38:39], v[18:19]
	v_fmac_f64_e32 v[52:53], v[32:33], v[2:3]
	v_fma_f64 v[32:33], v[32:33], v[4:5], -v[34:35]
	v_add_f64_e32 v[26:27], v[26:27], v[22:23]
	v_add_f64_e32 v[28:29], v[20:21], v[28:29]
	ds_load_b128 v[2:5], v1 offset:96
	ds_load_b128 v[20:23], v1 offset:112
	v_fmac_f64_e32 v[24:25], v[36:37], v[16:17]
	v_fma_f64 v[16:17], v[36:37], v[18:19], -v[30:31]
	s_wait_loadcnt_dscnt 0x101
	v_mul_f64_e32 v[34:35], v[42:43], v[4:5]
	v_mul_f64_e32 v[38:39], v[42:43], v[2:3]
	s_wait_loadcnt_dscnt 0x0
	v_mul_f64_e32 v[30:31], v[46:47], v[20:21]
	v_add_f64_e32 v[18:19], v[26:27], v[52:53]
	v_add_f64_e32 v[26:27], v[28:29], v[32:33]
	v_mul_f64_e32 v[28:29], v[46:47], v[22:23]
	v_fmac_f64_e32 v[34:35], v[40:41], v[2:3]
	v_fma_f64 v[2:3], v[40:41], v[4:5], -v[38:39]
	v_add_f64_e32 v[4:5], v[18:19], v[24:25]
	v_add_f64_e32 v[16:17], v[26:27], v[16:17]
	v_fmac_f64_e32 v[28:29], v[44:45], v[20:21]
	v_fma_f64 v[18:19], v[44:45], v[22:23], -v[30:31]
	s_delay_alu instid0(VALU_DEP_4) | instskip(NEXT) | instid1(VALU_DEP_4)
	v_add_f64_e32 v[4:5], v[4:5], v[34:35]
	v_add_f64_e32 v[16:17], v[16:17], v[2:3]
	s_delay_alu instid0(VALU_DEP_2) | instskip(NEXT) | instid1(VALU_DEP_2)
	v_add_f64_e32 v[2:3], v[4:5], v[28:29]
	v_add_f64_e32 v[4:5], v[16:17], v[18:19]
	s_cbranch_scc0 .LBB368_35
; %bb.36:                               ;   in Loop: Header=BB368_29 Depth=1
	s_mov_b32 s0, s2
.LBB368_37:                             ;   in Loop: Header=BB368_29 Depth=1
	s_and_not1_b32 vcc_lo, exec_lo, s19
	s_cbranch_vccnz .LBB368_27
; %bb.38:                               ;   in Loop: Header=BB368_29 Depth=1
	v_lshl_add_u64 v[14:15], s[0:1], 4, v[8:9]
	s_lshl_b32 s0, s0, 4
	s_mov_b64 s[14:15], 0
.LBB368_39:                             ;   Parent Loop BB368_29 Depth=1
                                        ; =>  This Inner Loop Header: Depth=2
	s_delay_alu instid0(VALU_DEP_1) | instid1(SALU_CYCLE_1)
	v_add_nc_u64_e32 v[16:17], s[14:15], v[14:15]
	s_add_nc_u64 s[14:15], s[14:15], 16
	flat_load_b128 v[16:19], v[16:17]
	v_mov_b32_e32 v1, s0
	s_add_co_i32 s0, s0, 16
	s_cmp_lg_u32 s20, s14
	ds_load_b128 v[20:23], v1
	s_wait_loadcnt_dscnt 0x0
	v_mul_f64_e32 v[24:25], v[18:19], v[22:23]
	v_mul_f64_e32 v[18:19], v[18:19], v[20:21]
	s_delay_alu instid0(VALU_DEP_2) | instskip(SKIP_1) | instid1(VALU_DEP_2)
	v_fmac_f64_e32 v[24:25], v[16:17], v[20:21]
	s_wait_xcnt 0x0
	v_fma_f64 v[16:17], v[16:17], v[22:23], -v[18:19]
	s_delay_alu instid0(VALU_DEP_2) | instskip(NEXT) | instid1(VALU_DEP_2)
	v_add_f64_e32 v[2:3], v[2:3], v[24:25]
	v_add_f64_e32 v[4:5], v[4:5], v[16:17]
	s_cbranch_scc1 .LBB368_39
	s_branch .LBB368_27
.LBB368_40:
	s_endpgm
	.section	.rodata,"a",@progbits
	.p2align	6, 0x0
	.amdhsa_kernel _ZL22rocblas_gemvtsm_kernelILb1ELi256EPK19rocblas_complex_numIdES3_KPS1_EviiT2_lPKT1_lilS9_lilS6_lPT3_lil
		.amdhsa_group_segment_fixed_size 1024
		.amdhsa_private_segment_fixed_size 0
		.amdhsa_kernarg_size 136
		.amdhsa_user_sgpr_count 2
		.amdhsa_user_sgpr_dispatch_ptr 0
		.amdhsa_user_sgpr_queue_ptr 0
		.amdhsa_user_sgpr_kernarg_segment_ptr 1
		.amdhsa_user_sgpr_dispatch_id 0
		.amdhsa_user_sgpr_kernarg_preload_length 0
		.amdhsa_user_sgpr_kernarg_preload_offset 0
		.amdhsa_user_sgpr_private_segment_size 0
		.amdhsa_wavefront_size32 1
		.amdhsa_uses_dynamic_stack 0
		.amdhsa_enable_private_segment 0
		.amdhsa_system_sgpr_workgroup_id_x 1
		.amdhsa_system_sgpr_workgroup_id_y 0
		.amdhsa_system_sgpr_workgroup_id_z 0
		.amdhsa_system_sgpr_workgroup_info 0
		.amdhsa_system_vgpr_workitem_id 0
		.amdhsa_next_free_vgpr 64
		.amdhsa_next_free_sgpr 26
		.amdhsa_named_barrier_count 0
		.amdhsa_reserve_vcc 1
		.amdhsa_float_round_mode_32 0
		.amdhsa_float_round_mode_16_64 0
		.amdhsa_float_denorm_mode_32 3
		.amdhsa_float_denorm_mode_16_64 3
		.amdhsa_fp16_overflow 0
		.amdhsa_memory_ordered 1
		.amdhsa_forward_progress 1
		.amdhsa_inst_pref_size 14
		.amdhsa_round_robin_scheduling 0
		.amdhsa_exception_fp_ieee_invalid_op 0
		.amdhsa_exception_fp_denorm_src 0
		.amdhsa_exception_fp_ieee_div_zero 0
		.amdhsa_exception_fp_ieee_overflow 0
		.amdhsa_exception_fp_ieee_underflow 0
		.amdhsa_exception_fp_ieee_inexact 0
		.amdhsa_exception_int_div_zero 0
	.end_amdhsa_kernel
	.section	.text._ZL22rocblas_gemvtsm_kernelILb1ELi256EPK19rocblas_complex_numIdES3_KPS1_EviiT2_lPKT1_lilS9_lilS6_lPT3_lil,"axG",@progbits,_ZL22rocblas_gemvtsm_kernelILb1ELi256EPK19rocblas_complex_numIdES3_KPS1_EviiT2_lPKT1_lilS9_lilS6_lPT3_lil,comdat
.Lfunc_end368:
	.size	_ZL22rocblas_gemvtsm_kernelILb1ELi256EPK19rocblas_complex_numIdES3_KPS1_EviiT2_lPKT1_lilS9_lilS6_lPT3_lil, .Lfunc_end368-_ZL22rocblas_gemvtsm_kernelILb1ELi256EPK19rocblas_complex_numIdES3_KPS1_EviiT2_lPKT1_lilS9_lilS6_lPT3_lil
                                        ; -- End function
	.set _ZL22rocblas_gemvtsm_kernelILb1ELi256EPK19rocblas_complex_numIdES3_KPS1_EviiT2_lPKT1_lilS9_lilS6_lPT3_lil.num_vgpr, 64
	.set _ZL22rocblas_gemvtsm_kernelILb1ELi256EPK19rocblas_complex_numIdES3_KPS1_EviiT2_lPKT1_lilS9_lilS6_lPT3_lil.num_agpr, 0
	.set _ZL22rocblas_gemvtsm_kernelILb1ELi256EPK19rocblas_complex_numIdES3_KPS1_EviiT2_lPKT1_lilS9_lilS6_lPT3_lil.numbered_sgpr, 26
	.set _ZL22rocblas_gemvtsm_kernelILb1ELi256EPK19rocblas_complex_numIdES3_KPS1_EviiT2_lPKT1_lilS9_lilS6_lPT3_lil.num_named_barrier, 0
	.set _ZL22rocblas_gemvtsm_kernelILb1ELi256EPK19rocblas_complex_numIdES3_KPS1_EviiT2_lPKT1_lilS9_lilS6_lPT3_lil.private_seg_size, 0
	.set _ZL22rocblas_gemvtsm_kernelILb1ELi256EPK19rocblas_complex_numIdES3_KPS1_EviiT2_lPKT1_lilS9_lilS6_lPT3_lil.uses_vcc, 1
	.set _ZL22rocblas_gemvtsm_kernelILb1ELi256EPK19rocblas_complex_numIdES3_KPS1_EviiT2_lPKT1_lilS9_lilS6_lPT3_lil.uses_flat_scratch, 1
	.set _ZL22rocblas_gemvtsm_kernelILb1ELi256EPK19rocblas_complex_numIdES3_KPS1_EviiT2_lPKT1_lilS9_lilS6_lPT3_lil.has_dyn_sized_stack, 0
	.set _ZL22rocblas_gemvtsm_kernelILb1ELi256EPK19rocblas_complex_numIdES3_KPS1_EviiT2_lPKT1_lilS9_lilS6_lPT3_lil.has_recursion, 0
	.set _ZL22rocblas_gemvtsm_kernelILb1ELi256EPK19rocblas_complex_numIdES3_KPS1_EviiT2_lPKT1_lilS9_lilS6_lPT3_lil.has_indirect_call, 0
	.section	.AMDGPU.csdata,"",@progbits
; Kernel info:
; codeLenInByte = 1784
; TotalNumSgprs: 28
; NumVgprs: 64
; ScratchSize: 0
; MemoryBound: 0
; FloatMode: 240
; IeeeMode: 1
; LDSByteSize: 1024 bytes/workgroup (compile time only)
; SGPRBlocks: 0
; VGPRBlocks: 3
; NumSGPRsForWavesPerEU: 28
; NumVGPRsForWavesPerEU: 64
; NamedBarCnt: 0
; Occupancy: 16
; WaveLimiterHint : 1
; COMPUTE_PGM_RSRC2:SCRATCH_EN: 0
; COMPUTE_PGM_RSRC2:USER_SGPR: 2
; COMPUTE_PGM_RSRC2:TRAP_HANDLER: 0
; COMPUTE_PGM_RSRC2:TGID_X_EN: 1
; COMPUTE_PGM_RSRC2:TGID_Y_EN: 0
; COMPUTE_PGM_RSRC2:TGID_Z_EN: 0
; COMPUTE_PGM_RSRC2:TIDIG_COMP_CNT: 0
	.section	.text._ZL22rocblas_gemvtsm_kernelILb1ELi256EPK19rocblas_complex_numIdES1_KPS1_EviiT2_lPKT1_lilS9_lilS6_lPT3_lil,"axG",@progbits,_ZL22rocblas_gemvtsm_kernelILb1ELi256EPK19rocblas_complex_numIdES1_KPS1_EviiT2_lPKT1_lilS9_lilS6_lPT3_lil,comdat
	.globl	_ZL22rocblas_gemvtsm_kernelILb1ELi256EPK19rocblas_complex_numIdES1_KPS1_EviiT2_lPKT1_lilS9_lilS6_lPT3_lil ; -- Begin function _ZL22rocblas_gemvtsm_kernelILb1ELi256EPK19rocblas_complex_numIdES1_KPS1_EviiT2_lPKT1_lilS9_lilS6_lPT3_lil
	.p2align	8
	.type	_ZL22rocblas_gemvtsm_kernelILb1ELi256EPK19rocblas_complex_numIdES1_KPS1_EviiT2_lPKT1_lilS9_lilS6_lPT3_lil,@function
_ZL22rocblas_gemvtsm_kernelILb1ELi256EPK19rocblas_complex_numIdES1_KPS1_EviiT2_lPKT1_lilS9_lilS6_lPT3_lil: ; @_ZL22rocblas_gemvtsm_kernelILb1ELi256EPK19rocblas_complex_numIdES1_KPS1_EviiT2_lPKT1_lilS9_lilS6_lPT3_lil
; %bb.0:
	s_clause 0x1
	s_load_b128 s[8:11], s[0:1], 0x8
	s_load_b128 s[4:7], s[0:1], 0x60
	s_wait_kmcnt 0x0
	v_cmp_neq_f64_e64 s2, s[8:9], 0
	v_cmp_neq_f64_e64 s3, s[10:11], 0
	s_or_b32 s12, s2, s3
	s_mov_b32 s2, -1
	s_and_b32 vcc_lo, exec_lo, s12
	s_cbranch_vccnz .LBB369_2
; %bb.1:
	v_cmp_neq_f64_e64 s2, s[4:5], 1.0
	v_cmp_neq_f64_e64 s3, s[6:7], 0
	s_or_b32 s2, s2, s3
.LBB369_2:
	s_delay_alu instid0(SALU_CYCLE_1)
	s_and_not1_b32 vcc_lo, exec_lo, s2
	s_cbranch_vccnz .LBB369_42
; %bb.3:
	s_bfe_u32 s2, ttmp6, 0x4000c
	s_xor_b32 s3, s12, -1
	s_add_co_i32 s2, s2, 1
	s_and_b32 s13, ttmp6, 15
	s_mul_i32 s2, ttmp9, s2
	s_getreg_b32 s14, hwreg(HW_REG_IB_STS2, 6, 4)
	v_cndmask_b32_e64 v1, 0, 1, s3
	s_add_co_i32 s13, s13, s2
	s_cmp_eq_u32 s14, 0
	s_cselect_b32 s2, ttmp9, s13
	s_and_not1_b32 vcc_lo, exec_lo, s3
	s_mov_b32 s3, 0
	s_cbranch_vccnz .LBB369_5
; %bb.4:
	s_mov_b32 s13, s3
	s_mov_b64 s[20:21], 0
	s_and_not1_b32 vcc_lo, exec_lo, s13
	s_mov_b64 s[16:17], 0
	s_cbranch_vccz .LBB369_6
	s_branch .LBB369_7
.LBB369_5:
	s_mov_b64 s[20:21], 0
	s_mov_b64 s[16:17], 0
.LBB369_6:
	s_load_b128 s[16:19], s[0:1], 0x20
	s_lshl_b64 s[14:15], s[2:3], 3
	s_wait_kmcnt 0x0
	s_add_nc_u64 s[14:15], s[16:17], s[14:15]
	s_lshl_b64 s[16:17], s[18:19], 4
	s_load_b64 s[14:15], s[14:15], 0x0
	s_wait_kmcnt 0x0
	s_add_nc_u64 s[16:17], s[14:15], s[16:17]
.LBB369_7:
	s_and_not1_b32 vcc_lo, exec_lo, s12
	s_cbranch_vccnz .LBB369_9
; %bb.8:
	s_load_b128 s[12:15], s[0:1], 0x40
	s_lshl_b64 s[18:19], s[2:3], 3
	s_wait_kmcnt 0x0
	s_add_nc_u64 s[12:13], s[12:13], s[18:19]
	s_lshl_b64 s[14:15], s[14:15], 4
	s_load_b64 s[12:13], s[12:13], 0x0
	s_wait_kmcnt 0x0
	s_add_nc_u64 s[20:21], s[12:13], s[14:15]
.LBB369_9:
	s_load_b128 s[12:15], s[0:1], 0x78
	s_lshl_b64 s[18:19], s[2:3], 3
	s_load_b64 s[2:3], s[0:1], 0x0
	v_cmp_ne_u32_e32 vcc_lo, 1, v1
	s_and_b32 vcc_lo, exec_lo, vcc_lo
	s_wait_kmcnt 0x0
	s_add_nc_u64 s[22:23], s[12:13], s[18:19]
	s_load_b32 s12, s[0:1], 0x88
	s_load_b64 s[18:19], s[22:23], 0x0
	s_mov_b32 s13, -1
	s_cbranch_vccnz .LBB369_24
; %bb.10:
	v_cmp_neq_f64_e64 s13, s[4:5], 0
	s_wait_xcnt 0x0
	v_cmp_neq_f64_e64 s22, s[6:7], 0
	s_or_b32 s13, s13, s22
	s_cmp_gt_i32 s3, 0
	s_cselect_b32 s24, -1, 0
	s_and_b32 vcc_lo, exec_lo, s13
	s_mov_b32 s13, -1
	s_cbranch_vccnz .LBB369_17
; %bb.11:
	s_and_not1_b32 vcc_lo, exec_lo, s24
	s_cbranch_vccnz .LBB369_16
; %bb.12:
	v_mov_b32_e32 v2, 0
	s_wait_kmcnt 0x0
	s_ashr_i32 s13, s12, 31
	s_lshl_b64 s[22:23], s[14:15], 4
	s_delay_alu instid0(SALU_CYCLE_1) | instskip(SKIP_1) | instid1(VALU_DEP_1)
	s_add_nc_u64 s[22:23], s[18:19], s[22:23]
	v_mov_b32_e32 v1, v2
	v_mul_u64_e32 v[4:5], s[12:13], v[0:1]
	s_delay_alu instid0(VALU_DEP_1) | instskip(SKIP_2) | instid1(VALU_DEP_1)
	v_lshl_add_u64 v[4:5], v[4:5], 4, s[22:23]
	s_lshl_b64 s[22:23], s[12:13], 12
	s_mov_b32 s13, 0
	v_add_nc_u64_e32 v[6:7], 8, v[4:5]
	s_branch .LBB369_14
.LBB369_13:                             ;   in Loop: Header=BB369_14 Depth=1
	s_wait_xcnt 0x0
	s_or_b32 exec_lo, exec_lo, s25
	v_add_nc_u64_e32 v[6:7], s[22:23], v[6:7]
	s_addk_co_i32 s13, 0x100
	s_delay_alu instid0(SALU_CYCLE_1)
	s_cmp_ge_i32 s13, s3
	s_cbranch_scc1 .LBB369_16
.LBB369_14:                             ; =>This Inner Loop Header: Depth=1
	v_add_nc_u32_e32 v1, s13, v0
	s_mov_b32 s25, exec_lo
	s_delay_alu instid0(VALU_DEP_1)
	v_cmpx_gt_i32_e64 s3, v1
	s_cbranch_execz .LBB369_13
; %bb.15:                               ;   in Loop: Header=BB369_14 Depth=1
	v_dual_mov_b32 v3, v2 :: v_dual_mov_b32 v4, v2
	v_mov_b32_e32 v5, v2
	flat_store_b128 v[6:7], v[2:5] offset:-8
	s_branch .LBB369_13
.LBB369_16:
	s_mov_b32 s13, 0
.LBB369_17:
	s_delay_alu instid0(SALU_CYCLE_1)
	s_and_not1_b32 vcc_lo, exec_lo, s13
	s_cbranch_vccnz .LBB369_23
; %bb.18:
	s_and_not1_b32 vcc_lo, exec_lo, s24
	s_cbranch_vccnz .LBB369_23
; %bb.19:
	v_mov_b32_e32 v1, 0
	s_wait_kmcnt 0x0
	s_ashr_i32 s13, s12, 31
	s_lshl_b64 s[22:23], s[14:15], 4
	s_delay_alu instid0(SALU_CYCLE_1) | instskip(SKIP_1) | instid1(VALU_DEP_1)
	s_add_nc_u64 s[22:23], s[18:19], s[22:23]
	v_mul_u64_e32 v[2:3], s[12:13], v[0:1]
	v_lshl_add_u64 v[2:3], v[2:3], 4, s[22:23]
	s_lshl_b64 s[22:23], s[12:13], 12
	s_mov_b32 s13, 0
	s_delay_alu instid0(VALU_DEP_1)
	v_add_nc_u64_e32 v[2:3], 8, v[2:3]
	s_branch .LBB369_21
.LBB369_20:                             ;   in Loop: Header=BB369_21 Depth=1
	s_wait_xcnt 0x0
	s_or_b32 exec_lo, exec_lo, s24
	v_add_nc_u64_e32 v[2:3], s[22:23], v[2:3]
	s_addk_co_i32 s13, 0x100
	s_delay_alu instid0(SALU_CYCLE_1)
	s_cmp_ge_i32 s13, s3
	s_cbranch_scc1 .LBB369_23
.LBB369_21:                             ; =>This Inner Loop Header: Depth=1
	v_add_nc_u32_e32 v1, s13, v0
	s_mov_b32 s24, exec_lo
	s_delay_alu instid0(VALU_DEP_1)
	v_cmpx_gt_i32_e64 s3, v1
	s_cbranch_execz .LBB369_20
; %bb.22:                               ;   in Loop: Header=BB369_21 Depth=1
	flat_load_b128 v[4:7], v[2:3] offset:-8
	s_wait_loadcnt_dscnt 0x0
	v_mul_f64_e32 v[10:11], s[6:7], v[6:7]
	v_mul_f64_e32 v[8:9], s[4:5], v[6:7]
	s_delay_alu instid0(VALU_DEP_2) | instskip(NEXT) | instid1(VALU_DEP_2)
	v_fma_f64 v[6:7], s[4:5], v[4:5], -v[10:11]
	v_fmac_f64_e32 v[8:9], s[6:7], v[4:5]
	flat_store_b128 v[2:3], v[6:9] offset:-8
	s_branch .LBB369_20
.LBB369_23:
	s_mov_b32 s13, 0
.LBB369_24:
	s_delay_alu instid0(SALU_CYCLE_1)
	s_and_not1_b32 vcc_lo, exec_lo, s13
	s_cbranch_vccnz .LBB369_42
; %bb.25:
	s_mov_b32 s13, exec_lo
	v_cmpx_gt_i32_e64 s2, v0
	s_cbranch_execz .LBB369_27
; %bb.26:
	s_wait_xcnt 0x0
	s_load_b32 s22, s[0:1], 0x50
	v_mov_b32_e32 v1, 0
	s_wait_kmcnt 0x0
	s_ashr_i32 s23, s22, 31
	s_delay_alu instid0(VALU_DEP_1) | instid1(SALU_CYCLE_1)
	v_mul_u64_e32 v[2:3], s[22:23], v[0:1]
	v_lshlrev_b32_e32 v1, 4, v0
	s_delay_alu instid0(VALU_DEP_2) | instskip(SKIP_4) | instid1(VALU_DEP_2)
	v_lshl_add_u64 v[2:3], v[2:3], 4, s[20:21]
	flat_load_b128 v[2:5], v[2:3]
	s_wait_loadcnt_dscnt 0x0
	v_mul_f64_e32 v[8:9], s[10:11], v[4:5]
	v_mul_f64_e32 v[6:7], s[8:9], v[4:5]
	v_fma_f64 v[4:5], s[8:9], v[2:3], -v[8:9]
	s_delay_alu instid0(VALU_DEP_2)
	v_fmac_f64_e32 v[6:7], s[10:11], v[2:3]
	ds_store_b128 v1, v[4:7]
.LBB369_27:
	s_wait_xcnt 0x0
	s_or_b32 exec_lo, exec_lo, s13
	s_cmp_lt_i32 s3, 1
	s_wait_storecnt_dscnt 0x0
	s_barrier_signal -1
	s_barrier_wait -1
	s_cbranch_scc1 .LBB369_42
; %bb.28:
	s_load_b32 s10, s[0:1], 0x30
	v_mov_b32_e32 v7, 0
	s_wait_xcnt 0x0
	v_cmp_neq_f64_e64 s0, s[4:5], 0
	v_cmp_neq_f64_e64 s1, s[6:7], 0
	s_lshl_b64 s[8:9], s[14:15], 4
	s_wait_kmcnt 0x0
	s_ashr_i32 s13, s12, 31
	v_mov_b32_e32 v1, v7
	s_add_nc_u64 s[8:9], s[18:19], s[8:9]
	s_mov_b32 s18, 0
	s_ashr_i32 s11, s10, 31
	s_delay_alu instid0(VALU_DEP_1) | instid1(SALU_CYCLE_1)
	v_mul_u64_e32 v[2:3], s[10:11], v[0:1]
	s_or_b32 s20, s0, s1
	s_cmp_gt_i32 s2, 0
	s_mov_b32 s1, 0
	s_cselect_b32 s21, -1, 0
	s_and_b32 s0, s2, 7
	s_cmp_gt_u32 s2, 7
	s_cselect_b32 s22, -1, 0
	s_and_b32 s2, s2, 0x7ffffff8
	s_cmp_lg_u32 s0, 0
	s_delay_alu instid0(VALU_DEP_1) | instskip(SKIP_3) | instid1(VALU_DEP_1)
	v_lshl_add_u64 v[8:9], v[2:3], 4, s[16:17]
	s_cselect_b32 s16, -1, 0
	s_lshl_b64 s[10:11], s[10:11], 12
	s_lshl_b32 s17, s0, 4
	v_add_nc_u64_e32 v[10:11], 0x78, v[8:9]
	s_branch .LBB369_31
.LBB369_29:                             ;   in Loop: Header=BB369_31 Depth=1
	flat_store_b128 v[12:13], v[2:5]
.LBB369_30:                             ;   in Loop: Header=BB369_31 Depth=1
	s_wait_xcnt 0x0
	s_or_b32 exec_lo, exec_lo, s19
	v_add_nc_u64_e32 v[10:11], s[10:11], v[10:11]
	v_add_nc_u64_e32 v[8:9], s[10:11], v[8:9]
	s_addk_co_i32 s18, 0x100
	s_delay_alu instid0(SALU_CYCLE_1)
	s_cmp_ge_i32 s18, s3
	s_cbranch_scc1 .LBB369_42
.LBB369_31:                             ; =>This Loop Header: Depth=1
                                        ;     Child Loop BB369_37 Depth 2
                                        ;     Child Loop BB369_41 Depth 2
	v_add_nc_u32_e32 v6, s18, v0
	s_mov_b32 s19, exec_lo
	s_delay_alu instid0(VALU_DEP_1)
	v_cmpx_gt_i32_e64 s3, v6
	s_cbranch_execz .LBB369_30
; %bb.32:                               ;   in Loop: Header=BB369_31 Depth=1
	v_mul_u64_e32 v[12:13], s[12:13], v[6:7]
	v_mov_b64_e32 v[2:3], 0
	v_mov_b64_e32 v[4:5], 0
	s_and_not1_b32 vcc_lo, exec_lo, s20
	s_delay_alu instid0(VALU_DEP_3)
	v_lshl_add_u64 v[12:13], v[12:13], 4, s[8:9]
	s_cbranch_vccnz .LBB369_34
; %bb.33:                               ;   in Loop: Header=BB369_31 Depth=1
	flat_load_b128 v[14:17], v[12:13]
	s_wait_loadcnt_dscnt 0x0
	v_mul_f64_e32 v[2:3], s[6:7], v[16:17]
	v_mul_f64_e32 v[4:5], s[4:5], v[16:17]
	s_delay_alu instid0(VALU_DEP_2) | instskip(NEXT) | instid1(VALU_DEP_2)
	v_fma_f64 v[2:3], s[4:5], v[14:15], -v[2:3]
	v_fmac_f64_e32 v[4:5], s[6:7], v[14:15]
.LBB369_34:                             ;   in Loop: Header=BB369_31 Depth=1
	s_and_not1_b32 vcc_lo, exec_lo, s21
	s_cbranch_vccnz .LBB369_29
; %bb.35:                               ;   in Loop: Header=BB369_31 Depth=1
	s_and_not1_b32 vcc_lo, exec_lo, s22
	s_mov_b32 s0, 0
	s_cbranch_vccnz .LBB369_39
; %bb.36:                               ;   in Loop: Header=BB369_31 Depth=1
	v_mov_b64_e32 v[14:15], v[10:11]
	s_mov_b32 s14, 0
.LBB369_37:                             ;   Parent Loop BB369_31 Depth=1
                                        ; =>  This Inner Loop Header: Depth=2
	s_clause 0x7
	flat_load_b128 v[16:19], v[14:15] offset:-120
	flat_load_b128 v[20:23], v[14:15] offset:-104
	;; [unrolled: 1-line block ×8, first 2 shown]
	v_mov_b32_e32 v1, s0
	s_wait_xcnt 0x0
	v_add_nc_u64_e32 v[14:15], 0x80, v[14:15]
	s_add_co_i32 s14, s14, 8
	s_addk_co_i32 s0, 0x80
	ds_load_b128 v[48:51], v1
	ds_load_b128 v[52:55], v1 offset:16
	s_cmp_eq_u32 s2, s14
	s_wait_loadcnt_dscnt 0x701
	v_mul_f64_e32 v[56:57], v[18:19], v[50:51]
	v_mul_f64_e32 v[18:19], v[18:19], v[48:49]
	s_wait_loadcnt_dscnt 0x600
	v_mul_f64_e32 v[58:59], v[22:23], v[54:55]
	v_mul_f64_e32 v[22:23], v[22:23], v[52:53]
	s_delay_alu instid0(VALU_DEP_4) | instskip(NEXT) | instid1(VALU_DEP_4)
	v_fmac_f64_e32 v[56:57], v[16:17], v[48:49]
	v_fma_f64 v[60:61], v[16:17], v[50:51], -v[18:19]
	ds_load_b128 v[16:19], v1 offset:32
	ds_load_b128 v[48:51], v1 offset:48
	v_fmac_f64_e32 v[58:59], v[20:21], v[52:53]
	v_fma_f64 v[20:21], v[20:21], v[54:55], -v[22:23]
	s_wait_loadcnt_dscnt 0x501
	v_mul_f64_e32 v[62:63], v[26:27], v[18:19]
	v_mul_f64_e32 v[26:27], v[26:27], v[16:17]
	s_wait_loadcnt_dscnt 0x400
	v_mul_f64_e32 v[22:23], v[30:31], v[50:51]
	v_mul_f64_e32 v[30:31], v[30:31], v[48:49]
	v_add_f64_e32 v[2:3], v[2:3], v[56:57]
	v_add_f64_e32 v[4:5], v[4:5], v[60:61]
	v_fmac_f64_e32 v[62:63], v[24:25], v[16:17]
	v_fma_f64 v[24:25], v[24:25], v[18:19], -v[26:27]
	v_fmac_f64_e32 v[22:23], v[28:29], v[48:49]
	v_fma_f64 v[28:29], v[28:29], v[50:51], -v[30:31]
	v_add_f64_e32 v[26:27], v[2:3], v[58:59]
	v_add_f64_e32 v[20:21], v[4:5], v[20:21]
	ds_load_b128 v[2:5], v1 offset:64
	ds_load_b128 v[16:19], v1 offset:80
	s_wait_loadcnt_dscnt 0x301
	v_mul_f64_e32 v[52:53], v[34:35], v[4:5]
	v_mul_f64_e32 v[34:35], v[34:35], v[2:3]
	s_wait_loadcnt_dscnt 0x200
	v_mul_f64_e32 v[30:31], v[38:39], v[16:17]
	v_add_f64_e32 v[26:27], v[26:27], v[62:63]
	v_add_f64_e32 v[20:21], v[20:21], v[24:25]
	v_mul_f64_e32 v[24:25], v[38:39], v[18:19]
	v_fmac_f64_e32 v[52:53], v[32:33], v[2:3]
	v_fma_f64 v[32:33], v[32:33], v[4:5], -v[34:35]
	v_add_f64_e32 v[26:27], v[26:27], v[22:23]
	v_add_f64_e32 v[28:29], v[20:21], v[28:29]
	ds_load_b128 v[2:5], v1 offset:96
	ds_load_b128 v[20:23], v1 offset:112
	v_fmac_f64_e32 v[24:25], v[36:37], v[16:17]
	v_fma_f64 v[16:17], v[36:37], v[18:19], -v[30:31]
	s_wait_loadcnt_dscnt 0x101
	v_mul_f64_e32 v[34:35], v[42:43], v[4:5]
	v_mul_f64_e32 v[38:39], v[42:43], v[2:3]
	s_wait_loadcnt_dscnt 0x0
	v_mul_f64_e32 v[30:31], v[46:47], v[20:21]
	v_add_f64_e32 v[18:19], v[26:27], v[52:53]
	v_add_f64_e32 v[26:27], v[28:29], v[32:33]
	v_mul_f64_e32 v[28:29], v[46:47], v[22:23]
	v_fmac_f64_e32 v[34:35], v[40:41], v[2:3]
	v_fma_f64 v[2:3], v[40:41], v[4:5], -v[38:39]
	v_add_f64_e32 v[4:5], v[18:19], v[24:25]
	v_add_f64_e32 v[16:17], v[26:27], v[16:17]
	v_fmac_f64_e32 v[28:29], v[44:45], v[20:21]
	v_fma_f64 v[18:19], v[44:45], v[22:23], -v[30:31]
	s_delay_alu instid0(VALU_DEP_4) | instskip(NEXT) | instid1(VALU_DEP_4)
	v_add_f64_e32 v[4:5], v[4:5], v[34:35]
	v_add_f64_e32 v[16:17], v[16:17], v[2:3]
	s_delay_alu instid0(VALU_DEP_2) | instskip(NEXT) | instid1(VALU_DEP_2)
	v_add_f64_e32 v[2:3], v[4:5], v[28:29]
	v_add_f64_e32 v[4:5], v[16:17], v[18:19]
	s_cbranch_scc0 .LBB369_37
; %bb.38:                               ;   in Loop: Header=BB369_31 Depth=1
	s_mov_b32 s0, s2
.LBB369_39:                             ;   in Loop: Header=BB369_31 Depth=1
	s_and_not1_b32 vcc_lo, exec_lo, s16
	s_cbranch_vccnz .LBB369_29
; %bb.40:                               ;   in Loop: Header=BB369_31 Depth=1
	v_lshl_add_u64 v[14:15], s[0:1], 4, v[8:9]
	s_lshl_b32 s0, s0, 4
	s_mov_b64 s[14:15], 0
.LBB369_41:                             ;   Parent Loop BB369_31 Depth=1
                                        ; =>  This Inner Loop Header: Depth=2
	s_delay_alu instid0(VALU_DEP_1) | instid1(SALU_CYCLE_1)
	v_add_nc_u64_e32 v[16:17], s[14:15], v[14:15]
	s_add_nc_u64 s[14:15], s[14:15], 16
	flat_load_b128 v[16:19], v[16:17]
	v_mov_b32_e32 v1, s0
	s_add_co_i32 s0, s0, 16
	s_cmp_lg_u32 s17, s14
	ds_load_b128 v[20:23], v1
	s_wait_loadcnt_dscnt 0x0
	v_mul_f64_e32 v[24:25], v[18:19], v[22:23]
	v_mul_f64_e32 v[18:19], v[18:19], v[20:21]
	s_delay_alu instid0(VALU_DEP_2) | instskip(SKIP_1) | instid1(VALU_DEP_2)
	v_fmac_f64_e32 v[24:25], v[16:17], v[20:21]
	s_wait_xcnt 0x0
	v_fma_f64 v[16:17], v[16:17], v[22:23], -v[18:19]
	s_delay_alu instid0(VALU_DEP_2) | instskip(NEXT) | instid1(VALU_DEP_2)
	v_add_f64_e32 v[2:3], v[2:3], v[24:25]
	v_add_f64_e32 v[4:5], v[4:5], v[16:17]
	s_cbranch_scc1 .LBB369_41
	s_branch .LBB369_29
.LBB369_42:
	s_endpgm
	.section	.rodata,"a",@progbits
	.p2align	6, 0x0
	.amdhsa_kernel _ZL22rocblas_gemvtsm_kernelILb1ELi256EPK19rocblas_complex_numIdES1_KPS1_EviiT2_lPKT1_lilS9_lilS6_lPT3_lil
		.amdhsa_group_segment_fixed_size 1024
		.amdhsa_private_segment_fixed_size 0
		.amdhsa_kernarg_size 152
		.amdhsa_user_sgpr_count 2
		.amdhsa_user_sgpr_dispatch_ptr 0
		.amdhsa_user_sgpr_queue_ptr 0
		.amdhsa_user_sgpr_kernarg_segment_ptr 1
		.amdhsa_user_sgpr_dispatch_id 0
		.amdhsa_user_sgpr_kernarg_preload_length 0
		.amdhsa_user_sgpr_kernarg_preload_offset 0
		.amdhsa_user_sgpr_private_segment_size 0
		.amdhsa_wavefront_size32 1
		.amdhsa_uses_dynamic_stack 0
		.amdhsa_enable_private_segment 0
		.amdhsa_system_sgpr_workgroup_id_x 1
		.amdhsa_system_sgpr_workgroup_id_y 0
		.amdhsa_system_sgpr_workgroup_id_z 0
		.amdhsa_system_sgpr_workgroup_info 0
		.amdhsa_system_vgpr_workitem_id 0
		.amdhsa_next_free_vgpr 64
		.amdhsa_next_free_sgpr 26
		.amdhsa_named_barrier_count 0
		.amdhsa_reserve_vcc 1
		.amdhsa_float_round_mode_32 0
		.amdhsa_float_round_mode_16_64 0
		.amdhsa_float_denorm_mode_32 3
		.amdhsa_float_denorm_mode_16_64 3
		.amdhsa_fp16_overflow 0
		.amdhsa_memory_ordered 1
		.amdhsa_forward_progress 1
		.amdhsa_inst_pref_size 14
		.amdhsa_round_robin_scheduling 0
		.amdhsa_exception_fp_ieee_invalid_op 0
		.amdhsa_exception_fp_denorm_src 0
		.amdhsa_exception_fp_ieee_div_zero 0
		.amdhsa_exception_fp_ieee_overflow 0
		.amdhsa_exception_fp_ieee_underflow 0
		.amdhsa_exception_fp_ieee_inexact 0
		.amdhsa_exception_int_div_zero 0
	.end_amdhsa_kernel
	.section	.text._ZL22rocblas_gemvtsm_kernelILb1ELi256EPK19rocblas_complex_numIdES1_KPS1_EviiT2_lPKT1_lilS9_lilS6_lPT3_lil,"axG",@progbits,_ZL22rocblas_gemvtsm_kernelILb1ELi256EPK19rocblas_complex_numIdES1_KPS1_EviiT2_lPKT1_lilS9_lilS6_lPT3_lil,comdat
.Lfunc_end369:
	.size	_ZL22rocblas_gemvtsm_kernelILb1ELi256EPK19rocblas_complex_numIdES1_KPS1_EviiT2_lPKT1_lilS9_lilS6_lPT3_lil, .Lfunc_end369-_ZL22rocblas_gemvtsm_kernelILb1ELi256EPK19rocblas_complex_numIdES1_KPS1_EviiT2_lPKT1_lilS9_lilS6_lPT3_lil
                                        ; -- End function
	.set _ZL22rocblas_gemvtsm_kernelILb1ELi256EPK19rocblas_complex_numIdES1_KPS1_EviiT2_lPKT1_lilS9_lilS6_lPT3_lil.num_vgpr, 64
	.set _ZL22rocblas_gemvtsm_kernelILb1ELi256EPK19rocblas_complex_numIdES1_KPS1_EviiT2_lPKT1_lilS9_lilS6_lPT3_lil.num_agpr, 0
	.set _ZL22rocblas_gemvtsm_kernelILb1ELi256EPK19rocblas_complex_numIdES1_KPS1_EviiT2_lPKT1_lilS9_lilS6_lPT3_lil.numbered_sgpr, 26
	.set _ZL22rocblas_gemvtsm_kernelILb1ELi256EPK19rocblas_complex_numIdES1_KPS1_EviiT2_lPKT1_lilS9_lilS6_lPT3_lil.num_named_barrier, 0
	.set _ZL22rocblas_gemvtsm_kernelILb1ELi256EPK19rocblas_complex_numIdES1_KPS1_EviiT2_lPKT1_lilS9_lilS6_lPT3_lil.private_seg_size, 0
	.set _ZL22rocblas_gemvtsm_kernelILb1ELi256EPK19rocblas_complex_numIdES1_KPS1_EviiT2_lPKT1_lilS9_lilS6_lPT3_lil.uses_vcc, 1
	.set _ZL22rocblas_gemvtsm_kernelILb1ELi256EPK19rocblas_complex_numIdES1_KPS1_EviiT2_lPKT1_lilS9_lilS6_lPT3_lil.uses_flat_scratch, 1
	.set _ZL22rocblas_gemvtsm_kernelILb1ELi256EPK19rocblas_complex_numIdES1_KPS1_EviiT2_lPKT1_lilS9_lilS6_lPT3_lil.has_dyn_sized_stack, 0
	.set _ZL22rocblas_gemvtsm_kernelILb1ELi256EPK19rocblas_complex_numIdES1_KPS1_EviiT2_lPKT1_lilS9_lilS6_lPT3_lil.has_recursion, 0
	.set _ZL22rocblas_gemvtsm_kernelILb1ELi256EPK19rocblas_complex_numIdES1_KPS1_EviiT2_lPKT1_lilS9_lilS6_lPT3_lil.has_indirect_call, 0
	.section	.AMDGPU.csdata,"",@progbits
; Kernel info:
; codeLenInByte = 1768
; TotalNumSgprs: 28
; NumVgprs: 64
; ScratchSize: 0
; MemoryBound: 0
; FloatMode: 240
; IeeeMode: 1
; LDSByteSize: 1024 bytes/workgroup (compile time only)
; SGPRBlocks: 0
; VGPRBlocks: 3
; NumSGPRsForWavesPerEU: 28
; NumVGPRsForWavesPerEU: 64
; NamedBarCnt: 0
; Occupancy: 16
; WaveLimiterHint : 1
; COMPUTE_PGM_RSRC2:SCRATCH_EN: 0
; COMPUTE_PGM_RSRC2:USER_SGPR: 2
; COMPUTE_PGM_RSRC2:TRAP_HANDLER: 0
; COMPUTE_PGM_RSRC2:TGID_X_EN: 1
; COMPUTE_PGM_RSRC2:TGID_Y_EN: 0
; COMPUTE_PGM_RSRC2:TGID_Z_EN: 0
; COMPUTE_PGM_RSRC2:TIDIG_COMP_CNT: 0
	.section	.text._ZL23rocblas_gemvt_sn_kernelILb1ELi256ELi4EiPK19rocblas_complex_numIdES3_S1_EviiT4_lPKT3_lilS7_lilPT5_i,"axG",@progbits,_ZL23rocblas_gemvt_sn_kernelILb1ELi256ELi4EiPK19rocblas_complex_numIdES3_S1_EviiT4_lPKT3_lilS7_lilPT5_i,comdat
	.globl	_ZL23rocblas_gemvt_sn_kernelILb1ELi256ELi4EiPK19rocblas_complex_numIdES3_S1_EviiT4_lPKT3_lilS7_lilPT5_i ; -- Begin function _ZL23rocblas_gemvt_sn_kernelILb1ELi256ELi4EiPK19rocblas_complex_numIdES3_S1_EviiT4_lPKT3_lilS7_lilPT5_i
	.p2align	8
	.type	_ZL23rocblas_gemvt_sn_kernelILb1ELi256ELi4EiPK19rocblas_complex_numIdES3_S1_EviiT4_lPKT3_lilS7_lilPT5_i,@function
_ZL23rocblas_gemvt_sn_kernelILb1ELi256ELi4EiPK19rocblas_complex_numIdES3_S1_EviiT4_lPKT3_lilS7_lilPT5_i: ; @_ZL23rocblas_gemvt_sn_kernelILb1ELi256ELi4EiPK19rocblas_complex_numIdES3_S1_EviiT4_lPKT3_lilS7_lilPT5_i
; %bb.0:
	s_load_b32 s33, s[0:1], 0x60
	s_bfe_u32 s2, ttmp6, 0x40014
	s_lshr_b32 s3, ttmp7, 16
	s_add_co_i32 s2, s2, 1
	s_bfe_u32 s5, ttmp6, 0x40008
	s_mul_i32 s2, s3, s2
	s_getreg_b32 s4, hwreg(HW_REG_IB_STS2, 6, 4)
	s_add_co_i32 s5, s5, s2
	s_cmp_eq_u32 s4, 0
	s_mov_b32 s25, 0
	s_cselect_b32 s10, s3, s5
	s_wait_kmcnt 0x0
	s_cmp_ge_u32 s10, s33
	s_cbranch_scc1 .LBB370_84
; %bb.1:
	s_clause 0x6
	s_load_b64 s[26:27], s[0:1], 0x0
	s_load_b256 s[12:19], s[0:1], 0x8
	s_load_b32 s52, s[0:1], 0x28
	s_load_b128 s[20:23], s[0:1], 0x38
	s_load_b32 s53, s[0:1], 0x48
	s_load_b64 s[28:29], s[0:1], 0x58
	s_load_b32 s30, s[0:1], 0x68
	s_wait_xcnt 0x0
	v_cmp_eq_u32_e64 s0, 0, v0
	s_mov_b32 s31, s25
	v_dual_lshrrev_b32 v2, 1, v0 :: v_dual_bitop2_b32 v1, 31, v0 bitop3:0x40
	v_cmp_gt_u32_e64 s1, 32, v0
	v_cmp_gt_u32_e64 s2, 8, v0
	v_mbcnt_lo_u32_b32 v54, -1, 0
	s_delay_alu instid0(VALU_DEP_4)
	v_cmp_eq_u32_e64 s3, 0, v1
	s_mov_b32 s35, s25
	v_and_b32_e32 v53, 0x70, v2
	s_mov_b32 s59, 16
	v_lshl_or_b32 v55, v54, 2, 64
	s_mov_b32 s60, 32
	s_wait_kmcnt 0x0
	s_ashr_i32 s7, s27, 31
	s_cmp_gt_i32 s27, 0
	s_mov_b32 s6, s27
	s_cselect_b32 s5, -1, 0
	s_bfe_u32 s8, ttmp6, 0x4000c
	s_and_b32 s9, ttmp6, 15
	s_add_co_i32 s8, s8, 1
	s_and_b32 s54, s0, s5
	s_mul_i32 s8, ttmp9, s8
	s_mul_u64 s[36:37], s[6:7], s[30:31]
	s_add_co_i32 s9, s9, s8
	s_cmp_eq_u32 s4, 0
	s_mov_b32 s61, 48
	s_cselect_b32 s34, ttmp9, s9
	s_ashr_i32 s5, s26, 31
	s_lshl_b32 s6, s34, 10
	s_lshr_b32 s5, s5, 30
	v_lshl_or_b32 v24, v0, 2, s6
	s_add_co_i32 s5, s26, s5
	v_lshlrev_b32_e32 v52, 4, v1
	s_lshr_b32 s4, s7, 30
	s_and_b32 s5, s5, -4
	v_mul_lo_u32 v26, s53, v24
	v_ashrrev_i32_e32 v25, 31, v24
	s_add_co_i32 s4, s27, s4
	s_sub_co_i32 s56, s26, s5
	s_and_b32 s55, s4, -4
	v_dual_add_nc_u32 v0, 4, v24 :: v_dual_add_nc_u32 v1, s56, v24
	v_lshlrev_b64_e32 v[32:33], 4, v[24:25]
	s_cmp_gt_i32 s55, 0
	s_mul_i32 s64, s52, 3
	s_cselect_b32 s57, -1, 0
	s_delay_alu instid0(VALU_DEP_4)
	v_dual_add_nc_u32 v28, s53, v26 :: v_dual_ashrrev_i32 v27, 31, v26
	s_cmp_gt_i32 s56, 0
	v_cmp_ge_i32_e64 s5, s26, v1
	s_cselect_b32 s58, -1, 0
	v_dual_add_nc_u32 v30, s53, v28 :: v_dual_ashrrev_i32 v29, 31, v28
	s_lshl_b64 s[38:39], s[34:35], 4
	v_cmp_ge_i32_e64 s4, s26, v0
	s_delay_alu instid0(VALU_DEP_2) | instskip(SKIP_3) | instid1(VALU_DEP_2)
	v_dual_mov_b32 v0, 0 :: v_dual_add_nc_u32 v34, s53, v30
	v_ashrrev_i32_e32 v31, 31, v30
	s_add_nc_u64 s[6:7], s[28:29], s[38:39]
	s_or_b32 s62, 0, 8
	v_dual_ashrrev_i32 v35, 31, v34 :: v_dual_bitop2_b32 v32, 8, v32 bitop3:0x54
	s_lshl_b64 s[40:41], s[36:37], 4
	s_lshl_b64 s[42:43], s[30:31], 4
	s_add_nc_u64 s[44:45], s[6:7], 8
	s_and_b32 s26, s58, s5
	s_lshl_b32 s35, s52, 2
	s_lshl_b32 s63, s52, 1
	s_lshl_b64 s[18:19], s[18:19], 4
	s_lshl_b64 s[22:23], s[22:23], 4
	s_branch .LBB370_3
.LBB370_2:                              ;   in Loop: Header=BB370_3 Depth=1
	s_add_co_i32 s10, s10, 0x10000
	s_delay_alu instid0(SALU_CYCLE_1)
	s_cmp_lt_u32 s10, s33
	s_cbranch_scc0 .LBB370_84
.LBB370_3:                              ; =>This Loop Header: Depth=1
                                        ;     Child Loop BB370_11 Depth 2
                                        ;     Child Loop BB370_16 Depth 2
                                        ;       Child Loop BB370_47 Depth 3
                                        ;       Child Loop BB370_49 Depth 3
                                        ;     Child Loop BB370_65 Depth 2
                                        ;       Child Loop BB370_77 Depth 3
                                        ;       Child Loop BB370_79 Depth 3
	s_mov_b32 s11, s25
	v_mov_b64_e32 v[36:37], 0
	s_mul_u64 s[6:7], s[14:15], s[10:11]
	s_wait_dscnt 0x0
	v_mov_b64_e32 v[8:9], 0
	s_lshl_b64 s[6:7], s[6:7], 4
	s_delay_alu instid0(SALU_CYCLE_1)
	s_add_nc_u64 s[6:7], s[12:13], s[6:7]
	global_load_b128 v[4:7], v0, s[6:7]
	s_wait_loadcnt 0x0
	v_cmp_neq_f64_e32 vcc_lo, 0, v[4:5]
	s_wait_xcnt 0x0
	v_cmp_neq_f64_e64 s6, 0, v[6:7]
	s_or_b32 s7, vcc_lo, s6
	s_delay_alu instid0(SALU_CYCLE_1) | instskip(NEXT) | instid1(SALU_CYCLE_1)
	s_xor_b32 s6, s7, -1
	s_and_b32 vcc_lo, exec_lo, s6
	s_cbranch_vccz .LBB370_7
; %bb.4:                                ;   in Loop: Header=BB370_3 Depth=1
	s_and_not1_b32 vcc_lo, exec_lo, s7
	s_cbranch_vccz .LBB370_8
.LBB370_5:                              ;   in Loop: Header=BB370_3 Depth=1
	s_and_not1_b32 vcc_lo, exec_lo, s6
	s_mov_b32 s6, -1
	s_cbranch_vccz .LBB370_9
.LBB370_6:                              ;   in Loop: Header=BB370_3 Depth=1
	s_and_not1_b32 vcc_lo, exec_lo, s6
	s_cbranch_vccnz .LBB370_2
	s_branch .LBB370_13
.LBB370_7:                              ;   in Loop: Header=BB370_3 Depth=1
	s_lshl_b64 s[8:9], s[10:11], 3
	s_delay_alu instid0(SALU_CYCLE_1)
	s_add_nc_u64 s[8:9], s[16:17], s[8:9]
	global_load_b64 v[2:3], v0, s[8:9]
	s_wait_loadcnt 0x0
	v_add_nc_u64_e32 v[8:9], s[18:19], v[2:3]
	s_and_not1_b32 vcc_lo, exec_lo, s7
	s_cbranch_vccnz .LBB370_5
.LBB370_8:                              ;   in Loop: Header=BB370_3 Depth=1
	s_wait_xcnt 0x0
	s_lshl_b64 s[8:9], s[10:11], 3
	s_delay_alu instid0(SALU_CYCLE_1)
	s_add_nc_u64 s[8:9], s[20:21], s[8:9]
	global_load_b64 v[2:3], v0, s[8:9]
	s_wait_loadcnt 0x0
	v_add_nc_u64_e32 v[36:37], s[22:23], v[2:3]
	s_and_not1_b32 vcc_lo, exec_lo, s6
	s_mov_b32 s6, -1
	s_cbranch_vccnz .LBB370_6
.LBB370_9:                              ;   in Loop: Header=BB370_3 Depth=1
	s_wait_xcnt 0x0
	s_and_saveexec_b32 s8, s54
	s_cbranch_execz .LBB370_12
; %bb.10:                               ;   in Loop: Header=BB370_3 Depth=1
	s_mul_u64 s[6:7], s[40:41], s[10:11]
	s_mov_b32 s9, s27
	s_add_nc_u64 s[6:7], s[44:45], s[6:7]
.LBB370_11:                             ;   Parent Loop BB370_3 Depth=1
                                        ; =>  This Inner Loop Header: Depth=2
	v_dual_mov_b32 v1, v0 :: v_dual_mov_b32 v2, v0
	v_mov_b32_e32 v3, v0
	s_add_co_i32 s9, s9, -1
	s_delay_alu instid0(SALU_CYCLE_1)
	s_cmp_eq_u32 s9, 0
	global_store_b128 v0, v[0:3], s[6:7] offset:-8
	s_wait_xcnt 0x0
	s_add_nc_u64 s[6:7], s[6:7], s[42:43]
	s_cbranch_scc0 .LBB370_11
.LBB370_12:                             ;   in Loop: Header=BB370_3 Depth=1
	s_or_b32 exec_lo, exec_lo, s8
	s_cbranch_execnz .LBB370_2
.LBB370_13:                             ;   in Loop: Header=BB370_3 Depth=1
	v_add_nc_u64_e32 v[48:49], v[8:9], v[32:33]
	s_mul_u64 s[46:47], s[36:37], s[10:11]
	v_lshl_add_u64 v[38:39], v[24:25], 4, v[8:9]
	v_lshl_add_u64 v[40:41], v[26:27], 4, v[36:37]
	;; [unrolled: 1-line block ×5, first 2 shown]
	s_wait_xcnt 0x0
	v_cmp_gt_u32_e64 s9, 24, v54
	v_cmp_gt_u32_e64 s8, 28, v54
	;; [unrolled: 1-line block ×3, first 2 shown]
	v_cmp_ne_u32_e64 s6, 31, v54
	s_lshl_b64 s[46:47], s[46:47], 4
	s_and_not1_b32 vcc_lo, exec_lo, s57
	s_add_nc_u64 s[46:47], s[28:29], s[46:47]
	s_cbranch_vccnz .LBB370_61
; %bb.14:                               ;   in Loop: Header=BB370_3 Depth=1
	v_cndmask_b32_e64 v1, 0, 8, s9
	v_cndmask_b32_e64 v2, 0, 4, s8
	;; [unrolled: 1-line block ×3, first 2 shown]
	v_add_co_ci_u32_e64 v8, null, 0, v54, s6
	s_delay_alu instid0(VALU_DEP_4) | instskip(NEXT) | instid1(VALU_DEP_4)
	v_add_lshl_u32 v56, v1, v54, 2
	v_add_lshl_u32 v57, v2, v54, 2
	s_delay_alu instid0(VALU_DEP_4) | instskip(NEXT) | instid1(VALU_DEP_4)
	v_add_lshl_u32 v58, v3, v54, 2
	v_lshlrev_b32_e32 v59, 2, v8
	s_mov_b32 s6, 0
	s_mov_b32 s11, s64
	s_mov_b32 s65, s63
	s_mov_b32 s66, s52
	s_mov_b32 s24, s6
	s_branch .LBB370_16
.LBB370_15:                             ;   in Loop: Header=BB370_16 Depth=2
	s_wait_xcnt 0x0
	s_or_b32 exec_lo, exec_lo, s7
	s_add_co_i32 s24, s24, 4
	s_add_co_i32 s66, s66, s35
	;; [unrolled: 1-line block ×5, first 2 shown]
	s_cmp_ge_i32 s24, s55
	s_cbranch_scc1 .LBB370_62
.LBB370_16:                             ;   Parent Loop BB370_3 Depth=1
                                        ; =>  This Loop Header: Depth=2
                                        ;       Child Loop BB370_47 Depth 3
                                        ;       Child Loop BB370_49 Depth 3
                                        ; implicit-def: $vgpr20_vgpr21
                                        ; implicit-def: $vgpr22_vgpr23
                                        ; implicit-def: $vgpr16_vgpr17
                                        ; implicit-def: $vgpr18_vgpr19
                                        ; implicit-def: $vgpr12_vgpr13
                                        ; implicit-def: $vgpr14_vgpr15
                                        ; implicit-def: $vgpr10_vgpr11
                                        ; implicit-def: $vgpr8_vgpr9
	s_and_saveexec_b32 s7, s4
	s_delay_alu instid0(SALU_CYCLE_1)
	s_xor_b32 s7, exec_lo, s7
	s_cbranch_execnz .LBB370_43
; %bb.17:                               ;   in Loop: Header=BB370_16 Depth=2
	s_and_not1_saveexec_b32 s67, s7
	s_cbranch_execnz .LBB370_44
.LBB370_18:                             ;   in Loop: Header=BB370_16 Depth=2
	s_or_b32 exec_lo, exec_lo, s67
	s_and_saveexec_b32 s7, s1
.LBB370_19:                             ;   in Loop: Header=BB370_16 Depth=2
	v_dual_mov_b32 v1, v0 :: v_dual_mov_b32 v2, v0
	v_mov_b32_e32 v3, v0
	ds_store_b128 v52, v[0:3]
.LBB370_20:                             ;   in Loop: Header=BB370_16 Depth=2
	s_or_b32 exec_lo, exec_lo, s7
	ds_bpermute_b32 v2, v55, v10
	ds_bpermute_b32 v3, v55, v11
	ds_bpermute_b32 v50, v55, v8
	ds_bpermute_b32 v51, v55, v9
	s_wait_storecnt_dscnt 0x0
	s_barrier_signal -1
	s_barrier_wait -1
	v_add_f64_e32 v[2:3], v[10:11], v[2:3]
	v_add_f64_e32 v[8:9], v[8:9], v[50:51]
	ds_bpermute_b32 v10, v56, v2
	ds_bpermute_b32 v11, v56, v3
	ds_bpermute_b32 v50, v56, v8
	ds_bpermute_b32 v51, v56, v9
	s_wait_dscnt 0x2
	v_add_f64_e32 v[2:3], v[2:3], v[10:11]
	s_wait_dscnt 0x0
	v_add_f64_e32 v[8:9], v[8:9], v[50:51]
	ds_bpermute_b32 v10, v57, v2
	ds_bpermute_b32 v11, v57, v3
	ds_bpermute_b32 v50, v57, v8
	ds_bpermute_b32 v51, v57, v9
	s_wait_dscnt 0x2
	v_add_f64_e32 v[2:3], v[2:3], v[10:11]
	s_wait_dscnt 0x0
	;; [unrolled: 8-line block ×3, first 2 shown]
	v_add_f64_e32 v[10:11], v[8:9], v[50:51]
	ds_bpermute_b32 v8, v59, v2
	ds_bpermute_b32 v9, v59, v3
	;; [unrolled: 1-line block ×4, first 2 shown]
	s_and_saveexec_b32 s7, s3
	s_cbranch_execz .LBB370_22
; %bb.21:                               ;   in Loop: Header=BB370_16 Depth=2
	s_wait_dscnt 0x0
	v_add_f64_e32 v[10:11], v[10:11], v[50:51]
	v_add_f64_e32 v[8:9], v[2:3], v[8:9]
	ds_store_b128 v53, v[8:11]
.LBB370_22:                             ;   in Loop: Header=BB370_16 Depth=2
	s_or_b32 exec_lo, exec_lo, s7
	v_mov_b64_e32 v[10:11], 0
	s_wait_dscnt 0x2
	v_mov_b64_e32 v[8:9], 0
	s_wait_dscnt 0x0
	s_barrier_signal -1
	s_barrier_wait -1
	s_and_saveexec_b32 s7, s2
	s_cbranch_execnz .LBB370_50
; %bb.23:                               ;   in Loop: Header=BB370_16 Depth=2
	s_or_b32 exec_lo, exec_lo, s7
	s_and_saveexec_b32 s7, s1
	s_cbranch_execnz .LBB370_51
.LBB370_24:                             ;   in Loop: Header=BB370_16 Depth=2
	s_or_b32 exec_lo, exec_lo, s7
	s_and_saveexec_b32 s7, s1
.LBB370_25:                             ;   in Loop: Header=BB370_16 Depth=2
	v_dual_mov_b32 v1, v0 :: v_dual_mov_b32 v2, v0
	v_mov_b32_e32 v3, v0
	ds_store_b128 v52, v[0:3]
.LBB370_26:                             ;   in Loop: Header=BB370_16 Depth=2
	s_or_b32 exec_lo, exec_lo, s7
	ds_bpermute_b32 v2, v55, v12
	ds_bpermute_b32 v3, v55, v13
	ds_bpermute_b32 v50, v55, v14
	ds_bpermute_b32 v51, v55, v15
	s_wait_dscnt 0x0
	s_barrier_signal -1
	s_barrier_wait -1
	v_add_f64_e32 v[2:3], v[12:13], v[2:3]
	v_add_f64_e32 v[12:13], v[14:15], v[50:51]
	ds_bpermute_b32 v14, v56, v2
	ds_bpermute_b32 v15, v56, v3
	ds_bpermute_b32 v50, v56, v12
	ds_bpermute_b32 v51, v56, v13
	s_wait_dscnt 0x2
	v_add_f64_e32 v[2:3], v[2:3], v[14:15]
	s_wait_dscnt 0x0
	v_add_f64_e32 v[12:13], v[12:13], v[50:51]
	ds_bpermute_b32 v14, v57, v2
	ds_bpermute_b32 v15, v57, v3
	ds_bpermute_b32 v50, v57, v12
	ds_bpermute_b32 v51, v57, v13
	s_wait_dscnt 0x2
	v_add_f64_e32 v[2:3], v[2:3], v[14:15]
	s_wait_dscnt 0x0
	;; [unrolled: 8-line block ×3, first 2 shown]
	v_add_f64_e32 v[14:15], v[12:13], v[50:51]
	ds_bpermute_b32 v12, v59, v2
	ds_bpermute_b32 v13, v59, v3
	;; [unrolled: 1-line block ×4, first 2 shown]
	s_and_saveexec_b32 s7, s3
	s_cbranch_execz .LBB370_28
; %bb.27:                               ;   in Loop: Header=BB370_16 Depth=2
	s_wait_dscnt 0x0
	v_add_f64_e32 v[14:15], v[14:15], v[50:51]
	v_add_f64_e32 v[12:13], v[2:3], v[12:13]
	ds_store_b128 v53, v[12:15]
.LBB370_28:                             ;   in Loop: Header=BB370_16 Depth=2
	s_or_b32 exec_lo, exec_lo, s7
	v_mov_b64_e32 v[14:15], 0
	s_wait_dscnt 0x2
	v_mov_b64_e32 v[12:13], 0
	s_wait_dscnt 0x0
	s_barrier_signal -1
	s_barrier_wait -1
	s_and_saveexec_b32 s7, s2
	s_cbranch_execnz .LBB370_52
; %bb.29:                               ;   in Loop: Header=BB370_16 Depth=2
	s_or_b32 exec_lo, exec_lo, s7
	s_and_saveexec_b32 s7, s1
	s_cbranch_execnz .LBB370_53
.LBB370_30:                             ;   in Loop: Header=BB370_16 Depth=2
	s_or_b32 exec_lo, exec_lo, s7
	s_and_saveexec_b32 s7, s1
.LBB370_31:                             ;   in Loop: Header=BB370_16 Depth=2
	v_dual_mov_b32 v1, v0 :: v_dual_mov_b32 v2, v0
	v_mov_b32_e32 v3, v0
	ds_store_b128 v52, v[0:3]
.LBB370_32:                             ;   in Loop: Header=BB370_16 Depth=2
	s_or_b32 exec_lo, exec_lo, s7
	ds_bpermute_b32 v2, v55, v16
	ds_bpermute_b32 v3, v55, v17
	;; [unrolled: 1-line block ×4, first 2 shown]
	s_wait_dscnt 0x0
	s_barrier_signal -1
	s_barrier_wait -1
	v_add_f64_e32 v[2:3], v[16:17], v[2:3]
	v_add_f64_e32 v[16:17], v[18:19], v[50:51]
	ds_bpermute_b32 v18, v56, v2
	ds_bpermute_b32 v19, v56, v3
	ds_bpermute_b32 v50, v56, v16
	ds_bpermute_b32 v51, v56, v17
	s_wait_dscnt 0x2
	v_add_f64_e32 v[2:3], v[2:3], v[18:19]
	s_wait_dscnt 0x0
	v_add_f64_e32 v[16:17], v[16:17], v[50:51]
	ds_bpermute_b32 v18, v57, v2
	ds_bpermute_b32 v19, v57, v3
	ds_bpermute_b32 v50, v57, v16
	ds_bpermute_b32 v51, v57, v17
	s_wait_dscnt 0x2
	v_add_f64_e32 v[2:3], v[2:3], v[18:19]
	s_wait_dscnt 0x0
	v_add_f64_e32 v[16:17], v[16:17], v[50:51]
	ds_bpermute_b32 v18, v58, v2
	ds_bpermute_b32 v19, v58, v3
	ds_bpermute_b32 v50, v58, v16
	ds_bpermute_b32 v51, v58, v17
	s_wait_dscnt 0x2
	v_add_f64_e32 v[2:3], v[2:3], v[18:19]
	s_wait_dscnt 0x0
	v_add_f64_e32 v[18:19], v[16:17], v[50:51]
	ds_bpermute_b32 v16, v59, v2
	ds_bpermute_b32 v17, v59, v3
	;; [unrolled: 1-line block ×4, first 2 shown]
	s_and_saveexec_b32 s7, s3
	s_cbranch_execz .LBB370_34
; %bb.33:                               ;   in Loop: Header=BB370_16 Depth=2
	s_wait_dscnt 0x0
	v_add_f64_e32 v[18:19], v[18:19], v[50:51]
	v_add_f64_e32 v[16:17], v[2:3], v[16:17]
	ds_store_b128 v53, v[16:19]
.LBB370_34:                             ;   in Loop: Header=BB370_16 Depth=2
	s_or_b32 exec_lo, exec_lo, s7
	v_mov_b64_e32 v[18:19], 0
	s_wait_dscnt 0x2
	v_mov_b64_e32 v[16:17], 0
	s_wait_dscnt 0x0
	s_barrier_signal -1
	s_barrier_wait -1
	s_and_saveexec_b32 s7, s2
	s_cbranch_execnz .LBB370_54
; %bb.35:                               ;   in Loop: Header=BB370_16 Depth=2
	s_or_b32 exec_lo, exec_lo, s7
	s_and_saveexec_b32 s7, s1
	s_cbranch_execnz .LBB370_55
.LBB370_36:                             ;   in Loop: Header=BB370_16 Depth=2
	s_or_b32 exec_lo, exec_lo, s7
	s_and_saveexec_b32 s7, s1
.LBB370_37:                             ;   in Loop: Header=BB370_16 Depth=2
	v_dual_mov_b32 v1, v0 :: v_dual_mov_b32 v2, v0
	v_mov_b32_e32 v3, v0
	ds_store_b128 v52, v[0:3]
.LBB370_38:                             ;   in Loop: Header=BB370_16 Depth=2
	s_or_b32 exec_lo, exec_lo, s7
	ds_bpermute_b32 v2, v55, v20
	ds_bpermute_b32 v3, v55, v21
	;; [unrolled: 1-line block ×4, first 2 shown]
	s_wait_dscnt 0x0
	s_barrier_signal -1
	s_barrier_wait -1
	v_add_f64_e32 v[2:3], v[20:21], v[2:3]
	v_add_f64_e32 v[20:21], v[22:23], v[50:51]
	ds_bpermute_b32 v22, v56, v2
	ds_bpermute_b32 v23, v56, v3
	ds_bpermute_b32 v50, v56, v20
	ds_bpermute_b32 v51, v56, v21
	s_wait_dscnt 0x2
	v_add_f64_e32 v[2:3], v[2:3], v[22:23]
	s_wait_dscnt 0x0
	v_add_f64_e32 v[20:21], v[20:21], v[50:51]
	ds_bpermute_b32 v22, v57, v2
	ds_bpermute_b32 v23, v57, v3
	ds_bpermute_b32 v50, v57, v20
	ds_bpermute_b32 v51, v57, v21
	s_wait_dscnt 0x2
	v_add_f64_e32 v[2:3], v[2:3], v[22:23]
	s_wait_dscnt 0x0
	v_add_f64_e32 v[20:21], v[20:21], v[50:51]
	ds_bpermute_b32 v22, v58, v2
	ds_bpermute_b32 v23, v58, v3
	ds_bpermute_b32 v50, v58, v20
	ds_bpermute_b32 v51, v58, v21
	s_wait_dscnt 0x2
	v_add_f64_e32 v[2:3], v[2:3], v[22:23]
	s_wait_dscnt 0x0
	v_add_f64_e32 v[22:23], v[20:21], v[50:51]
	ds_bpermute_b32 v20, v59, v2
	ds_bpermute_b32 v21, v59, v3
	;; [unrolled: 1-line block ×4, first 2 shown]
	s_and_saveexec_b32 s7, s3
	s_cbranch_execz .LBB370_40
; %bb.39:                               ;   in Loop: Header=BB370_16 Depth=2
	s_wait_dscnt 0x0
	v_add_f64_e32 v[22:23], v[22:23], v[50:51]
	v_add_f64_e32 v[20:21], v[2:3], v[20:21]
	ds_store_b128 v53, v[20:23]
.LBB370_40:                             ;   in Loop: Header=BB370_16 Depth=2
	s_or_b32 exec_lo, exec_lo, s7
	v_mov_b64_e32 v[22:23], 0
	s_wait_dscnt 0x2
	v_mov_b64_e32 v[20:21], 0
	s_wait_dscnt 0x0
	s_barrier_signal -1
	s_barrier_wait -1
	s_and_saveexec_b32 s7, s2
	s_cbranch_execnz .LBB370_56
; %bb.41:                               ;   in Loop: Header=BB370_16 Depth=2
	s_or_b32 exec_lo, exec_lo, s7
	s_and_saveexec_b32 s7, s1
	s_cbranch_execnz .LBB370_57
.LBB370_42:                             ;   in Loop: Header=BB370_16 Depth=2
	s_or_b32 exec_lo, exec_lo, s7
	s_and_saveexec_b32 s7, s0
	s_cbranch_execz .LBB370_15
	s_branch .LBB370_58
.LBB370_43:                             ;   in Loop: Header=BB370_16 Depth=2
	s_wait_dscnt 0x0
	s_clause 0x1
	flat_load_b128 v[18:21], v[40:41]
	flat_load_b128 v[8:11], v[42:43]
	s_mul_i32 s8, s24, s52
	s_delay_alu instid0(SALU_CYCLE_1)
	s_ashr_i32 s9, s8, 31
	s_wait_loadcnt_dscnt 0x101
	scratch_store_b128 off, v[18:21], off
	s_wait_loadcnt_dscnt 0x0
	scratch_store_b128 off, v[8:11], s59
	flat_load_b128 v[8:11], v[44:45]
	s_wait_loadcnt_dscnt 0x0
	scratch_store_b128 off, v[8:11], s60
	flat_load_b128 v[8:11], v[46:47]
	s_wait_loadcnt_dscnt 0x0
	scratch_store_b128 off, v[8:11], s61
	s_wait_xcnt 0x0
	v_lshl_add_u64 v[8:9], s[8:9], 4, v[38:39]
	s_add_co_i32 s8, s8, s52
	s_delay_alu instid0(SALU_CYCLE_1) | instskip(SKIP_4) | instid1(VALU_DEP_2)
	s_ashr_i32 s9, s8, 31
	flat_load_b128 v[10:13], v[8:9]
	s_wait_loadcnt_dscnt 0x0
	v_mul_f64_e32 v[2:3], v[20:21], v[12:13]
	v_mul_f64_e32 v[12:13], v[18:19], v[12:13]
	v_fmac_f64_e32 v[2:3], v[18:19], v[10:11]
	s_delay_alu instid0(VALU_DEP_2) | instskip(SKIP_2) | instid1(SALU_CYCLE_1)
	v_fma_f64 v[10:11], v[20:21], v[10:11], -v[12:13]
	v_lshl_add_u64 v[12:13], s[8:9], 4, v[38:39]
	s_add_co_i32 s8, s8, s52
	s_ashr_i32 s9, s8, 31
	flat_load_b128 v[14:17], v[12:13]
	v_add_f64_e32 v[22:23], 0, v[2:3]
	v_add_f64_e32 v[10:11], 0, v[10:11]
	s_wait_loadcnt_dscnt 0x0
	v_mul_f64_e32 v[2:3], v[20:21], v[16:17]
	v_mul_f64_e32 v[16:17], v[18:19], v[16:17]
	s_delay_alu instid0(VALU_DEP_2) | instskip(NEXT) | instid1(VALU_DEP_2)
	v_fmac_f64_e32 v[2:3], v[18:19], v[14:15]
	v_fma_f64 v[14:15], v[20:21], v[14:15], -v[16:17]
	v_lshl_add_u64 v[16:17], s[8:9], 4, v[38:39]
	s_add_co_i32 s8, s8, s52
	s_delay_alu instid0(SALU_CYCLE_1)
	s_ashr_i32 s9, s8, 31
	flat_load_b128 v[60:63], v[16:17]
	v_add_f64_e32 v[50:51], 0, v[2:3]
	v_add_f64_e32 v[14:15], 0, v[14:15]
	s_wait_loadcnt_dscnt 0x0
	v_mul_f64_e32 v[2:3], v[20:21], v[62:63]
	v_mul_f64_e32 v[62:63], v[18:19], v[62:63]
	s_delay_alu instid0(VALU_DEP_2) | instskip(NEXT) | instid1(VALU_DEP_2)
	v_fmac_f64_e32 v[2:3], v[18:19], v[60:61]
	v_fma_f64 v[60:61], v[20:21], v[60:61], -v[62:63]
	s_delay_alu instid0(VALU_DEP_2) | instskip(SKIP_1) | instid1(VALU_DEP_3)
	v_add_f64_e32 v[64:65], 0, v[2:3]
	v_lshl_add_u64 v[2:3], s[8:9], 4, v[38:39]
	v_add_f64_e32 v[66:67], 0, v[60:61]
	flat_load_b128 v[60:63], v[2:3]
	s_wait_loadcnt_dscnt 0x0
	v_mul_f64_e32 v[68:69], v[20:21], v[62:63]
	s_delay_alu instid0(VALU_DEP_1) | instskip(SKIP_1) | instid1(VALU_DEP_2)
	v_fmac_f64_e32 v[68:69], v[18:19], v[60:61]
	v_mul_f64_e32 v[18:19], v[18:19], v[62:63]
	v_add_f64_e32 v[68:69], 0, v[68:69]
	s_delay_alu instid0(VALU_DEP_2) | instskip(NEXT) | instid1(VALU_DEP_1)
	v_fma_f64 v[18:19], v[20:21], v[60:61], -v[18:19]
	v_add_f64_e32 v[70:71], 0, v[18:19]
	scratch_load_b128 v[18:21], off, off offset:16
	flat_load_b128 v[60:63], v[8:9] offset:16
	s_wait_loadcnt_dscnt 0x0
	v_mul_f64_e32 v[72:73], v[20:21], v[62:63]
	v_mul_f64_e32 v[62:63], v[18:19], v[62:63]
	s_delay_alu instid0(VALU_DEP_2) | instskip(NEXT) | instid1(VALU_DEP_2)
	v_fmac_f64_e32 v[72:73], v[18:19], v[60:61]
	v_fma_f64 v[60:61], v[20:21], v[60:61], -v[62:63]
	s_delay_alu instid0(VALU_DEP_2) | instskip(NEXT) | instid1(VALU_DEP_2)
	v_add_f64_e32 v[22:23], v[22:23], v[72:73]
	v_add_f64_e32 v[10:11], v[10:11], v[60:61]
	flat_load_b128 v[60:63], v[12:13] offset:16
	s_wait_loadcnt_dscnt 0x0
	v_mul_f64_e32 v[72:73], v[20:21], v[62:63]
	v_mul_f64_e32 v[62:63], v[18:19], v[62:63]
	s_delay_alu instid0(VALU_DEP_2) | instskip(NEXT) | instid1(VALU_DEP_2)
	v_fmac_f64_e32 v[72:73], v[18:19], v[60:61]
	v_fma_f64 v[60:61], v[20:21], v[60:61], -v[62:63]
	s_delay_alu instid0(VALU_DEP_2) | instskip(NEXT) | instid1(VALU_DEP_2)
	v_add_f64_e32 v[50:51], v[50:51], v[72:73]
	v_add_f64_e32 v[14:15], v[14:15], v[60:61]
	;; [unrolled: 10-line block ×3, first 2 shown]
	flat_load_b128 v[60:63], v[2:3] offset:16
	s_wait_loadcnt_dscnt 0x0
	v_mul_f64_e32 v[72:73], v[20:21], v[62:63]
	s_delay_alu instid0(VALU_DEP_1) | instskip(SKIP_1) | instid1(VALU_DEP_2)
	v_fmac_f64_e32 v[72:73], v[18:19], v[60:61]
	v_mul_f64_e32 v[18:19], v[18:19], v[62:63]
	v_add_f64_e32 v[68:69], v[68:69], v[72:73]
	s_delay_alu instid0(VALU_DEP_2) | instskip(NEXT) | instid1(VALU_DEP_1)
	v_fma_f64 v[18:19], v[20:21], v[60:61], -v[18:19]
	v_add_f64_e32 v[70:71], v[70:71], v[18:19]
	scratch_load_b128 v[18:21], off, off offset:32
	flat_load_b128 v[60:63], v[8:9] offset:32
	s_wait_loadcnt_dscnt 0x0
	v_mul_f64_e32 v[72:73], v[20:21], v[62:63]
	v_mul_f64_e32 v[62:63], v[18:19], v[62:63]
	s_delay_alu instid0(VALU_DEP_2) | instskip(NEXT) | instid1(VALU_DEP_2)
	v_fmac_f64_e32 v[72:73], v[18:19], v[60:61]
	v_fma_f64 v[60:61], v[20:21], v[60:61], -v[62:63]
	s_delay_alu instid0(VALU_DEP_2) | instskip(NEXT) | instid1(VALU_DEP_2)
	v_add_f64_e32 v[72:73], v[22:23], v[72:73]
	v_add_f64_e32 v[74:75], v[10:11], v[60:61]
	flat_load_b128 v[60:63], v[12:13] offset:32
	s_wait_loadcnt_dscnt 0x0
	v_mul_f64_e32 v[10:11], v[20:21], v[62:63]
	v_mul_f64_e32 v[22:23], v[18:19], v[62:63]
	s_delay_alu instid0(VALU_DEP_2) | instskip(NEXT) | instid1(VALU_DEP_2)
	v_fmac_f64_e32 v[10:11], v[18:19], v[60:61]
	v_fma_f64 v[22:23], v[20:21], v[60:61], -v[22:23]
	flat_load_b128 v[60:63], v[16:17] offset:32
	v_add_f64_e32 v[50:51], v[50:51], v[10:11]
	v_add_f64_e32 v[76:77], v[14:15], v[22:23]
	s_wait_loadcnt_dscnt 0x0
	v_mul_f64_e32 v[10:11], v[20:21], v[62:63]
	v_mul_f64_e32 v[14:15], v[18:19], v[62:63]
	s_delay_alu instid0(VALU_DEP_2) | instskip(NEXT) | instid1(VALU_DEP_2)
	v_fmac_f64_e32 v[10:11], v[18:19], v[60:61]
	v_fma_f64 v[14:15], v[20:21], v[60:61], -v[14:15]
	flat_load_b128 v[60:63], v[2:3] offset:32
	v_add_f64_e32 v[64:65], v[64:65], v[10:11]
	v_add_f64_e32 v[66:67], v[66:67], v[14:15]
	s_wait_loadcnt_dscnt 0x0
	v_mul_f64_e32 v[10:11], v[20:21], v[62:63]
	v_mul_f64_e32 v[14:15], v[18:19], v[62:63]
	s_delay_alu instid0(VALU_DEP_2) | instskip(NEXT) | instid1(VALU_DEP_2)
	v_fmac_f64_e32 v[10:11], v[18:19], v[60:61]
	v_fma_f64 v[14:15], v[20:21], v[60:61], -v[14:15]
	s_delay_alu instid0(VALU_DEP_2)
	v_add_f64_e32 v[68:69], v[68:69], v[10:11]
	scratch_load_b128 v[20:23], off, off offset:48
	flat_load_b128 v[8:11], v[8:9] offset:48
	v_add_f64_e32 v[70:71], v[70:71], v[14:15]
	flat_load_b128 v[60:63], v[2:3] offset:48
	s_wait_loadcnt_dscnt 0x101
	v_mul_f64_e32 v[14:15], v[22:23], v[10:11]
	v_mul_f64_e32 v[10:11], v[20:21], v[10:11]
	s_wait_loadcnt_dscnt 0x0
	s_wait_xcnt 0x0
	v_mul_f64_e32 v[2:3], v[22:23], v[62:63]
	s_delay_alu instid0(VALU_DEP_3) | instskip(NEXT) | instid1(VALU_DEP_3)
	v_fmac_f64_e32 v[14:15], v[20:21], v[8:9]
	v_fma_f64 v[8:9], v[22:23], v[8:9], -v[10:11]
	s_delay_alu instid0(VALU_DEP_3) | instskip(NEXT) | instid1(VALU_DEP_3)
	v_fmac_f64_e32 v[2:3], v[20:21], v[60:61]
	v_add_f64_e32 v[10:11], v[72:73], v[14:15]
	flat_load_b128 v[12:15], v[12:13] offset:48
	v_add_f64_e32 v[8:9], v[74:75], v[8:9]
	s_wait_loadcnt_dscnt 0x0
	v_mul_f64_e32 v[18:19], v[22:23], v[14:15]
	v_mul_f64_e32 v[14:15], v[20:21], v[14:15]
	s_delay_alu instid0(VALU_DEP_2) | instskip(NEXT) | instid1(VALU_DEP_2)
	v_fmac_f64_e32 v[18:19], v[20:21], v[12:13]
	v_fma_f64 v[14:15], v[22:23], v[12:13], -v[14:15]
	s_wait_xcnt 0x0
	s_delay_alu instid0(VALU_DEP_2)
	v_add_f64_e32 v[12:13], v[50:51], v[18:19]
	flat_load_b128 v[16:19], v[16:17] offset:48
	v_add_f64_e32 v[14:15], v[76:77], v[14:15]
	s_wait_loadcnt_dscnt 0x0
	v_mul_f64_e32 v[50:51], v[22:23], v[18:19]
	v_mul_f64_e32 v[18:19], v[20:21], v[18:19]
	s_delay_alu instid0(VALU_DEP_2) | instskip(SKIP_1) | instid1(VALU_DEP_3)
	v_fmac_f64_e32 v[50:51], v[20:21], v[16:17]
	v_mul_f64_e32 v[20:21], v[20:21], v[62:63]
	v_fma_f64 v[18:19], v[22:23], v[16:17], -v[18:19]
	s_wait_xcnt 0x0
	s_delay_alu instid0(VALU_DEP_3) | instskip(NEXT) | instid1(VALU_DEP_3)
	v_add_f64_e32 v[16:17], v[64:65], v[50:51]
	v_fma_f64 v[22:23], v[22:23], v[60:61], -v[20:21]
	s_delay_alu instid0(VALU_DEP_3) | instskip(SKIP_1) | instid1(VALU_DEP_3)
	v_add_f64_e32 v[18:19], v[66:67], v[18:19]
	v_add_f64_e32 v[20:21], v[68:69], v[2:3]
	;; [unrolled: 1-line block ×3, first 2 shown]
	s_and_not1_saveexec_b32 s67, s7
	s_cbranch_execz .LBB370_18
.LBB370_44:                             ;   in Loop: Header=BB370_16 Depth=2
	s_wait_dscnt 0x0
	v_mov_b64_e32 v[20:21], 0
	v_mov_b64_e32 v[22:23], 0
	;; [unrolled: 1-line block ×8, first 2 shown]
	s_and_saveexec_b32 s68, s5
	s_cbranch_execz .LBB370_60
; %bb.45:                               ;   in Loop: Header=BB370_16 Depth=2
	s_and_not1_b32 vcc_lo, exec_lo, s58
	s_cbranch_vccnz .LBB370_59
; %bb.46:                               ;   in Loop: Header=BB370_16 Depth=2
	v_mov_b32_e32 v1, v26
	s_mov_b32 s7, 0
	s_mov_b32 s8, s56
.LBB370_47:                             ;   Parent Loop BB370_3 Depth=1
                                        ;     Parent Loop BB370_16 Depth=2
                                        ; =>    This Inner Loop Header: Depth=3
	v_readfirstlane_b32 s48, v36
	v_readfirstlane_b32 s49, v37
	s_add_co_i32 s8, s8, -1
	flat_load_b128 v[8:11], v1, s[48:49] scale_offset
	s_wait_xcnt 0x0
	v_add_nc_u32_e32 v1, s53, v1
	s_wait_loadcnt_dscnt 0x0
	scratch_store_b128 off, v[8:11], s7
	s_wait_xcnt 0x0
	s_add_co_i32 s7, s7, 16
	s_cmp_eq_u32 s8, 0
	s_cbranch_scc0 .LBB370_47
; %bb.48:                               ;   in Loop: Header=BB370_16 Depth=2
	s_ashr_i32 s7, s6, 31
	v_mov_b64_e32 v[8:9], 0
	v_mov_b64_e32 v[10:11], 0
	;; [unrolled: 1-line block ×8, first 2 shown]
	v_lshl_add_u64 v[2:3], s[6:7], 4, v[48:49]
	s_mov_b32 s7, s62
	s_mov_b32 s8, s11
	;; [unrolled: 1-line block ×5, first 2 shown]
.LBB370_49:                             ;   Parent Loop BB370_3 Depth=1
                                        ;     Parent Loop BB370_16 Depth=2
                                        ; =>    This Inner Loop Header: Depth=3
	scratch_load_b128 v[60:63], off, s7 offset:-8
	flat_load_b128 v[64:67], v[2:3] offset:-8
	s_ashr_i32 s51, s50, 31
	s_ashr_i32 s49, s48, 31
	;; [unrolled: 1-line block ×3, first 2 shown]
	s_wait_xcnt 0x0
	v_add_nc_u64_e32 v[2:3], 16, v[2:3]
	s_add_co_i32 s69, s69, -1
	s_add_co_i32 s7, s7, 16
	s_wait_loadcnt_dscnt 0x0
	v_mul_f64_e32 v[50:51], v[62:63], v[66:67]
	v_mul_f64_e32 v[66:67], v[60:61], v[66:67]
	s_delay_alu instid0(VALU_DEP_2) | instskip(NEXT) | instid1(VALU_DEP_2)
	v_fmac_f64_e32 v[50:51], v[60:61], v[64:65]
	v_fma_f64 v[64:65], v[62:63], v[64:65], -v[66:67]
	s_delay_alu instid0(VALU_DEP_2) | instskip(SKIP_1) | instid1(VALU_DEP_3)
	v_add_f64_e32 v[10:11], v[10:11], v[50:51]
	v_lshl_add_u64 v[50:51], s[50:51], 4, v[38:39]
	v_add_f64_e32 v[8:9], v[8:9], v[64:65]
	s_add_co_i32 s50, s50, 1
	flat_load_b128 v[64:67], v[50:51]
	s_wait_loadcnt_dscnt 0x0
	v_mul_f64_e32 v[50:51], v[62:63], v[66:67]
	v_mul_f64_e32 v[66:67], v[60:61], v[66:67]
	s_delay_alu instid0(VALU_DEP_2) | instskip(NEXT) | instid1(VALU_DEP_2)
	v_fmac_f64_e32 v[50:51], v[60:61], v[64:65]
	v_fma_f64 v[64:65], v[62:63], v[64:65], -v[66:67]
	s_delay_alu instid0(VALU_DEP_2) | instskip(SKIP_1) | instid1(VALU_DEP_3)
	v_add_f64_e32 v[12:13], v[12:13], v[50:51]
	v_lshl_add_u64 v[50:51], s[48:49], 4, v[38:39]
	v_add_f64_e32 v[14:15], v[14:15], v[64:65]
	s_add_co_i32 s48, s48, 1
	flat_load_b128 v[64:67], v[50:51]
	s_wait_loadcnt_dscnt 0x0
	v_mul_f64_e32 v[50:51], v[62:63], v[66:67]
	v_mul_f64_e32 v[66:67], v[60:61], v[66:67]
	s_delay_alu instid0(VALU_DEP_2) | instskip(NEXT) | instid1(VALU_DEP_2)
	v_fmac_f64_e32 v[50:51], v[60:61], v[64:65]
	v_fma_f64 v[64:65], v[62:63], v[64:65], -v[66:67]
	s_delay_alu instid0(VALU_DEP_2) | instskip(SKIP_1) | instid1(VALU_DEP_3)
	v_add_f64_e32 v[16:17], v[16:17], v[50:51]
	v_lshl_add_u64 v[50:51], s[8:9], 4, v[38:39]
	v_add_f64_e32 v[18:19], v[18:19], v[64:65]
	s_add_co_i32 s8, s8, 1
	s_cmp_lg_u32 s69, 0
	flat_load_b128 v[64:67], v[50:51]
	s_wait_loadcnt_dscnt 0x0
	v_mul_f64_e32 v[50:51], v[62:63], v[66:67]
	s_delay_alu instid0(VALU_DEP_1) | instskip(SKIP_1) | instid1(VALU_DEP_2)
	v_fmac_f64_e32 v[50:51], v[60:61], v[64:65]
	v_mul_f64_e32 v[60:61], v[60:61], v[66:67]
	v_add_f64_e32 v[20:21], v[20:21], v[50:51]
	s_delay_alu instid0(VALU_DEP_2) | instskip(NEXT) | instid1(VALU_DEP_1)
	v_fma_f64 v[60:61], v[62:63], v[64:65], -v[60:61]
	v_add_f64_e32 v[22:23], v[22:23], v[60:61]
	s_cbranch_scc1 .LBB370_49
	s_branch .LBB370_60
.LBB370_50:                             ;   in Loop: Header=BB370_16 Depth=2
	ds_load_b128 v[8:11], v52
	s_or_b32 exec_lo, exec_lo, s7
	s_and_saveexec_b32 s7, s1
	s_cbranch_execz .LBB370_24
.LBB370_51:                             ;   in Loop: Header=BB370_16 Depth=2
	s_wait_dscnt 0x0
	ds_bpermute_b32 v2, v57, v8
	ds_bpermute_b32 v3, v57, v9
	ds_bpermute_b32 v50, v57, v10
	ds_bpermute_b32 v51, v57, v11
	s_wait_dscnt 0x2
	v_add_f64_e32 v[2:3], v[8:9], v[2:3]
	s_wait_dscnt 0x0
	v_add_f64_e32 v[8:9], v[10:11], v[50:51]
	ds_bpermute_b32 v10, v58, v2
	ds_bpermute_b32 v11, v58, v3
	ds_bpermute_b32 v50, v58, v8
	ds_bpermute_b32 v51, v58, v9
	s_wait_dscnt 0x2
	v_add_f64_e32 v[2:3], v[2:3], v[10:11]
	s_wait_dscnt 0x0
	v_add_f64_e32 v[10:11], v[8:9], v[50:51]
	;; [unrolled: 8-line block ×3, first 2 shown]
	s_or_b32 exec_lo, exec_lo, s7
	s_and_saveexec_b32 s7, s1
	s_cbranch_execnz .LBB370_25
	s_branch .LBB370_26
.LBB370_52:                             ;   in Loop: Header=BB370_16 Depth=2
	ds_load_b128 v[12:15], v52
	s_or_b32 exec_lo, exec_lo, s7
	s_and_saveexec_b32 s7, s1
	s_cbranch_execz .LBB370_30
.LBB370_53:                             ;   in Loop: Header=BB370_16 Depth=2
	s_wait_dscnt 0x0
	ds_bpermute_b32 v2, v57, v12
	ds_bpermute_b32 v3, v57, v13
	ds_bpermute_b32 v50, v57, v14
	ds_bpermute_b32 v51, v57, v15
	s_wait_dscnt 0x2
	v_add_f64_e32 v[2:3], v[12:13], v[2:3]
	s_wait_dscnt 0x0
	v_add_f64_e32 v[12:13], v[14:15], v[50:51]
	ds_bpermute_b32 v14, v58, v2
	ds_bpermute_b32 v15, v58, v3
	ds_bpermute_b32 v50, v58, v12
	ds_bpermute_b32 v51, v58, v13
	s_wait_dscnt 0x2
	v_add_f64_e32 v[2:3], v[2:3], v[14:15]
	s_wait_dscnt 0x0
	v_add_f64_e32 v[14:15], v[12:13], v[50:51]
	;; [unrolled: 8-line block ×3, first 2 shown]
	s_or_b32 exec_lo, exec_lo, s7
	s_and_saveexec_b32 s7, s1
	s_cbranch_execnz .LBB370_31
	s_branch .LBB370_32
.LBB370_54:                             ;   in Loop: Header=BB370_16 Depth=2
	ds_load_b128 v[16:19], v52
	s_or_b32 exec_lo, exec_lo, s7
	s_and_saveexec_b32 s7, s1
	s_cbranch_execz .LBB370_36
.LBB370_55:                             ;   in Loop: Header=BB370_16 Depth=2
	s_wait_dscnt 0x0
	ds_bpermute_b32 v2, v57, v16
	ds_bpermute_b32 v3, v57, v17
	ds_bpermute_b32 v50, v57, v18
	ds_bpermute_b32 v51, v57, v19
	s_wait_dscnt 0x2
	v_add_f64_e32 v[2:3], v[16:17], v[2:3]
	s_wait_dscnt 0x0
	v_add_f64_e32 v[16:17], v[18:19], v[50:51]
	ds_bpermute_b32 v18, v58, v2
	ds_bpermute_b32 v19, v58, v3
	ds_bpermute_b32 v50, v58, v16
	ds_bpermute_b32 v51, v58, v17
	s_wait_dscnt 0x2
	v_add_f64_e32 v[2:3], v[2:3], v[18:19]
	s_wait_dscnt 0x0
	v_add_f64_e32 v[18:19], v[16:17], v[50:51]
	;; [unrolled: 8-line block ×3, first 2 shown]
	s_or_b32 exec_lo, exec_lo, s7
	s_and_saveexec_b32 s7, s1
	s_cbranch_execnz .LBB370_37
	s_branch .LBB370_38
.LBB370_56:                             ;   in Loop: Header=BB370_16 Depth=2
	ds_load_b128 v[20:23], v52
	s_or_b32 exec_lo, exec_lo, s7
	s_and_saveexec_b32 s7, s1
	s_cbranch_execz .LBB370_42
.LBB370_57:                             ;   in Loop: Header=BB370_16 Depth=2
	s_wait_dscnt 0x0
	ds_bpermute_b32 v2, v57, v20
	ds_bpermute_b32 v3, v57, v21
	ds_bpermute_b32 v50, v57, v22
	ds_bpermute_b32 v51, v57, v23
	s_wait_dscnt 0x2
	v_add_f64_e32 v[2:3], v[20:21], v[2:3]
	s_wait_dscnt 0x0
	v_add_f64_e32 v[20:21], v[22:23], v[50:51]
	ds_bpermute_b32 v22, v58, v2
	ds_bpermute_b32 v23, v58, v3
	ds_bpermute_b32 v50, v58, v20
	ds_bpermute_b32 v51, v58, v21
	s_wait_dscnt 0x2
	v_add_f64_e32 v[2:3], v[2:3], v[22:23]
	s_wait_dscnt 0x0
	v_add_f64_e32 v[22:23], v[20:21], v[50:51]
	;; [unrolled: 8-line block ×3, first 2 shown]
	s_or_b32 exec_lo, exec_lo, s7
	s_and_saveexec_b32 s7, s0
	s_cbranch_execz .LBB370_15
.LBB370_58:                             ;   in Loop: Header=BB370_16 Depth=2
	s_mul_i32 s8, s24, s30
	v_mul_f64_e32 v[64:65], v[6:7], v[18:19]
	s_add_co_i32 s8, s8, s34
	s_delay_alu instid0(SALU_CYCLE_1)
	v_dual_mul_f64 v[2:3], v[6:7], v[10:11] :: v_dual_mov_b32 v1, s8
	s_add_co_i32 s9, s8, s30
	v_mul_f64_e32 v[62:63], v[4:5], v[10:11]
	s_add_co_i32 s8, s9, s30
	v_mul_f64_e32 v[50:51], v[6:7], v[14:15]
	s_wait_dscnt 0x0
	v_mul_f64_e32 v[66:67], v[6:7], v[22:23]
	s_delay_alu instid0(VALU_DEP_4)
	v_dual_fma_f64 v[60:61], v[4:5], v[8:9], -v[2:3] :: v_dual_mov_b32 v2, s9
	s_add_co_i32 s9, s8, s30
	v_mul_f64_e32 v[10:11], v[4:5], v[14:15]
	v_mul_f64_e32 v[14:15], v[4:5], v[18:19]
	;; [unrolled: 1-line block ×3, first 2 shown]
	v_fmac_f64_e32 v[62:63], v[6:7], v[8:9]
	v_dual_fma_f64 v[8:9], v[4:5], v[12:13], -v[50:51] :: v_dual_mov_b32 v3, s8
	v_fmac_f64_e32 v[10:11], v[6:7], v[12:13]
	v_fma_f64 v[12:13], v[4:5], v[16:17], -v[64:65]
	v_fmac_f64_e32 v[14:15], v[6:7], v[16:17]
	v_fma_f64 v[16:17], v[4:5], v[20:21], -v[66:67]
	v_fmac_f64_e32 v[18:19], v[6:7], v[20:21]
	v_mov_b32_e32 v20, s9
	s_clause 0x3
	global_store_b128 v1, v[60:63], s[46:47] scale_offset
	global_store_b128 v2, v[8:11], s[46:47] scale_offset
	;; [unrolled: 1-line block ×4, first 2 shown]
	s_branch .LBB370_15
.LBB370_59:                             ;   in Loop: Header=BB370_16 Depth=2
	v_mov_b64_e32 v[20:21], 0
	v_mov_b64_e32 v[22:23], 0
	;; [unrolled: 1-line block ×8, first 2 shown]
.LBB370_60:                             ;   in Loop: Header=BB370_16 Depth=2
	s_or_b32 exec_lo, exec_lo, s68
	s_delay_alu instid0(SALU_CYCLE_1)
	s_or_b32 exec_lo, exec_lo, s67
	s_and_saveexec_b32 s7, s1
	s_cbranch_execnz .LBB370_19
	s_branch .LBB370_20
.LBB370_61:                             ;   in Loop: Header=BB370_3 Depth=1
	s_mov_b32 s24, 0
.LBB370_62:                             ;   in Loop: Header=BB370_3 Depth=1
	s_delay_alu instid0(SALU_CYCLE_1)
	s_cmp_ge_i32 s24, s27
	s_cbranch_scc1 .LBB370_2
; %bb.63:                               ;   in Loop: Header=BB370_3 Depth=1
	v_cmp_gt_u32_e32 vcc_lo, 24, v54
	s_add_nc_u64 s[6:7], s[46:47], s[38:39]
	s_mul_i32 s8, s52, s24
	v_cndmask_b32_e64 v1, 0, 8, vcc_lo
	v_cmp_gt_u32_e32 vcc_lo, 28, v54
	s_delay_alu instid0(VALU_DEP_2) | instskip(SKIP_2) | instid1(VALU_DEP_2)
	v_add_lshl_u32 v14, v1, v54, 2
	v_cndmask_b32_e64 v2, 0, 4, vcc_lo
	v_cmp_gt_u32_e32 vcc_lo, 30, v54
	v_add_lshl_u32 v15, v2, v54, 2
	v_cndmask_b32_e64 v3, 0, 2, vcc_lo
	v_cmp_ne_u32_e32 vcc_lo, 31, v54
	s_delay_alu instid0(VALU_DEP_2) | instskip(SKIP_1) | instid1(VALU_DEP_1)
	v_add_lshl_u32 v16, v3, v54, 2
	v_add_co_ci_u32_e64 v8, null, 0, v54, vcc_lo
	v_lshlrev_b32_e32 v17, 2, v8
	s_branch .LBB370_65
.LBB370_64:                             ;   in Loop: Header=BB370_65 Depth=2
	s_wait_xcnt 0x0
	s_or_b32 exec_lo, exec_lo, s9
	s_add_co_i32 s24, s24, 1
	s_add_co_i32 s8, s8, s52
	s_cmp_lt_i32 s24, s27
	s_cbranch_scc0 .LBB370_2
.LBB370_65:                             ;   Parent Loop BB370_3 Depth=1
                                        ; =>  This Loop Header: Depth=2
                                        ;       Child Loop BB370_77 Depth 3
                                        ;       Child Loop BB370_79 Depth 3
                                        ; implicit-def: $vgpr8_vgpr9
                                        ; implicit-def: $vgpr10_vgpr11
	s_and_saveexec_b32 s9, s4
	s_delay_alu instid0(SALU_CYCLE_1)
	s_xor_b32 s9, exec_lo, s9
	s_cbranch_execnz .LBB370_74
; %bb.66:                               ;   in Loop: Header=BB370_65 Depth=2
	s_and_not1_saveexec_b32 s11, s9
	s_cbranch_execnz .LBB370_75
.LBB370_67:                             ;   in Loop: Header=BB370_65 Depth=2
	s_or_b32 exec_lo, exec_lo, s11
	s_and_saveexec_b32 s9, s1
.LBB370_68:                             ;   in Loop: Header=BB370_65 Depth=2
	v_dual_mov_b32 v1, v0 :: v_dual_mov_b32 v2, v0
	v_mov_b32_e32 v3, v0
	ds_store_b128 v52, v[0:3]
.LBB370_69:                             ;   in Loop: Header=BB370_65 Depth=2
	s_or_b32 exec_lo, exec_lo, s9
	s_wait_dscnt 0x0
	ds_bpermute_b32 v2, v55, v8
	ds_bpermute_b32 v3, v55, v9
	;; [unrolled: 1-line block ×4, first 2 shown]
	s_wait_storecnt_dscnt 0x0
	s_barrier_signal -1
	s_barrier_wait -1
	v_add_f64_e32 v[2:3], v[8:9], v[2:3]
	v_add_f64_e32 v[8:9], v[10:11], v[12:13]
	ds_bpermute_b32 v10, v14, v2
	ds_bpermute_b32 v11, v14, v3
	ds_bpermute_b32 v12, v14, v8
	ds_bpermute_b32 v13, v14, v9
	s_wait_dscnt 0x2
	v_add_f64_e32 v[2:3], v[2:3], v[10:11]
	s_wait_dscnt 0x0
	v_add_f64_e32 v[8:9], v[8:9], v[12:13]
	ds_bpermute_b32 v10, v15, v2
	ds_bpermute_b32 v11, v15, v3
	ds_bpermute_b32 v12, v15, v8
	ds_bpermute_b32 v13, v15, v9
	s_wait_dscnt 0x2
	v_add_f64_e32 v[2:3], v[2:3], v[10:11]
	s_wait_dscnt 0x0
	;; [unrolled: 8-line block ×3, first 2 shown]
	v_add_f64_e32 v[10:11], v[8:9], v[12:13]
	ds_bpermute_b32 v8, v17, v2
	ds_bpermute_b32 v9, v17, v3
	;; [unrolled: 1-line block ×4, first 2 shown]
	s_and_saveexec_b32 s9, s3
	s_cbranch_execz .LBB370_71
; %bb.70:                               ;   in Loop: Header=BB370_65 Depth=2
	s_wait_dscnt 0x0
	v_add_f64_e32 v[10:11], v[10:11], v[12:13]
	v_add_f64_e32 v[8:9], v[2:3], v[8:9]
	ds_store_b128 v53, v[8:11]
.LBB370_71:                             ;   in Loop: Header=BB370_65 Depth=2
	s_or_b32 exec_lo, exec_lo, s9
	v_mov_b64_e32 v[10:11], 0
	s_wait_dscnt 0x2
	v_mov_b64_e32 v[8:9], 0
	s_wait_dscnt 0x0
	s_barrier_signal -1
	s_barrier_wait -1
	s_and_saveexec_b32 s9, s2
	s_cbranch_execnz .LBB370_81
; %bb.72:                               ;   in Loop: Header=BB370_65 Depth=2
	s_or_b32 exec_lo, exec_lo, s9
	s_and_saveexec_b32 s9, s1
	s_cbranch_execnz .LBB370_82
.LBB370_73:                             ;   in Loop: Header=BB370_65 Depth=2
	s_or_b32 exec_lo, exec_lo, s9
	s_and_saveexec_b32 s9, s0
	s_cbranch_execz .LBB370_64
	s_branch .LBB370_83
.LBB370_74:                             ;   in Loop: Header=BB370_65 Depth=2
	s_wait_dscnt 0x0
	flat_load_b128 v[8:11], v[42:43]
	s_wait_dscnt 0x1
	s_clause 0x1
	flat_load_b128 v[18:21], v[44:45]
	flat_load_b128 v[56:59], v[46:47]
	s_mul_i32 s46, s24, s52
	s_delay_alu instid0(SALU_CYCLE_1) | instskip(NEXT) | instid1(SALU_CYCLE_1)
	s_ashr_i32 s47, s46, 31
	v_lshl_add_u64 v[2:3], s[46:47], 4, v[38:39]
	flat_load_b128 v[60:63], v[40:41]
	s_clause 0x1
	flat_load_b128 v[64:67], v[2:3]
	flat_load_b128 v[68:71], v[2:3] offset:16
	s_wait_loadcnt_dscnt 0x505
	scratch_store_b128 off, v[8:11], s59
	s_wait_loadcnt_dscnt 0x404
	scratch_store_b128 off, v[18:21], s60
	s_clause 0x1
	scratch_load_b128 v[8:11], off, off offset:16
	scratch_load_b128 v[18:21], off, off offset:32
	s_clause 0x1
	flat_load_b128 v[72:75], v[2:3] offset:32
	flat_load_b128 v[76:79], v[2:3] offset:48
	s_wait_loadcnt_dscnt 0x705
	scratch_store_b128 off, v[56:59], s61
	scratch_load_b128 v[56:59], off, off offset:48
	s_wait_loadcnt_dscnt 0x704
	scratch_store_b128 off, v[60:63], off
	s_wait_loadcnt_dscnt 0x603
	v_mul_f64_e32 v[2:3], v[66:67], v[62:63]
	v_mul_f64_e32 v[12:13], v[66:67], v[60:61]
	s_delay_alu instid0(VALU_DEP_2) | instskip(NEXT) | instid1(VALU_DEP_2)
	v_fmac_f64_e32 v[2:3], v[64:65], v[60:61]
	v_fma_f64 v[12:13], v[64:65], v[62:63], -v[12:13]
	s_delay_alu instid0(VALU_DEP_2) | instskip(NEXT) | instid1(VALU_DEP_2)
	v_add_f64_e32 v[2:3], 0, v[2:3]
	v_add_f64_e32 v[12:13], 0, v[12:13]
	s_wait_loadcnt_dscnt 0x402
	v_mul_f64_e32 v[22:23], v[70:71], v[10:11]
	v_mul_f64_e32 v[50:51], v[70:71], v[8:9]
	s_wait_loadcnt_dscnt 0x201
	v_mul_f64_e32 v[64:65], v[74:75], v[20:21]
	v_mul_f64_e32 v[66:67], v[74:75], v[18:19]
	s_delay_alu instid0(VALU_DEP_4) | instskip(NEXT) | instid1(VALU_DEP_4)
	v_fmac_f64_e32 v[22:23], v[68:69], v[8:9]
	v_fma_f64 v[8:9], v[68:69], v[10:11], -v[50:51]
	s_wait_loadcnt_dscnt 0x0
	v_mul_f64_e32 v[10:11], v[78:79], v[58:59]
	v_mul_f64_e32 v[50:51], v[78:79], v[56:57]
	v_fmac_f64_e32 v[64:65], v[72:73], v[18:19]
	v_fma_f64 v[18:19], v[72:73], v[20:21], -v[66:67]
	v_add_f64_e32 v[2:3], v[2:3], v[22:23]
	v_add_f64_e32 v[8:9], v[12:13], v[8:9]
	v_fmac_f64_e32 v[10:11], v[76:77], v[56:57]
	v_fma_f64 v[12:13], v[76:77], v[58:59], -v[50:51]
	s_delay_alu instid0(VALU_DEP_4) | instskip(NEXT) | instid1(VALU_DEP_4)
	v_add_f64_e32 v[2:3], v[2:3], v[64:65]
	v_add_f64_e32 v[18:19], v[8:9], v[18:19]
	s_delay_alu instid0(VALU_DEP_2) | instskip(NEXT) | instid1(VALU_DEP_2)
	v_add_f64_e32 v[8:9], v[2:3], v[10:11]
	v_add_f64_e32 v[10:11], v[18:19], v[12:13]
	s_wait_xcnt 0x0
	s_and_not1_saveexec_b32 s11, s9
	s_cbranch_execz .LBB370_67
.LBB370_75:                             ;   in Loop: Header=BB370_65 Depth=2
	s_wait_dscnt 0x0
	v_mov_b64_e32 v[8:9], 0
	v_mov_b64_e32 v[10:11], 0
	s_and_saveexec_b32 s46, s26
	s_cbranch_execz .LBB370_80
; %bb.76:                               ;   in Loop: Header=BB370_65 Depth=2
	v_mov_b32_e32 v1, v26
	s_mov_b32 s9, 0
	s_mov_b32 s47, s56
.LBB370_77:                             ;   Parent Loop BB370_3 Depth=1
                                        ;     Parent Loop BB370_65 Depth=2
                                        ; =>    This Inner Loop Header: Depth=3
	v_readfirstlane_b32 s48, v36
	v_readfirstlane_b32 s49, v37
	s_add_co_i32 s47, s47, -1
	flat_load_b128 v[8:11], v1, s[48:49] scale_offset
	s_wait_xcnt 0x0
	v_add_nc_u32_e32 v1, s53, v1
	s_wait_loadcnt_dscnt 0x0
	scratch_store_b128 off, v[8:11], s9
	s_wait_xcnt 0x0
	s_add_co_i32 s9, s9, 16
	s_cmp_eq_u32 s47, 0
	s_cbranch_scc0 .LBB370_77
; %bb.78:                               ;   in Loop: Header=BB370_65 Depth=2
	s_ashr_i32 s9, s8, 31
	v_mov_b64_e32 v[8:9], 0
	v_mov_b64_e32 v[10:11], 0
	v_lshl_add_u64 v[2:3], s[8:9], 4, v[48:49]
	s_mov_b32 s9, s62
	s_mov_b32 s47, s56
.LBB370_79:                             ;   Parent Loop BB370_3 Depth=1
                                        ;     Parent Loop BB370_65 Depth=2
                                        ; =>    This Inner Loop Header: Depth=3
	flat_load_b128 v[18:21], v[2:3] offset:-8
	scratch_load_b128 v[56:59], off, s9 offset:-8
	s_wait_xcnt 0x1
	v_add_nc_u64_e32 v[2:3], 16, v[2:3]
	s_add_co_i32 s47, s47, -1
	s_wait_xcnt 0x0
	s_add_co_i32 s9, s9, 16
	s_cmp_lg_u32 s47, 0
	s_wait_loadcnt_dscnt 0x0
	v_mul_f64_e32 v[12:13], v[20:21], v[58:59]
	v_mul_f64_e32 v[20:21], v[20:21], v[56:57]
	s_delay_alu instid0(VALU_DEP_2) | instskip(NEXT) | instid1(VALU_DEP_2)
	v_fmac_f64_e32 v[12:13], v[18:19], v[56:57]
	v_fma_f64 v[18:19], v[18:19], v[58:59], -v[20:21]
	s_delay_alu instid0(VALU_DEP_2) | instskip(NEXT) | instid1(VALU_DEP_2)
	v_add_f64_e32 v[8:9], v[8:9], v[12:13]
	v_add_f64_e32 v[10:11], v[10:11], v[18:19]
	s_cbranch_scc1 .LBB370_79
.LBB370_80:                             ;   in Loop: Header=BB370_65 Depth=2
	s_or_b32 exec_lo, exec_lo, s46
	s_delay_alu instid0(SALU_CYCLE_1)
	s_or_b32 exec_lo, exec_lo, s11
	s_and_saveexec_b32 s9, s1
	s_cbranch_execnz .LBB370_68
	s_branch .LBB370_69
.LBB370_81:                             ;   in Loop: Header=BB370_65 Depth=2
	ds_load_b128 v[8:11], v52
	s_or_b32 exec_lo, exec_lo, s9
	s_and_saveexec_b32 s9, s1
	s_cbranch_execz .LBB370_73
.LBB370_82:                             ;   in Loop: Header=BB370_65 Depth=2
	s_wait_dscnt 0x0
	ds_bpermute_b32 v2, v15, v8
	ds_bpermute_b32 v3, v15, v9
	ds_bpermute_b32 v12, v15, v10
	ds_bpermute_b32 v13, v15, v11
	s_wait_dscnt 0x2
	v_add_f64_e32 v[2:3], v[8:9], v[2:3]
	s_wait_dscnt 0x0
	v_add_f64_e32 v[8:9], v[10:11], v[12:13]
	ds_bpermute_b32 v10, v16, v2
	ds_bpermute_b32 v11, v16, v3
	ds_bpermute_b32 v12, v16, v8
	ds_bpermute_b32 v13, v16, v9
	s_wait_dscnt 0x2
	v_add_f64_e32 v[2:3], v[2:3], v[10:11]
	s_wait_dscnt 0x0
	v_add_f64_e32 v[10:11], v[8:9], v[12:13]
	;; [unrolled: 8-line block ×3, first 2 shown]
	s_or_b32 exec_lo, exec_lo, s9
	s_and_saveexec_b32 s9, s0
	s_cbranch_execz .LBB370_64
.LBB370_83:                             ;   in Loop: Header=BB370_65 Depth=2
	s_wait_dscnt 0x0
	s_delay_alu instid0(VALU_DEP_1) | instskip(SKIP_2) | instid1(SALU_CYCLE_1)
	v_mul_f64_e32 v[2:3], v[6:7], v[10:11]
	v_mul_f64_e32 v[12:13], v[4:5], v[10:11]
	s_mul_u64 s[46:47], s[24:25], s[30:31]
	s_lshl_b64 s[46:47], s[46:47], 4
	s_delay_alu instid0(SALU_CYCLE_1) | instskip(NEXT) | instid1(VALU_DEP_2)
	s_add_nc_u64 s[46:47], s[6:7], s[46:47]
	v_fma_f64 v[10:11], v[4:5], v[8:9], -v[2:3]
	s_delay_alu instid0(VALU_DEP_2)
	v_fmac_f64_e32 v[12:13], v[6:7], v[8:9]
	global_store_b128 v0, v[10:13], s[46:47]
	s_branch .LBB370_64
.LBB370_84:
	s_sendmsg sendmsg(MSG_DEALLOC_VGPRS)
	s_endpgm
	.section	.rodata,"a",@progbits
	.p2align	6, 0x0
	.amdhsa_kernel _ZL23rocblas_gemvt_sn_kernelILb1ELi256ELi4EiPK19rocblas_complex_numIdES3_S1_EviiT4_lPKT3_lilS7_lilPT5_i
		.amdhsa_group_segment_fixed_size 512
		.amdhsa_private_segment_fixed_size 80
		.amdhsa_kernarg_size 360
		.amdhsa_user_sgpr_count 2
		.amdhsa_user_sgpr_dispatch_ptr 0
		.amdhsa_user_sgpr_queue_ptr 0
		.amdhsa_user_sgpr_kernarg_segment_ptr 1
		.amdhsa_user_sgpr_dispatch_id 0
		.amdhsa_user_sgpr_kernarg_preload_length 0
		.amdhsa_user_sgpr_kernarg_preload_offset 0
		.amdhsa_user_sgpr_private_segment_size 0
		.amdhsa_wavefront_size32 1
		.amdhsa_uses_dynamic_stack 0
		.amdhsa_enable_private_segment 1
		.amdhsa_system_sgpr_workgroup_id_x 1
		.amdhsa_system_sgpr_workgroup_id_y 0
		.amdhsa_system_sgpr_workgroup_id_z 1
		.amdhsa_system_sgpr_workgroup_info 0
		.amdhsa_system_vgpr_workitem_id 0
		.amdhsa_next_free_vgpr 80
		.amdhsa_next_free_sgpr 70
		.amdhsa_named_barrier_count 0
		.amdhsa_reserve_vcc 1
		.amdhsa_float_round_mode_32 0
		.amdhsa_float_round_mode_16_64 0
		.amdhsa_float_denorm_mode_32 3
		.amdhsa_float_denorm_mode_16_64 3
		.amdhsa_fp16_overflow 0
		.amdhsa_memory_ordered 1
		.amdhsa_forward_progress 1
		.amdhsa_inst_pref_size 50
		.amdhsa_round_robin_scheduling 0
		.amdhsa_exception_fp_ieee_invalid_op 0
		.amdhsa_exception_fp_denorm_src 0
		.amdhsa_exception_fp_ieee_div_zero 0
		.amdhsa_exception_fp_ieee_overflow 0
		.amdhsa_exception_fp_ieee_underflow 0
		.amdhsa_exception_fp_ieee_inexact 0
		.amdhsa_exception_int_div_zero 0
	.end_amdhsa_kernel
	.section	.text._ZL23rocblas_gemvt_sn_kernelILb1ELi256ELi4EiPK19rocblas_complex_numIdES3_S1_EviiT4_lPKT3_lilS7_lilPT5_i,"axG",@progbits,_ZL23rocblas_gemvt_sn_kernelILb1ELi256ELi4EiPK19rocblas_complex_numIdES3_S1_EviiT4_lPKT3_lilS7_lilPT5_i,comdat
.Lfunc_end370:
	.size	_ZL23rocblas_gemvt_sn_kernelILb1ELi256ELi4EiPK19rocblas_complex_numIdES3_S1_EviiT4_lPKT3_lilS7_lilPT5_i, .Lfunc_end370-_ZL23rocblas_gemvt_sn_kernelILb1ELi256ELi4EiPK19rocblas_complex_numIdES3_S1_EviiT4_lPKT3_lilS7_lilPT5_i
                                        ; -- End function
	.set _ZL23rocblas_gemvt_sn_kernelILb1ELi256ELi4EiPK19rocblas_complex_numIdES3_S1_EviiT4_lPKT3_lilS7_lilPT5_i.num_vgpr, 80
	.set _ZL23rocblas_gemvt_sn_kernelILb1ELi256ELi4EiPK19rocblas_complex_numIdES3_S1_EviiT4_lPKT3_lilS7_lilPT5_i.num_agpr, 0
	.set _ZL23rocblas_gemvt_sn_kernelILb1ELi256ELi4EiPK19rocblas_complex_numIdES3_S1_EviiT4_lPKT3_lilS7_lilPT5_i.numbered_sgpr, 70
	.set _ZL23rocblas_gemvt_sn_kernelILb1ELi256ELi4EiPK19rocblas_complex_numIdES3_S1_EviiT4_lPKT3_lilS7_lilPT5_i.num_named_barrier, 0
	.set _ZL23rocblas_gemvt_sn_kernelILb1ELi256ELi4EiPK19rocblas_complex_numIdES3_S1_EviiT4_lPKT3_lilS7_lilPT5_i.private_seg_size, 80
	.set _ZL23rocblas_gemvt_sn_kernelILb1ELi256ELi4EiPK19rocblas_complex_numIdES3_S1_EviiT4_lPKT3_lilS7_lilPT5_i.uses_vcc, 1
	.set _ZL23rocblas_gemvt_sn_kernelILb1ELi256ELi4EiPK19rocblas_complex_numIdES3_S1_EviiT4_lPKT3_lilS7_lilPT5_i.uses_flat_scratch, 1
	.set _ZL23rocblas_gemvt_sn_kernelILb1ELi256ELi4EiPK19rocblas_complex_numIdES3_S1_EviiT4_lPKT3_lilS7_lilPT5_i.has_dyn_sized_stack, 0
	.set _ZL23rocblas_gemvt_sn_kernelILb1ELi256ELi4EiPK19rocblas_complex_numIdES3_S1_EviiT4_lPKT3_lilS7_lilPT5_i.has_recursion, 0
	.set _ZL23rocblas_gemvt_sn_kernelILb1ELi256ELi4EiPK19rocblas_complex_numIdES3_S1_EviiT4_lPKT3_lilS7_lilPT5_i.has_indirect_call, 0
	.section	.AMDGPU.csdata,"",@progbits
; Kernel info:
; codeLenInByte = 6360
; TotalNumSgprs: 72
; NumVgprs: 80
; ScratchSize: 80
; MemoryBound: 0
; FloatMode: 240
; IeeeMode: 1
; LDSByteSize: 512 bytes/workgroup (compile time only)
; SGPRBlocks: 0
; VGPRBlocks: 4
; NumSGPRsForWavesPerEU: 72
; NumVGPRsForWavesPerEU: 80
; NamedBarCnt: 0
; Occupancy: 12
; WaveLimiterHint : 0
; COMPUTE_PGM_RSRC2:SCRATCH_EN: 1
; COMPUTE_PGM_RSRC2:USER_SGPR: 2
; COMPUTE_PGM_RSRC2:TRAP_HANDLER: 0
; COMPUTE_PGM_RSRC2:TGID_X_EN: 1
; COMPUTE_PGM_RSRC2:TGID_Y_EN: 0
; COMPUTE_PGM_RSRC2:TGID_Z_EN: 1
; COMPUTE_PGM_RSRC2:TIDIG_COMP_CNT: 0
	.section	.text._ZL23rocblas_gemvt_sn_kernelILb1ELi256ELi4ElPK19rocblas_complex_numIdES3_S1_EviiT4_lPKT3_lilS7_lilPT5_i,"axG",@progbits,_ZL23rocblas_gemvt_sn_kernelILb1ELi256ELi4ElPK19rocblas_complex_numIdES3_S1_EviiT4_lPKT3_lilS7_lilPT5_i,comdat
	.globl	_ZL23rocblas_gemvt_sn_kernelILb1ELi256ELi4ElPK19rocblas_complex_numIdES3_S1_EviiT4_lPKT3_lilS7_lilPT5_i ; -- Begin function _ZL23rocblas_gemvt_sn_kernelILb1ELi256ELi4ElPK19rocblas_complex_numIdES3_S1_EviiT4_lPKT3_lilS7_lilPT5_i
	.p2align	8
	.type	_ZL23rocblas_gemvt_sn_kernelILb1ELi256ELi4ElPK19rocblas_complex_numIdES3_S1_EviiT4_lPKT3_lilS7_lilPT5_i,@function
_ZL23rocblas_gemvt_sn_kernelILb1ELi256ELi4ElPK19rocblas_complex_numIdES3_S1_EviiT4_lPKT3_lilS7_lilPT5_i: ; @_ZL23rocblas_gemvt_sn_kernelILb1ELi256ELi4ElPK19rocblas_complex_numIdES3_S1_EviiT4_lPKT3_lilS7_lilPT5_i
; %bb.0:
	s_load_b32 s33, s[0:1], 0x60
	s_bfe_u32 s2, ttmp6, 0x40014
	s_lshr_b32 s3, ttmp7, 16
	s_add_co_i32 s2, s2, 1
	s_bfe_u32 s4, ttmp6, 0x40008
	s_mul_i32 s2, s3, s2
	s_getreg_b32 s6, hwreg(HW_REG_IB_STS2, 6, 4)
	s_add_co_i32 s4, s4, s2
	s_cmp_eq_u32 s6, 0
	s_mov_b32 s25, 0
	s_cselect_b32 s10, s3, s4
	s_wait_kmcnt 0x0
	s_cmp_ge_u32 s10, s33
	s_cbranch_scc1 .LBB371_84
; %bb.1:
	s_clause 0x6
	s_load_b32 s26, s[0:1], 0x28
	s_load_b32 s4, s[0:1], 0x48
	s_load_b64 s[28:29], s[0:1], 0x0
	s_load_b256 s[12:19], s[0:1], 0x8
	s_load_b128 s[20:23], s[0:1], 0x38
	s_load_b64 s[30:31], s[0:1], 0x58
	s_load_b32 s34, s[0:1], 0x68
	s_wait_xcnt 0x0
	v_cmp_eq_u32_e64 s0, 0, v0
	v_dual_lshrrev_b32 v2, 1, v0 :: v_dual_bitop2_b32 v1, 31, v0 bitop3:0x40
	s_mov_b32 s35, s25
	v_cmp_gt_u32_e64 s1, 32, v0
	v_cmp_gt_u32_e64 s2, 8, v0
	s_delay_alu instid0(VALU_DEP_3)
	v_cmp_eq_u32_e64 s3, 0, v1
	v_and_b32_e32 v62, 0x70, v2
	v_mbcnt_lo_u32_b32 v60, -1, 0
	s_mov_b32 s59, 16
	s_mov_b32 s60, 32
	;; [unrolled: 1-line block ×3, first 2 shown]
	s_delay_alu instid0(VALU_DEP_1)
	v_lshl_or_b32 v63, v60, 2, 64
	s_wait_kmcnt 0x0
	s_ashr_i32 s27, s26, 31
	s_ashr_i32 s5, s4, 31
	;; [unrolled: 1-line block ×3, first 2 shown]
	s_cmp_gt_i32 s29, 0
	s_cselect_b32 s8, -1, 0
	s_bfe_u32 s9, ttmp6, 0x4000c
	s_and_b32 s11, ttmp6, 15
	s_add_co_i32 s9, s9, 1
	s_and_b32 s54, s0, s8
	s_mul_i32 s9, ttmp9, s9
	s_delay_alu instid0(SALU_CYCLE_1)
	s_add_co_i32 s11, s11, s9
	s_cmp_eq_u32 s6, 0
	s_mov_b32 s6, s29
	s_cselect_b32 s24, ttmp9, s11
	s_mul_u64 s[36:37], s[6:7], s[34:35]
	s_lshl_b32 s8, s24, 10
	s_lshr_b32 s6, s7, 30
	v_lshl_or_b32 v24, v0, 2, s8
	s_ashr_i32 s7, s28, 31
	v_lshlrev_b32_e32 v61, 4, v1
	s_lshr_b32 s7, s7, 30
	s_add_co_i32 s6, s29, s6
	v_dual_ashrrev_i32 v25, 31, v24 :: v_dual_bitop2_b32 v2, 2, v24 bitop3:0x54
	v_or_b32_e32 v0, 1, v24
	s_add_co_i32 s7, s28, s7
	s_and_b32 s55, s6, -4
	s_and_b32 s6, s7, -4
	v_lshlrev_b64_e32 v[34:35], 4, v[24:25]
	v_dual_ashrrev_i32 v3, 31, v2 :: v_dual_ashrrev_i32 v1, 31, v0
	s_sub_co_i32 s56, s28, s6
	v_or_b32_e32 v4, 3, v24
	v_mul_u64_e32 v[26:27], s[4:5], v[24:25]
	s_cmp_gt_i32 s55, 0
	s_delay_alu instid0(VALU_DEP_4)
	v_or_b32_e32 v34, 8, v34
	v_mul_u64_e32 v[28:29], s[4:5], v[0:1]
	v_add_nc_u32_e32 v1, s56, v24
	v_ashrrev_i32_e32 v5, 31, v4
	v_add_nc_u32_e32 v0, 4, v24
	v_mul_u64_e32 v[30:31], s[4:5], v[2:3]
	s_cselect_b32 s57, -1, 0
	s_cmp_gt_i32 s56, 0
	v_mul_u64_e32 v[32:33], s[4:5], v[4:5]
	s_cselect_b32 s58, -1, 0
	s_lshl_b64 s[44:45], s[4:5], 4
	v_cmp_ge_i32_e64 s4, s28, v1
	s_lshl_b64 s[38:39], s[24:25], 4
	v_cmp_ge_i32_e64 s5, s28, v0
	v_mov_b32_e32 v0, 0
	s_add_nc_u64 s[6:7], s[30:31], s[38:39]
	s_or_b32 s62, 0, 8
	s_lshl_b64 s[40:41], s[36:37], 4
	s_lshl_b64 s[42:43], s[34:35], 4
	s_lshl_b64 s[46:47], s[26:27], 6
	s_add_nc_u64 s[48:49], s[6:7], 8
	s_and_b32 s28, s58, s4
	s_lshl_b64 s[50:51], s[26:27], 4
	s_lshl_b64 s[18:19], s[18:19], 4
	;; [unrolled: 1-line block ×3, first 2 shown]
	v_lshlrev_b64_e32 v[36:37], 4, v[26:27]
	s_branch .LBB371_3
.LBB371_2:                              ;   in Loop: Header=BB371_3 Depth=1
	s_add_co_i32 s10, s10, 0x10000
	s_delay_alu instid0(SALU_CYCLE_1)
	s_cmp_lt_u32 s10, s33
	s_cbranch_scc0 .LBB371_84
.LBB371_3:                              ; =>This Loop Header: Depth=1
                                        ;     Child Loop BB371_11 Depth 2
                                        ;     Child Loop BB371_16 Depth 2
                                        ;       Child Loop BB371_47 Depth 3
                                        ;       Child Loop BB371_49 Depth 3
                                        ;     Child Loop BB371_65 Depth 2
                                        ;       Child Loop BB371_77 Depth 3
                                        ;       Child Loop BB371_79 Depth 3
	s_mov_b32 s11, s25
	s_wait_dscnt 0x0
	v_mov_b64_e32 v[8:9], 0
	s_mul_u64 s[6:7], s[14:15], s[10:11]
	v_mov_b64_e32 v[50:51], 0
	s_lshl_b64 s[6:7], s[6:7], 4
	s_delay_alu instid0(SALU_CYCLE_1)
	s_add_nc_u64 s[6:7], s[12:13], s[6:7]
	global_load_b128 v[4:7], v0, s[6:7]
	s_wait_loadcnt 0x0
	v_cmp_neq_f64_e32 vcc_lo, 0, v[4:5]
	s_wait_xcnt 0x0
	v_cmp_neq_f64_e64 s6, 0, v[6:7]
	s_or_b32 s7, vcc_lo, s6
	s_delay_alu instid0(SALU_CYCLE_1) | instskip(NEXT) | instid1(SALU_CYCLE_1)
	s_xor_b32 s6, s7, -1
	s_and_b32 vcc_lo, exec_lo, s6
	s_cbranch_vccz .LBB371_7
; %bb.4:                                ;   in Loop: Header=BB371_3 Depth=1
	s_and_not1_b32 vcc_lo, exec_lo, s7
	s_cbranch_vccz .LBB371_8
.LBB371_5:                              ;   in Loop: Header=BB371_3 Depth=1
	s_and_not1_b32 vcc_lo, exec_lo, s6
	s_mov_b32 s6, -1
	s_cbranch_vccz .LBB371_9
.LBB371_6:                              ;   in Loop: Header=BB371_3 Depth=1
	s_and_not1_b32 vcc_lo, exec_lo, s6
	s_cbranch_vccnz .LBB371_2
	s_branch .LBB371_13
.LBB371_7:                              ;   in Loop: Header=BB371_3 Depth=1
	s_lshl_b64 s[8:9], s[10:11], 3
	s_delay_alu instid0(SALU_CYCLE_1)
	s_add_nc_u64 s[8:9], s[16:17], s[8:9]
	global_load_b64 v[2:3], v0, s[8:9]
	s_wait_loadcnt 0x0
	v_add_nc_u64_e32 v[50:51], s[18:19], v[2:3]
	s_and_not1_b32 vcc_lo, exec_lo, s7
	s_cbranch_vccnz .LBB371_5
.LBB371_8:                              ;   in Loop: Header=BB371_3 Depth=1
	s_wait_xcnt 0x0
	s_lshl_b64 s[8:9], s[10:11], 3
	s_delay_alu instid0(SALU_CYCLE_1)
	s_add_nc_u64 s[8:9], s[20:21], s[8:9]
	global_load_b64 v[2:3], v0, s[8:9]
	s_wait_loadcnt 0x0
	v_add_nc_u64_e32 v[8:9], s[22:23], v[2:3]
	s_and_not1_b32 vcc_lo, exec_lo, s6
	s_mov_b32 s6, -1
	s_cbranch_vccnz .LBB371_6
.LBB371_9:                              ;   in Loop: Header=BB371_3 Depth=1
	s_wait_xcnt 0x0
	s_and_saveexec_b32 s8, s54
	s_cbranch_execz .LBB371_12
; %bb.10:                               ;   in Loop: Header=BB371_3 Depth=1
	s_mul_u64 s[6:7], s[40:41], s[10:11]
	s_mov_b32 s9, s29
	s_add_nc_u64 s[6:7], s[48:49], s[6:7]
.LBB371_11:                             ;   Parent Loop BB371_3 Depth=1
                                        ; =>  This Inner Loop Header: Depth=2
	v_dual_mov_b32 v1, v0 :: v_dual_mov_b32 v2, v0
	v_mov_b32_e32 v3, v0
	s_add_co_i32 s9, s9, -1
	s_delay_alu instid0(SALU_CYCLE_1)
	s_cmp_eq_u32 s9, 0
	global_store_b128 v0, v[0:3], s[6:7] offset:-8
	s_wait_xcnt 0x0
	s_add_nc_u64 s[6:7], s[6:7], s[42:43]
	s_cbranch_scc0 .LBB371_11
.LBB371_12:                             ;   in Loop: Header=BB371_3 Depth=1
	s_or_b32 exec_lo, exec_lo, s8
	s_cbranch_execnz .LBB371_2
.LBB371_13:                             ;   in Loop: Header=BB371_3 Depth=1
	s_mul_u64 s[6:7], s[36:37], s[10:11]
	v_add_nc_u64_e32 v[48:49], v[8:9], v[36:37]
	s_lshl_b64 s[52:53], s[6:7], 4
	v_lshl_add_u64 v[38:39], v[24:25], 4, v[50:51]
	v_lshl_add_u64 v[40:41], v[26:27], 4, v[8:9]
	;; [unrolled: 1-line block ×5, first 2 shown]
	v_cmp_gt_u32_e64 s7, 24, v60
	v_cmp_gt_u32_e64 s6, 28, v60
	s_wait_xcnt 0x0
	v_cmp_gt_u32_e64 s9, 30, v60
	v_cmp_ne_u32_e64 s8, 31, v60
	s_add_nc_u64 s[52:53], s[30:31], s[52:53]
	s_and_not1_b32 vcc_lo, exec_lo, s57
	s_add_nc_u64 s[52:53], s[52:53], s[38:39]
	s_cbranch_vccnz .LBB371_61
; %bb.14:                               ;   in Loop: Header=BB371_3 Depth=1
	v_cndmask_b32_e64 v1, 0, 8, s7
	v_cndmask_b32_e64 v2, 0, 4, s6
	;; [unrolled: 1-line block ×3, first 2 shown]
	v_add_co_ci_u32_e64 v10, null, 0, v60, s8
	v_add_nc_u64_e32 v[52:53], v[8:9], v[36:37]
	v_mov_b64_e32 v[54:55], v[38:39]
	v_add_lshl_u32 v64, v1, v60, 2
	v_add_lshl_u32 v65, v2, v60, 2
	;; [unrolled: 1-line block ×3, first 2 shown]
	v_lshlrev_b32_e32 v67, 2, v10
	s_mov_b32 s24, 0
	s_branch .LBB371_16
.LBB371_15:                             ;   in Loop: Header=BB371_16 Depth=2
	s_wait_xcnt 0x0
	s_or_b32 exec_lo, exec_lo, s6
	v_add_nc_u64_e32 v[54:55], s[46:47], v[54:55]
	s_add_co_i32 s24, s24, 4
	s_delay_alu instid0(SALU_CYCLE_1)
	s_cmp_ge_i32 s24, s55
	s_cbranch_scc1 .LBB371_62
.LBB371_16:                             ;   Parent Loop BB371_3 Depth=1
                                        ; =>  This Loop Header: Depth=2
                                        ;       Child Loop BB371_47 Depth 3
                                        ;       Child Loop BB371_49 Depth 3
                                        ; implicit-def: $vgpr20_vgpr21
                                        ; implicit-def: $vgpr22_vgpr23
                                        ; implicit-def: $vgpr16_vgpr17
                                        ; implicit-def: $vgpr18_vgpr19
                                        ; implicit-def: $vgpr12_vgpr13
                                        ; implicit-def: $vgpr14_vgpr15
                                        ; implicit-def: $vgpr58_vgpr59
                                        ; implicit-def: $vgpr56_vgpr57
	s_and_saveexec_b32 s6, s5
	s_delay_alu instid0(SALU_CYCLE_1)
	s_xor_b32 s6, exec_lo, s6
	s_cbranch_execnz .LBB371_43
; %bb.17:                               ;   in Loop: Header=BB371_16 Depth=2
	s_and_not1_saveexec_b32 s6, s6
	s_cbranch_execnz .LBB371_44
.LBB371_18:                             ;   in Loop: Header=BB371_16 Depth=2
	s_or_b32 exec_lo, exec_lo, s6
	s_and_saveexec_b32 s6, s1
.LBB371_19:                             ;   in Loop: Header=BB371_16 Depth=2
	v_dual_mov_b32 v1, v0 :: v_dual_mov_b32 v2, v0
	v_mov_b32_e32 v3, v0
	ds_store_b128 v61, v[0:3]
.LBB371_20:                             ;   in Loop: Header=BB371_16 Depth=2
	s_or_b32 exec_lo, exec_lo, s6
	ds_bpermute_b32 v2, v63, v58
	ds_bpermute_b32 v3, v63, v59
	;; [unrolled: 1-line block ×4, first 2 shown]
	s_wait_storecnt_dscnt 0x0
	s_barrier_signal -1
	s_barrier_wait -1
	v_add_f64_e32 v[2:3], v[58:59], v[2:3]
	v_add_f64_e32 v[8:9], v[56:57], v[8:9]
	ds_bpermute_b32 v10, v64, v2
	ds_bpermute_b32 v11, v64, v3
	ds_bpermute_b32 v56, v64, v8
	ds_bpermute_b32 v57, v64, v9
	s_wait_dscnt 0x2
	v_add_f64_e32 v[2:3], v[2:3], v[10:11]
	s_wait_dscnt 0x0
	v_add_f64_e32 v[8:9], v[8:9], v[56:57]
	ds_bpermute_b32 v10, v65, v2
	ds_bpermute_b32 v11, v65, v3
	ds_bpermute_b32 v56, v65, v8
	ds_bpermute_b32 v57, v65, v9
	s_wait_dscnt 0x2
	v_add_f64_e32 v[2:3], v[2:3], v[10:11]
	s_wait_dscnt 0x0
	v_add_f64_e32 v[8:9], v[8:9], v[56:57]
	ds_bpermute_b32 v10, v66, v2
	ds_bpermute_b32 v11, v66, v3
	ds_bpermute_b32 v56, v66, v8
	ds_bpermute_b32 v57, v66, v9
	s_wait_dscnt 0x2
	v_add_f64_e32 v[2:3], v[2:3], v[10:11]
	s_wait_dscnt 0x0
	v_add_f64_e32 v[10:11], v[8:9], v[56:57]
	ds_bpermute_b32 v8, v67, v2
	ds_bpermute_b32 v9, v67, v3
	;; [unrolled: 1-line block ×4, first 2 shown]
	s_and_saveexec_b32 s6, s3
	s_cbranch_execz .LBB371_22
; %bb.21:                               ;   in Loop: Header=BB371_16 Depth=2
	s_wait_dscnt 0x0
	v_add_f64_e32 v[10:11], v[10:11], v[56:57]
	v_add_f64_e32 v[8:9], v[2:3], v[8:9]
	ds_store_b128 v62, v[8:11]
.LBB371_22:                             ;   in Loop: Header=BB371_16 Depth=2
	s_or_b32 exec_lo, exec_lo, s6
	v_mov_b64_e32 v[10:11], 0
	s_wait_dscnt 0x2
	v_mov_b64_e32 v[8:9], 0
	s_wait_dscnt 0x0
	s_barrier_signal -1
	s_barrier_wait -1
	s_and_saveexec_b32 s6, s2
	s_cbranch_execnz .LBB371_50
; %bb.23:                               ;   in Loop: Header=BB371_16 Depth=2
	s_or_b32 exec_lo, exec_lo, s6
	s_and_saveexec_b32 s6, s1
	s_cbranch_execnz .LBB371_51
.LBB371_24:                             ;   in Loop: Header=BB371_16 Depth=2
	s_or_b32 exec_lo, exec_lo, s6
	s_and_saveexec_b32 s6, s1
.LBB371_25:                             ;   in Loop: Header=BB371_16 Depth=2
	v_dual_mov_b32 v1, v0 :: v_dual_mov_b32 v2, v0
	v_mov_b32_e32 v3, v0
	ds_store_b128 v61, v[0:3]
.LBB371_26:                             ;   in Loop: Header=BB371_16 Depth=2
	s_or_b32 exec_lo, exec_lo, s6
	ds_bpermute_b32 v2, v63, v12
	ds_bpermute_b32 v3, v63, v13
	;; [unrolled: 1-line block ×4, first 2 shown]
	s_wait_dscnt 0x0
	s_barrier_signal -1
	s_barrier_wait -1
	v_add_f64_e32 v[2:3], v[12:13], v[2:3]
	v_add_f64_e32 v[12:13], v[14:15], v[56:57]
	ds_bpermute_b32 v14, v64, v2
	ds_bpermute_b32 v15, v64, v3
	ds_bpermute_b32 v56, v64, v12
	ds_bpermute_b32 v57, v64, v13
	s_wait_dscnt 0x2
	v_add_f64_e32 v[2:3], v[2:3], v[14:15]
	s_wait_dscnt 0x0
	v_add_f64_e32 v[12:13], v[12:13], v[56:57]
	ds_bpermute_b32 v14, v65, v2
	ds_bpermute_b32 v15, v65, v3
	ds_bpermute_b32 v56, v65, v12
	ds_bpermute_b32 v57, v65, v13
	s_wait_dscnt 0x2
	v_add_f64_e32 v[2:3], v[2:3], v[14:15]
	s_wait_dscnt 0x0
	v_add_f64_e32 v[12:13], v[12:13], v[56:57]
	ds_bpermute_b32 v14, v66, v2
	ds_bpermute_b32 v15, v66, v3
	ds_bpermute_b32 v56, v66, v12
	ds_bpermute_b32 v57, v66, v13
	s_wait_dscnt 0x2
	v_add_f64_e32 v[2:3], v[2:3], v[14:15]
	s_wait_dscnt 0x0
	v_add_f64_e32 v[14:15], v[12:13], v[56:57]
	ds_bpermute_b32 v12, v67, v2
	ds_bpermute_b32 v13, v67, v3
	;; [unrolled: 1-line block ×4, first 2 shown]
	s_and_saveexec_b32 s6, s3
	s_cbranch_execz .LBB371_28
; %bb.27:                               ;   in Loop: Header=BB371_16 Depth=2
	s_wait_dscnt 0x0
	v_add_f64_e32 v[14:15], v[14:15], v[56:57]
	v_add_f64_e32 v[12:13], v[2:3], v[12:13]
	ds_store_b128 v62, v[12:15]
.LBB371_28:                             ;   in Loop: Header=BB371_16 Depth=2
	s_or_b32 exec_lo, exec_lo, s6
	v_mov_b64_e32 v[14:15], 0
	s_wait_dscnt 0x2
	v_mov_b64_e32 v[12:13], 0
	s_wait_dscnt 0x0
	s_barrier_signal -1
	s_barrier_wait -1
	s_and_saveexec_b32 s6, s2
	s_cbranch_execnz .LBB371_52
; %bb.29:                               ;   in Loop: Header=BB371_16 Depth=2
	s_or_b32 exec_lo, exec_lo, s6
	s_and_saveexec_b32 s6, s1
	s_cbranch_execnz .LBB371_53
.LBB371_30:                             ;   in Loop: Header=BB371_16 Depth=2
	s_or_b32 exec_lo, exec_lo, s6
	s_and_saveexec_b32 s6, s1
.LBB371_31:                             ;   in Loop: Header=BB371_16 Depth=2
	v_dual_mov_b32 v1, v0 :: v_dual_mov_b32 v2, v0
	v_mov_b32_e32 v3, v0
	ds_store_b128 v61, v[0:3]
.LBB371_32:                             ;   in Loop: Header=BB371_16 Depth=2
	s_or_b32 exec_lo, exec_lo, s6
	ds_bpermute_b32 v2, v63, v16
	ds_bpermute_b32 v3, v63, v17
	;; [unrolled: 1-line block ×4, first 2 shown]
	s_wait_dscnt 0x0
	s_barrier_signal -1
	s_barrier_wait -1
	v_add_f64_e32 v[2:3], v[16:17], v[2:3]
	v_add_f64_e32 v[16:17], v[18:19], v[56:57]
	ds_bpermute_b32 v18, v64, v2
	ds_bpermute_b32 v19, v64, v3
	ds_bpermute_b32 v56, v64, v16
	ds_bpermute_b32 v57, v64, v17
	s_wait_dscnt 0x2
	v_add_f64_e32 v[2:3], v[2:3], v[18:19]
	s_wait_dscnt 0x0
	v_add_f64_e32 v[16:17], v[16:17], v[56:57]
	ds_bpermute_b32 v18, v65, v2
	ds_bpermute_b32 v19, v65, v3
	ds_bpermute_b32 v56, v65, v16
	ds_bpermute_b32 v57, v65, v17
	s_wait_dscnt 0x2
	v_add_f64_e32 v[2:3], v[2:3], v[18:19]
	s_wait_dscnt 0x0
	;; [unrolled: 8-line block ×3, first 2 shown]
	v_add_f64_e32 v[18:19], v[16:17], v[56:57]
	ds_bpermute_b32 v16, v67, v2
	ds_bpermute_b32 v17, v67, v3
	;; [unrolled: 1-line block ×4, first 2 shown]
	s_and_saveexec_b32 s6, s3
	s_cbranch_execz .LBB371_34
; %bb.33:                               ;   in Loop: Header=BB371_16 Depth=2
	s_wait_dscnt 0x0
	v_add_f64_e32 v[18:19], v[18:19], v[56:57]
	v_add_f64_e32 v[16:17], v[2:3], v[16:17]
	ds_store_b128 v62, v[16:19]
.LBB371_34:                             ;   in Loop: Header=BB371_16 Depth=2
	s_or_b32 exec_lo, exec_lo, s6
	v_mov_b64_e32 v[18:19], 0
	s_wait_dscnt 0x2
	v_mov_b64_e32 v[16:17], 0
	s_wait_dscnt 0x0
	s_barrier_signal -1
	s_barrier_wait -1
	s_and_saveexec_b32 s6, s2
	s_cbranch_execnz .LBB371_54
; %bb.35:                               ;   in Loop: Header=BB371_16 Depth=2
	s_or_b32 exec_lo, exec_lo, s6
	s_and_saveexec_b32 s6, s1
	s_cbranch_execnz .LBB371_55
.LBB371_36:                             ;   in Loop: Header=BB371_16 Depth=2
	s_or_b32 exec_lo, exec_lo, s6
	s_and_saveexec_b32 s6, s1
.LBB371_37:                             ;   in Loop: Header=BB371_16 Depth=2
	v_dual_mov_b32 v1, v0 :: v_dual_mov_b32 v2, v0
	v_mov_b32_e32 v3, v0
	ds_store_b128 v61, v[0:3]
.LBB371_38:                             ;   in Loop: Header=BB371_16 Depth=2
	s_or_b32 exec_lo, exec_lo, s6
	ds_bpermute_b32 v2, v63, v20
	ds_bpermute_b32 v3, v63, v21
	ds_bpermute_b32 v56, v63, v22
	ds_bpermute_b32 v57, v63, v23
	s_wait_dscnt 0x0
	s_barrier_signal -1
	s_barrier_wait -1
	v_add_f64_e32 v[2:3], v[20:21], v[2:3]
	v_add_f64_e32 v[20:21], v[22:23], v[56:57]
	ds_bpermute_b32 v22, v64, v2
	ds_bpermute_b32 v23, v64, v3
	ds_bpermute_b32 v56, v64, v20
	ds_bpermute_b32 v57, v64, v21
	s_wait_dscnt 0x2
	v_add_f64_e32 v[2:3], v[2:3], v[22:23]
	s_wait_dscnt 0x0
	v_add_f64_e32 v[20:21], v[20:21], v[56:57]
	ds_bpermute_b32 v22, v65, v2
	ds_bpermute_b32 v23, v65, v3
	ds_bpermute_b32 v56, v65, v20
	ds_bpermute_b32 v57, v65, v21
	s_wait_dscnt 0x2
	v_add_f64_e32 v[2:3], v[2:3], v[22:23]
	s_wait_dscnt 0x0
	;; [unrolled: 8-line block ×3, first 2 shown]
	v_add_f64_e32 v[22:23], v[20:21], v[56:57]
	ds_bpermute_b32 v20, v67, v2
	ds_bpermute_b32 v21, v67, v3
	;; [unrolled: 1-line block ×4, first 2 shown]
	s_and_saveexec_b32 s6, s3
	s_cbranch_execz .LBB371_40
; %bb.39:                               ;   in Loop: Header=BB371_16 Depth=2
	s_wait_dscnt 0x0
	v_add_f64_e32 v[22:23], v[22:23], v[56:57]
	v_add_f64_e32 v[20:21], v[2:3], v[20:21]
	ds_store_b128 v62, v[20:23]
.LBB371_40:                             ;   in Loop: Header=BB371_16 Depth=2
	s_or_b32 exec_lo, exec_lo, s6
	v_mov_b64_e32 v[22:23], 0
	s_wait_dscnt 0x2
	v_mov_b64_e32 v[20:21], 0
	s_wait_dscnt 0x0
	s_barrier_signal -1
	s_barrier_wait -1
	s_and_saveexec_b32 s6, s2
	s_cbranch_execnz .LBB371_56
; %bb.41:                               ;   in Loop: Header=BB371_16 Depth=2
	s_or_b32 exec_lo, exec_lo, s6
	s_and_saveexec_b32 s6, s1
	s_cbranch_execnz .LBB371_57
.LBB371_42:                             ;   in Loop: Header=BB371_16 Depth=2
	s_or_b32 exec_lo, exec_lo, s6
	s_and_saveexec_b32 s6, s0
	s_cbranch_execz .LBB371_15
	s_branch .LBB371_58
.LBB371_43:                             ;   in Loop: Header=BB371_16 Depth=2
	s_clause 0x1
	flat_load_b128 v[14:17], v[40:41]
	flat_load_b128 v[8:11], v[42:43]
	s_mul_u64 s[8:9], s[24:25], s[26:27]
	s_delay_alu instid0(SALU_CYCLE_1) | instskip(SKIP_2) | instid1(SALU_CYCLE_1)
	v_lshl_add_u64 v[12:13], s[8:9], 4, v[38:39]
	s_or_b32 s8, s24, 1
	s_mov_b32 s9, s25
	s_mul_u64 s[8:9], s[8:9], s[26:27]
	s_wait_loadcnt_dscnt 0x101
	scratch_store_b128 off, v[14:17], off
	s_wait_loadcnt_dscnt 0x0
	scratch_store_b128 off, v[8:11], s59
	flat_load_b128 v[8:11], v[44:45]
	s_wait_loadcnt_dscnt 0x0
	scratch_store_b128 off, v[8:11], s60
	flat_load_b128 v[8:11], v[46:47]
	;; [unrolled: 3-line block ×3, first 2 shown]
	s_wait_loadcnt_dscnt 0x0
	v_mul_f64_e32 v[2:3], v[16:17], v[10:11]
	v_mul_f64_e32 v[10:11], v[14:15], v[10:11]
	s_delay_alu instid0(VALU_DEP_2) | instskip(NEXT) | instid1(VALU_DEP_2)
	v_fmac_f64_e32 v[2:3], v[14:15], v[8:9]
	v_fma_f64 v[8:9], v[16:17], v[8:9], -v[10:11]
	v_lshl_add_u64 v[10:11], s[8:9], 4, v[38:39]
	s_or_b32 s8, s24, 2
	s_mov_b32 s9, s25
	s_delay_alu instid0(SALU_CYCLE_1)
	s_mul_u64 s[8:9], s[8:9], s[26:27]
	flat_load_b128 v[18:21], v[10:11]
	v_add_f64_e32 v[22:23], 0, v[2:3]
	v_add_f64_e32 v[56:57], 0, v[8:9]
	s_wait_loadcnt_dscnt 0x0
	v_mul_f64_e32 v[8:9], v[14:15], v[20:21]
	v_mul_f64_e32 v[2:3], v[16:17], v[20:21]
	s_delay_alu instid0(VALU_DEP_2) | instskip(NEXT) | instid1(VALU_DEP_2)
	v_fma_f64 v[8:9], v[16:17], v[18:19], -v[8:9]
	v_fmac_f64_e32 v[2:3], v[14:15], v[18:19]
	s_delay_alu instid0(VALU_DEP_2) | instskip(SKIP_1) | instid1(VALU_DEP_3)
	v_add_f64_e32 v[68:69], 0, v[8:9]
	v_lshl_add_u64 v[8:9], s[8:9], 4, v[38:39]
	v_add_f64_e32 v[58:59], 0, v[2:3]
	s_or_b32 s8, s24, 3
	s_mov_b32 s9, s25
	flat_load_b128 v[18:21], v[8:9]
	s_mul_u64 s[8:9], s[8:9], s[26:27]
	s_wait_loadcnt_dscnt 0x0
	v_mul_f64_e32 v[2:3], v[16:17], v[20:21]
	v_mul_f64_e32 v[20:21], v[14:15], v[20:21]
	s_delay_alu instid0(VALU_DEP_2) | instskip(NEXT) | instid1(VALU_DEP_2)
	v_fmac_f64_e32 v[2:3], v[14:15], v[18:19]
	v_fma_f64 v[18:19], v[16:17], v[18:19], -v[20:21]
	s_delay_alu instid0(VALU_DEP_2) | instskip(SKIP_1) | instid1(VALU_DEP_3)
	v_add_f64_e32 v[70:71], 0, v[2:3]
	v_lshl_add_u64 v[2:3], s[8:9], 4, v[38:39]
	v_add_f64_e32 v[72:73], 0, v[18:19]
	flat_load_b128 v[18:21], v[2:3]
	s_wait_loadcnt_dscnt 0x0
	v_mul_f64_e32 v[74:75], v[16:17], v[20:21]
	s_delay_alu instid0(VALU_DEP_1) | instskip(SKIP_1) | instid1(VALU_DEP_2)
	v_fmac_f64_e32 v[74:75], v[14:15], v[18:19]
	v_mul_f64_e32 v[14:15], v[14:15], v[20:21]
	v_add_f64_e32 v[74:75], 0, v[74:75]
	s_delay_alu instid0(VALU_DEP_2) | instskip(NEXT) | instid1(VALU_DEP_1)
	v_fma_f64 v[14:15], v[16:17], v[18:19], -v[14:15]
	v_add_f64_e32 v[76:77], 0, v[14:15]
	scratch_load_b128 v[14:17], off, off offset:16
	flat_load_b128 v[18:21], v[12:13] offset:16
	s_wait_loadcnt_dscnt 0x0
	v_mul_f64_e32 v[78:79], v[16:17], v[20:21]
	v_mul_f64_e32 v[20:21], v[14:15], v[20:21]
	s_delay_alu instid0(VALU_DEP_2) | instskip(NEXT) | instid1(VALU_DEP_2)
	v_fmac_f64_e32 v[78:79], v[14:15], v[18:19]
	v_fma_f64 v[18:19], v[16:17], v[18:19], -v[20:21]
	s_delay_alu instid0(VALU_DEP_2) | instskip(NEXT) | instid1(VALU_DEP_2)
	v_add_f64_e32 v[22:23], v[22:23], v[78:79]
	v_add_f64_e32 v[56:57], v[56:57], v[18:19]
	flat_load_b128 v[18:21], v[10:11] offset:16
	s_wait_loadcnt_dscnt 0x0
	v_mul_f64_e32 v[78:79], v[16:17], v[20:21]
	v_mul_f64_e32 v[20:21], v[14:15], v[20:21]
	s_delay_alu instid0(VALU_DEP_2) | instskip(NEXT) | instid1(VALU_DEP_2)
	v_fmac_f64_e32 v[78:79], v[14:15], v[18:19]
	v_fma_f64 v[18:19], v[16:17], v[18:19], -v[20:21]
	s_delay_alu instid0(VALU_DEP_2) | instskip(NEXT) | instid1(VALU_DEP_2)
	v_add_f64_e32 v[58:59], v[58:59], v[78:79]
	v_add_f64_e32 v[68:69], v[68:69], v[18:19]
	;; [unrolled: 10-line block ×3, first 2 shown]
	flat_load_b128 v[18:21], v[2:3] offset:16
	s_wait_loadcnt_dscnt 0x0
	v_mul_f64_e32 v[78:79], v[16:17], v[20:21]
	s_delay_alu instid0(VALU_DEP_1) | instskip(SKIP_1) | instid1(VALU_DEP_2)
	v_fmac_f64_e32 v[78:79], v[14:15], v[18:19]
	v_mul_f64_e32 v[14:15], v[14:15], v[20:21]
	v_add_f64_e32 v[74:75], v[74:75], v[78:79]
	s_delay_alu instid0(VALU_DEP_2) | instskip(NEXT) | instid1(VALU_DEP_1)
	v_fma_f64 v[14:15], v[16:17], v[18:19], -v[14:15]
	v_add_f64_e32 v[76:77], v[76:77], v[14:15]
	scratch_load_b128 v[14:17], off, off offset:32
	flat_load_b128 v[18:21], v[12:13] offset:32
	s_wait_loadcnt_dscnt 0x0
	v_mul_f64_e32 v[78:79], v[16:17], v[20:21]
	v_mul_f64_e32 v[20:21], v[14:15], v[20:21]
	s_delay_alu instid0(VALU_DEP_2) | instskip(NEXT) | instid1(VALU_DEP_2)
	v_fmac_f64_e32 v[78:79], v[14:15], v[18:19]
	v_fma_f64 v[18:19], v[16:17], v[18:19], -v[20:21]
	s_delay_alu instid0(VALU_DEP_2) | instskip(NEXT) | instid1(VALU_DEP_2)
	v_add_f64_e32 v[78:79], v[22:23], v[78:79]
	v_add_f64_e32 v[56:57], v[56:57], v[18:19]
	flat_load_b128 v[18:21], v[10:11] offset:32
	s_wait_loadcnt_dscnt 0x0
	v_mul_f64_e32 v[22:23], v[16:17], v[20:21]
	v_mul_f64_e32 v[20:21], v[14:15], v[20:21]
	s_delay_alu instid0(VALU_DEP_2) | instskip(NEXT) | instid1(VALU_DEP_2)
	v_fmac_f64_e32 v[22:23], v[14:15], v[18:19]
	v_fma_f64 v[18:19], v[16:17], v[18:19], -v[20:21]
	s_delay_alu instid0(VALU_DEP_2) | instskip(NEXT) | instid1(VALU_DEP_2)
	v_add_f64_e32 v[80:81], v[58:59], v[22:23]
	v_add_f64_e32 v[68:69], v[68:69], v[18:19]
	;; [unrolled: 10-line block ×3, first 2 shown]
	flat_load_b128 v[18:21], v[2:3] offset:32
	s_wait_loadcnt_dscnt 0x0
	v_mul_f64_e32 v[22:23], v[16:17], v[20:21]
	s_delay_alu instid0(VALU_DEP_1) | instskip(SKIP_1) | instid1(VALU_DEP_2)
	v_fmac_f64_e32 v[22:23], v[14:15], v[18:19]
	v_mul_f64_e32 v[14:15], v[14:15], v[20:21]
	v_add_f64_e32 v[74:75], v[74:75], v[22:23]
	s_delay_alu instid0(VALU_DEP_2) | instskip(NEXT) | instid1(VALU_DEP_1)
	v_fma_f64 v[14:15], v[16:17], v[18:19], -v[14:15]
	v_add_f64_e32 v[76:77], v[76:77], v[14:15]
	scratch_load_b128 v[20:23], off, off offset:48
	flat_load_b128 v[12:15], v[12:13] offset:48
	s_wait_loadcnt_dscnt 0x0
	v_mul_f64_e32 v[16:17], v[22:23], v[14:15]
	v_mul_f64_e32 v[14:15], v[20:21], v[14:15]
	s_delay_alu instid0(VALU_DEP_2) | instskip(SKIP_1) | instid1(VALU_DEP_2)
	v_fmac_f64_e32 v[16:17], v[20:21], v[12:13]
	s_wait_xcnt 0x0
	v_fma_f64 v[12:13], v[22:23], v[12:13], -v[14:15]
	s_delay_alu instid0(VALU_DEP_2) | instskip(NEXT) | instid1(VALU_DEP_2)
	v_add_f64_e32 v[58:59], v[78:79], v[16:17]
	v_add_f64_e32 v[56:57], v[56:57], v[12:13]
	flat_load_b128 v[10:13], v[10:11] offset:48
	s_wait_loadcnt_dscnt 0x0
	v_mul_f64_e32 v[14:15], v[22:23], v[12:13]
	v_mul_f64_e32 v[12:13], v[20:21], v[12:13]
	s_delay_alu instid0(VALU_DEP_2) | instskip(SKIP_1) | instid1(VALU_DEP_2)
	v_fmac_f64_e32 v[14:15], v[20:21], v[10:11]
	s_wait_xcnt 0x0
	v_fma_f64 v[10:11], v[22:23], v[10:11], -v[12:13]
	s_delay_alu instid0(VALU_DEP_2) | instskip(NEXT) | instid1(VALU_DEP_2)
	v_add_f64_e32 v[12:13], v[80:81], v[14:15]
	v_add_f64_e32 v[14:15], v[68:69], v[10:11]
	;; [unrolled: 11-line block ×3, first 2 shown]
	flat_load_b128 v[8:11], v[2:3] offset:48
	s_wait_loadcnt_dscnt 0x0
	s_wait_xcnt 0x0
	v_mul_f64_e32 v[2:3], v[22:23], v[10:11]
	v_mul_f64_e32 v[10:11], v[20:21], v[10:11]
	s_delay_alu instid0(VALU_DEP_2) | instskip(NEXT) | instid1(VALU_DEP_2)
	v_fmac_f64_e32 v[2:3], v[20:21], v[8:9]
	v_fma_f64 v[8:9], v[22:23], v[8:9], -v[10:11]
	s_delay_alu instid0(VALU_DEP_2) | instskip(NEXT) | instid1(VALU_DEP_2)
	v_add_f64_e32 v[20:21], v[74:75], v[2:3]
	v_add_f64_e32 v[22:23], v[76:77], v[8:9]
	s_and_not1_saveexec_b32 s6, s6
	s_cbranch_execz .LBB371_18
.LBB371_44:                             ;   in Loop: Header=BB371_16 Depth=2
	s_wait_dscnt 0x0
	v_mov_b64_e32 v[20:21], 0
	v_mov_b64_e32 v[22:23], 0
	;; [unrolled: 1-line block ×8, first 2 shown]
	s_and_saveexec_b32 s7, s4
	s_cbranch_execz .LBB371_60
; %bb.45:                               ;   in Loop: Header=BB371_16 Depth=2
	s_and_not1_b32 vcc_lo, exec_lo, s58
	s_cbranch_vccnz .LBB371_59
; %bb.46:                               ;   in Loop: Header=BB371_16 Depth=2
	v_mov_b64_e32 v[2:3], v[52:53]
	s_mov_b32 s8, 0
	s_mov_b32 s9, s56
.LBB371_47:                             ;   Parent Loop BB371_3 Depth=1
                                        ;     Parent Loop BB371_16 Depth=2
                                        ; =>    This Inner Loop Header: Depth=3
	flat_load_b128 v[8:11], v[2:3]
	s_wait_xcnt 0x0
	v_add_nc_u64_e32 v[2:3], s[44:45], v[2:3]
	s_add_co_i32 s9, s9, -1
	s_wait_loadcnt_dscnt 0x0
	scratch_store_b128 off, v[8:11], s8
	s_wait_xcnt 0x0
	s_add_co_i32 s8, s8, 16
	s_cmp_eq_u32 s9, 0
	s_cbranch_scc0 .LBB371_47
; %bb.48:                               ;   in Loop: Header=BB371_16 Depth=2
	v_mov_b64_e32 v[56:57], 0
	v_mov_b64_e32 v[58:59], 0
	;; [unrolled: 1-line block ×9, first 2 shown]
	s_mov_b32 s8, s62
	s_mov_b32 s9, s56
.LBB371_49:                             ;   Parent Loop BB371_3 Depth=1
                                        ;     Parent Loop BB371_16 Depth=2
                                        ; =>    This Inner Loop Header: Depth=3
	s_delay_alu instid0(VALU_DEP_1)
	v_add_nc_u64_e32 v[72:73], s[50:51], v[2:3]
	scratch_load_b128 v[8:11], off, s8 offset:-8
	s_add_co_i32 s9, s9, -1
	s_wait_xcnt 0x0
	s_add_co_i32 s8, s8, 16
	s_cmp_lg_u32 s9, 0
	v_add_nc_u64_e32 v[76:77], s[50:51], v[72:73]
	s_delay_alu instid0(VALU_DEP_1)
	v_add_nc_u64_e32 v[80:81], s[50:51], v[76:77]
	s_clause 0x3
	flat_load_b128 v[68:71], v[2:3]
	flat_load_b128 v[72:75], v[72:73]
	;; [unrolled: 1-line block ×4, first 2 shown]
	s_wait_xcnt 0x3
	v_add_nc_u64_e32 v[2:3], 16, v[2:3]
	s_wait_loadcnt_dscnt 0x303
	v_mul_f64_e32 v[84:85], v[10:11], v[70:71]
	v_mul_f64_e32 v[70:71], v[8:9], v[70:71]
	s_wait_loadcnt_dscnt 0x202
	v_mul_f64_e32 v[86:87], v[10:11], v[74:75]
	v_mul_f64_e32 v[74:75], v[8:9], v[74:75]
	;; [unrolled: 3-line block ×4, first 2 shown]
	v_fmac_f64_e32 v[84:85], v[8:9], v[68:69]
	v_fma_f64 v[68:69], v[10:11], v[68:69], -v[70:71]
	v_fmac_f64_e32 v[86:87], v[8:9], v[72:73]
	v_fma_f64 v[70:71], v[10:11], v[72:73], -v[74:75]
	v_fmac_f64_e32 v[88:89], v[8:9], v[76:77]
	s_wait_xcnt 0x2
	v_fma_f64 v[72:73], v[10:11], v[76:77], -v[78:79]
	v_fmac_f64_e32 v[90:91], v[8:9], v[80:81]
	v_fma_f64 v[8:9], v[10:11], v[80:81], -v[82:83]
	v_add_f64_e32 v[58:59], v[58:59], v[84:85]
	v_add_f64_e32 v[56:57], v[56:57], v[68:69]
	;; [unrolled: 1-line block ×8, first 2 shown]
	s_cbranch_scc1 .LBB371_49
	s_branch .LBB371_60
.LBB371_50:                             ;   in Loop: Header=BB371_16 Depth=2
	ds_load_b128 v[8:11], v61
	s_or_b32 exec_lo, exec_lo, s6
	s_and_saveexec_b32 s6, s1
	s_cbranch_execz .LBB371_24
.LBB371_51:                             ;   in Loop: Header=BB371_16 Depth=2
	s_wait_dscnt 0x0
	ds_bpermute_b32 v2, v65, v8
	ds_bpermute_b32 v3, v65, v9
	ds_bpermute_b32 v56, v65, v10
	ds_bpermute_b32 v57, v65, v11
	s_wait_dscnt 0x2
	v_add_f64_e32 v[2:3], v[8:9], v[2:3]
	s_wait_dscnt 0x0
	v_add_f64_e32 v[8:9], v[10:11], v[56:57]
	ds_bpermute_b32 v10, v66, v2
	ds_bpermute_b32 v11, v66, v3
	ds_bpermute_b32 v56, v66, v8
	ds_bpermute_b32 v57, v66, v9
	s_wait_dscnt 0x2
	v_add_f64_e32 v[2:3], v[2:3], v[10:11]
	s_wait_dscnt 0x0
	v_add_f64_e32 v[10:11], v[8:9], v[56:57]
	;; [unrolled: 8-line block ×3, first 2 shown]
	s_or_b32 exec_lo, exec_lo, s6
	s_and_saveexec_b32 s6, s1
	s_cbranch_execnz .LBB371_25
	s_branch .LBB371_26
.LBB371_52:                             ;   in Loop: Header=BB371_16 Depth=2
	ds_load_b128 v[12:15], v61
	s_or_b32 exec_lo, exec_lo, s6
	s_and_saveexec_b32 s6, s1
	s_cbranch_execz .LBB371_30
.LBB371_53:                             ;   in Loop: Header=BB371_16 Depth=2
	s_wait_dscnt 0x0
	ds_bpermute_b32 v2, v65, v12
	ds_bpermute_b32 v3, v65, v13
	ds_bpermute_b32 v56, v65, v14
	ds_bpermute_b32 v57, v65, v15
	s_wait_dscnt 0x2
	v_add_f64_e32 v[2:3], v[12:13], v[2:3]
	s_wait_dscnt 0x0
	v_add_f64_e32 v[12:13], v[14:15], v[56:57]
	ds_bpermute_b32 v14, v66, v2
	ds_bpermute_b32 v15, v66, v3
	ds_bpermute_b32 v56, v66, v12
	ds_bpermute_b32 v57, v66, v13
	s_wait_dscnt 0x2
	v_add_f64_e32 v[2:3], v[2:3], v[14:15]
	s_wait_dscnt 0x0
	v_add_f64_e32 v[14:15], v[12:13], v[56:57]
	;; [unrolled: 8-line block ×3, first 2 shown]
	s_or_b32 exec_lo, exec_lo, s6
	s_and_saveexec_b32 s6, s1
	s_cbranch_execnz .LBB371_31
	s_branch .LBB371_32
.LBB371_54:                             ;   in Loop: Header=BB371_16 Depth=2
	ds_load_b128 v[16:19], v61
	s_or_b32 exec_lo, exec_lo, s6
	s_and_saveexec_b32 s6, s1
	s_cbranch_execz .LBB371_36
.LBB371_55:                             ;   in Loop: Header=BB371_16 Depth=2
	s_wait_dscnt 0x0
	ds_bpermute_b32 v2, v65, v16
	ds_bpermute_b32 v3, v65, v17
	ds_bpermute_b32 v56, v65, v18
	ds_bpermute_b32 v57, v65, v19
	s_wait_dscnt 0x2
	v_add_f64_e32 v[2:3], v[16:17], v[2:3]
	s_wait_dscnt 0x0
	v_add_f64_e32 v[16:17], v[18:19], v[56:57]
	ds_bpermute_b32 v18, v66, v2
	ds_bpermute_b32 v19, v66, v3
	ds_bpermute_b32 v56, v66, v16
	ds_bpermute_b32 v57, v66, v17
	s_wait_dscnt 0x2
	v_add_f64_e32 v[2:3], v[2:3], v[18:19]
	s_wait_dscnt 0x0
	v_add_f64_e32 v[18:19], v[16:17], v[56:57]
	;; [unrolled: 8-line block ×3, first 2 shown]
	s_or_b32 exec_lo, exec_lo, s6
	s_and_saveexec_b32 s6, s1
	s_cbranch_execnz .LBB371_37
	s_branch .LBB371_38
.LBB371_56:                             ;   in Loop: Header=BB371_16 Depth=2
	ds_load_b128 v[20:23], v61
	s_or_b32 exec_lo, exec_lo, s6
	s_and_saveexec_b32 s6, s1
	s_cbranch_execz .LBB371_42
.LBB371_57:                             ;   in Loop: Header=BB371_16 Depth=2
	s_wait_dscnt 0x0
	ds_bpermute_b32 v2, v65, v20
	ds_bpermute_b32 v3, v65, v21
	ds_bpermute_b32 v56, v65, v22
	ds_bpermute_b32 v57, v65, v23
	s_wait_dscnt 0x2
	v_add_f64_e32 v[2:3], v[20:21], v[2:3]
	s_wait_dscnt 0x0
	v_add_f64_e32 v[20:21], v[22:23], v[56:57]
	ds_bpermute_b32 v22, v66, v2
	ds_bpermute_b32 v23, v66, v3
	ds_bpermute_b32 v56, v66, v20
	ds_bpermute_b32 v57, v66, v21
	s_wait_dscnt 0x2
	v_add_f64_e32 v[2:3], v[2:3], v[22:23]
	s_wait_dscnt 0x0
	v_add_f64_e32 v[22:23], v[20:21], v[56:57]
	;; [unrolled: 8-line block ×3, first 2 shown]
	s_or_b32 exec_lo, exec_lo, s6
	s_and_saveexec_b32 s6, s0
	s_cbranch_execz .LBB371_15
.LBB371_58:                             ;   in Loop: Header=BB371_16 Depth=2
	v_mul_f64_e32 v[2:3], v[6:7], v[10:11]
	v_mul_f64_e32 v[58:59], v[4:5], v[10:11]
	;; [unrolled: 1-line block ×6, first 2 shown]
	s_wait_dscnt 0x0
	v_mul_f64_e32 v[72:73], v[6:7], v[22:23]
	v_mul_f64_e32 v[18:19], v[4:5], v[22:23]
	s_or_b32 s64, s24, 1
	s_mov_b32 s65, s25
	s_mul_u64 s[8:9], s[24:25], s[34:35]
	s_or_b32 s66, s24, 2
	s_mov_b32 s67, s25
	s_or_b32 s68, s24, 3
	s_mov_b32 s69, s25
	s_mul_u64 s[64:65], s[64:65], s[34:35]
	s_lshl_b64 s[8:9], s[8:9], 4
	s_mul_u64 s[66:67], s[66:67], s[34:35]
	s_mul_u64 s[68:69], s[68:69], s[34:35]
	s_lshl_b64 s[64:65], s[64:65], 4
	s_add_nc_u64 s[8:9], s[52:53], s[8:9]
	s_lshl_b64 s[66:67], s[66:67], 4
	s_lshl_b64 s[68:69], s[68:69], 4
	s_add_nc_u64 s[64:65], s[52:53], s[64:65]
	s_add_nc_u64 s[66:67], s[52:53], s[66:67]
	s_add_nc_u64 s[68:69], s[52:53], s[68:69]
	v_fma_f64 v[56:57], v[4:5], v[8:9], -v[2:3]
	v_fmac_f64_e32 v[58:59], v[6:7], v[8:9]
	v_fma_f64 v[8:9], v[4:5], v[12:13], -v[68:69]
	v_fmac_f64_e32 v[10:11], v[6:7], v[12:13]
	;; [unrolled: 2-line block ×4, first 2 shown]
	s_clause 0x3
	global_store_b128 v0, v[56:59], s[8:9]
	global_store_b128 v0, v[8:11], s[64:65]
	;; [unrolled: 1-line block ×4, first 2 shown]
	s_branch .LBB371_15
.LBB371_59:                             ;   in Loop: Header=BB371_16 Depth=2
	v_mov_b64_e32 v[20:21], 0
	v_mov_b64_e32 v[22:23], 0
	;; [unrolled: 1-line block ×8, first 2 shown]
.LBB371_60:                             ;   in Loop: Header=BB371_16 Depth=2
	s_wait_xcnt 0x0
	s_or_b32 exec_lo, exec_lo, s7
	s_delay_alu instid0(SALU_CYCLE_1)
	s_or_b32 exec_lo, exec_lo, s6
	s_and_saveexec_b32 s6, s1
	s_cbranch_execnz .LBB371_19
	s_branch .LBB371_20
.LBB371_61:                             ;   in Loop: Header=BB371_3 Depth=1
	s_mov_b32 s24, 0
.LBB371_62:                             ;   in Loop: Header=BB371_3 Depth=1
	s_delay_alu instid0(SALU_CYCLE_1)
	s_cmp_ge_i32 s24, s29
	s_cbranch_scc1 .LBB371_2
; %bb.63:                               ;   in Loop: Header=BB371_3 Depth=1
	v_cmp_gt_u32_e32 vcc_lo, 24, v60
	v_add_nc_u64_e32 v[2:3], v[50:51], v[34:35]
	v_cndmask_b32_e64 v1, 0, 8, vcc_lo
	v_cmp_gt_u32_e32 vcc_lo, 28, v60
	s_delay_alu instid0(VALU_DEP_3) | instskip(NEXT) | instid1(VALU_DEP_3)
	v_mad_nc_u64_u32 v[12:13], s50, s24, v[2:3]
	v_add_lshl_u32 v16, v1, v60, 2
	v_cndmask_b32_e64 v2, 0, 4, vcc_lo
	v_cmp_gt_u32_e32 vcc_lo, 30, v60
	s_delay_alu instid0(VALU_DEP_2) | instskip(SKIP_3) | instid1(VALU_DEP_3)
	v_add_lshl_u32 v17, v2, v60, 2
	v_cndmask_b32_e64 v3, 0, 2, vcc_lo
	v_cmp_ne_u32_e32 vcc_lo, 31, v60
	v_mad_u32 v13, s51, s24, v13
	v_add_lshl_u32 v18, v3, v60, 2
	v_add_co_ci_u32_e64 v8, null, 0, v60, vcc_lo
	s_delay_alu instid0(VALU_DEP_1)
	v_lshlrev_b32_e32 v19, 2, v8
	s_branch .LBB371_65
.LBB371_64:                             ;   in Loop: Header=BB371_65 Depth=2
	s_wait_xcnt 0x0
	s_or_b32 exec_lo, exec_lo, s6
	v_add_nc_u64_e32 v[12:13], s[50:51], v[12:13]
	s_add_co_i32 s24, s24, 1
	s_delay_alu instid0(SALU_CYCLE_1)
	s_cmp_lt_i32 s24, s29
	s_cbranch_scc0 .LBB371_2
.LBB371_65:                             ;   Parent Loop BB371_3 Depth=1
                                        ; =>  This Loop Header: Depth=2
                                        ;       Child Loop BB371_77 Depth 3
                                        ;       Child Loop BB371_79 Depth 3
                                        ; implicit-def: $vgpr8_vgpr9
                                        ; implicit-def: $vgpr10_vgpr11
	s_and_saveexec_b32 s6, s5
	s_delay_alu instid0(SALU_CYCLE_1)
	s_xor_b32 s6, exec_lo, s6
	s_cbranch_execnz .LBB371_74
; %bb.66:                               ;   in Loop: Header=BB371_65 Depth=2
	s_and_not1_saveexec_b32 s6, s6
	s_cbranch_execnz .LBB371_75
.LBB371_67:                             ;   in Loop: Header=BB371_65 Depth=2
	s_or_b32 exec_lo, exec_lo, s6
	s_and_saveexec_b32 s6, s1
.LBB371_68:                             ;   in Loop: Header=BB371_65 Depth=2
	v_dual_mov_b32 v1, v0 :: v_dual_mov_b32 v2, v0
	v_mov_b32_e32 v3, v0
	ds_store_b128 v61, v[0:3]
.LBB371_69:                             ;   in Loop: Header=BB371_65 Depth=2
	s_or_b32 exec_lo, exec_lo, s6
	s_wait_dscnt 0x0
	ds_bpermute_b32 v2, v63, v8
	ds_bpermute_b32 v3, v63, v9
	;; [unrolled: 1-line block ×4, first 2 shown]
	s_wait_storecnt_dscnt 0x0
	s_barrier_signal -1
	s_barrier_wait -1
	v_add_f64_e32 v[2:3], v[8:9], v[2:3]
	v_add_f64_e32 v[8:9], v[10:11], v[14:15]
	ds_bpermute_b32 v10, v16, v2
	ds_bpermute_b32 v11, v16, v3
	ds_bpermute_b32 v14, v16, v8
	ds_bpermute_b32 v15, v16, v9
	s_wait_dscnt 0x2
	v_add_f64_e32 v[2:3], v[2:3], v[10:11]
	s_wait_dscnt 0x0
	v_add_f64_e32 v[8:9], v[8:9], v[14:15]
	ds_bpermute_b32 v10, v17, v2
	ds_bpermute_b32 v11, v17, v3
	ds_bpermute_b32 v14, v17, v8
	ds_bpermute_b32 v15, v17, v9
	s_wait_dscnt 0x2
	v_add_f64_e32 v[2:3], v[2:3], v[10:11]
	s_wait_dscnt 0x0
	;; [unrolled: 8-line block ×3, first 2 shown]
	v_add_f64_e32 v[10:11], v[8:9], v[14:15]
	ds_bpermute_b32 v8, v19, v2
	ds_bpermute_b32 v9, v19, v3
	ds_bpermute_b32 v14, v19, v10
	ds_bpermute_b32 v15, v19, v11
	s_and_saveexec_b32 s6, s3
	s_cbranch_execz .LBB371_71
; %bb.70:                               ;   in Loop: Header=BB371_65 Depth=2
	s_wait_dscnt 0x0
	v_add_f64_e32 v[10:11], v[10:11], v[14:15]
	v_add_f64_e32 v[8:9], v[2:3], v[8:9]
	ds_store_b128 v62, v[8:11]
.LBB371_71:                             ;   in Loop: Header=BB371_65 Depth=2
	s_or_b32 exec_lo, exec_lo, s6
	v_mov_b64_e32 v[10:11], 0
	s_wait_dscnt 0x2
	v_mov_b64_e32 v[8:9], 0
	s_wait_dscnt 0x0
	s_barrier_signal -1
	s_barrier_wait -1
	s_and_saveexec_b32 s6, s2
	s_cbranch_execnz .LBB371_81
; %bb.72:                               ;   in Loop: Header=BB371_65 Depth=2
	s_or_b32 exec_lo, exec_lo, s6
	s_and_saveexec_b32 s6, s1
	s_cbranch_execnz .LBB371_82
.LBB371_73:                             ;   in Loop: Header=BB371_65 Depth=2
	s_or_b32 exec_lo, exec_lo, s6
	s_and_saveexec_b32 s6, s0
	s_cbranch_execz .LBB371_64
	s_branch .LBB371_83
.LBB371_74:                             ;   in Loop: Header=BB371_65 Depth=2
	s_wait_dscnt 0x0
	flat_load_b128 v[8:11], v[42:43]
	s_wait_dscnt 0x1
	s_clause 0x1
	flat_load_b128 v[20:23], v[44:45]
	flat_load_b128 v[50:53], v[46:47]
	s_mul_u64 s[8:9], s[24:25], s[26:27]
	s_delay_alu instid0(SALU_CYCLE_1)
	v_lshl_add_u64 v[2:3], s[8:9], 4, v[38:39]
	flat_load_b128 v[54:57], v[40:41]
	s_clause 0x1
	flat_load_b128 v[64:67], v[2:3]
	flat_load_b128 v[68:71], v[2:3] offset:16
	s_wait_loadcnt_dscnt 0x505
	scratch_store_b128 off, v[8:11], s59
	s_wait_loadcnt_dscnt 0x404
	scratch_store_b128 off, v[20:23], s60
	s_clause 0x1
	scratch_load_b128 v[8:11], off, off offset:16
	scratch_load_b128 v[20:23], off, off offset:32
	s_clause 0x1
	flat_load_b128 v[72:75], v[2:3] offset:32
	flat_load_b128 v[76:79], v[2:3] offset:48
	s_wait_loadcnt_dscnt 0x705
	scratch_store_b128 off, v[50:53], s61
	scratch_load_b128 v[50:53], off, off offset:48
	s_wait_loadcnt_dscnt 0x704
	scratch_store_b128 off, v[54:57], off
	s_wait_loadcnt_dscnt 0x603
	v_mul_f64_e32 v[2:3], v[66:67], v[56:57]
	v_mul_f64_e32 v[14:15], v[66:67], v[54:55]
	s_delay_alu instid0(VALU_DEP_2) | instskip(NEXT) | instid1(VALU_DEP_2)
	v_fmac_f64_e32 v[2:3], v[64:65], v[54:55]
	v_fma_f64 v[14:15], v[64:65], v[56:57], -v[14:15]
	s_delay_alu instid0(VALU_DEP_2) | instskip(NEXT) | instid1(VALU_DEP_2)
	v_add_f64_e32 v[2:3], 0, v[2:3]
	v_add_f64_e32 v[14:15], 0, v[14:15]
	s_wait_loadcnt_dscnt 0x402
	v_mul_f64_e32 v[58:59], v[70:71], v[10:11]
	v_mul_f64_e32 v[64:65], v[70:71], v[8:9]
	s_wait_loadcnt_dscnt 0x201
	v_mul_f64_e32 v[66:67], v[74:75], v[22:23]
	v_mul_f64_e32 v[70:71], v[74:75], v[20:21]
	s_delay_alu instid0(VALU_DEP_4) | instskip(NEXT) | instid1(VALU_DEP_4)
	v_fmac_f64_e32 v[58:59], v[68:69], v[8:9]
	v_fma_f64 v[8:9], v[68:69], v[10:11], -v[64:65]
	s_wait_loadcnt_dscnt 0x0
	v_mul_f64_e32 v[10:11], v[78:79], v[52:53]
	v_mul_f64_e32 v[64:65], v[78:79], v[50:51]
	v_fmac_f64_e32 v[66:67], v[72:73], v[20:21]
	v_fma_f64 v[20:21], v[72:73], v[22:23], -v[70:71]
	v_add_f64_e32 v[2:3], v[2:3], v[58:59]
	v_add_f64_e32 v[8:9], v[14:15], v[8:9]
	v_fmac_f64_e32 v[10:11], v[76:77], v[50:51]
	v_fma_f64 v[14:15], v[76:77], v[52:53], -v[64:65]
	s_delay_alu instid0(VALU_DEP_4) | instskip(NEXT) | instid1(VALU_DEP_4)
	v_add_f64_e32 v[2:3], v[2:3], v[66:67]
	v_add_f64_e32 v[20:21], v[8:9], v[20:21]
	s_delay_alu instid0(VALU_DEP_2) | instskip(NEXT) | instid1(VALU_DEP_2)
	v_add_f64_e32 v[8:9], v[2:3], v[10:11]
	v_add_f64_e32 v[10:11], v[20:21], v[14:15]
	s_wait_xcnt 0x0
	s_and_not1_saveexec_b32 s6, s6
	s_cbranch_execz .LBB371_67
.LBB371_75:                             ;   in Loop: Header=BB371_65 Depth=2
	s_wait_dscnt 0x0
	v_mov_b64_e32 v[8:9], 0
	v_mov_b64_e32 v[10:11], 0
	s_and_saveexec_b32 s7, s28
	s_cbranch_execz .LBB371_80
; %bb.76:                               ;   in Loop: Header=BB371_65 Depth=2
	v_mov_b64_e32 v[2:3], v[48:49]
	s_mov_b32 s8, 0
	s_mov_b32 s9, s56
.LBB371_77:                             ;   Parent Loop BB371_3 Depth=1
                                        ;     Parent Loop BB371_65 Depth=2
                                        ; =>    This Inner Loop Header: Depth=3
	flat_load_b128 v[8:11], v[2:3]
	s_wait_xcnt 0x0
	v_add_nc_u64_e32 v[2:3], s[44:45], v[2:3]
	s_add_co_i32 s9, s9, -1
	s_wait_loadcnt_dscnt 0x0
	scratch_store_b128 off, v[8:11], s8
	s_wait_xcnt 0x0
	s_add_co_i32 s8, s8, 16
	s_cmp_eq_u32 s9, 0
	s_cbranch_scc0 .LBB371_77
; %bb.78:                               ;   in Loop: Header=BB371_65 Depth=2
	v_mov_b64_e32 v[8:9], 0
	v_mov_b64_e32 v[10:11], 0
	;; [unrolled: 1-line block ×3, first 2 shown]
	s_mov_b32 s8, s62
	s_mov_b32 s9, s56
.LBB371_79:                             ;   Parent Loop BB371_3 Depth=1
                                        ;     Parent Loop BB371_65 Depth=2
                                        ; =>    This Inner Loop Header: Depth=3
	flat_load_b128 v[20:23], v[2:3] offset:-8
	scratch_load_b128 v[50:53], off, s8 offset:-8
	s_wait_xcnt 0x1
	v_add_nc_u64_e32 v[2:3], 16, v[2:3]
	s_add_co_i32 s9, s9, -1
	s_wait_xcnt 0x0
	s_add_co_i32 s8, s8, 16
	s_cmp_lg_u32 s9, 0
	s_wait_loadcnt_dscnt 0x0
	v_mul_f64_e32 v[14:15], v[22:23], v[52:53]
	v_mul_f64_e32 v[22:23], v[22:23], v[50:51]
	s_delay_alu instid0(VALU_DEP_2) | instskip(NEXT) | instid1(VALU_DEP_2)
	v_fmac_f64_e32 v[14:15], v[20:21], v[50:51]
	v_fma_f64 v[20:21], v[20:21], v[52:53], -v[22:23]
	s_delay_alu instid0(VALU_DEP_2) | instskip(NEXT) | instid1(VALU_DEP_2)
	v_add_f64_e32 v[8:9], v[8:9], v[14:15]
	v_add_f64_e32 v[10:11], v[10:11], v[20:21]
	s_cbranch_scc1 .LBB371_79
.LBB371_80:                             ;   in Loop: Header=BB371_65 Depth=2
	s_or_b32 exec_lo, exec_lo, s7
	s_delay_alu instid0(SALU_CYCLE_1)
	s_or_b32 exec_lo, exec_lo, s6
	s_and_saveexec_b32 s6, s1
	s_cbranch_execnz .LBB371_68
	s_branch .LBB371_69
.LBB371_81:                             ;   in Loop: Header=BB371_65 Depth=2
	ds_load_b128 v[8:11], v61
	s_or_b32 exec_lo, exec_lo, s6
	s_and_saveexec_b32 s6, s1
	s_cbranch_execz .LBB371_73
.LBB371_82:                             ;   in Loop: Header=BB371_65 Depth=2
	s_wait_dscnt 0x0
	ds_bpermute_b32 v2, v17, v8
	ds_bpermute_b32 v3, v17, v9
	ds_bpermute_b32 v14, v17, v10
	ds_bpermute_b32 v15, v17, v11
	s_wait_dscnt 0x2
	v_add_f64_e32 v[2:3], v[8:9], v[2:3]
	s_wait_dscnt 0x0
	v_add_f64_e32 v[8:9], v[10:11], v[14:15]
	ds_bpermute_b32 v10, v18, v2
	ds_bpermute_b32 v11, v18, v3
	ds_bpermute_b32 v14, v18, v8
	ds_bpermute_b32 v15, v18, v9
	s_wait_dscnt 0x2
	v_add_f64_e32 v[2:3], v[2:3], v[10:11]
	s_wait_dscnt 0x0
	v_add_f64_e32 v[10:11], v[8:9], v[14:15]
	;; [unrolled: 8-line block ×3, first 2 shown]
	s_or_b32 exec_lo, exec_lo, s6
	s_and_saveexec_b32 s6, s0
	s_cbranch_execz .LBB371_64
.LBB371_83:                             ;   in Loop: Header=BB371_65 Depth=2
	s_wait_dscnt 0x0
	s_delay_alu instid0(VALU_DEP_1) | instskip(SKIP_2) | instid1(SALU_CYCLE_1)
	v_mul_f64_e32 v[2:3], v[6:7], v[10:11]
	v_mul_f64_e32 v[22:23], v[4:5], v[10:11]
	s_mul_u64 s[8:9], s[24:25], s[34:35]
	s_lshl_b64 s[8:9], s[8:9], 4
	s_delay_alu instid0(SALU_CYCLE_1) | instskip(NEXT) | instid1(VALU_DEP_2)
	s_add_nc_u64 s[8:9], s[52:53], s[8:9]
	v_fma_f64 v[20:21], v[4:5], v[8:9], -v[2:3]
	s_delay_alu instid0(VALU_DEP_2)
	v_fmac_f64_e32 v[22:23], v[6:7], v[8:9]
	global_store_b128 v0, v[20:23], s[8:9]
	s_branch .LBB371_64
.LBB371_84:
	s_sendmsg sendmsg(MSG_DEALLOC_VGPRS)
	s_endpgm
	.section	.rodata,"a",@progbits
	.p2align	6, 0x0
	.amdhsa_kernel _ZL23rocblas_gemvt_sn_kernelILb1ELi256ELi4ElPK19rocblas_complex_numIdES3_S1_EviiT4_lPKT3_lilS7_lilPT5_i
		.amdhsa_group_segment_fixed_size 512
		.amdhsa_private_segment_fixed_size 80
		.amdhsa_kernarg_size 360
		.amdhsa_user_sgpr_count 2
		.amdhsa_user_sgpr_dispatch_ptr 0
		.amdhsa_user_sgpr_queue_ptr 0
		.amdhsa_user_sgpr_kernarg_segment_ptr 1
		.amdhsa_user_sgpr_dispatch_id 0
		.amdhsa_user_sgpr_kernarg_preload_length 0
		.amdhsa_user_sgpr_kernarg_preload_offset 0
		.amdhsa_user_sgpr_private_segment_size 0
		.amdhsa_wavefront_size32 1
		.amdhsa_uses_dynamic_stack 0
		.amdhsa_enable_private_segment 1
		.amdhsa_system_sgpr_workgroup_id_x 1
		.amdhsa_system_sgpr_workgroup_id_y 0
		.amdhsa_system_sgpr_workgroup_id_z 1
		.amdhsa_system_sgpr_workgroup_info 0
		.amdhsa_system_vgpr_workitem_id 0
		.amdhsa_next_free_vgpr 92
		.amdhsa_next_free_sgpr 70
		.amdhsa_named_barrier_count 0
		.amdhsa_reserve_vcc 1
		.amdhsa_float_round_mode_32 0
		.amdhsa_float_round_mode_16_64 0
		.amdhsa_float_denorm_mode_32 3
		.amdhsa_float_denorm_mode_16_64 3
		.amdhsa_fp16_overflow 0
		.amdhsa_memory_ordered 1
		.amdhsa_forward_progress 1
		.amdhsa_inst_pref_size 50
		.amdhsa_round_robin_scheduling 0
		.amdhsa_exception_fp_ieee_invalid_op 0
		.amdhsa_exception_fp_denorm_src 0
		.amdhsa_exception_fp_ieee_div_zero 0
		.amdhsa_exception_fp_ieee_overflow 0
		.amdhsa_exception_fp_ieee_underflow 0
		.amdhsa_exception_fp_ieee_inexact 0
		.amdhsa_exception_int_div_zero 0
	.end_amdhsa_kernel
	.section	.text._ZL23rocblas_gemvt_sn_kernelILb1ELi256ELi4ElPK19rocblas_complex_numIdES3_S1_EviiT4_lPKT3_lilS7_lilPT5_i,"axG",@progbits,_ZL23rocblas_gemvt_sn_kernelILb1ELi256ELi4ElPK19rocblas_complex_numIdES3_S1_EviiT4_lPKT3_lilS7_lilPT5_i,comdat
.Lfunc_end371:
	.size	_ZL23rocblas_gemvt_sn_kernelILb1ELi256ELi4ElPK19rocblas_complex_numIdES3_S1_EviiT4_lPKT3_lilS7_lilPT5_i, .Lfunc_end371-_ZL23rocblas_gemvt_sn_kernelILb1ELi256ELi4ElPK19rocblas_complex_numIdES3_S1_EviiT4_lPKT3_lilS7_lilPT5_i
                                        ; -- End function
	.set _ZL23rocblas_gemvt_sn_kernelILb1ELi256ELi4ElPK19rocblas_complex_numIdES3_S1_EviiT4_lPKT3_lilS7_lilPT5_i.num_vgpr, 92
	.set _ZL23rocblas_gemvt_sn_kernelILb1ELi256ELi4ElPK19rocblas_complex_numIdES3_S1_EviiT4_lPKT3_lilS7_lilPT5_i.num_agpr, 0
	.set _ZL23rocblas_gemvt_sn_kernelILb1ELi256ELi4ElPK19rocblas_complex_numIdES3_S1_EviiT4_lPKT3_lilS7_lilPT5_i.numbered_sgpr, 70
	.set _ZL23rocblas_gemvt_sn_kernelILb1ELi256ELi4ElPK19rocblas_complex_numIdES3_S1_EviiT4_lPKT3_lilS7_lilPT5_i.num_named_barrier, 0
	.set _ZL23rocblas_gemvt_sn_kernelILb1ELi256ELi4ElPK19rocblas_complex_numIdES3_S1_EviiT4_lPKT3_lilS7_lilPT5_i.private_seg_size, 80
	.set _ZL23rocblas_gemvt_sn_kernelILb1ELi256ELi4ElPK19rocblas_complex_numIdES3_S1_EviiT4_lPKT3_lilS7_lilPT5_i.uses_vcc, 1
	.set _ZL23rocblas_gemvt_sn_kernelILb1ELi256ELi4ElPK19rocblas_complex_numIdES3_S1_EviiT4_lPKT3_lilS7_lilPT5_i.uses_flat_scratch, 1
	.set _ZL23rocblas_gemvt_sn_kernelILb1ELi256ELi4ElPK19rocblas_complex_numIdES3_S1_EviiT4_lPKT3_lilS7_lilPT5_i.has_dyn_sized_stack, 0
	.set _ZL23rocblas_gemvt_sn_kernelILb1ELi256ELi4ElPK19rocblas_complex_numIdES3_S1_EviiT4_lPKT3_lilS7_lilPT5_i.has_recursion, 0
	.set _ZL23rocblas_gemvt_sn_kernelILb1ELi256ELi4ElPK19rocblas_complex_numIdES3_S1_EviiT4_lPKT3_lilS7_lilPT5_i.has_indirect_call, 0
	.section	.AMDGPU.csdata,"",@progbits
; Kernel info:
; codeLenInByte = 6312
; TotalNumSgprs: 72
; NumVgprs: 92
; ScratchSize: 80
; MemoryBound: 0
; FloatMode: 240
; IeeeMode: 1
; LDSByteSize: 512 bytes/workgroup (compile time only)
; SGPRBlocks: 0
; VGPRBlocks: 5
; NumSGPRsForWavesPerEU: 72
; NumVGPRsForWavesPerEU: 92
; NamedBarCnt: 0
; Occupancy: 10
; WaveLimiterHint : 0
; COMPUTE_PGM_RSRC2:SCRATCH_EN: 1
; COMPUTE_PGM_RSRC2:USER_SGPR: 2
; COMPUTE_PGM_RSRC2:TRAP_HANDLER: 0
; COMPUTE_PGM_RSRC2:TGID_X_EN: 1
; COMPUTE_PGM_RSRC2:TGID_Y_EN: 0
; COMPUTE_PGM_RSRC2:TGID_Z_EN: 1
; COMPUTE_PGM_RSRC2:TIDIG_COMP_CNT: 0
	.section	.text._ZL23rocblas_gemvt_sn_kernelILb1ELi256ELi4EiPK19rocblas_complex_numIdES1_S1_EviiT4_lPKT3_lilS7_lilPT5_i,"axG",@progbits,_ZL23rocblas_gemvt_sn_kernelILb1ELi256ELi4EiPK19rocblas_complex_numIdES1_S1_EviiT4_lPKT3_lilS7_lilPT5_i,comdat
	.globl	_ZL23rocblas_gemvt_sn_kernelILb1ELi256ELi4EiPK19rocblas_complex_numIdES1_S1_EviiT4_lPKT3_lilS7_lilPT5_i ; -- Begin function _ZL23rocblas_gemvt_sn_kernelILb1ELi256ELi4EiPK19rocblas_complex_numIdES1_S1_EviiT4_lPKT3_lilS7_lilPT5_i
	.p2align	8
	.type	_ZL23rocblas_gemvt_sn_kernelILb1ELi256ELi4EiPK19rocblas_complex_numIdES1_S1_EviiT4_lPKT3_lilS7_lilPT5_i,@function
_ZL23rocblas_gemvt_sn_kernelILb1ELi256ELi4EiPK19rocblas_complex_numIdES1_S1_EviiT4_lPKT3_lilS7_lilPT5_i: ; @_ZL23rocblas_gemvt_sn_kernelILb1ELi256ELi4EiPK19rocblas_complex_numIdES1_S1_EviiT4_lPKT3_lilS7_lilPT5_i
; %bb.0:
	s_load_b32 s33, s[0:1], 0x68
	s_bfe_u32 s2, ttmp6, 0x40014
	s_lshr_b32 s3, ttmp7, 16
	s_add_co_i32 s2, s2, 1
	s_bfe_u32 s5, ttmp6, 0x40008
	s_mul_i32 s2, s3, s2
	s_getreg_b32 s4, hwreg(HW_REG_IB_STS2, 6, 4)
	s_add_co_i32 s5, s5, s2
	s_cmp_eq_u32 s4, 0
	s_mov_b32 s25, 0
	s_cselect_b32 s10, s3, s5
	s_wait_kmcnt 0x0
	s_cmp_ge_u32 s10, s33
	s_cbranch_scc1 .LBB372_86
; %bb.1:
	s_clause 0x7
	s_load_b128 s[12:15], s[0:1], 0x8
	s_load_b64 s[26:27], s[0:1], 0x0
	s_load_b128 s[16:19], s[0:1], 0x20
	s_load_b32 s52, s[0:1], 0x30
	s_load_b128 s[20:23], s[0:1], 0x40
	s_load_b32 s53, s[0:1], 0x50
	s_load_b64 s[28:29], s[0:1], 0x60
	s_load_b32 s30, s[0:1], 0x70
	s_wait_xcnt 0x0
	v_cmp_eq_u32_e64 s0, 0, v0
	s_mov_b32 s31, s25
	v_dual_lshrrev_b32 v3, 1, v0 :: v_dual_bitop2_b32 v1, 31, v0 bitop3:0x40
	v_cmp_gt_u32_e64 s1, 32, v0
	v_cmp_gt_u32_e64 s2, 8, v0
	s_delay_alu instid0(VALU_DEP_3)
	v_dual_mov_b32 v2, 0 :: v_dual_lshlrev_b32 v49, 4, v1
	v_cmp_eq_u32_e64 s3, 0, v1
	v_and_b32_e32 v50, 0x70, v3
	v_mbcnt_lo_u32_b32 v48, -1, 0
	s_mov_b32 s35, s25
	s_mov_b32 s60, 16
	s_wait_kmcnt 0x0
	s_ashr_i32 s7, s27, 31
	s_mov_b32 s61, 32
	v_lshl_or_b32 v52, v48, 2, 64
	s_mov_b32 s62, 48
	s_mul_i32 s65, s52, 3
	v_cmp_neq_f64_e64 s5, s[12:13], 0
	v_cmp_neq_f64_e64 s6, s[14:15], 0
	s_or_b32 s5, s5, s6
	s_mov_b32 s6, s27
	s_xor_b32 s54, s5, -1
	s_cmp_gt_i32 s27, 0
	v_cndmask_b32_e64 v51, 0, 1, s5
	s_cselect_b32 s5, -1, 0
	s_bfe_u32 s8, ttmp6, 0x4000c
	s_mul_u64 s[36:37], s[6:7], s[30:31]
	s_add_co_i32 s8, s8, 1
	s_and_b32 s6, ttmp6, 15
	s_mul_i32 s8, ttmp9, s8
	s_and_b32 s55, s0, s5
	s_add_co_i32 s6, s6, s8
	s_cmp_eq_u32 s4, 0
	s_cselect_b32 s34, ttmp9, s6
	s_ashr_i32 s5, s26, 31
	s_lshl_b32 s6, s34, 10
	s_lshr_b32 s5, s5, 30
	v_lshl_or_b32 v0, v0, 2, s6
	s_add_co_i32 s5, s26, s5
	s_lshr_b32 s4, s7, 30
	s_and_b32 s5, s5, -4
	s_add_co_i32 s4, s27, s4
	v_mul_lo_u32 v22, s53, v0
	s_sub_co_i32 s57, s26, s5
	v_dual_ashrrev_i32 v1, 31, v0 :: v_dual_add_nc_u32 v3, 4, v0
	v_add_nc_u32_e32 v4, s57, v0
	s_and_b32 s56, s4, -4
	s_delay_alu instid0(VALU_DEP_2)
	v_lshlrev_b64_e32 v[26:27], 4, v[0:1]
	s_cmp_gt_i32 s56, 0
	v_cmp_ge_i32_e64 s5, s26, v3
	s_cselect_b32 s58, -1, 0
	v_add_nc_u32_e32 v24, s53, v22
	s_cmp_gt_i32 s57, 0
	v_cmp_ge_i32_e64 s4, s26, v4
	v_ashrrev_i32_e32 v23, 31, v22
	s_cselect_b32 s59, -1, 0
	v_add_nc_u32_e32 v28, s53, v24
	s_lshl_b64 s[38:39], s[34:35], 4
	s_or_b32 s63, 0, 8
	v_or_b32_e32 v26, 8, v26
	s_add_nc_u64 s[6:7], s[28:29], s[38:39]
	v_add_nc_u32_e32 v30, s53, v28
	v_ashrrev_i32_e32 v25, 31, v24
	v_ashrrev_i32_e32 v29, 31, v28
	s_lshl_b64 s[40:41], s[36:37], 4
	s_lshl_b64 s[42:43], s[30:31], 4
	v_ashrrev_i32_e32 v31, 31, v30
	s_lshl_b32 s35, s52, 2
	s_lshl_b32 s64, s52, 1
	s_add_nc_u64 s[44:45], s[6:7], 8
	s_and_b32 s26, s59, s4
	s_lshl_b64 s[18:19], s[18:19], 4
	s_lshl_b64 s[22:23], s[22:23], 4
	s_branch .LBB372_3
.LBB372_2:                              ;   in Loop: Header=BB372_3 Depth=1
	s_add_co_i32 s10, s10, 0x10000
	s_delay_alu instid0(SALU_CYCLE_1)
	s_cmp_lt_u32 s10, s33
	s_cbranch_scc0 .LBB372_86
.LBB372_3:                              ; =>This Loop Header: Depth=1
                                        ;     Child Loop BB372_13 Depth 2
                                        ;     Child Loop BB372_18 Depth 2
                                        ;       Child Loop BB372_49 Depth 3
                                        ;       Child Loop BB372_51 Depth 3
                                        ;     Child Loop BB372_67 Depth 2
                                        ;       Child Loop BB372_79 Depth 3
                                        ;       Child Loop BB372_81 Depth 3
	s_mov_b32 s11, s25
	s_and_not1_b32 vcc_lo, exec_lo, s54
	s_mov_b32 s6, -1
	s_cbranch_vccz .LBB372_8
; %bb.4:                                ;   in Loop: Header=BB372_3 Depth=1
	v_mov_b64_e32 v[32:33], 0
	s_wait_dscnt 0x0
	v_mov_b64_e32 v[6:7], 0
	s_and_not1_b32 vcc_lo, exec_lo, s6
	s_cbranch_vccz .LBB372_9
.LBB372_5:                              ;   in Loop: Header=BB372_3 Depth=1
	v_cmp_ne_u32_e32 vcc_lo, 1, v51
	s_cbranch_vccz .LBB372_10
.LBB372_6:                              ;   in Loop: Header=BB372_3 Depth=1
	s_and_not1_b32 vcc_lo, exec_lo, s54
	s_wait_xcnt 0x0
	s_mov_b32 s6, -1
	s_cbranch_vccz .LBB372_11
.LBB372_7:                              ;   in Loop: Header=BB372_3 Depth=1
	s_and_not1_b32 vcc_lo, exec_lo, s6
	s_cbranch_vccnz .LBB372_2
	s_branch .LBB372_15
.LBB372_8:                              ;   in Loop: Header=BB372_3 Depth=1
	v_mov_b64_e32 v[32:33], 0
	s_wait_dscnt 0x0
	v_mov_b64_e32 v[6:7], 0
	s_cbranch_execnz .LBB372_5
.LBB372_9:                              ;   in Loop: Header=BB372_3 Depth=1
	s_lshl_b64 s[6:7], s[10:11], 3
	s_delay_alu instid0(SALU_CYCLE_1)
	s_add_nc_u64 s[6:7], s[16:17], s[6:7]
	global_load_b64 v[4:5], v2, s[6:7]
	s_wait_loadcnt 0x0
	v_add_nc_u64_e32 v[6:7], s[18:19], v[4:5]
	v_cmp_ne_u32_e32 vcc_lo, 1, v51
	s_cbranch_vccnz .LBB372_6
.LBB372_10:                             ;   in Loop: Header=BB372_3 Depth=1
	s_wait_xcnt 0x0
	s_lshl_b64 s[6:7], s[10:11], 3
	s_delay_alu instid0(SALU_CYCLE_1)
	s_add_nc_u64 s[6:7], s[20:21], s[6:7]
	global_load_b64 v[4:5], v2, s[6:7]
	s_wait_loadcnt 0x0
	v_add_nc_u64_e32 v[32:33], s[22:23], v[4:5]
	s_and_not1_b32 vcc_lo, exec_lo, s54
	s_wait_xcnt 0x0
	s_mov_b32 s6, -1
	s_cbranch_vccnz .LBB372_7
.LBB372_11:                             ;   in Loop: Header=BB372_3 Depth=1
	s_and_saveexec_b32 s8, s55
	s_cbranch_execz .LBB372_14
; %bb.12:                               ;   in Loop: Header=BB372_3 Depth=1
	s_mul_u64 s[6:7], s[40:41], s[10:11]
	s_mov_b32 s9, s27
	s_add_nc_u64 s[6:7], s[44:45], s[6:7]
.LBB372_13:                             ;   Parent Loop BB372_3 Depth=1
                                        ; =>  This Inner Loop Header: Depth=2
	v_dual_mov_b32 v3, v2 :: v_dual_mov_b32 v4, v2
	v_mov_b32_e32 v5, v2
	s_add_co_i32 s9, s9, -1
	s_delay_alu instid0(SALU_CYCLE_1)
	s_cmp_eq_u32 s9, 0
	global_store_b128 v2, v[2:5], s[6:7] offset:-8
	s_wait_xcnt 0x0
	s_add_nc_u64 s[6:7], s[6:7], s[42:43]
	s_cbranch_scc0 .LBB372_13
.LBB372_14:                             ;   in Loop: Header=BB372_3 Depth=1
	s_or_b32 exec_lo, exec_lo, s8
	s_cbranch_execnz .LBB372_2
.LBB372_15:                             ;   in Loop: Header=BB372_3 Depth=1
	v_add_nc_u64_e32 v[44:45], v[6:7], v[26:27]
	s_mul_u64 s[46:47], s[36:37], s[10:11]
	v_lshl_add_u64 v[34:35], v[0:1], 4, v[6:7]
	v_lshl_add_u64 v[36:37], v[22:23], 4, v[32:33]
	;; [unrolled: 1-line block ×5, first 2 shown]
	v_cmp_gt_u32_e64 s9, 24, v48
	v_cmp_gt_u32_e64 s8, 28, v48
	;; [unrolled: 1-line block ×3, first 2 shown]
	v_cmp_ne_u32_e64 s6, 31, v48
	s_lshl_b64 s[46:47], s[46:47], 4
	s_and_not1_b32 vcc_lo, exec_lo, s58
	s_add_nc_u64 s[46:47], s[28:29], s[46:47]
	s_cbranch_vccnz .LBB372_63
; %bb.16:                               ;   in Loop: Header=BB372_3 Depth=1
	v_cndmask_b32_e64 v3, 0, 8, s9
	v_cndmask_b32_e64 v4, 0, 4, s8
	;; [unrolled: 1-line block ×3, first 2 shown]
	v_add_co_ci_u32_e64 v6, null, 0, v48, s6
	s_delay_alu instid0(VALU_DEP_4) | instskip(NEXT) | instid1(VALU_DEP_4)
	v_add_lshl_u32 v53, v3, v48, 2
	v_add_lshl_u32 v54, v4, v48, 2
	s_delay_alu instid0(VALU_DEP_4) | instskip(NEXT) | instid1(VALU_DEP_4)
	v_add_lshl_u32 v55, v5, v48, 2
	v_lshlrev_b32_e32 v56, 2, v6
	s_mov_b32 s6, 0
	s_mov_b32 s11, s65
	;; [unrolled: 1-line block ×5, first 2 shown]
	s_branch .LBB372_18
.LBB372_17:                             ;   in Loop: Header=BB372_18 Depth=2
	s_wait_xcnt 0x0
	s_or_b32 exec_lo, exec_lo, s7
	s_add_co_i32 s24, s24, 4
	s_add_co_i32 s67, s67, s35
	;; [unrolled: 1-line block ×5, first 2 shown]
	s_cmp_ge_i32 s24, s56
	s_cbranch_scc1 .LBB372_64
.LBB372_18:                             ;   Parent Loop BB372_3 Depth=1
                                        ; =>  This Loop Header: Depth=2
                                        ;       Child Loop BB372_49 Depth 3
                                        ;       Child Loop BB372_51 Depth 3
                                        ; implicit-def: $vgpr18_vgpr19
                                        ; implicit-def: $vgpr20_vgpr21
                                        ; implicit-def: $vgpr14_vgpr15
                                        ; implicit-def: $vgpr16_vgpr17
                                        ; implicit-def: $vgpr10_vgpr11
                                        ; implicit-def: $vgpr12_vgpr13
                                        ; implicit-def: $vgpr8_vgpr9
                                        ; implicit-def: $vgpr6_vgpr7
	s_and_saveexec_b32 s7, s5
	s_delay_alu instid0(SALU_CYCLE_1)
	s_xor_b32 s7, exec_lo, s7
	s_cbranch_execnz .LBB372_45
; %bb.19:                               ;   in Loop: Header=BB372_18 Depth=2
	s_and_not1_saveexec_b32 s68, s7
	s_cbranch_execnz .LBB372_46
.LBB372_20:                             ;   in Loop: Header=BB372_18 Depth=2
	s_or_b32 exec_lo, exec_lo, s68
	s_and_saveexec_b32 s7, s1
.LBB372_21:                             ;   in Loop: Header=BB372_18 Depth=2
	v_dual_mov_b32 v3, v2 :: v_dual_mov_b32 v4, v2
	v_mov_b32_e32 v5, v2
	ds_store_b128 v49, v[2:5]
.LBB372_22:                             ;   in Loop: Header=BB372_18 Depth=2
	s_or_b32 exec_lo, exec_lo, s7
	ds_bpermute_b32 v4, v52, v8
	ds_bpermute_b32 v5, v52, v9
	;; [unrolled: 1-line block ×4, first 2 shown]
	s_wait_storecnt_dscnt 0x0
	s_barrier_signal -1
	s_barrier_wait -1
	v_add_f64_e32 v[4:5], v[8:9], v[4:5]
	v_add_f64_e32 v[6:7], v[6:7], v[46:47]
	ds_bpermute_b32 v8, v53, v4
	ds_bpermute_b32 v9, v53, v5
	ds_bpermute_b32 v46, v53, v6
	ds_bpermute_b32 v47, v53, v7
	s_wait_dscnt 0x2
	v_add_f64_e32 v[4:5], v[4:5], v[8:9]
	s_wait_dscnt 0x0
	v_add_f64_e32 v[6:7], v[6:7], v[46:47]
	ds_bpermute_b32 v8, v54, v4
	ds_bpermute_b32 v9, v54, v5
	ds_bpermute_b32 v46, v54, v6
	ds_bpermute_b32 v47, v54, v7
	s_wait_dscnt 0x2
	v_add_f64_e32 v[4:5], v[4:5], v[8:9]
	s_wait_dscnt 0x0
	;; [unrolled: 8-line block ×3, first 2 shown]
	v_add_f64_e32 v[8:9], v[6:7], v[46:47]
	ds_bpermute_b32 v6, v56, v4
	ds_bpermute_b32 v7, v56, v5
	;; [unrolled: 1-line block ×4, first 2 shown]
	s_and_saveexec_b32 s7, s3
	s_cbranch_execz .LBB372_24
; %bb.23:                               ;   in Loop: Header=BB372_18 Depth=2
	s_wait_dscnt 0x0
	v_add_f64_e32 v[8:9], v[8:9], v[46:47]
	v_add_f64_e32 v[6:7], v[4:5], v[6:7]
	ds_store_b128 v50, v[6:9]
.LBB372_24:                             ;   in Loop: Header=BB372_18 Depth=2
	s_or_b32 exec_lo, exec_lo, s7
	v_mov_b64_e32 v[8:9], 0
	s_wait_dscnt 0x2
	v_mov_b64_e32 v[6:7], 0
	s_wait_dscnt 0x0
	s_barrier_signal -1
	s_barrier_wait -1
	s_and_saveexec_b32 s7, s2
	s_cbranch_execnz .LBB372_52
; %bb.25:                               ;   in Loop: Header=BB372_18 Depth=2
	s_or_b32 exec_lo, exec_lo, s7
	s_and_saveexec_b32 s7, s1
	s_cbranch_execnz .LBB372_53
.LBB372_26:                             ;   in Loop: Header=BB372_18 Depth=2
	s_or_b32 exec_lo, exec_lo, s7
	s_and_saveexec_b32 s7, s1
.LBB372_27:                             ;   in Loop: Header=BB372_18 Depth=2
	v_dual_mov_b32 v3, v2 :: v_dual_mov_b32 v4, v2
	v_mov_b32_e32 v5, v2
	ds_store_b128 v49, v[2:5]
.LBB372_28:                             ;   in Loop: Header=BB372_18 Depth=2
	s_or_b32 exec_lo, exec_lo, s7
	ds_bpermute_b32 v4, v52, v10
	ds_bpermute_b32 v5, v52, v11
	ds_bpermute_b32 v46, v52, v12
	ds_bpermute_b32 v47, v52, v13
	s_wait_dscnt 0x0
	s_barrier_signal -1
	s_barrier_wait -1
	v_add_f64_e32 v[4:5], v[10:11], v[4:5]
	v_add_f64_e32 v[10:11], v[12:13], v[46:47]
	ds_bpermute_b32 v12, v53, v4
	ds_bpermute_b32 v13, v53, v5
	ds_bpermute_b32 v46, v53, v10
	ds_bpermute_b32 v47, v53, v11
	s_wait_dscnt 0x2
	v_add_f64_e32 v[4:5], v[4:5], v[12:13]
	s_wait_dscnt 0x0
	v_add_f64_e32 v[10:11], v[10:11], v[46:47]
	ds_bpermute_b32 v12, v54, v4
	ds_bpermute_b32 v13, v54, v5
	ds_bpermute_b32 v46, v54, v10
	ds_bpermute_b32 v47, v54, v11
	s_wait_dscnt 0x2
	v_add_f64_e32 v[4:5], v[4:5], v[12:13]
	s_wait_dscnt 0x0
	v_add_f64_e32 v[10:11], v[10:11], v[46:47]
	ds_bpermute_b32 v12, v55, v4
	ds_bpermute_b32 v13, v55, v5
	ds_bpermute_b32 v46, v55, v10
	ds_bpermute_b32 v47, v55, v11
	s_wait_dscnt 0x2
	v_add_f64_e32 v[4:5], v[4:5], v[12:13]
	s_wait_dscnt 0x0
	v_add_f64_e32 v[12:13], v[10:11], v[46:47]
	ds_bpermute_b32 v10, v56, v4
	ds_bpermute_b32 v11, v56, v5
	;; [unrolled: 1-line block ×4, first 2 shown]
	s_and_saveexec_b32 s7, s3
	s_cbranch_execz .LBB372_30
; %bb.29:                               ;   in Loop: Header=BB372_18 Depth=2
	s_wait_dscnt 0x0
	v_add_f64_e32 v[12:13], v[12:13], v[46:47]
	v_add_f64_e32 v[10:11], v[4:5], v[10:11]
	ds_store_b128 v50, v[10:13]
.LBB372_30:                             ;   in Loop: Header=BB372_18 Depth=2
	s_or_b32 exec_lo, exec_lo, s7
	v_mov_b64_e32 v[12:13], 0
	s_wait_dscnt 0x2
	v_mov_b64_e32 v[10:11], 0
	s_wait_dscnt 0x0
	s_barrier_signal -1
	s_barrier_wait -1
	s_and_saveexec_b32 s7, s2
	s_cbranch_execnz .LBB372_54
; %bb.31:                               ;   in Loop: Header=BB372_18 Depth=2
	s_or_b32 exec_lo, exec_lo, s7
	s_and_saveexec_b32 s7, s1
	s_cbranch_execnz .LBB372_55
.LBB372_32:                             ;   in Loop: Header=BB372_18 Depth=2
	s_or_b32 exec_lo, exec_lo, s7
	s_and_saveexec_b32 s7, s1
.LBB372_33:                             ;   in Loop: Header=BB372_18 Depth=2
	v_dual_mov_b32 v3, v2 :: v_dual_mov_b32 v4, v2
	v_mov_b32_e32 v5, v2
	ds_store_b128 v49, v[2:5]
.LBB372_34:                             ;   in Loop: Header=BB372_18 Depth=2
	s_or_b32 exec_lo, exec_lo, s7
	ds_bpermute_b32 v4, v52, v14
	ds_bpermute_b32 v5, v52, v15
	;; [unrolled: 1-line block ×4, first 2 shown]
	s_wait_dscnt 0x0
	s_barrier_signal -1
	s_barrier_wait -1
	v_add_f64_e32 v[4:5], v[14:15], v[4:5]
	v_add_f64_e32 v[14:15], v[16:17], v[46:47]
	ds_bpermute_b32 v16, v53, v4
	ds_bpermute_b32 v17, v53, v5
	ds_bpermute_b32 v46, v53, v14
	ds_bpermute_b32 v47, v53, v15
	s_wait_dscnt 0x2
	v_add_f64_e32 v[4:5], v[4:5], v[16:17]
	s_wait_dscnt 0x0
	v_add_f64_e32 v[14:15], v[14:15], v[46:47]
	ds_bpermute_b32 v16, v54, v4
	ds_bpermute_b32 v17, v54, v5
	ds_bpermute_b32 v46, v54, v14
	ds_bpermute_b32 v47, v54, v15
	s_wait_dscnt 0x2
	v_add_f64_e32 v[4:5], v[4:5], v[16:17]
	s_wait_dscnt 0x0
	;; [unrolled: 8-line block ×3, first 2 shown]
	v_add_f64_e32 v[16:17], v[14:15], v[46:47]
	ds_bpermute_b32 v14, v56, v4
	ds_bpermute_b32 v15, v56, v5
	;; [unrolled: 1-line block ×4, first 2 shown]
	s_and_saveexec_b32 s7, s3
	s_cbranch_execz .LBB372_36
; %bb.35:                               ;   in Loop: Header=BB372_18 Depth=2
	s_wait_dscnt 0x0
	v_add_f64_e32 v[16:17], v[16:17], v[46:47]
	v_add_f64_e32 v[14:15], v[4:5], v[14:15]
	ds_store_b128 v50, v[14:17]
.LBB372_36:                             ;   in Loop: Header=BB372_18 Depth=2
	s_or_b32 exec_lo, exec_lo, s7
	v_mov_b64_e32 v[16:17], 0
	s_wait_dscnt 0x2
	v_mov_b64_e32 v[14:15], 0
	s_wait_dscnt 0x0
	s_barrier_signal -1
	s_barrier_wait -1
	s_and_saveexec_b32 s7, s2
	s_cbranch_execnz .LBB372_56
; %bb.37:                               ;   in Loop: Header=BB372_18 Depth=2
	s_or_b32 exec_lo, exec_lo, s7
	s_and_saveexec_b32 s7, s1
	s_cbranch_execnz .LBB372_57
.LBB372_38:                             ;   in Loop: Header=BB372_18 Depth=2
	s_or_b32 exec_lo, exec_lo, s7
	s_and_saveexec_b32 s7, s1
.LBB372_39:                             ;   in Loop: Header=BB372_18 Depth=2
	v_dual_mov_b32 v3, v2 :: v_dual_mov_b32 v4, v2
	v_mov_b32_e32 v5, v2
	ds_store_b128 v49, v[2:5]
.LBB372_40:                             ;   in Loop: Header=BB372_18 Depth=2
	s_or_b32 exec_lo, exec_lo, s7
	ds_bpermute_b32 v4, v52, v18
	ds_bpermute_b32 v5, v52, v19
	;; [unrolled: 1-line block ×4, first 2 shown]
	s_wait_dscnt 0x0
	s_barrier_signal -1
	s_barrier_wait -1
	v_add_f64_e32 v[4:5], v[18:19], v[4:5]
	v_add_f64_e32 v[18:19], v[20:21], v[46:47]
	ds_bpermute_b32 v20, v53, v4
	ds_bpermute_b32 v21, v53, v5
	ds_bpermute_b32 v46, v53, v18
	ds_bpermute_b32 v47, v53, v19
	s_wait_dscnt 0x2
	v_add_f64_e32 v[4:5], v[4:5], v[20:21]
	s_wait_dscnt 0x0
	v_add_f64_e32 v[18:19], v[18:19], v[46:47]
	ds_bpermute_b32 v20, v54, v4
	ds_bpermute_b32 v21, v54, v5
	ds_bpermute_b32 v46, v54, v18
	ds_bpermute_b32 v47, v54, v19
	s_wait_dscnt 0x2
	v_add_f64_e32 v[4:5], v[4:5], v[20:21]
	s_wait_dscnt 0x0
	;; [unrolled: 8-line block ×3, first 2 shown]
	v_add_f64_e32 v[20:21], v[18:19], v[46:47]
	ds_bpermute_b32 v18, v56, v4
	ds_bpermute_b32 v19, v56, v5
	;; [unrolled: 1-line block ×4, first 2 shown]
	s_and_saveexec_b32 s7, s3
	s_cbranch_execz .LBB372_42
; %bb.41:                               ;   in Loop: Header=BB372_18 Depth=2
	s_wait_dscnt 0x0
	v_add_f64_e32 v[20:21], v[20:21], v[46:47]
	v_add_f64_e32 v[18:19], v[4:5], v[18:19]
	ds_store_b128 v50, v[18:21]
.LBB372_42:                             ;   in Loop: Header=BB372_18 Depth=2
	s_or_b32 exec_lo, exec_lo, s7
	v_mov_b64_e32 v[20:21], 0
	s_wait_dscnt 0x2
	v_mov_b64_e32 v[18:19], 0
	s_wait_dscnt 0x0
	s_barrier_signal -1
	s_barrier_wait -1
	s_and_saveexec_b32 s7, s2
	s_cbranch_execnz .LBB372_58
; %bb.43:                               ;   in Loop: Header=BB372_18 Depth=2
	s_or_b32 exec_lo, exec_lo, s7
	s_and_saveexec_b32 s7, s1
	s_cbranch_execnz .LBB372_59
.LBB372_44:                             ;   in Loop: Header=BB372_18 Depth=2
	s_or_b32 exec_lo, exec_lo, s7
	s_and_saveexec_b32 s7, s0
	s_cbranch_execz .LBB372_17
	s_branch .LBB372_60
.LBB372_45:                             ;   in Loop: Header=BB372_18 Depth=2
	s_clause 0x2
	flat_load_b128 v[4:7], v[38:39]
	flat_load_b128 v[8:11], v[40:41]
	;; [unrolled: 1-line block ×3, first 2 shown]
	s_mul_i32 s8, s24, s52
	flat_load_b128 v[58:61], v[36:37]
	s_ashr_i32 s9, s8, 31
	s_add_co_i32 s48, s8, s52
	s_wait_dscnt 0x4
	v_lshl_add_u64 v[20:21], s[8:9], 4, v[34:35]
	s_ashr_i32 s49, s48, 31
	s_add_co_i32 s8, s48, s52
	v_lshl_add_u64 v[46:47], s[48:49], 4, v[34:35]
	s_add_co_i32 s48, s8, s52
	s_ashr_i32 s9, s8, 31
	s_ashr_i32 s49, s48, 31
	v_lshl_add_u64 v[114:115], s[8:9], 4, v[34:35]
	v_lshl_add_u64 v[118:119], s[48:49], 4, v[34:35]
	s_clause 0x4
	flat_load_b128 v[16:19], v[20:21]
	flat_load_b128 v[62:65], v[46:47]
	;; [unrolled: 1-line block ×4, first 2 shown]
	flat_load_b128 v[74:77], v[20:21] offset:16
	s_wait_loadcnt_dscnt 0x808
	scratch_store_b128 off, v[4:7], s60
	scratch_load_b128 v[4:7], off, off offset:16
	s_clause 0x3
	flat_load_b128 v[78:81], v[46:47] offset:16
	flat_load_b128 v[82:85], v[114:115] offset:16
	flat_load_b128 v[86:89], v[118:119] offset:16
	flat_load_b128 v[90:93], v[20:21] offset:32
	s_wait_loadcnt_dscnt 0xc0b
	scratch_store_b128 off, v[8:11], s61
	scratch_load_b128 v[8:11], off, off offset:32
	s_clause 0x3
	flat_load_b128 v[94:97], v[46:47] offset:32
	flat_load_b128 v[98:101], v[114:115] offset:32
	flat_load_b128 v[102:105], v[118:119] offset:32
	;; [unrolled: 8-line block ×3, first 2 shown]
	s_wait_loadcnt_dscnt 0x1310
	scratch_store_b128 off, v[58:61], off
	s_wait_loadcnt_dscnt 0x110e
	s_wait_xcnt 0x3
	v_mul_f64_e32 v[46:47], v[60:61], v[64:65]
	v_mul_f64_e32 v[20:21], v[60:61], v[18:19]
	v_mul_f64_e32 v[18:19], v[58:59], v[18:19]
	v_mul_f64_e32 v[64:65], v[58:59], v[64:65]
	s_wait_loadcnt_dscnt 0x100d
	v_mul_f64_e32 v[122:123], v[60:61], v[68:69]
	v_mul_f64_e32 v[68:69], v[58:59], v[68:69]
	s_wait_loadcnt_dscnt 0xf0c
	v_mul_f64_e32 v[124:125], v[60:61], v[72:73]
	v_mul_f64_e32 v[72:73], v[58:59], v[72:73]
	v_fmac_f64_e32 v[46:47], v[58:59], v[62:63]
	v_fmac_f64_e32 v[20:21], v[58:59], v[16:17]
	v_fma_f64 v[16:17], v[60:61], v[16:17], -v[18:19]
	v_fma_f64 v[18:19], v[60:61], v[62:63], -v[64:65]
	v_fmac_f64_e32 v[122:123], v[58:59], v[66:67]
	v_fma_f64 v[62:63], v[60:61], v[66:67], -v[68:69]
	v_fmac_f64_e32 v[124:125], v[58:59], v[70:71]
	v_fma_f64 v[64:65], v[60:61], v[70:71], -v[72:73]
	v_add_f64_e32 v[46:47], 0, v[46:47]
	v_add_f64_e32 v[20:21], 0, v[20:21]
	v_add_f64_e32 v[16:17], 0, v[16:17]
	v_add_f64_e32 v[18:19], 0, v[18:19]
	v_add_f64_e32 v[122:123], 0, v[122:123]
	v_add_f64_e32 v[62:63], 0, v[62:63]
	v_add_f64_e32 v[124:125], 0, v[124:125]
	v_add_f64_e32 v[64:65], 0, v[64:65]
	s_wait_loadcnt_dscnt 0xd0b
	v_mul_f64_e32 v[66:67], v[6:7], v[76:77]
	v_mul_f64_e32 v[68:69], v[4:5], v[76:77]
	s_wait_loadcnt_dscnt 0xc0a
	v_mul_f64_e32 v[70:71], v[6:7], v[80:81]
	v_mul_f64_e32 v[72:73], v[4:5], v[80:81]
	s_wait_loadcnt_dscnt 0xb09
	v_mul_f64_e32 v[76:77], v[6:7], v[84:85]
	v_mul_f64_e32 v[80:81], v[4:5], v[84:85]
	s_wait_loadcnt_dscnt 0xa08
	v_mul_f64_e32 v[84:85], v[6:7], v[88:89]
	v_mul_f64_e32 v[88:89], v[4:5], v[88:89]
	s_wait_loadcnt_dscnt 0x807
	v_mul_f64_e32 v[126:127], v[10:11], v[92:93]
	v_mul_f64_e32 v[92:93], v[8:9], v[92:93]
	s_wait_loadcnt_dscnt 0x706
	v_mul_f64_e32 v[128:129], v[10:11], v[96:97]
	v_mul_f64_e32 v[96:97], v[8:9], v[96:97]
	s_wait_loadcnt_dscnt 0x605
	v_mul_f64_e32 v[130:131], v[10:11], v[100:101]
	v_mul_f64_e32 v[100:101], v[8:9], v[100:101]
	s_wait_loadcnt_dscnt 0x504
	v_mul_f64_e32 v[132:133], v[10:11], v[104:105]
	v_mul_f64_e32 v[104:105], v[8:9], v[104:105]
	v_fmac_f64_e32 v[66:67], v[4:5], v[74:75]
	v_fma_f64 v[68:69], v[6:7], v[74:75], -v[68:69]
	v_fmac_f64_e32 v[70:71], v[4:5], v[78:79]
	v_fma_f64 v[72:73], v[6:7], v[78:79], -v[72:73]
	;; [unrolled: 2-line block ×4, first 2 shown]
	s_wait_loadcnt_dscnt 0x303
	v_mul_f64_e32 v[6:7], v[14:15], v[108:109]
	v_mul_f64_e32 v[78:79], v[12:13], v[108:109]
	s_wait_loadcnt_dscnt 0x202
	v_mul_f64_e32 v[80:81], v[14:15], v[112:113]
	v_mul_f64_e32 v[82:83], v[12:13], v[112:113]
	;; [unrolled: 3-line block ×4, first 2 shown]
	v_fmac_f64_e32 v[126:127], v[8:9], v[90:91]
	v_fma_f64 v[90:91], v[10:11], v[90:91], -v[92:93]
	v_fmac_f64_e32 v[128:129], v[8:9], v[94:95]
	v_fma_f64 v[92:93], v[10:11], v[94:95], -v[96:97]
	;; [unrolled: 2-line block ×4, first 2 shown]
	v_add_f64_e32 v[10:11], v[20:21], v[66:67]
	v_add_f64_e32 v[16:17], v[16:17], v[68:69]
	;; [unrolled: 1-line block ×8, first 2 shown]
	v_fmac_f64_e32 v[6:7], v[12:13], v[106:107]
	v_fma_f64 v[64:65], v[14:15], v[106:107], -v[78:79]
	v_fmac_f64_e32 v[80:81], v[12:13], v[110:111]
	v_fma_f64 v[68:69], v[14:15], v[110:111], -v[82:83]
	;; [unrolled: 2-line block ×4, first 2 shown]
	v_add_f64_e32 v[10:11], v[10:11], v[126:127]
	v_add_f64_e32 v[12:13], v[16:17], v[90:91]
	v_add_f64_e32 v[14:15], v[20:21], v[128:129]
	v_add_f64_e32 v[16:17], v[18:19], v[92:93]
	v_add_f64_e32 v[18:19], v[46:47], v[130:131]
	v_add_f64_e32 v[20:21], v[62:63], v[94:95]
	v_add_f64_e32 v[46:47], v[66:67], v[132:133]
	v_add_f64_e32 v[4:5], v[4:5], v[8:9]
	v_add_f64_e32 v[8:9], v[10:11], v[6:7]
	v_add_f64_e32 v[6:7], v[12:13], v[64:65]
	v_add_f64_e32 v[10:11], v[14:15], v[80:81]
	v_add_f64_e32 v[12:13], v[16:17], v[68:69]
	v_add_f64_e32 v[14:15], v[18:19], v[86:87]
	v_add_f64_e32 v[16:17], v[20:21], v[70:71]
	v_add_f64_e32 v[18:19], v[46:47], v[108:109]
	v_add_f64_e32 v[20:21], v[4:5], v[72:73]
	s_wait_xcnt 0x0
	s_and_not1_saveexec_b32 s68, s7
	s_cbranch_execz .LBB372_20
.LBB372_46:                             ;   in Loop: Header=BB372_18 Depth=2
	s_wait_dscnt 0x0
	v_mov_b64_e32 v[18:19], 0
	v_mov_b64_e32 v[20:21], 0
	v_mov_b64_e32 v[14:15], 0
	v_mov_b64_e32 v[16:17], 0
	v_mov_b64_e32 v[10:11], 0
	v_mov_b64_e32 v[12:13], 0
	v_mov_b64_e32 v[8:9], 0
	v_mov_b64_e32 v[6:7], 0
	s_and_saveexec_b32 s69, s4
	s_cbranch_execz .LBB372_62
; %bb.47:                               ;   in Loop: Header=BB372_18 Depth=2
	s_and_not1_b32 vcc_lo, exec_lo, s59
	s_cbranch_vccnz .LBB372_61
; %bb.48:                               ;   in Loop: Header=BB372_18 Depth=2
	v_mov_b32_e32 v3, v22
	s_mov_b32 s7, 0
	s_mov_b32 s8, s57
.LBB372_49:                             ;   Parent Loop BB372_3 Depth=1
                                        ;     Parent Loop BB372_18 Depth=2
                                        ; =>    This Inner Loop Header: Depth=3
	v_readfirstlane_b32 s48, v32
	v_readfirstlane_b32 s49, v33
	s_add_co_i32 s8, s8, -1
	flat_load_b128 v[4:7], v3, s[48:49] scale_offset
	s_wait_xcnt 0x0
	v_add_nc_u32_e32 v3, s53, v3
	s_wait_loadcnt_dscnt 0x0
	scratch_store_b128 off, v[4:7], s7
	s_wait_xcnt 0x0
	s_add_co_i32 s7, s7, 16
	s_cmp_eq_u32 s8, 0
	s_cbranch_scc0 .LBB372_49
; %bb.50:                               ;   in Loop: Header=BB372_18 Depth=2
	s_ashr_i32 s7, s6, 31
	v_mov_b64_e32 v[6:7], 0
	v_mov_b64_e32 v[8:9], 0
	;; [unrolled: 1-line block ×8, first 2 shown]
	v_lshl_add_u64 v[4:5], s[6:7], 4, v[44:45]
	s_mov_b32 s7, s63
	s_mov_b32 s8, s11
	;; [unrolled: 1-line block ×5, first 2 shown]
.LBB372_51:                             ;   Parent Loop BB372_3 Depth=1
                                        ;     Parent Loop BB372_18 Depth=2
                                        ; =>    This Inner Loop Header: Depth=3
	s_ashr_i32 s51, s50, 31
	s_ashr_i32 s49, s48, 31
	;; [unrolled: 1-line block ×3, first 2 shown]
	v_lshl_add_u64 v[46:47], s[50:51], 4, v[34:35]
	s_wait_xcnt 0x1
	v_lshl_add_u64 v[70:71], s[48:49], 4, v[34:35]
	s_wait_xcnt 0x0
	v_lshl_add_u64 v[74:75], s[8:9], 4, v[34:35]
	scratch_load_b128 v[58:61], off, s7 offset:-8
	flat_load_b128 v[62:65], v[4:5] offset:-8
	s_clause 0x2
	flat_load_b128 v[66:69], v[46:47]
	flat_load_b128 v[70:73], v[70:71]
	;; [unrolled: 1-line block ×3, first 2 shown]
	s_wait_xcnt 0x3
	v_add_nc_u64_e32 v[4:5], 16, v[4:5]
	s_add_co_i32 s70, s70, -1
	s_add_co_i32 s7, s7, 16
	s_add_co_i32 s50, s50, 1
	;; [unrolled: 1-line block ×4, first 2 shown]
	s_cmp_lg_u32 s70, 0
	s_wait_loadcnt_dscnt 0x303
	s_wait_xcnt 0x2
	v_mul_f64_e32 v[46:47], v[60:61], v[64:65]
	v_mul_f64_e32 v[64:65], v[58:59], v[64:65]
	s_wait_loadcnt_dscnt 0x202
	v_mul_f64_e32 v[78:79], v[60:61], v[68:69]
	v_mul_f64_e32 v[68:69], v[58:59], v[68:69]
	s_wait_loadcnt_dscnt 0x101
	;; [unrolled: 3-line block ×3, first 2 shown]
	v_mul_f64_e32 v[82:83], v[60:61], v[76:77]
	v_mul_f64_e32 v[76:77], v[58:59], v[76:77]
	v_fmac_f64_e32 v[46:47], v[58:59], v[62:63]
	v_fma_f64 v[62:63], v[60:61], v[62:63], -v[64:65]
	v_fmac_f64_e32 v[78:79], v[58:59], v[66:67]
	v_fma_f64 v[64:65], v[60:61], v[66:67], -v[68:69]
	;; [unrolled: 2-line block ×4, first 2 shown]
	v_add_f64_e32 v[8:9], v[8:9], v[46:47]
	v_add_f64_e32 v[6:7], v[6:7], v[62:63]
	;; [unrolled: 1-line block ×8, first 2 shown]
	s_cbranch_scc1 .LBB372_51
	s_branch .LBB372_62
.LBB372_52:                             ;   in Loop: Header=BB372_18 Depth=2
	ds_load_b128 v[6:9], v49
	s_or_b32 exec_lo, exec_lo, s7
	s_and_saveexec_b32 s7, s1
	s_cbranch_execz .LBB372_26
.LBB372_53:                             ;   in Loop: Header=BB372_18 Depth=2
	s_wait_dscnt 0x0
	ds_bpermute_b32 v4, v54, v6
	ds_bpermute_b32 v5, v54, v7
	ds_bpermute_b32 v46, v54, v8
	ds_bpermute_b32 v47, v54, v9
	s_wait_dscnt 0x2
	v_add_f64_e32 v[4:5], v[6:7], v[4:5]
	s_wait_dscnt 0x0
	v_add_f64_e32 v[6:7], v[8:9], v[46:47]
	ds_bpermute_b32 v8, v55, v4
	ds_bpermute_b32 v9, v55, v5
	ds_bpermute_b32 v46, v55, v6
	ds_bpermute_b32 v47, v55, v7
	s_wait_dscnt 0x2
	v_add_f64_e32 v[4:5], v[4:5], v[8:9]
	s_wait_dscnt 0x0
	v_add_f64_e32 v[8:9], v[6:7], v[46:47]
	;; [unrolled: 8-line block ×3, first 2 shown]
	s_or_b32 exec_lo, exec_lo, s7
	s_and_saveexec_b32 s7, s1
	s_cbranch_execnz .LBB372_27
	s_branch .LBB372_28
.LBB372_54:                             ;   in Loop: Header=BB372_18 Depth=2
	ds_load_b128 v[10:13], v49
	s_or_b32 exec_lo, exec_lo, s7
	s_and_saveexec_b32 s7, s1
	s_cbranch_execz .LBB372_32
.LBB372_55:                             ;   in Loop: Header=BB372_18 Depth=2
	s_wait_dscnt 0x0
	ds_bpermute_b32 v4, v54, v10
	ds_bpermute_b32 v5, v54, v11
	ds_bpermute_b32 v46, v54, v12
	ds_bpermute_b32 v47, v54, v13
	s_wait_dscnt 0x2
	v_add_f64_e32 v[4:5], v[10:11], v[4:5]
	s_wait_dscnt 0x0
	v_add_f64_e32 v[10:11], v[12:13], v[46:47]
	ds_bpermute_b32 v12, v55, v4
	ds_bpermute_b32 v13, v55, v5
	ds_bpermute_b32 v46, v55, v10
	ds_bpermute_b32 v47, v55, v11
	s_wait_dscnt 0x2
	v_add_f64_e32 v[4:5], v[4:5], v[12:13]
	s_wait_dscnt 0x0
	v_add_f64_e32 v[12:13], v[10:11], v[46:47]
	;; [unrolled: 8-line block ×3, first 2 shown]
	s_or_b32 exec_lo, exec_lo, s7
	s_and_saveexec_b32 s7, s1
	s_cbranch_execnz .LBB372_33
	s_branch .LBB372_34
.LBB372_56:                             ;   in Loop: Header=BB372_18 Depth=2
	ds_load_b128 v[14:17], v49
	s_or_b32 exec_lo, exec_lo, s7
	s_and_saveexec_b32 s7, s1
	s_cbranch_execz .LBB372_38
.LBB372_57:                             ;   in Loop: Header=BB372_18 Depth=2
	s_wait_dscnt 0x0
	ds_bpermute_b32 v4, v54, v14
	ds_bpermute_b32 v5, v54, v15
	ds_bpermute_b32 v46, v54, v16
	ds_bpermute_b32 v47, v54, v17
	s_wait_dscnt 0x2
	v_add_f64_e32 v[4:5], v[14:15], v[4:5]
	s_wait_dscnt 0x0
	v_add_f64_e32 v[14:15], v[16:17], v[46:47]
	ds_bpermute_b32 v16, v55, v4
	ds_bpermute_b32 v17, v55, v5
	ds_bpermute_b32 v46, v55, v14
	ds_bpermute_b32 v47, v55, v15
	s_wait_dscnt 0x2
	v_add_f64_e32 v[4:5], v[4:5], v[16:17]
	s_wait_dscnt 0x0
	v_add_f64_e32 v[16:17], v[14:15], v[46:47]
	;; [unrolled: 8-line block ×3, first 2 shown]
	s_or_b32 exec_lo, exec_lo, s7
	s_and_saveexec_b32 s7, s1
	s_cbranch_execnz .LBB372_39
	s_branch .LBB372_40
.LBB372_58:                             ;   in Loop: Header=BB372_18 Depth=2
	ds_load_b128 v[18:21], v49
	s_or_b32 exec_lo, exec_lo, s7
	s_and_saveexec_b32 s7, s1
	s_cbranch_execz .LBB372_44
.LBB372_59:                             ;   in Loop: Header=BB372_18 Depth=2
	s_wait_dscnt 0x0
	ds_bpermute_b32 v4, v54, v18
	ds_bpermute_b32 v5, v54, v19
	ds_bpermute_b32 v46, v54, v20
	ds_bpermute_b32 v47, v54, v21
	s_wait_dscnt 0x2
	v_add_f64_e32 v[4:5], v[18:19], v[4:5]
	s_wait_dscnt 0x0
	v_add_f64_e32 v[18:19], v[20:21], v[46:47]
	ds_bpermute_b32 v20, v55, v4
	ds_bpermute_b32 v21, v55, v5
	ds_bpermute_b32 v46, v55, v18
	ds_bpermute_b32 v47, v55, v19
	s_wait_dscnt 0x2
	v_add_f64_e32 v[4:5], v[4:5], v[20:21]
	s_wait_dscnt 0x0
	v_add_f64_e32 v[20:21], v[18:19], v[46:47]
	;; [unrolled: 8-line block ×3, first 2 shown]
	s_or_b32 exec_lo, exec_lo, s7
	s_and_saveexec_b32 s7, s0
	s_cbranch_execz .LBB372_17
.LBB372_60:                             ;   in Loop: Header=BB372_18 Depth=2
	s_mul_i32 s8, s24, s30
	v_mul_f64_e32 v[62:63], s[14:15], v[16:17]
	s_add_co_i32 s8, s8, s34
	s_delay_alu instid0(SALU_CYCLE_1)
	v_dual_mul_f64 v[4:5], s[14:15], v[8:9] :: v_dual_mov_b32 v3, s8
	s_add_co_i32 s9, s8, s30
	v_mul_f64_e32 v[60:61], s[12:13], v[8:9]
	s_add_co_i32 s8, s9, s30
	v_mul_f64_e32 v[46:47], s[14:15], v[12:13]
	s_wait_dscnt 0x0
	v_mul_f64_e32 v[64:65], s[14:15], v[20:21]
	s_delay_alu instid0(VALU_DEP_4)
	v_dual_fma_f64 v[58:59], s[12:13], v[6:7], -v[4:5] :: v_dual_mov_b32 v4, s9
	s_add_co_i32 s9, s8, s30
	v_mul_f64_e32 v[8:9], s[12:13], v[12:13]
	v_mul_f64_e32 v[12:13], s[12:13], v[16:17]
	;; [unrolled: 1-line block ×3, first 2 shown]
	v_fmac_f64_e32 v[60:61], s[14:15], v[6:7]
	v_dual_fma_f64 v[6:7], s[12:13], v[10:11], -v[46:47] :: v_dual_mov_b32 v5, s8
	v_fmac_f64_e32 v[8:9], s[14:15], v[10:11]
	v_fma_f64 v[10:11], s[12:13], v[14:15], -v[62:63]
	v_fmac_f64_e32 v[12:13], s[14:15], v[14:15]
	v_fma_f64 v[14:15], s[12:13], v[18:19], -v[64:65]
	v_fmac_f64_e32 v[16:17], s[14:15], v[18:19]
	v_mov_b32_e32 v18, s9
	s_clause 0x3
	global_store_b128 v3, v[58:61], s[46:47] scale_offset
	global_store_b128 v4, v[6:9], s[46:47] scale_offset
	;; [unrolled: 1-line block ×4, first 2 shown]
	s_branch .LBB372_17
.LBB372_61:                             ;   in Loop: Header=BB372_18 Depth=2
	v_mov_b64_e32 v[18:19], 0
	v_mov_b64_e32 v[20:21], 0
	;; [unrolled: 1-line block ×8, first 2 shown]
.LBB372_62:                             ;   in Loop: Header=BB372_18 Depth=2
	s_wait_xcnt 0x0
	s_or_b32 exec_lo, exec_lo, s69
	s_delay_alu instid0(SALU_CYCLE_1)
	s_or_b32 exec_lo, exec_lo, s68
	s_and_saveexec_b32 s7, s1
	s_cbranch_execnz .LBB372_21
	s_branch .LBB372_22
.LBB372_63:                             ;   in Loop: Header=BB372_3 Depth=1
	s_mov_b32 s24, 0
.LBB372_64:                             ;   in Loop: Header=BB372_3 Depth=1
	s_delay_alu instid0(SALU_CYCLE_1)
	s_cmp_ge_i32 s24, s27
	s_cbranch_scc1 .LBB372_2
; %bb.65:                               ;   in Loop: Header=BB372_3 Depth=1
	v_cmp_gt_u32_e32 vcc_lo, 24, v48
	s_add_nc_u64 s[6:7], s[46:47], s[38:39]
	s_mul_i32 s8, s52, s24
	v_cndmask_b32_e64 v3, 0, 8, vcc_lo
	v_cmp_gt_u32_e32 vcc_lo, 28, v48
	s_delay_alu instid0(VALU_DEP_2) | instskip(SKIP_2) | instid1(VALU_DEP_2)
	v_add_lshl_u32 v12, v3, v48, 2
	v_cndmask_b32_e64 v4, 0, 4, vcc_lo
	v_cmp_gt_u32_e32 vcc_lo, 30, v48
	v_add_lshl_u32 v13, v4, v48, 2
	v_cndmask_b32_e64 v5, 0, 2, vcc_lo
	v_cmp_ne_u32_e32 vcc_lo, 31, v48
	s_delay_alu instid0(VALU_DEP_2) | instskip(SKIP_1) | instid1(VALU_DEP_1)
	v_add_lshl_u32 v14, v5, v48, 2
	v_add_co_ci_u32_e64 v6, null, 0, v48, vcc_lo
	v_lshlrev_b32_e32 v15, 2, v6
	s_branch .LBB372_67
.LBB372_66:                             ;   in Loop: Header=BB372_67 Depth=2
	s_wait_xcnt 0x0
	s_or_b32 exec_lo, exec_lo, s9
	s_add_co_i32 s24, s24, 1
	s_add_co_i32 s8, s8, s52
	s_cmp_lt_i32 s24, s27
	s_cbranch_scc0 .LBB372_2
.LBB372_67:                             ;   Parent Loop BB372_3 Depth=1
                                        ; =>  This Loop Header: Depth=2
                                        ;       Child Loop BB372_79 Depth 3
                                        ;       Child Loop BB372_81 Depth 3
                                        ; implicit-def: $vgpr6_vgpr7
                                        ; implicit-def: $vgpr8_vgpr9
	s_and_saveexec_b32 s9, s5
	s_delay_alu instid0(SALU_CYCLE_1)
	s_xor_b32 s9, exec_lo, s9
	s_cbranch_execnz .LBB372_76
; %bb.68:                               ;   in Loop: Header=BB372_67 Depth=2
	s_and_not1_saveexec_b32 s11, s9
	s_cbranch_execnz .LBB372_77
.LBB372_69:                             ;   in Loop: Header=BB372_67 Depth=2
	s_or_b32 exec_lo, exec_lo, s11
	s_and_saveexec_b32 s9, s1
	s_cbranch_execz .LBB372_71
.LBB372_70:                             ;   in Loop: Header=BB372_67 Depth=2
	s_wait_dscnt 0x0
	v_dual_mov_b32 v3, v2 :: v_dual_mov_b32 v4, v2
	v_mov_b32_e32 v5, v2
	ds_store_b128 v49, v[2:5]
.LBB372_71:                             ;   in Loop: Header=BB372_67 Depth=2
	s_or_b32 exec_lo, exec_lo, s9
	s_wait_dscnt 0x0
	ds_bpermute_b32 v4, v52, v6
	ds_bpermute_b32 v5, v52, v7
	;; [unrolled: 1-line block ×4, first 2 shown]
	s_wait_storecnt_dscnt 0x0
	s_barrier_signal -1
	s_barrier_wait -1
	v_add_f64_e32 v[4:5], v[6:7], v[4:5]
	v_add_f64_e32 v[6:7], v[8:9], v[10:11]
	ds_bpermute_b32 v8, v12, v4
	ds_bpermute_b32 v9, v12, v5
	ds_bpermute_b32 v10, v12, v6
	ds_bpermute_b32 v11, v12, v7
	s_wait_dscnt 0x2
	v_add_f64_e32 v[4:5], v[4:5], v[8:9]
	s_wait_dscnt 0x0
	v_add_f64_e32 v[6:7], v[6:7], v[10:11]
	ds_bpermute_b32 v8, v13, v4
	ds_bpermute_b32 v9, v13, v5
	ds_bpermute_b32 v10, v13, v6
	ds_bpermute_b32 v11, v13, v7
	s_wait_dscnt 0x2
	v_add_f64_e32 v[4:5], v[4:5], v[8:9]
	s_wait_dscnt 0x0
	;; [unrolled: 8-line block ×3, first 2 shown]
	v_add_f64_e32 v[8:9], v[6:7], v[10:11]
	ds_bpermute_b32 v6, v15, v4
	ds_bpermute_b32 v7, v15, v5
	;; [unrolled: 1-line block ×4, first 2 shown]
	s_and_saveexec_b32 s9, s3
	s_cbranch_execz .LBB372_73
; %bb.72:                               ;   in Loop: Header=BB372_67 Depth=2
	s_wait_dscnt 0x0
	v_add_f64_e32 v[8:9], v[8:9], v[10:11]
	v_add_f64_e32 v[6:7], v[4:5], v[6:7]
	ds_store_b128 v50, v[6:9]
.LBB372_73:                             ;   in Loop: Header=BB372_67 Depth=2
	s_or_b32 exec_lo, exec_lo, s9
	s_wait_dscnt 0x2
	v_mov_b64_e32 v[6:7], 0
	v_mov_b64_e32 v[4:5], 0
	s_wait_dscnt 0x0
	s_barrier_signal -1
	s_barrier_wait -1
	s_and_saveexec_b32 s9, s2
	s_cbranch_execnz .LBB372_83
; %bb.74:                               ;   in Loop: Header=BB372_67 Depth=2
	s_or_b32 exec_lo, exec_lo, s9
	s_and_saveexec_b32 s9, s1
	s_cbranch_execnz .LBB372_84
.LBB372_75:                             ;   in Loop: Header=BB372_67 Depth=2
	s_or_b32 exec_lo, exec_lo, s9
	s_and_saveexec_b32 s9, s0
	s_cbranch_execz .LBB372_66
	s_branch .LBB372_85
.LBB372_76:                             ;   in Loop: Header=BB372_67 Depth=2
	s_wait_dscnt 0x0
	s_clause 0x1
	flat_load_b128 v[4:7], v[38:39]
	flat_load_b128 v[8:11], v[40:41]
	s_wait_dscnt 0x2
	flat_load_b128 v[16:19], v[42:43]
	s_mul_i32 s46, s24, s52
	s_delay_alu instid0(SALU_CYCLE_1) | instskip(NEXT) | instid1(SALU_CYCLE_1)
	s_ashr_i32 s47, s46, 31
	v_lshl_add_u64 v[20:21], s[46:47], 4, v[34:35]
	flat_load_b128 v[54:57], v[36:37]
	s_clause 0x1
	flat_load_b128 v[58:61], v[20:21]
	flat_load_b128 v[62:65], v[20:21] offset:16
	s_wait_loadcnt_dscnt 0x505
	scratch_store_b128 off, v[4:7], s60
	s_wait_loadcnt_dscnt 0x404
	scratch_store_b128 off, v[8:11], s61
	s_clause 0x1
	scratch_load_b128 v[4:7], off, off offset:16
	scratch_load_b128 v[8:11], off, off offset:32
	s_clause 0x1
	flat_load_b128 v[66:69], v[20:21] offset:32
	flat_load_b128 v[70:73], v[20:21] offset:48
	s_wait_loadcnt_dscnt 0x705
	scratch_store_b128 off, v[16:19], s62
	scratch_load_b128 v[16:19], off, off offset:48
	s_wait_loadcnt_dscnt 0x704
	scratch_store_b128 off, v[54:57], off
	s_wait_loadcnt_dscnt 0x603
	v_mul_f64_e32 v[20:21], v[60:61], v[56:57]
	v_mul_f64_e32 v[46:47], v[60:61], v[54:55]
	s_delay_alu instid0(VALU_DEP_2) | instskip(NEXT) | instid1(VALU_DEP_2)
	v_fmac_f64_e32 v[20:21], v[58:59], v[54:55]
	v_fma_f64 v[46:47], v[58:59], v[56:57], -v[46:47]
	s_delay_alu instid0(VALU_DEP_2) | instskip(NEXT) | instid1(VALU_DEP_2)
	v_add_f64_e32 v[20:21], 0, v[20:21]
	v_add_f64_e32 v[46:47], 0, v[46:47]
	s_wait_loadcnt_dscnt 0x402
	v_mul_f64_e32 v[58:59], v[64:65], v[6:7]
	v_mul_f64_e32 v[60:61], v[64:65], v[4:5]
	s_wait_loadcnt_dscnt 0x201
	v_mul_f64_e32 v[64:65], v[68:69], v[10:11]
	v_mul_f64_e32 v[68:69], v[68:69], v[8:9]
	s_delay_alu instid0(VALU_DEP_4) | instskip(NEXT) | instid1(VALU_DEP_4)
	v_fmac_f64_e32 v[58:59], v[62:63], v[4:5]
	v_fma_f64 v[4:5], v[62:63], v[6:7], -v[60:61]
	s_wait_loadcnt_dscnt 0x0
	v_mul_f64_e32 v[6:7], v[72:73], v[18:19]
	v_mul_f64_e32 v[60:61], v[72:73], v[16:17]
	v_fmac_f64_e32 v[64:65], v[66:67], v[8:9]
	v_fma_f64 v[8:9], v[66:67], v[10:11], -v[68:69]
	v_add_f64_e32 v[10:11], v[20:21], v[58:59]
	v_add_f64_e32 v[4:5], v[46:47], v[4:5]
	v_fmac_f64_e32 v[6:7], v[70:71], v[16:17]
	v_fma_f64 v[16:17], v[70:71], v[18:19], -v[60:61]
	s_delay_alu instid0(VALU_DEP_4) | instskip(NEXT) | instid1(VALU_DEP_4)
	v_add_f64_e32 v[10:11], v[10:11], v[64:65]
	v_add_f64_e32 v[4:5], v[4:5], v[8:9]
	s_delay_alu instid0(VALU_DEP_2) | instskip(NEXT) | instid1(VALU_DEP_2)
	v_add_f64_e32 v[6:7], v[10:11], v[6:7]
	v_add_f64_e32 v[8:9], v[4:5], v[16:17]
	s_wait_xcnt 0x0
	s_and_not1_saveexec_b32 s11, s9
	s_cbranch_execz .LBB372_69
.LBB372_77:                             ;   in Loop: Header=BB372_67 Depth=2
	s_wait_dscnt 0x0
	v_mov_b64_e32 v[6:7], 0
	v_mov_b64_e32 v[8:9], 0
	s_and_saveexec_b32 s46, s26
	s_cbranch_execz .LBB372_82
; %bb.78:                               ;   in Loop: Header=BB372_67 Depth=2
	v_mov_b32_e32 v3, v22
	s_mov_b32 s9, 0
	s_mov_b32 s47, s57
.LBB372_79:                             ;   Parent Loop BB372_3 Depth=1
                                        ;     Parent Loop BB372_67 Depth=2
                                        ; =>    This Inner Loop Header: Depth=3
	v_readfirstlane_b32 s48, v32
	v_readfirstlane_b32 s49, v33
	s_add_co_i32 s47, s47, -1
	flat_load_b128 v[4:7], v3, s[48:49] scale_offset
	s_wait_xcnt 0x0
	v_add_nc_u32_e32 v3, s53, v3
	s_wait_loadcnt_dscnt 0x0
	scratch_store_b128 off, v[4:7], s9
	s_wait_xcnt 0x0
	s_add_co_i32 s9, s9, 16
	s_cmp_eq_u32 s47, 0
	s_cbranch_scc0 .LBB372_79
; %bb.80:                               ;   in Loop: Header=BB372_67 Depth=2
	s_ashr_i32 s9, s8, 31
	v_mov_b64_e32 v[6:7], 0
	v_mov_b64_e32 v[8:9], 0
	v_lshl_add_u64 v[4:5], s[8:9], 4, v[44:45]
	s_mov_b32 s9, s63
	s_mov_b32 s47, s57
.LBB372_81:                             ;   Parent Loop BB372_3 Depth=1
                                        ;     Parent Loop BB372_67 Depth=2
                                        ; =>    This Inner Loop Header: Depth=3
	flat_load_b128 v[16:19], v[4:5] offset:-8
	scratch_load_b128 v[54:57], off, s9 offset:-8
	s_wait_xcnt 0x1
	v_add_nc_u64_e32 v[4:5], 16, v[4:5]
	s_add_co_i32 s47, s47, -1
	s_wait_xcnt 0x0
	s_add_co_i32 s9, s9, 16
	s_cmp_lg_u32 s47, 0
	s_wait_loadcnt_dscnt 0x0
	v_mul_f64_e32 v[10:11], v[18:19], v[56:57]
	v_mul_f64_e32 v[18:19], v[18:19], v[54:55]
	s_delay_alu instid0(VALU_DEP_2) | instskip(NEXT) | instid1(VALU_DEP_2)
	v_fmac_f64_e32 v[10:11], v[16:17], v[54:55]
	v_fma_f64 v[16:17], v[16:17], v[56:57], -v[18:19]
	s_delay_alu instid0(VALU_DEP_2) | instskip(NEXT) | instid1(VALU_DEP_2)
	v_add_f64_e32 v[6:7], v[6:7], v[10:11]
	v_add_f64_e32 v[8:9], v[8:9], v[16:17]
	s_cbranch_scc1 .LBB372_81
.LBB372_82:                             ;   in Loop: Header=BB372_67 Depth=2
	s_or_b32 exec_lo, exec_lo, s46
	s_delay_alu instid0(SALU_CYCLE_1)
	s_or_b32 exec_lo, exec_lo, s11
	s_and_saveexec_b32 s9, s1
	s_cbranch_execnz .LBB372_70
	s_branch .LBB372_71
.LBB372_83:                             ;   in Loop: Header=BB372_67 Depth=2
	ds_load_b128 v[4:7], v49
	s_or_b32 exec_lo, exec_lo, s9
	s_and_saveexec_b32 s9, s1
	s_cbranch_execz .LBB372_75
.LBB372_84:                             ;   in Loop: Header=BB372_67 Depth=2
	s_wait_dscnt 0x0
	ds_bpermute_b32 v8, v13, v4
	ds_bpermute_b32 v9, v13, v5
	ds_bpermute_b32 v10, v13, v6
	ds_bpermute_b32 v11, v13, v7
	s_wait_dscnt 0x2
	v_add_f64_e32 v[4:5], v[4:5], v[8:9]
	s_wait_dscnt 0x0
	v_add_f64_e32 v[6:7], v[6:7], v[10:11]
	ds_bpermute_b32 v8, v14, v4
	ds_bpermute_b32 v9, v14, v5
	ds_bpermute_b32 v10, v14, v6
	ds_bpermute_b32 v11, v14, v7
	s_wait_dscnt 0x2
	v_add_f64_e32 v[4:5], v[4:5], v[8:9]
	s_wait_dscnt 0x0
	v_add_f64_e32 v[6:7], v[6:7], v[10:11]
	;; [unrolled: 8-line block ×3, first 2 shown]
	s_or_b32 exec_lo, exec_lo, s9
	s_and_saveexec_b32 s9, s0
	s_cbranch_execz .LBB372_66
.LBB372_85:                             ;   in Loop: Header=BB372_67 Depth=2
	s_wait_dscnt 0x0
	s_delay_alu instid0(VALU_DEP_1) | instskip(SKIP_2) | instid1(SALU_CYCLE_1)
	v_mul_f64_e32 v[10:11], s[14:15], v[6:7]
	v_mul_f64_e32 v[8:9], s[12:13], v[6:7]
	s_mul_u64 s[46:47], s[24:25], s[30:31]
	s_lshl_b64 s[46:47], s[46:47], 4
	s_delay_alu instid0(SALU_CYCLE_1) | instskip(NEXT) | instid1(VALU_DEP_2)
	s_add_nc_u64 s[46:47], s[6:7], s[46:47]
	v_fma_f64 v[6:7], s[12:13], v[4:5], -v[10:11]
	s_delay_alu instid0(VALU_DEP_2)
	v_fmac_f64_e32 v[8:9], s[14:15], v[4:5]
	global_store_b128 v2, v[6:9], s[46:47]
	s_branch .LBB372_66
.LBB372_86:
	s_sendmsg sendmsg(MSG_DEALLOC_VGPRS)
	s_endpgm
	.section	.rodata,"a",@progbits
	.p2align	6, 0x0
	.amdhsa_kernel _ZL23rocblas_gemvt_sn_kernelILb1ELi256ELi4EiPK19rocblas_complex_numIdES1_S1_EviiT4_lPKT3_lilS7_lilPT5_i
		.amdhsa_group_segment_fixed_size 512
		.amdhsa_private_segment_fixed_size 80
		.amdhsa_kernarg_size 368
		.amdhsa_user_sgpr_count 2
		.amdhsa_user_sgpr_dispatch_ptr 0
		.amdhsa_user_sgpr_queue_ptr 0
		.amdhsa_user_sgpr_kernarg_segment_ptr 1
		.amdhsa_user_sgpr_dispatch_id 0
		.amdhsa_user_sgpr_kernarg_preload_length 0
		.amdhsa_user_sgpr_kernarg_preload_offset 0
		.amdhsa_user_sgpr_private_segment_size 0
		.amdhsa_wavefront_size32 1
		.amdhsa_uses_dynamic_stack 0
		.amdhsa_enable_private_segment 1
		.amdhsa_system_sgpr_workgroup_id_x 1
		.amdhsa_system_sgpr_workgroup_id_y 0
		.amdhsa_system_sgpr_workgroup_id_z 1
		.amdhsa_system_sgpr_workgroup_info 0
		.amdhsa_system_vgpr_workitem_id 0
		.amdhsa_next_free_vgpr 134
		.amdhsa_next_free_sgpr 71
		.amdhsa_named_barrier_count 0
		.amdhsa_reserve_vcc 1
		.amdhsa_float_round_mode_32 0
		.amdhsa_float_round_mode_16_64 0
		.amdhsa_float_denorm_mode_32 3
		.amdhsa_float_denorm_mode_16_64 3
		.amdhsa_fp16_overflow 0
		.amdhsa_memory_ordered 1
		.amdhsa_forward_progress 1
		.amdhsa_inst_pref_size 49
		.amdhsa_round_robin_scheduling 0
		.amdhsa_exception_fp_ieee_invalid_op 0
		.amdhsa_exception_fp_denorm_src 0
		.amdhsa_exception_fp_ieee_div_zero 0
		.amdhsa_exception_fp_ieee_overflow 0
		.amdhsa_exception_fp_ieee_underflow 0
		.amdhsa_exception_fp_ieee_inexact 0
		.amdhsa_exception_int_div_zero 0
	.end_amdhsa_kernel
	.section	.text._ZL23rocblas_gemvt_sn_kernelILb1ELi256ELi4EiPK19rocblas_complex_numIdES1_S1_EviiT4_lPKT3_lilS7_lilPT5_i,"axG",@progbits,_ZL23rocblas_gemvt_sn_kernelILb1ELi256ELi4EiPK19rocblas_complex_numIdES1_S1_EviiT4_lPKT3_lilS7_lilPT5_i,comdat
.Lfunc_end372:
	.size	_ZL23rocblas_gemvt_sn_kernelILb1ELi256ELi4EiPK19rocblas_complex_numIdES1_S1_EviiT4_lPKT3_lilS7_lilPT5_i, .Lfunc_end372-_ZL23rocblas_gemvt_sn_kernelILb1ELi256ELi4EiPK19rocblas_complex_numIdES1_S1_EviiT4_lPKT3_lilS7_lilPT5_i
                                        ; -- End function
	.set _ZL23rocblas_gemvt_sn_kernelILb1ELi256ELi4EiPK19rocblas_complex_numIdES1_S1_EviiT4_lPKT3_lilS7_lilPT5_i.num_vgpr, 134
	.set _ZL23rocblas_gemvt_sn_kernelILb1ELi256ELi4EiPK19rocblas_complex_numIdES1_S1_EviiT4_lPKT3_lilS7_lilPT5_i.num_agpr, 0
	.set _ZL23rocblas_gemvt_sn_kernelILb1ELi256ELi4EiPK19rocblas_complex_numIdES1_S1_EviiT4_lPKT3_lilS7_lilPT5_i.numbered_sgpr, 71
	.set _ZL23rocblas_gemvt_sn_kernelILb1ELi256ELi4EiPK19rocblas_complex_numIdES1_S1_EviiT4_lPKT3_lilS7_lilPT5_i.num_named_barrier, 0
	.set _ZL23rocblas_gemvt_sn_kernelILb1ELi256ELi4EiPK19rocblas_complex_numIdES1_S1_EviiT4_lPKT3_lilS7_lilPT5_i.private_seg_size, 80
	.set _ZL23rocblas_gemvt_sn_kernelILb1ELi256ELi4EiPK19rocblas_complex_numIdES1_S1_EviiT4_lPKT3_lilS7_lilPT5_i.uses_vcc, 1
	.set _ZL23rocblas_gemvt_sn_kernelILb1ELi256ELi4EiPK19rocblas_complex_numIdES1_S1_EviiT4_lPKT3_lilS7_lilPT5_i.uses_flat_scratch, 1
	.set _ZL23rocblas_gemvt_sn_kernelILb1ELi256ELi4EiPK19rocblas_complex_numIdES1_S1_EviiT4_lPKT3_lilS7_lilPT5_i.has_dyn_sized_stack, 0
	.set _ZL23rocblas_gemvt_sn_kernelILb1ELi256ELi4EiPK19rocblas_complex_numIdES1_S1_EviiT4_lPKT3_lilS7_lilPT5_i.has_recursion, 0
	.set _ZL23rocblas_gemvt_sn_kernelILb1ELi256ELi4EiPK19rocblas_complex_numIdES1_S1_EviiT4_lPKT3_lilS7_lilPT5_i.has_indirect_call, 0
	.section	.AMDGPU.csdata,"",@progbits
; Kernel info:
; codeLenInByte = 6228
; TotalNumSgprs: 73
; NumVgprs: 134
; ScratchSize: 80
; MemoryBound: 0
; FloatMode: 240
; IeeeMode: 1
; LDSByteSize: 512 bytes/workgroup (compile time only)
; SGPRBlocks: 0
; VGPRBlocks: 8
; NumSGPRsForWavesPerEU: 73
; NumVGPRsForWavesPerEU: 134
; NamedBarCnt: 0
; Occupancy: 7
; WaveLimiterHint : 1
; COMPUTE_PGM_RSRC2:SCRATCH_EN: 1
; COMPUTE_PGM_RSRC2:USER_SGPR: 2
; COMPUTE_PGM_RSRC2:TRAP_HANDLER: 0
; COMPUTE_PGM_RSRC2:TGID_X_EN: 1
; COMPUTE_PGM_RSRC2:TGID_Y_EN: 0
; COMPUTE_PGM_RSRC2:TGID_Z_EN: 1
; COMPUTE_PGM_RSRC2:TIDIG_COMP_CNT: 0
	.section	.text._ZL23rocblas_gemvt_sn_kernelILb1ELi256ELi4ElPK19rocblas_complex_numIdES1_S1_EviiT4_lPKT3_lilS7_lilPT5_i,"axG",@progbits,_ZL23rocblas_gemvt_sn_kernelILb1ELi256ELi4ElPK19rocblas_complex_numIdES1_S1_EviiT4_lPKT3_lilS7_lilPT5_i,comdat
	.globl	_ZL23rocblas_gemvt_sn_kernelILb1ELi256ELi4ElPK19rocblas_complex_numIdES1_S1_EviiT4_lPKT3_lilS7_lilPT5_i ; -- Begin function _ZL23rocblas_gemvt_sn_kernelILb1ELi256ELi4ElPK19rocblas_complex_numIdES1_S1_EviiT4_lPKT3_lilS7_lilPT5_i
	.p2align	8
	.type	_ZL23rocblas_gemvt_sn_kernelILb1ELi256ELi4ElPK19rocblas_complex_numIdES1_S1_EviiT4_lPKT3_lilS7_lilPT5_i,@function
_ZL23rocblas_gemvt_sn_kernelILb1ELi256ELi4ElPK19rocblas_complex_numIdES1_S1_EviiT4_lPKT3_lilS7_lilPT5_i: ; @_ZL23rocblas_gemvt_sn_kernelILb1ELi256ELi4ElPK19rocblas_complex_numIdES1_S1_EviiT4_lPKT3_lilS7_lilPT5_i
; %bb.0:
	s_load_b32 s33, s[0:1], 0x68
	s_bfe_u32 s2, ttmp6, 0x40014
	s_lshr_b32 s3, ttmp7, 16
	s_add_co_i32 s2, s2, 1
	s_bfe_u32 s4, ttmp6, 0x40008
	s_mul_i32 s2, s3, s2
	s_getreg_b32 s6, hwreg(HW_REG_IB_STS2, 6, 4)
	s_add_co_i32 s4, s4, s2
	s_cmp_eq_u32 s6, 0
	s_mov_b32 s25, 0
	s_cselect_b32 s10, s3, s4
	s_wait_kmcnt 0x0
	s_cmp_ge_u32 s10, s33
	s_cbranch_scc1 .LBB373_86
; %bb.1:
	s_clause 0x7
	s_load_b128 s[12:15], s[0:1], 0x8
	s_load_b32 s26, s[0:1], 0x30
	s_load_b32 s4, s[0:1], 0x50
	s_load_b64 s[28:29], s[0:1], 0x0
	s_load_b128 s[16:19], s[0:1], 0x20
	s_load_b128 s[20:23], s[0:1], 0x40
	s_load_b64 s[30:31], s[0:1], 0x60
	s_load_b32 s34, s[0:1], 0x70
	s_wait_xcnt 0x0
	v_cmp_eq_u32_e64 s0, 0, v0
	s_mov_b32 s35, s25
	v_dual_lshrrev_b32 v2, 1, v0 :: v_dual_bitop2_b32 v1, 31, v0 bitop3:0x40
	v_cmp_gt_u32_e64 s1, 32, v0
	v_cmp_gt_u32_e64 s2, 8, v0
	v_mbcnt_lo_u32_b32 v54, -1, 0
	s_delay_alu instid0(VALU_DEP_4)
	v_cmp_eq_u32_e64 s3, 0, v1
	v_and_b32_e32 v57, 0x70, v2
	s_mov_b32 s60, 16
	s_mov_b32 s61, 32
	v_lshl_or_b32 v58, v54, 2, 64
	s_mov_b32 s62, 48
	s_wait_kmcnt 0x0
	s_ashr_i32 s27, s26, 31
	s_ashr_i32 s5, s4, 31
	;; [unrolled: 1-line block ×3, first 2 shown]
	v_cmp_neq_f64_e64 s8, s[12:13], 0
	v_cmp_neq_f64_e64 s9, s[14:15], 0
	s_or_b32 s8, s8, s9
	s_delay_alu instid0(SALU_CYCLE_1)
	s_xor_b32 s54, s8, -1
	s_cmp_gt_i32 s29, 0
	v_cndmask_b32_e64 v55, 0, 1, s8
	s_cselect_b32 s8, -1, 0
	s_bfe_u32 s9, ttmp6, 0x4000c
	s_and_b32 s11, ttmp6, 15
	s_add_co_i32 s9, s9, 1
	s_and_b32 s55, s0, s8
	s_mul_i32 s9, ttmp9, s9
	s_delay_alu instid0(SALU_CYCLE_1)
	s_add_co_i32 s11, s11, s9
	s_cmp_eq_u32 s6, 0
	s_mov_b32 s6, s29
	s_cselect_b32 s24, ttmp9, s11
	s_mul_u64 s[36:37], s[6:7], s[34:35]
	s_lshl_b32 s6, s24, 10
	s_delay_alu instid0(SALU_CYCLE_1)
	v_lshl_or_b32 v20, v0, 2, s6
	s_lshr_b32 s6, s7, 30
	s_ashr_i32 s7, s28, 31
	v_lshlrev_b32_e32 v56, 4, v1
	s_lshr_b32 s7, s7, 30
	v_dual_ashrrev_i32 v21, 31, v20 :: v_dual_bitop2_b32 v2, 2, v20 bitop3:0x54
	v_or_b32_e32 v0, 1, v20
	s_add_co_i32 s6, s29, s6
	s_add_co_i32 s7, s28, s7
	s_and_b32 s56, s6, -4
	s_and_b32 s6, s7, -4
	v_lshlrev_b64_e32 v[30:31], 4, v[20:21]
	v_dual_ashrrev_i32 v3, 31, v2 :: v_dual_ashrrev_i32 v1, 31, v0
	s_sub_co_i32 s57, s28, s6
	v_or_b32_e32 v4, 3, v20
	v_mul_u64_e32 v[22:23], s[4:5], v[20:21]
	s_cmp_gt_i32 s56, 0
	s_delay_alu instid0(VALU_DEP_4)
	v_or_b32_e32 v30, 8, v30
	v_mul_u64_e32 v[24:25], s[4:5], v[0:1]
	v_add_nc_u32_e32 v1, s57, v20
	v_ashrrev_i32_e32 v5, 31, v4
	v_add_nc_u32_e32 v0, 4, v20
	v_mul_u64_e32 v[26:27], s[4:5], v[2:3]
	s_cselect_b32 s58, -1, 0
	s_cmp_gt_i32 s57, 0
	v_mul_u64_e32 v[28:29], s[4:5], v[4:5]
	s_cselect_b32 s59, -1, 0
	s_lshl_b64 s[44:45], s[4:5], 4
	v_cmp_ge_i32_e64 s4, s28, v1
	s_lshl_b64 s[38:39], s[24:25], 4
	v_cmp_ge_i32_e64 s5, s28, v0
	v_mov_b32_e32 v0, 0
	s_add_nc_u64 s[6:7], s[30:31], s[38:39]
	s_or_b32 s63, 0, 8
	s_lshl_b64 s[40:41], s[36:37], 4
	s_lshl_b64 s[42:43], s[34:35], 4
	;; [unrolled: 1-line block ×3, first 2 shown]
	s_add_nc_u64 s[48:49], s[6:7], 8
	s_and_b32 s28, s59, s4
	s_lshl_b64 s[50:51], s[26:27], 4
	s_lshl_b64 s[18:19], s[18:19], 4
	s_lshl_b64 s[22:23], s[22:23], 4
	v_lshlrev_b64_e32 v[32:33], 4, v[22:23]
	s_branch .LBB373_3
.LBB373_2:                              ;   in Loop: Header=BB373_3 Depth=1
	s_add_co_i32 s10, s10, 0x10000
	s_delay_alu instid0(SALU_CYCLE_1)
	s_cmp_lt_u32 s10, s33
	s_cbranch_scc0 .LBB373_86
.LBB373_3:                              ; =>This Loop Header: Depth=1
                                        ;     Child Loop BB373_13 Depth 2
                                        ;     Child Loop BB373_18 Depth 2
                                        ;       Child Loop BB373_49 Depth 3
                                        ;       Child Loop BB373_51 Depth 3
                                        ;     Child Loop BB373_67 Depth 2
                                        ;       Child Loop BB373_79 Depth 3
                                        ;       Child Loop BB373_81 Depth 3
	s_mov_b32 s11, s25
	s_and_not1_b32 vcc_lo, exec_lo, s54
	s_mov_b32 s6, -1
	s_cbranch_vccz .LBB373_8
; %bb.4:                                ;   in Loop: Header=BB373_3 Depth=1
	s_wait_dscnt 0x0
	v_mov_b64_e32 v[4:5], 0
	v_mov_b64_e32 v[46:47], 0
	s_and_not1_b32 vcc_lo, exec_lo, s6
	s_cbranch_vccz .LBB373_9
.LBB373_5:                              ;   in Loop: Header=BB373_3 Depth=1
	v_cmp_ne_u32_e32 vcc_lo, 1, v55
	s_cbranch_vccz .LBB373_10
.LBB373_6:                              ;   in Loop: Header=BB373_3 Depth=1
	s_and_not1_b32 vcc_lo, exec_lo, s54
	s_wait_xcnt 0x0
	s_mov_b32 s6, -1
	s_cbranch_vccz .LBB373_11
.LBB373_7:                              ;   in Loop: Header=BB373_3 Depth=1
	s_and_not1_b32 vcc_lo, exec_lo, s6
	s_cbranch_vccnz .LBB373_2
	s_branch .LBB373_15
.LBB373_8:                              ;   in Loop: Header=BB373_3 Depth=1
	s_wait_dscnt 0x0
	v_mov_b64_e32 v[4:5], 0
	v_mov_b64_e32 v[46:47], 0
	s_cbranch_execnz .LBB373_5
.LBB373_9:                              ;   in Loop: Header=BB373_3 Depth=1
	s_lshl_b64 s[6:7], s[10:11], 3
	s_delay_alu instid0(SALU_CYCLE_1)
	s_add_nc_u64 s[6:7], s[16:17], s[6:7]
	global_load_b64 v[2:3], v0, s[6:7]
	s_wait_loadcnt 0x0
	v_add_nc_u64_e32 v[46:47], s[18:19], v[2:3]
	v_cmp_ne_u32_e32 vcc_lo, 1, v55
	s_cbranch_vccnz .LBB373_6
.LBB373_10:                             ;   in Loop: Header=BB373_3 Depth=1
	s_wait_xcnt 0x0
	s_lshl_b64 s[6:7], s[10:11], 3
	s_delay_alu instid0(SALU_CYCLE_1)
	s_add_nc_u64 s[6:7], s[20:21], s[6:7]
	global_load_b64 v[2:3], v0, s[6:7]
	s_wait_loadcnt 0x0
	v_add_nc_u64_e32 v[4:5], s[22:23], v[2:3]
	s_and_not1_b32 vcc_lo, exec_lo, s54
	s_wait_xcnt 0x0
	s_mov_b32 s6, -1
	s_cbranch_vccnz .LBB373_7
.LBB373_11:                             ;   in Loop: Header=BB373_3 Depth=1
	s_and_saveexec_b32 s8, s55
	s_cbranch_execz .LBB373_14
; %bb.12:                               ;   in Loop: Header=BB373_3 Depth=1
	s_mul_u64 s[6:7], s[40:41], s[10:11]
	s_mov_b32 s9, s29
	s_add_nc_u64 s[6:7], s[48:49], s[6:7]
.LBB373_13:                             ;   Parent Loop BB373_3 Depth=1
                                        ; =>  This Inner Loop Header: Depth=2
	v_dual_mov_b32 v1, v0 :: v_dual_mov_b32 v2, v0
	v_mov_b32_e32 v3, v0
	s_add_co_i32 s9, s9, -1
	s_delay_alu instid0(SALU_CYCLE_1)
	s_cmp_eq_u32 s9, 0
	global_store_b128 v0, v[0:3], s[6:7] offset:-8
	s_wait_xcnt 0x0
	s_add_nc_u64 s[6:7], s[6:7], s[42:43]
	s_cbranch_scc0 .LBB373_13
.LBB373_14:                             ;   in Loop: Header=BB373_3 Depth=1
	s_or_b32 exec_lo, exec_lo, s8
	s_cbranch_execnz .LBB373_2
.LBB373_15:                             ;   in Loop: Header=BB373_3 Depth=1
	s_mul_u64 s[6:7], s[36:37], s[10:11]
	v_add_nc_u64_e32 v[44:45], v[4:5], v[32:33]
	s_lshl_b64 s[52:53], s[6:7], 4
	v_lshl_add_u64 v[34:35], v[20:21], 4, v[46:47]
	v_lshl_add_u64 v[36:37], v[22:23], 4, v[4:5]
	;; [unrolled: 1-line block ×5, first 2 shown]
	v_cmp_gt_u32_e64 s7, 24, v54
	v_cmp_gt_u32_e64 s6, 28, v54
	;; [unrolled: 1-line block ×3, first 2 shown]
	v_cmp_ne_u32_e64 s8, 31, v54
	s_add_nc_u64 s[52:53], s[30:31], s[52:53]
	s_and_not1_b32 vcc_lo, exec_lo, s58
	s_add_nc_u64 s[52:53], s[52:53], s[38:39]
	s_cbranch_vccnz .LBB373_63
; %bb.16:                               ;   in Loop: Header=BB373_3 Depth=1
	v_cndmask_b32_e64 v1, 0, 8, s7
	v_cndmask_b32_e64 v2, 0, 4, s6
	;; [unrolled: 1-line block ×3, first 2 shown]
	v_add_co_ci_u32_e64 v6, null, 0, v54, s8
	v_add_nc_u64_e32 v[48:49], v[4:5], v[32:33]
	v_mov_b64_e32 v[50:51], v[34:35]
	v_add_lshl_u32 v59, v1, v54, 2
	v_add_lshl_u32 v60, v2, v54, 2
	v_add_lshl_u32 v61, v3, v54, 2
	v_lshlrev_b32_e32 v62, 2, v6
	s_mov_b32 s24, 0
	s_branch .LBB373_18
.LBB373_17:                             ;   in Loop: Header=BB373_18 Depth=2
	s_wait_xcnt 0x0
	s_or_b32 exec_lo, exec_lo, s6
	v_add_nc_u64_e32 v[50:51], s[46:47], v[50:51]
	s_add_co_i32 s24, s24, 4
	s_delay_alu instid0(SALU_CYCLE_1)
	s_cmp_ge_i32 s24, s56
	s_cbranch_scc1 .LBB373_64
.LBB373_18:                             ;   Parent Loop BB373_3 Depth=1
                                        ; =>  This Loop Header: Depth=2
                                        ;       Child Loop BB373_49 Depth 3
                                        ;       Child Loop BB373_51 Depth 3
                                        ; implicit-def: $vgpr16_vgpr17
                                        ; implicit-def: $vgpr18_vgpr19
                                        ; implicit-def: $vgpr12_vgpr13
                                        ; implicit-def: $vgpr14_vgpr15
                                        ; implicit-def: $vgpr8_vgpr9
                                        ; implicit-def: $vgpr10_vgpr11
                                        ; implicit-def: $vgpr6_vgpr7
                                        ; implicit-def: $vgpr4_vgpr5
	s_and_saveexec_b32 s6, s5
	s_delay_alu instid0(SALU_CYCLE_1)
	s_xor_b32 s8, exec_lo, s6
	s_cbranch_execnz .LBB373_45
; %bb.19:                               ;   in Loop: Header=BB373_18 Depth=2
	s_and_not1_saveexec_b32 s6, s8
	s_cbranch_execnz .LBB373_46
.LBB373_20:                             ;   in Loop: Header=BB373_18 Depth=2
	s_or_b32 exec_lo, exec_lo, s6
	s_and_saveexec_b32 s6, s1
.LBB373_21:                             ;   in Loop: Header=BB373_18 Depth=2
	v_dual_mov_b32 v1, v0 :: v_dual_mov_b32 v2, v0
	v_mov_b32_e32 v3, v0
	ds_store_b128 v56, v[0:3]
.LBB373_22:                             ;   in Loop: Header=BB373_18 Depth=2
	s_or_b32 exec_lo, exec_lo, s6
	ds_bpermute_b32 v2, v58, v6
	ds_bpermute_b32 v3, v58, v7
	;; [unrolled: 1-line block ×4, first 2 shown]
	s_wait_storecnt_dscnt 0x0
	s_barrier_signal -1
	s_barrier_wait -1
	v_add_f64_e32 v[2:3], v[6:7], v[2:3]
	v_add_f64_e32 v[4:5], v[4:5], v[52:53]
	ds_bpermute_b32 v6, v59, v2
	ds_bpermute_b32 v7, v59, v3
	ds_bpermute_b32 v52, v59, v4
	ds_bpermute_b32 v53, v59, v5
	s_wait_dscnt 0x2
	v_add_f64_e32 v[2:3], v[2:3], v[6:7]
	s_wait_dscnt 0x0
	v_add_f64_e32 v[4:5], v[4:5], v[52:53]
	ds_bpermute_b32 v6, v60, v2
	ds_bpermute_b32 v7, v60, v3
	ds_bpermute_b32 v52, v60, v4
	ds_bpermute_b32 v53, v60, v5
	s_wait_dscnt 0x2
	v_add_f64_e32 v[2:3], v[2:3], v[6:7]
	s_wait_dscnt 0x0
	;; [unrolled: 8-line block ×3, first 2 shown]
	v_add_f64_e32 v[6:7], v[4:5], v[52:53]
	ds_bpermute_b32 v4, v62, v2
	ds_bpermute_b32 v5, v62, v3
	;; [unrolled: 1-line block ×4, first 2 shown]
	s_and_saveexec_b32 s6, s3
	s_cbranch_execz .LBB373_24
; %bb.23:                               ;   in Loop: Header=BB373_18 Depth=2
	s_wait_dscnt 0x0
	v_add_f64_e32 v[6:7], v[6:7], v[52:53]
	v_add_f64_e32 v[4:5], v[2:3], v[4:5]
	ds_store_b128 v57, v[4:7]
.LBB373_24:                             ;   in Loop: Header=BB373_18 Depth=2
	s_or_b32 exec_lo, exec_lo, s6
	v_mov_b64_e32 v[6:7], 0
	s_wait_dscnt 0x2
	v_mov_b64_e32 v[4:5], 0
	s_wait_dscnt 0x0
	s_barrier_signal -1
	s_barrier_wait -1
	s_and_saveexec_b32 s6, s2
	s_cbranch_execnz .LBB373_52
; %bb.25:                               ;   in Loop: Header=BB373_18 Depth=2
	s_or_b32 exec_lo, exec_lo, s6
	s_and_saveexec_b32 s6, s1
	s_cbranch_execnz .LBB373_53
.LBB373_26:                             ;   in Loop: Header=BB373_18 Depth=2
	s_or_b32 exec_lo, exec_lo, s6
	s_and_saveexec_b32 s6, s1
.LBB373_27:                             ;   in Loop: Header=BB373_18 Depth=2
	v_dual_mov_b32 v1, v0 :: v_dual_mov_b32 v2, v0
	v_mov_b32_e32 v3, v0
	ds_store_b128 v56, v[0:3]
.LBB373_28:                             ;   in Loop: Header=BB373_18 Depth=2
	s_or_b32 exec_lo, exec_lo, s6
	ds_bpermute_b32 v2, v58, v8
	ds_bpermute_b32 v3, v58, v9
	;; [unrolled: 1-line block ×4, first 2 shown]
	s_wait_dscnt 0x0
	s_barrier_signal -1
	s_barrier_wait -1
	v_add_f64_e32 v[2:3], v[8:9], v[2:3]
	v_add_f64_e32 v[8:9], v[10:11], v[52:53]
	ds_bpermute_b32 v10, v59, v2
	ds_bpermute_b32 v11, v59, v3
	ds_bpermute_b32 v52, v59, v8
	ds_bpermute_b32 v53, v59, v9
	s_wait_dscnt 0x2
	v_add_f64_e32 v[2:3], v[2:3], v[10:11]
	s_wait_dscnt 0x0
	v_add_f64_e32 v[8:9], v[8:9], v[52:53]
	ds_bpermute_b32 v10, v60, v2
	ds_bpermute_b32 v11, v60, v3
	ds_bpermute_b32 v52, v60, v8
	ds_bpermute_b32 v53, v60, v9
	s_wait_dscnt 0x2
	v_add_f64_e32 v[2:3], v[2:3], v[10:11]
	s_wait_dscnt 0x0
	;; [unrolled: 8-line block ×3, first 2 shown]
	v_add_f64_e32 v[10:11], v[8:9], v[52:53]
	ds_bpermute_b32 v8, v62, v2
	ds_bpermute_b32 v9, v62, v3
	;; [unrolled: 1-line block ×4, first 2 shown]
	s_and_saveexec_b32 s6, s3
	s_cbranch_execz .LBB373_30
; %bb.29:                               ;   in Loop: Header=BB373_18 Depth=2
	s_wait_dscnt 0x0
	v_add_f64_e32 v[10:11], v[10:11], v[52:53]
	v_add_f64_e32 v[8:9], v[2:3], v[8:9]
	ds_store_b128 v57, v[8:11]
.LBB373_30:                             ;   in Loop: Header=BB373_18 Depth=2
	s_or_b32 exec_lo, exec_lo, s6
	v_mov_b64_e32 v[10:11], 0
	s_wait_dscnt 0x2
	v_mov_b64_e32 v[8:9], 0
	s_wait_dscnt 0x0
	s_barrier_signal -1
	s_barrier_wait -1
	s_and_saveexec_b32 s6, s2
	s_cbranch_execnz .LBB373_54
; %bb.31:                               ;   in Loop: Header=BB373_18 Depth=2
	s_or_b32 exec_lo, exec_lo, s6
	s_and_saveexec_b32 s6, s1
	s_cbranch_execnz .LBB373_55
.LBB373_32:                             ;   in Loop: Header=BB373_18 Depth=2
	s_or_b32 exec_lo, exec_lo, s6
	s_and_saveexec_b32 s6, s1
.LBB373_33:                             ;   in Loop: Header=BB373_18 Depth=2
	v_dual_mov_b32 v1, v0 :: v_dual_mov_b32 v2, v0
	v_mov_b32_e32 v3, v0
	ds_store_b128 v56, v[0:3]
.LBB373_34:                             ;   in Loop: Header=BB373_18 Depth=2
	s_or_b32 exec_lo, exec_lo, s6
	ds_bpermute_b32 v2, v58, v12
	ds_bpermute_b32 v3, v58, v13
	;; [unrolled: 1-line block ×4, first 2 shown]
	s_wait_dscnt 0x0
	s_barrier_signal -1
	s_barrier_wait -1
	v_add_f64_e32 v[2:3], v[12:13], v[2:3]
	v_add_f64_e32 v[12:13], v[14:15], v[52:53]
	ds_bpermute_b32 v14, v59, v2
	ds_bpermute_b32 v15, v59, v3
	ds_bpermute_b32 v52, v59, v12
	ds_bpermute_b32 v53, v59, v13
	s_wait_dscnt 0x2
	v_add_f64_e32 v[2:3], v[2:3], v[14:15]
	s_wait_dscnt 0x0
	v_add_f64_e32 v[12:13], v[12:13], v[52:53]
	ds_bpermute_b32 v14, v60, v2
	ds_bpermute_b32 v15, v60, v3
	ds_bpermute_b32 v52, v60, v12
	ds_bpermute_b32 v53, v60, v13
	s_wait_dscnt 0x2
	v_add_f64_e32 v[2:3], v[2:3], v[14:15]
	s_wait_dscnt 0x0
	;; [unrolled: 8-line block ×3, first 2 shown]
	v_add_f64_e32 v[14:15], v[12:13], v[52:53]
	ds_bpermute_b32 v12, v62, v2
	ds_bpermute_b32 v13, v62, v3
	;; [unrolled: 1-line block ×4, first 2 shown]
	s_and_saveexec_b32 s6, s3
	s_cbranch_execz .LBB373_36
; %bb.35:                               ;   in Loop: Header=BB373_18 Depth=2
	s_wait_dscnt 0x0
	v_add_f64_e32 v[14:15], v[14:15], v[52:53]
	v_add_f64_e32 v[12:13], v[2:3], v[12:13]
	ds_store_b128 v57, v[12:15]
.LBB373_36:                             ;   in Loop: Header=BB373_18 Depth=2
	s_or_b32 exec_lo, exec_lo, s6
	v_mov_b64_e32 v[14:15], 0
	s_wait_dscnt 0x2
	v_mov_b64_e32 v[12:13], 0
	s_wait_dscnt 0x0
	s_barrier_signal -1
	s_barrier_wait -1
	s_and_saveexec_b32 s6, s2
	s_cbranch_execnz .LBB373_56
; %bb.37:                               ;   in Loop: Header=BB373_18 Depth=2
	s_or_b32 exec_lo, exec_lo, s6
	s_and_saveexec_b32 s6, s1
	s_cbranch_execnz .LBB373_57
.LBB373_38:                             ;   in Loop: Header=BB373_18 Depth=2
	s_or_b32 exec_lo, exec_lo, s6
	s_and_saveexec_b32 s6, s1
.LBB373_39:                             ;   in Loop: Header=BB373_18 Depth=2
	v_dual_mov_b32 v1, v0 :: v_dual_mov_b32 v2, v0
	v_mov_b32_e32 v3, v0
	ds_store_b128 v56, v[0:3]
.LBB373_40:                             ;   in Loop: Header=BB373_18 Depth=2
	s_or_b32 exec_lo, exec_lo, s6
	ds_bpermute_b32 v2, v58, v16
	ds_bpermute_b32 v3, v58, v17
	;; [unrolled: 1-line block ×4, first 2 shown]
	s_wait_dscnt 0x0
	s_barrier_signal -1
	s_barrier_wait -1
	v_add_f64_e32 v[2:3], v[16:17], v[2:3]
	v_add_f64_e32 v[16:17], v[18:19], v[52:53]
	ds_bpermute_b32 v18, v59, v2
	ds_bpermute_b32 v19, v59, v3
	ds_bpermute_b32 v52, v59, v16
	ds_bpermute_b32 v53, v59, v17
	s_wait_dscnt 0x2
	v_add_f64_e32 v[2:3], v[2:3], v[18:19]
	s_wait_dscnt 0x0
	v_add_f64_e32 v[16:17], v[16:17], v[52:53]
	ds_bpermute_b32 v18, v60, v2
	ds_bpermute_b32 v19, v60, v3
	ds_bpermute_b32 v52, v60, v16
	ds_bpermute_b32 v53, v60, v17
	s_wait_dscnt 0x2
	v_add_f64_e32 v[2:3], v[2:3], v[18:19]
	s_wait_dscnt 0x0
	;; [unrolled: 8-line block ×3, first 2 shown]
	v_add_f64_e32 v[18:19], v[16:17], v[52:53]
	ds_bpermute_b32 v16, v62, v2
	ds_bpermute_b32 v17, v62, v3
	;; [unrolled: 1-line block ×4, first 2 shown]
	s_and_saveexec_b32 s6, s3
	s_cbranch_execz .LBB373_42
; %bb.41:                               ;   in Loop: Header=BB373_18 Depth=2
	s_wait_dscnt 0x0
	v_add_f64_e32 v[18:19], v[18:19], v[52:53]
	v_add_f64_e32 v[16:17], v[2:3], v[16:17]
	ds_store_b128 v57, v[16:19]
.LBB373_42:                             ;   in Loop: Header=BB373_18 Depth=2
	s_or_b32 exec_lo, exec_lo, s6
	v_mov_b64_e32 v[18:19], 0
	s_wait_dscnt 0x2
	v_mov_b64_e32 v[16:17], 0
	s_wait_dscnt 0x0
	s_barrier_signal -1
	s_barrier_wait -1
	s_and_saveexec_b32 s6, s2
	s_cbranch_execnz .LBB373_58
; %bb.43:                               ;   in Loop: Header=BB373_18 Depth=2
	s_or_b32 exec_lo, exec_lo, s6
	s_and_saveexec_b32 s6, s1
	s_cbranch_execnz .LBB373_59
.LBB373_44:                             ;   in Loop: Header=BB373_18 Depth=2
	s_or_b32 exec_lo, exec_lo, s6
	s_and_saveexec_b32 s6, s0
	s_cbranch_execz .LBB373_17
	s_branch .LBB373_60
.LBB373_45:                             ;   in Loop: Header=BB373_18 Depth=2
	s_clause 0x2
	flat_load_b128 v[2:5], v[38:39]
	flat_load_b128 v[6:9], v[40:41]
	;; [unrolled: 1-line block ×3, first 2 shown]
	s_mul_u64 s[6:7], s[24:25], s[26:27]
	s_or_b32 s64, s24, 1
	s_mov_b32 s65, s25
	s_or_b32 s66, s24, 2
	s_mov_b32 s67, s25
	;; [unrolled: 2-line block ×3, first 2 shown]
	s_wait_dscnt 0x3
	v_lshl_add_u64 v[18:19], s[6:7], 4, v[34:35]
	s_mul_u64 s[6:7], s[64:65], s[26:27]
	s_mul_u64 s[64:65], s[66:67], s[26:27]
	v_lshl_add_u64 v[52:53], s[6:7], 4, v[34:35]
	s_mul_u64 s[6:7], s[68:69], s[26:27]
	v_lshl_add_u64 v[120:121], s[64:65], 4, v[34:35]
	v_lshl_add_u64 v[124:125], s[6:7], 4, v[34:35]
	flat_load_b128 v[64:67], v[36:37]
	s_clause 0x4
	flat_load_b128 v[14:17], v[18:19]
	flat_load_b128 v[68:71], v[52:53]
	;; [unrolled: 1-line block ×4, first 2 shown]
	flat_load_b128 v[80:83], v[18:19] offset:16
	s_wait_loadcnt_dscnt 0x808
	scratch_store_b128 off, v[2:5], s60
	scratch_load_b128 v[2:5], off, off offset:16
	s_clause 0x3
	flat_load_b128 v[84:87], v[52:53] offset:16
	flat_load_b128 v[88:91], v[120:121] offset:16
	flat_load_b128 v[92:95], v[124:125] offset:16
	flat_load_b128 v[96:99], v[18:19] offset:32
	s_wait_loadcnt_dscnt 0xc0b
	scratch_store_b128 off, v[6:9], s61
	scratch_load_b128 v[6:9], off, off offset:32
	s_clause 0x3
	flat_load_b128 v[100:103], v[52:53] offset:32
	flat_load_b128 v[104:107], v[120:121] offset:32
	flat_load_b128 v[108:111], v[124:125] offset:32
	flat_load_b128 v[112:115], v[18:19] offset:48
	s_wait_loadcnt_dscnt 0x100e
	scratch_store_b128 off, v[10:13], s62
	scratch_load_b128 v[10:13], off, off offset:48
	s_clause 0x2
	flat_load_b128 v[116:119], v[52:53] offset:48
	flat_load_b128 v[120:123], v[120:121] offset:48
	flat_load_b128 v[124:127], v[124:125] offset:48
	s_wait_loadcnt_dscnt 0x1310
	scratch_store_b128 off, v[64:67], off
	s_wait_loadcnt_dscnt 0x120f
	v_mul_f64_e32 v[18:19], v[66:67], v[16:17]
	v_mul_f64_e32 v[16:17], v[64:65], v[16:17]
	s_wait_loadcnt_dscnt 0x110e
	s_wait_xcnt 0x3
	v_mul_f64_e32 v[52:53], v[66:67], v[70:71]
	v_mul_f64_e32 v[70:71], v[64:65], v[70:71]
	s_wait_loadcnt_dscnt 0x100d
	v_mul_f64_e32 v[128:129], v[66:67], v[74:75]
	v_mul_f64_e32 v[74:75], v[64:65], v[74:75]
	s_wait_loadcnt_dscnt 0xf0c
	v_mul_f64_e32 v[130:131], v[66:67], v[78:79]
	v_mul_f64_e32 v[78:79], v[64:65], v[78:79]
	v_fmac_f64_e32 v[18:19], v[64:65], v[14:15]
	v_fma_f64 v[14:15], v[66:67], v[14:15], -v[16:17]
	v_fmac_f64_e32 v[52:53], v[64:65], v[68:69]
	v_fma_f64 v[16:17], v[66:67], v[68:69], -v[70:71]
	;; [unrolled: 2-line block ×4, first 2 shown]
	v_add_f64_e32 v[18:19], 0, v[18:19]
	v_add_f64_e32 v[14:15], 0, v[14:15]
	;; [unrolled: 1-line block ×8, first 2 shown]
	s_wait_loadcnt_dscnt 0xd0b
	v_mul_f64_e32 v[72:73], v[4:5], v[82:83]
	v_mul_f64_e32 v[74:75], v[2:3], v[82:83]
	s_wait_loadcnt_dscnt 0xc0a
	v_mul_f64_e32 v[76:77], v[4:5], v[86:87]
	v_mul_f64_e32 v[78:79], v[2:3], v[86:87]
	;; [unrolled: 3-line block ×8, first 2 shown]
	v_fmac_f64_e32 v[72:73], v[2:3], v[80:81]
	v_fma_f64 v[74:75], v[4:5], v[80:81], -v[74:75]
	v_fmac_f64_e32 v[76:77], v[2:3], v[84:85]
	v_fma_f64 v[78:79], v[4:5], v[84:85], -v[78:79]
	;; [unrolled: 2-line block ×4, first 2 shown]
	s_wait_loadcnt_dscnt 0x303
	v_mul_f64_e32 v[4:5], v[12:13], v[114:115]
	v_mul_f64_e32 v[84:85], v[10:11], v[114:115]
	s_wait_loadcnt_dscnt 0x202
	v_mul_f64_e32 v[86:87], v[12:13], v[118:119]
	v_mul_f64_e32 v[88:89], v[10:11], v[118:119]
	;; [unrolled: 3-line block ×4, first 2 shown]
	v_fmac_f64_e32 v[132:133], v[6:7], v[96:97]
	v_fma_f64 v[96:97], v[8:9], v[96:97], -v[98:99]
	v_fmac_f64_e32 v[134:135], v[6:7], v[100:101]
	v_fma_f64 v[98:99], v[8:9], v[100:101], -v[102:103]
	;; [unrolled: 2-line block ×4, first 2 shown]
	v_add_f64_e32 v[8:9], v[18:19], v[72:73]
	v_add_f64_e32 v[14:15], v[14:15], v[74:75]
	;; [unrolled: 1-line block ×8, first 2 shown]
	v_fmac_f64_e32 v[4:5], v[10:11], v[112:113]
	v_fma_f64 v[70:71], v[12:13], v[112:113], -v[84:85]
	v_fmac_f64_e32 v[86:87], v[10:11], v[116:117]
	v_fma_f64 v[74:75], v[12:13], v[116:117], -v[88:89]
	;; [unrolled: 2-line block ×4, first 2 shown]
	v_add_f64_e32 v[8:9], v[8:9], v[132:133]
	v_add_f64_e32 v[10:11], v[14:15], v[96:97]
	;; [unrolled: 1-line block ×16, first 2 shown]
	s_wait_xcnt 0x0
	s_and_not1_saveexec_b32 s6, s8
	s_cbranch_execz .LBB373_20
.LBB373_46:                             ;   in Loop: Header=BB373_18 Depth=2
	s_wait_dscnt 0x0
	v_mov_b64_e32 v[16:17], 0
	v_mov_b64_e32 v[18:19], 0
	;; [unrolled: 1-line block ×8, first 2 shown]
	s_and_saveexec_b32 s7, s4
	s_cbranch_execz .LBB373_62
; %bb.47:                               ;   in Loop: Header=BB373_18 Depth=2
	s_and_not1_b32 vcc_lo, exec_lo, s59
	s_cbranch_vccnz .LBB373_61
; %bb.48:                               ;   in Loop: Header=BB373_18 Depth=2
	v_mov_b64_e32 v[2:3], v[48:49]
	s_mov_b32 s8, 0
	s_mov_b32 s9, s57
.LBB373_49:                             ;   Parent Loop BB373_3 Depth=1
                                        ;     Parent Loop BB373_18 Depth=2
                                        ; =>    This Inner Loop Header: Depth=3
	flat_load_b128 v[4:7], v[2:3]
	s_wait_xcnt 0x0
	v_add_nc_u64_e32 v[2:3], s[44:45], v[2:3]
	s_add_co_i32 s9, s9, -1
	s_wait_loadcnt_dscnt 0x0
	scratch_store_b128 off, v[4:7], s8
	s_wait_xcnt 0x0
	s_add_co_i32 s8, s8, 16
	s_cmp_eq_u32 s9, 0
	s_cbranch_scc0 .LBB373_49
; %bb.50:                               ;   in Loop: Header=BB373_18 Depth=2
	v_mov_b64_e32 v[4:5], 0
	v_mov_b64_e32 v[6:7], 0
	;; [unrolled: 1-line block ×9, first 2 shown]
	s_mov_b32 s8, s63
	s_mov_b32 s9, s57
.LBB373_51:                             ;   Parent Loop BB373_3 Depth=1
                                        ;     Parent Loop BB373_18 Depth=2
                                        ; =>    This Inner Loop Header: Depth=3
	s_delay_alu instid0(VALU_DEP_1)
	v_add_nc_u64_e32 v[52:53], s[50:51], v[2:3]
	scratch_load_b128 v[64:67], off, s8 offset:-8
	s_add_co_i32 s9, s9, -1
	s_wait_xcnt 0x0
	s_add_co_i32 s8, s8, 16
	s_cmp_lg_u32 s9, 0
	v_add_nc_u64_e32 v[76:77], s[50:51], v[52:53]
	s_delay_alu instid0(VALU_DEP_1)
	v_add_nc_u64_e32 v[80:81], s[50:51], v[76:77]
	s_clause 0x3
	flat_load_b128 v[68:71], v[2:3]
	flat_load_b128 v[72:75], v[52:53]
	;; [unrolled: 1-line block ×4, first 2 shown]
	s_wait_xcnt 0x3
	v_add_nc_u64_e32 v[2:3], 16, v[2:3]
	s_wait_loadcnt_dscnt 0x303
	s_wait_xcnt 0x2
	v_mul_f64_e32 v[52:53], v[66:67], v[70:71]
	v_mul_f64_e32 v[70:71], v[64:65], v[70:71]
	s_wait_loadcnt_dscnt 0x202
	v_mul_f64_e32 v[84:85], v[66:67], v[74:75]
	v_mul_f64_e32 v[74:75], v[64:65], v[74:75]
	s_wait_loadcnt_dscnt 0x101
	v_mul_f64_e32 v[86:87], v[66:67], v[78:79]
	v_mul_f64_e32 v[78:79], v[64:65], v[78:79]
	s_wait_loadcnt_dscnt 0x0
	v_mul_f64_e32 v[88:89], v[66:67], v[82:83]
	v_mul_f64_e32 v[82:83], v[64:65], v[82:83]
	v_fmac_f64_e32 v[52:53], v[64:65], v[68:69]
	v_fma_f64 v[68:69], v[66:67], v[68:69], -v[70:71]
	v_fmac_f64_e32 v[84:85], v[64:65], v[72:73]
	v_fma_f64 v[70:71], v[66:67], v[72:73], -v[74:75]
	;; [unrolled: 2-line block ×4, first 2 shown]
	v_add_f64_e32 v[6:7], v[6:7], v[52:53]
	v_add_f64_e32 v[4:5], v[4:5], v[68:69]
	;; [unrolled: 1-line block ×8, first 2 shown]
	s_cbranch_scc1 .LBB373_51
	s_branch .LBB373_62
.LBB373_52:                             ;   in Loop: Header=BB373_18 Depth=2
	ds_load_b128 v[4:7], v56
	s_or_b32 exec_lo, exec_lo, s6
	s_and_saveexec_b32 s6, s1
	s_cbranch_execz .LBB373_26
.LBB373_53:                             ;   in Loop: Header=BB373_18 Depth=2
	s_wait_dscnt 0x0
	ds_bpermute_b32 v2, v60, v4
	ds_bpermute_b32 v3, v60, v5
	ds_bpermute_b32 v52, v60, v6
	ds_bpermute_b32 v53, v60, v7
	s_wait_dscnt 0x2
	v_add_f64_e32 v[2:3], v[4:5], v[2:3]
	s_wait_dscnt 0x0
	v_add_f64_e32 v[4:5], v[6:7], v[52:53]
	ds_bpermute_b32 v6, v61, v2
	ds_bpermute_b32 v7, v61, v3
	ds_bpermute_b32 v52, v61, v4
	ds_bpermute_b32 v53, v61, v5
	s_wait_dscnt 0x2
	v_add_f64_e32 v[2:3], v[2:3], v[6:7]
	s_wait_dscnt 0x0
	v_add_f64_e32 v[6:7], v[4:5], v[52:53]
	;; [unrolled: 8-line block ×3, first 2 shown]
	s_or_b32 exec_lo, exec_lo, s6
	s_and_saveexec_b32 s6, s1
	s_cbranch_execnz .LBB373_27
	s_branch .LBB373_28
.LBB373_54:                             ;   in Loop: Header=BB373_18 Depth=2
	ds_load_b128 v[8:11], v56
	s_or_b32 exec_lo, exec_lo, s6
	s_and_saveexec_b32 s6, s1
	s_cbranch_execz .LBB373_32
.LBB373_55:                             ;   in Loop: Header=BB373_18 Depth=2
	s_wait_dscnt 0x0
	ds_bpermute_b32 v2, v60, v8
	ds_bpermute_b32 v3, v60, v9
	ds_bpermute_b32 v52, v60, v10
	ds_bpermute_b32 v53, v60, v11
	s_wait_dscnt 0x2
	v_add_f64_e32 v[2:3], v[8:9], v[2:3]
	s_wait_dscnt 0x0
	v_add_f64_e32 v[8:9], v[10:11], v[52:53]
	ds_bpermute_b32 v10, v61, v2
	ds_bpermute_b32 v11, v61, v3
	ds_bpermute_b32 v52, v61, v8
	ds_bpermute_b32 v53, v61, v9
	s_wait_dscnt 0x2
	v_add_f64_e32 v[2:3], v[2:3], v[10:11]
	s_wait_dscnt 0x0
	v_add_f64_e32 v[10:11], v[8:9], v[52:53]
	;; [unrolled: 8-line block ×3, first 2 shown]
	s_or_b32 exec_lo, exec_lo, s6
	s_and_saveexec_b32 s6, s1
	s_cbranch_execnz .LBB373_33
	s_branch .LBB373_34
.LBB373_56:                             ;   in Loop: Header=BB373_18 Depth=2
	ds_load_b128 v[12:15], v56
	s_or_b32 exec_lo, exec_lo, s6
	s_and_saveexec_b32 s6, s1
	s_cbranch_execz .LBB373_38
.LBB373_57:                             ;   in Loop: Header=BB373_18 Depth=2
	s_wait_dscnt 0x0
	ds_bpermute_b32 v2, v60, v12
	ds_bpermute_b32 v3, v60, v13
	ds_bpermute_b32 v52, v60, v14
	ds_bpermute_b32 v53, v60, v15
	s_wait_dscnt 0x2
	v_add_f64_e32 v[2:3], v[12:13], v[2:3]
	s_wait_dscnt 0x0
	v_add_f64_e32 v[12:13], v[14:15], v[52:53]
	ds_bpermute_b32 v14, v61, v2
	ds_bpermute_b32 v15, v61, v3
	ds_bpermute_b32 v52, v61, v12
	ds_bpermute_b32 v53, v61, v13
	s_wait_dscnt 0x2
	v_add_f64_e32 v[2:3], v[2:3], v[14:15]
	s_wait_dscnt 0x0
	v_add_f64_e32 v[14:15], v[12:13], v[52:53]
	;; [unrolled: 8-line block ×3, first 2 shown]
	s_or_b32 exec_lo, exec_lo, s6
	s_and_saveexec_b32 s6, s1
	s_cbranch_execnz .LBB373_39
	s_branch .LBB373_40
.LBB373_58:                             ;   in Loop: Header=BB373_18 Depth=2
	ds_load_b128 v[16:19], v56
	s_or_b32 exec_lo, exec_lo, s6
	s_and_saveexec_b32 s6, s1
	s_cbranch_execz .LBB373_44
.LBB373_59:                             ;   in Loop: Header=BB373_18 Depth=2
	s_wait_dscnt 0x0
	ds_bpermute_b32 v2, v60, v16
	ds_bpermute_b32 v3, v60, v17
	ds_bpermute_b32 v52, v60, v18
	ds_bpermute_b32 v53, v60, v19
	s_wait_dscnt 0x2
	v_add_f64_e32 v[2:3], v[16:17], v[2:3]
	s_wait_dscnt 0x0
	v_add_f64_e32 v[16:17], v[18:19], v[52:53]
	ds_bpermute_b32 v18, v61, v2
	ds_bpermute_b32 v19, v61, v3
	ds_bpermute_b32 v52, v61, v16
	ds_bpermute_b32 v53, v61, v17
	s_wait_dscnt 0x2
	v_add_f64_e32 v[2:3], v[2:3], v[18:19]
	s_wait_dscnt 0x0
	v_add_f64_e32 v[18:19], v[16:17], v[52:53]
	ds_bpermute_b32 v16, v62, v2
	ds_bpermute_b32 v17, v62, v3
	ds_bpermute_b32 v52, v62, v18
	ds_bpermute_b32 v53, v62, v19
	s_wait_dscnt 0x2
	v_add_f64_e32 v[16:17], v[2:3], v[16:17]
	s_wait_dscnt 0x0
	v_add_f64_e32 v[18:19], v[18:19], v[52:53]
	s_or_b32 exec_lo, exec_lo, s6
	s_and_saveexec_b32 s6, s0
	s_cbranch_execz .LBB373_17
.LBB373_60:                             ;   in Loop: Header=BB373_18 Depth=2
	v_mul_f64_e32 v[2:3], s[14:15], v[6:7]
	v_mul_f64_e32 v[66:67], s[12:13], v[6:7]
	;; [unrolled: 1-line block ×6, first 2 shown]
	s_wait_dscnt 0x0
	v_mul_f64_e32 v[70:71], s[14:15], v[18:19]
	v_mul_f64_e32 v[14:15], s[12:13], v[18:19]
	s_or_b32 s64, s24, 1
	s_mov_b32 s65, s25
	s_mul_u64 s[8:9], s[24:25], s[34:35]
	s_or_b32 s66, s24, 2
	s_mov_b32 s67, s25
	s_or_b32 s68, s24, 3
	s_mov_b32 s69, s25
	s_mul_u64 s[64:65], s[64:65], s[34:35]
	s_lshl_b64 s[8:9], s[8:9], 4
	s_mul_u64 s[66:67], s[66:67], s[34:35]
	s_mul_u64 s[68:69], s[68:69], s[34:35]
	s_lshl_b64 s[64:65], s[64:65], 4
	s_add_nc_u64 s[8:9], s[52:53], s[8:9]
	s_lshl_b64 s[66:67], s[66:67], 4
	s_lshl_b64 s[68:69], s[68:69], 4
	s_add_nc_u64 s[64:65], s[52:53], s[64:65]
	s_add_nc_u64 s[66:67], s[52:53], s[66:67]
	;; [unrolled: 1-line block ×3, first 2 shown]
	v_fma_f64 v[64:65], s[12:13], v[4:5], -v[2:3]
	v_fmac_f64_e32 v[66:67], s[14:15], v[4:5]
	v_fma_f64 v[4:5], s[12:13], v[8:9], -v[52:53]
	v_fmac_f64_e32 v[6:7], s[14:15], v[8:9]
	;; [unrolled: 2-line block ×4, first 2 shown]
	s_clause 0x3
	global_store_b128 v0, v[64:67], s[8:9]
	global_store_b128 v0, v[4:7], s[64:65]
	;; [unrolled: 1-line block ×4, first 2 shown]
	s_branch .LBB373_17
.LBB373_61:                             ;   in Loop: Header=BB373_18 Depth=2
	v_mov_b64_e32 v[16:17], 0
	v_mov_b64_e32 v[18:19], 0
	v_mov_b64_e32 v[12:13], 0
	v_mov_b64_e32 v[14:15], 0
	v_mov_b64_e32 v[8:9], 0
	v_mov_b64_e32 v[10:11], 0
	v_mov_b64_e32 v[6:7], 0
	v_mov_b64_e32 v[4:5], 0
.LBB373_62:                             ;   in Loop: Header=BB373_18 Depth=2
	s_wait_xcnt 0x0
	s_or_b32 exec_lo, exec_lo, s7
	s_delay_alu instid0(SALU_CYCLE_1)
	s_or_b32 exec_lo, exec_lo, s6
	s_and_saveexec_b32 s6, s1
	s_cbranch_execnz .LBB373_21
	s_branch .LBB373_22
.LBB373_63:                             ;   in Loop: Header=BB373_3 Depth=1
	s_mov_b32 s24, 0
.LBB373_64:                             ;   in Loop: Header=BB373_3 Depth=1
	s_delay_alu instid0(SALU_CYCLE_1)
	s_cmp_ge_i32 s24, s29
	s_cbranch_scc1 .LBB373_2
; %bb.65:                               ;   in Loop: Header=BB373_3 Depth=1
	v_cmp_gt_u32_e32 vcc_lo, 24, v54
	v_add_nc_u64_e32 v[2:3], v[46:47], v[30:31]
	v_cndmask_b32_e64 v1, 0, 8, vcc_lo
	v_cmp_gt_u32_e32 vcc_lo, 28, v54
	s_delay_alu instid0(VALU_DEP_3) | instskip(NEXT) | instid1(VALU_DEP_3)
	v_mad_nc_u64_u32 v[6:7], s50, s24, v[2:3]
	v_add_lshl_u32 v12, v1, v54, 2
	v_cndmask_b32_e64 v2, 0, 4, vcc_lo
	v_cmp_gt_u32_e32 vcc_lo, 30, v54
	s_delay_alu instid0(VALU_DEP_2) | instskip(SKIP_3) | instid1(VALU_DEP_3)
	v_add_lshl_u32 v13, v2, v54, 2
	v_cndmask_b32_e64 v3, 0, 2, vcc_lo
	v_cmp_ne_u32_e32 vcc_lo, 31, v54
	v_mad_u32 v7, s51, s24, v7
	v_add_lshl_u32 v14, v3, v54, 2
	v_add_co_ci_u32_e64 v4, null, 0, v54, vcc_lo
	s_delay_alu instid0(VALU_DEP_1)
	v_lshlrev_b32_e32 v15, 2, v4
	s_branch .LBB373_67
.LBB373_66:                             ;   in Loop: Header=BB373_67 Depth=2
	s_wait_xcnt 0x0
	s_or_b32 exec_lo, exec_lo, s6
	v_add_nc_u64_e32 v[6:7], s[50:51], v[6:7]
	s_add_co_i32 s24, s24, 1
	s_delay_alu instid0(SALU_CYCLE_1)
	s_cmp_lt_i32 s24, s29
	s_cbranch_scc0 .LBB373_2
.LBB373_67:                             ;   Parent Loop BB373_3 Depth=1
                                        ; =>  This Loop Header: Depth=2
                                        ;       Child Loop BB373_79 Depth 3
                                        ;       Child Loop BB373_81 Depth 3
                                        ; implicit-def: $vgpr4_vgpr5
                                        ; implicit-def: $vgpr8_vgpr9
	s_and_saveexec_b32 s6, s5
	s_delay_alu instid0(SALU_CYCLE_1)
	s_xor_b32 s6, exec_lo, s6
	s_cbranch_execnz .LBB373_76
; %bb.68:                               ;   in Loop: Header=BB373_67 Depth=2
	s_and_not1_saveexec_b32 s6, s6
	s_cbranch_execnz .LBB373_77
.LBB373_69:                             ;   in Loop: Header=BB373_67 Depth=2
	s_or_b32 exec_lo, exec_lo, s6
	s_and_saveexec_b32 s6, s1
	s_cbranch_execz .LBB373_71
.LBB373_70:                             ;   in Loop: Header=BB373_67 Depth=2
	s_wait_dscnt 0x0
	v_dual_mov_b32 v1, v0 :: v_dual_mov_b32 v2, v0
	v_mov_b32_e32 v3, v0
	ds_store_b128 v56, v[0:3]
.LBB373_71:                             ;   in Loop: Header=BB373_67 Depth=2
	s_or_b32 exec_lo, exec_lo, s6
	s_wait_dscnt 0x0
	ds_bpermute_b32 v2, v58, v4
	ds_bpermute_b32 v3, v58, v5
	;; [unrolled: 1-line block ×4, first 2 shown]
	s_wait_storecnt_dscnt 0x0
	s_barrier_signal -1
	s_barrier_wait -1
	v_add_f64_e32 v[2:3], v[4:5], v[2:3]
	v_add_f64_e32 v[4:5], v[8:9], v[10:11]
	ds_bpermute_b32 v8, v12, v2
	ds_bpermute_b32 v9, v12, v3
	ds_bpermute_b32 v10, v12, v4
	ds_bpermute_b32 v11, v12, v5
	s_wait_dscnt 0x2
	v_add_f64_e32 v[2:3], v[2:3], v[8:9]
	s_wait_dscnt 0x0
	v_add_f64_e32 v[4:5], v[4:5], v[10:11]
	ds_bpermute_b32 v8, v13, v2
	ds_bpermute_b32 v9, v13, v3
	ds_bpermute_b32 v10, v13, v4
	ds_bpermute_b32 v11, v13, v5
	s_wait_dscnt 0x2
	v_add_f64_e32 v[2:3], v[2:3], v[8:9]
	s_wait_dscnt 0x0
	;; [unrolled: 8-line block ×3, first 2 shown]
	v_add_f64_e32 v[8:9], v[4:5], v[10:11]
	ds_bpermute_b32 v4, v15, v2
	ds_bpermute_b32 v5, v15, v3
	ds_bpermute_b32 v10, v15, v8
	ds_bpermute_b32 v11, v15, v9
	s_and_saveexec_b32 s6, s3
	s_cbranch_execz .LBB373_73
; %bb.72:                               ;   in Loop: Header=BB373_67 Depth=2
	s_wait_dscnt 0x0
	v_add_f64_e32 v[10:11], v[8:9], v[10:11]
	v_add_f64_e32 v[8:9], v[2:3], v[4:5]
	ds_store_b128 v57, v[8:11]
.LBB373_73:                             ;   in Loop: Header=BB373_67 Depth=2
	s_or_b32 exec_lo, exec_lo, s6
	s_wait_dscnt 0x2
	v_mov_b64_e32 v[4:5], 0
	v_mov_b64_e32 v[2:3], 0
	s_wait_dscnt 0x0
	s_barrier_signal -1
	s_barrier_wait -1
	s_and_saveexec_b32 s6, s2
	s_cbranch_execnz .LBB373_83
; %bb.74:                               ;   in Loop: Header=BB373_67 Depth=2
	s_or_b32 exec_lo, exec_lo, s6
	s_and_saveexec_b32 s6, s1
	s_cbranch_execnz .LBB373_84
.LBB373_75:                             ;   in Loop: Header=BB373_67 Depth=2
	s_or_b32 exec_lo, exec_lo, s6
	s_and_saveexec_b32 s6, s0
	s_cbranch_execz .LBB373_66
	s_branch .LBB373_85
.LBB373_76:                             ;   in Loop: Header=BB373_67 Depth=2
	s_wait_dscnt 0x0
	s_clause 0x1
	flat_load_b128 v[2:5], v[38:39]
	flat_load_b128 v[8:11], v[40:41]
	s_wait_dscnt 0x2
	flat_load_b128 v[16:19], v[42:43]
	s_mul_u64 s[8:9], s[24:25], s[26:27]
	s_delay_alu instid0(SALU_CYCLE_1)
	v_lshl_add_u64 v[68:69], s[8:9], 4, v[34:35]
	flat_load_b128 v[46:49], v[36:37]
	s_clause 0x1
	flat_load_b128 v[50:53], v[68:69]
	flat_load_b128 v[60:63], v[68:69] offset:16
	s_wait_loadcnt_dscnt 0x505
	scratch_store_b128 off, v[2:5], s60
	s_wait_loadcnt_dscnt 0x404
	scratch_store_b128 off, v[8:11], s61
	s_clause 0x1
	scratch_load_b128 v[2:5], off, off offset:16
	scratch_load_b128 v[8:11], off, off offset:32
	s_clause 0x1
	flat_load_b128 v[64:67], v[68:69] offset:32
	flat_load_b128 v[68:71], v[68:69] offset:48
	s_wait_loadcnt_dscnt 0x705
	scratch_store_b128 off, v[16:19], s62
	scratch_load_b128 v[16:19], off, off offset:48
	s_wait_loadcnt_dscnt 0x704
	scratch_store_b128 off, v[46:49], off
	s_wait_loadcnt_dscnt 0x603
	v_mul_f64_e32 v[72:73], v[52:53], v[48:49]
	v_mul_f64_e32 v[52:53], v[52:53], v[46:47]
	s_delay_alu instid0(VALU_DEP_2) | instskip(NEXT) | instid1(VALU_DEP_2)
	v_fmac_f64_e32 v[72:73], v[50:51], v[46:47]
	v_fma_f64 v[50:51], v[50:51], v[48:49], -v[52:53]
	s_delay_alu instid0(VALU_DEP_2) | instskip(NEXT) | instid1(VALU_DEP_2)
	v_add_f64_e32 v[72:73], 0, v[72:73]
	v_add_f64_e32 v[50:51], 0, v[50:51]
	s_wait_loadcnt_dscnt 0x402
	v_mul_f64_e32 v[52:53], v[62:63], v[4:5]
	v_mul_f64_e32 v[62:63], v[62:63], v[2:3]
	s_wait_loadcnt_dscnt 0x201
	v_mul_f64_e32 v[74:75], v[66:67], v[10:11]
	v_mul_f64_e32 v[66:67], v[66:67], v[8:9]
	s_delay_alu instid0(VALU_DEP_4) | instskip(NEXT) | instid1(VALU_DEP_4)
	v_fmac_f64_e32 v[52:53], v[60:61], v[2:3]
	v_fma_f64 v[2:3], v[60:61], v[4:5], -v[62:63]
	s_wait_loadcnt_dscnt 0x0
	v_mul_f64_e32 v[4:5], v[70:71], v[18:19]
	v_mul_f64_e32 v[60:61], v[70:71], v[16:17]
	v_fmac_f64_e32 v[74:75], v[64:65], v[8:9]
	v_fma_f64 v[8:9], v[64:65], v[10:11], -v[66:67]
	v_add_f64_e32 v[10:11], v[72:73], v[52:53]
	v_add_f64_e32 v[2:3], v[50:51], v[2:3]
	v_fmac_f64_e32 v[4:5], v[68:69], v[16:17]
	v_fma_f64 v[16:17], v[68:69], v[18:19], -v[60:61]
	s_delay_alu instid0(VALU_DEP_4) | instskip(NEXT) | instid1(VALU_DEP_4)
	v_add_f64_e32 v[10:11], v[10:11], v[74:75]
	v_add_f64_e32 v[2:3], v[2:3], v[8:9]
	s_delay_alu instid0(VALU_DEP_2) | instskip(NEXT) | instid1(VALU_DEP_2)
	v_add_f64_e32 v[4:5], v[10:11], v[4:5]
	v_add_f64_e32 v[8:9], v[2:3], v[16:17]
	s_wait_xcnt 0x0
	s_and_not1_saveexec_b32 s6, s6
	s_cbranch_execz .LBB373_69
.LBB373_77:                             ;   in Loop: Header=BB373_67 Depth=2
	s_wait_dscnt 0x0
	v_mov_b64_e32 v[4:5], 0
	v_mov_b64_e32 v[8:9], 0
	s_and_saveexec_b32 s7, s28
	s_cbranch_execz .LBB373_82
; %bb.78:                               ;   in Loop: Header=BB373_67 Depth=2
	v_mov_b64_e32 v[2:3], v[44:45]
	s_mov_b32 s8, 0
	s_mov_b32 s9, s57
.LBB373_79:                             ;   Parent Loop BB373_3 Depth=1
                                        ;     Parent Loop BB373_67 Depth=2
                                        ; =>    This Inner Loop Header: Depth=3
	flat_load_b128 v[8:11], v[2:3]
	s_wait_xcnt 0x0
	v_add_nc_u64_e32 v[2:3], s[44:45], v[2:3]
	s_add_co_i32 s9, s9, -1
	s_wait_loadcnt_dscnt 0x0
	scratch_store_b128 off, v[8:11], s8
	s_wait_xcnt 0x0
	s_add_co_i32 s8, s8, 16
	s_cmp_eq_u32 s9, 0
	s_cbranch_scc0 .LBB373_79
; %bb.80:                               ;   in Loop: Header=BB373_67 Depth=2
	v_mov_b64_e32 v[4:5], 0
	v_mov_b64_e32 v[8:9], 0
	;; [unrolled: 1-line block ×3, first 2 shown]
	s_mov_b32 s8, s63
	s_mov_b32 s9, s57
.LBB373_81:                             ;   Parent Loop BB373_3 Depth=1
                                        ;     Parent Loop BB373_67 Depth=2
                                        ; =>    This Inner Loop Header: Depth=3
	flat_load_b128 v[16:19], v[2:3] offset:-8
	scratch_load_b128 v[46:49], off, s8 offset:-8
	s_wait_xcnt 0x1
	v_add_nc_u64_e32 v[2:3], 16, v[2:3]
	s_add_co_i32 s9, s9, -1
	s_wait_xcnt 0x0
	s_add_co_i32 s8, s8, 16
	s_cmp_lg_u32 s9, 0
	s_wait_loadcnt_dscnt 0x0
	v_mul_f64_e32 v[10:11], v[18:19], v[48:49]
	v_mul_f64_e32 v[18:19], v[18:19], v[46:47]
	s_delay_alu instid0(VALU_DEP_2) | instskip(NEXT) | instid1(VALU_DEP_2)
	v_fmac_f64_e32 v[10:11], v[16:17], v[46:47]
	v_fma_f64 v[16:17], v[16:17], v[48:49], -v[18:19]
	s_delay_alu instid0(VALU_DEP_2) | instskip(NEXT) | instid1(VALU_DEP_2)
	v_add_f64_e32 v[4:5], v[4:5], v[10:11]
	v_add_f64_e32 v[8:9], v[8:9], v[16:17]
	s_cbranch_scc1 .LBB373_81
.LBB373_82:                             ;   in Loop: Header=BB373_67 Depth=2
	s_or_b32 exec_lo, exec_lo, s7
	s_delay_alu instid0(SALU_CYCLE_1)
	s_or_b32 exec_lo, exec_lo, s6
	s_and_saveexec_b32 s6, s1
	s_cbranch_execnz .LBB373_70
	s_branch .LBB373_71
.LBB373_83:                             ;   in Loop: Header=BB373_67 Depth=2
	ds_load_b128 v[2:5], v56
	s_or_b32 exec_lo, exec_lo, s6
	s_and_saveexec_b32 s6, s1
	s_cbranch_execz .LBB373_75
.LBB373_84:                             ;   in Loop: Header=BB373_67 Depth=2
	s_wait_dscnt 0x0
	ds_bpermute_b32 v8, v13, v2
	ds_bpermute_b32 v9, v13, v3
	ds_bpermute_b32 v10, v13, v4
	ds_bpermute_b32 v11, v13, v5
	s_wait_dscnt 0x2
	v_add_f64_e32 v[2:3], v[2:3], v[8:9]
	s_wait_dscnt 0x0
	v_add_f64_e32 v[4:5], v[4:5], v[10:11]
	ds_bpermute_b32 v8, v14, v2
	ds_bpermute_b32 v9, v14, v3
	ds_bpermute_b32 v10, v14, v4
	ds_bpermute_b32 v11, v14, v5
	s_wait_dscnt 0x2
	v_add_f64_e32 v[2:3], v[2:3], v[8:9]
	s_wait_dscnt 0x0
	v_add_f64_e32 v[4:5], v[4:5], v[10:11]
	;; [unrolled: 8-line block ×3, first 2 shown]
	s_or_b32 exec_lo, exec_lo, s6
	s_and_saveexec_b32 s6, s0
	s_cbranch_execz .LBB373_66
.LBB373_85:                             ;   in Loop: Header=BB373_67 Depth=2
	s_wait_dscnt 0x0
	s_delay_alu instid0(VALU_DEP_1) | instskip(SKIP_2) | instid1(SALU_CYCLE_1)
	v_mul_f64_e32 v[8:9], s[14:15], v[4:5]
	v_mul_f64_e32 v[10:11], s[12:13], v[4:5]
	s_mul_u64 s[8:9], s[24:25], s[34:35]
	s_lshl_b64 s[8:9], s[8:9], 4
	s_delay_alu instid0(SALU_CYCLE_1) | instskip(NEXT) | instid1(VALU_DEP_2)
	s_add_nc_u64 s[8:9], s[52:53], s[8:9]
	v_fma_f64 v[8:9], s[12:13], v[2:3], -v[8:9]
	s_delay_alu instid0(VALU_DEP_2)
	v_fmac_f64_e32 v[10:11], s[14:15], v[2:3]
	global_store_b128 v0, v[8:11], s[8:9]
	s_branch .LBB373_66
.LBB373_86:
	s_sendmsg sendmsg(MSG_DEALLOC_VGPRS)
	s_endpgm
	.section	.rodata,"a",@progbits
	.p2align	6, 0x0
	.amdhsa_kernel _ZL23rocblas_gemvt_sn_kernelILb1ELi256ELi4ElPK19rocblas_complex_numIdES1_S1_EviiT4_lPKT3_lilS7_lilPT5_i
		.amdhsa_group_segment_fixed_size 512
		.amdhsa_private_segment_fixed_size 80
		.amdhsa_kernarg_size 368
		.amdhsa_user_sgpr_count 2
		.amdhsa_user_sgpr_dispatch_ptr 0
		.amdhsa_user_sgpr_queue_ptr 0
		.amdhsa_user_sgpr_kernarg_segment_ptr 1
		.amdhsa_user_sgpr_dispatch_id 0
		.amdhsa_user_sgpr_kernarg_preload_length 0
		.amdhsa_user_sgpr_kernarg_preload_offset 0
		.amdhsa_user_sgpr_private_segment_size 0
		.amdhsa_wavefront_size32 1
		.amdhsa_uses_dynamic_stack 0
		.amdhsa_enable_private_segment 1
		.amdhsa_system_sgpr_workgroup_id_x 1
		.amdhsa_system_sgpr_workgroup_id_y 0
		.amdhsa_system_sgpr_workgroup_id_z 1
		.amdhsa_system_sgpr_workgroup_info 0
		.amdhsa_system_vgpr_workitem_id 0
		.amdhsa_next_free_vgpr 140
		.amdhsa_next_free_sgpr 70
		.amdhsa_named_barrier_count 0
		.amdhsa_reserve_vcc 1
		.amdhsa_float_round_mode_32 0
		.amdhsa_float_round_mode_16_64 0
		.amdhsa_float_denorm_mode_32 3
		.amdhsa_float_denorm_mode_16_64 3
		.amdhsa_fp16_overflow 0
		.amdhsa_memory_ordered 1
		.amdhsa_forward_progress 1
		.amdhsa_inst_pref_size 49
		.amdhsa_round_robin_scheduling 0
		.amdhsa_exception_fp_ieee_invalid_op 0
		.amdhsa_exception_fp_denorm_src 0
		.amdhsa_exception_fp_ieee_div_zero 0
		.amdhsa_exception_fp_ieee_overflow 0
		.amdhsa_exception_fp_ieee_underflow 0
		.amdhsa_exception_fp_ieee_inexact 0
		.amdhsa_exception_int_div_zero 0
	.end_amdhsa_kernel
	.section	.text._ZL23rocblas_gemvt_sn_kernelILb1ELi256ELi4ElPK19rocblas_complex_numIdES1_S1_EviiT4_lPKT3_lilS7_lilPT5_i,"axG",@progbits,_ZL23rocblas_gemvt_sn_kernelILb1ELi256ELi4ElPK19rocblas_complex_numIdES1_S1_EviiT4_lPKT3_lilS7_lilPT5_i,comdat
.Lfunc_end373:
	.size	_ZL23rocblas_gemvt_sn_kernelILb1ELi256ELi4ElPK19rocblas_complex_numIdES1_S1_EviiT4_lPKT3_lilS7_lilPT5_i, .Lfunc_end373-_ZL23rocblas_gemvt_sn_kernelILb1ELi256ELi4ElPK19rocblas_complex_numIdES1_S1_EviiT4_lPKT3_lilS7_lilPT5_i
                                        ; -- End function
	.set _ZL23rocblas_gemvt_sn_kernelILb1ELi256ELi4ElPK19rocblas_complex_numIdES1_S1_EviiT4_lPKT3_lilS7_lilPT5_i.num_vgpr, 140
	.set _ZL23rocblas_gemvt_sn_kernelILb1ELi256ELi4ElPK19rocblas_complex_numIdES1_S1_EviiT4_lPKT3_lilS7_lilPT5_i.num_agpr, 0
	.set _ZL23rocblas_gemvt_sn_kernelILb1ELi256ELi4ElPK19rocblas_complex_numIdES1_S1_EviiT4_lPKT3_lilS7_lilPT5_i.numbered_sgpr, 70
	.set _ZL23rocblas_gemvt_sn_kernelILb1ELi256ELi4ElPK19rocblas_complex_numIdES1_S1_EviiT4_lPKT3_lilS7_lilPT5_i.num_named_barrier, 0
	.set _ZL23rocblas_gemvt_sn_kernelILb1ELi256ELi4ElPK19rocblas_complex_numIdES1_S1_EviiT4_lPKT3_lilS7_lilPT5_i.private_seg_size, 80
	.set _ZL23rocblas_gemvt_sn_kernelILb1ELi256ELi4ElPK19rocblas_complex_numIdES1_S1_EviiT4_lPKT3_lilS7_lilPT5_i.uses_vcc, 1
	.set _ZL23rocblas_gemvt_sn_kernelILb1ELi256ELi4ElPK19rocblas_complex_numIdES1_S1_EviiT4_lPKT3_lilS7_lilPT5_i.uses_flat_scratch, 1
	.set _ZL23rocblas_gemvt_sn_kernelILb1ELi256ELi4ElPK19rocblas_complex_numIdES1_S1_EviiT4_lPKT3_lilS7_lilPT5_i.has_dyn_sized_stack, 0
	.set _ZL23rocblas_gemvt_sn_kernelILb1ELi256ELi4ElPK19rocblas_complex_numIdES1_S1_EviiT4_lPKT3_lilS7_lilPT5_i.has_recursion, 0
	.set _ZL23rocblas_gemvt_sn_kernelILb1ELi256ELi4ElPK19rocblas_complex_numIdES1_S1_EviiT4_lPKT3_lilS7_lilPT5_i.has_indirect_call, 0
	.section	.AMDGPU.csdata,"",@progbits
; Kernel info:
; codeLenInByte = 6212
; TotalNumSgprs: 72
; NumVgprs: 140
; ScratchSize: 80
; MemoryBound: 0
; FloatMode: 240
; IeeeMode: 1
; LDSByteSize: 512 bytes/workgroup (compile time only)
; SGPRBlocks: 0
; VGPRBlocks: 8
; NumSGPRsForWavesPerEU: 72
; NumVGPRsForWavesPerEU: 140
; NamedBarCnt: 0
; Occupancy: 7
; WaveLimiterHint : 1
; COMPUTE_PGM_RSRC2:SCRATCH_EN: 1
; COMPUTE_PGM_RSRC2:USER_SGPR: 2
; COMPUTE_PGM_RSRC2:TRAP_HANDLER: 0
; COMPUTE_PGM_RSRC2:TGID_X_EN: 1
; COMPUTE_PGM_RSRC2:TGID_Y_EN: 0
; COMPUTE_PGM_RSRC2:TGID_Z_EN: 1
; COMPUTE_PGM_RSRC2:TIDIG_COMP_CNT: 0
	.section	.text._ZL20rocblas_gemvt_kernelILb1ELi256EPK19rocblas_complex_numIdES3_KPS1_EviiT2_lPKT1_lilS9_lilS6_lPT3_lili,"axG",@progbits,_ZL20rocblas_gemvt_kernelILb1ELi256EPK19rocblas_complex_numIdES3_KPS1_EviiT2_lPKT1_lilS9_lilS6_lPT3_lili,comdat
	.globl	_ZL20rocblas_gemvt_kernelILb1ELi256EPK19rocblas_complex_numIdES3_KPS1_EviiT2_lPKT1_lilS9_lilS6_lPT3_lili ; -- Begin function _ZL20rocblas_gemvt_kernelILb1ELi256EPK19rocblas_complex_numIdES3_KPS1_EviiT2_lPKT1_lilS9_lilS6_lPT3_lili
	.p2align	8
	.type	_ZL20rocblas_gemvt_kernelILb1ELi256EPK19rocblas_complex_numIdES3_KPS1_EviiT2_lPKT1_lilS9_lilS6_lPT3_lili,@function
_ZL20rocblas_gemvt_kernelILb1ELi256EPK19rocblas_complex_numIdES3_KPS1_EviiT2_lPKT1_lilS9_lilS6_lPT3_lili: ; @_ZL20rocblas_gemvt_kernelILb1ELi256EPK19rocblas_complex_numIdES3_KPS1_EviiT2_lPKT1_lilS9_lilS6_lPT3_lili
; %bb.0:
	s_load_b32 s33, s[0:1], 0x88
	s_bfe_u32 s2, ttmp6, 0x40014
	s_lshr_b32 s3, ttmp7, 16
	s_add_co_i32 s2, s2, 1
	s_bfe_u32 s5, ttmp6, 0x40008
	s_mul_i32 s4, s3, s2
	s_getreg_b32 s2, hwreg(HW_REG_IB_STS2, 6, 4)
	s_add_co_i32 s5, s5, s4
	s_cmp_eq_u32 s2, 0
	s_mov_b32 s11, 0
	s_cselect_b32 s10, s3, s5
	s_wait_kmcnt 0x0
	s_cmp_ge_u32 s10, s33
	s_cbranch_scc1 .LBB374_46
; %bb.1:
	s_clause 0x3
	s_load_b32 s8, s[0:1], 0x28
	s_load_b32 s38, s[0:1], 0x48
	;; [unrolled: 1-line block ×4, first 2 shown]
	s_bfe_u32 s3, ttmp6, 0x4000c
	s_and_b32 s5, ttmp6, 15
	s_add_co_i32 s3, s3, 1
	s_load_b128 s[28:31], s[0:1], 0x38
	s_mul_i32 s3, ttmp9, s3
	s_load_b256 s[12:19], s[0:1], 0x8
	s_add_co_i32 s3, s5, s3
	s_load_b256 s[20:27], s[0:1], 0x58
	s_wait_xcnt 0x0
	v_cmp_eq_u32_e64 s0, 0, v0
	v_cmp_gt_u32_e64 s1, 0x80, v0
	v_cmp_gt_u32_e64 s6, 4, v0
	;; [unrolled: 1-line block ×3, first 2 shown]
	v_lshlrev_b32_e32 v30, 4, v0
	s_wait_kmcnt 0x0
	s_ashr_i32 s9, s8, 31
	s_ashr_i32 s39, s38, 31
	;; [unrolled: 1-line block ×3, first 2 shown]
	s_cmp_eq_u32 s2, 0
	v_cmp_gt_i32_e32 vcc_lo, s35, v0
	s_cselect_b32 s36, ttmp9, s3
	s_ashr_i32 s2, s35, 31
	s_ashr_i32 s37, s36, 31
	s_lshr_b32 s2, s2, 24
	v_cndmask_b32_e32 v6, 0, v0, vcc_lo
	s_add_co_i32 s2, s35, s2
	s_mul_u64 s[40:41], s[4:5], s[36:37]
	s_and_b32 s34, s2, 0xffffff00
	s_delay_alu instid0(SALU_CYCLE_1) | instskip(SKIP_3) | instid1(VALU_DEP_4)
	v_dual_mov_b32 v1, 0 :: v_dual_bitop2_b32 v4, s34, v0 bitop3:0x54
	v_cmp_gt_u32_e64 s2, 64, v0
	v_cmp_gt_u32_e64 s3, 32, v0
	;; [unrolled: 1-line block ×3, first 2 shown]
	v_mul_u64_e32 v[2:3], s[38:39], v[0:1]
	v_ashrrev_i32_e32 v5, 31, v4
	v_cmp_gt_u32_e64 s5, 8, v0
	v_lshlrev_b32_e32 v0, 4, v6
	s_mul_u64 s[36:37], s[8:9], s[36:37]
	v_cmp_gt_i32_e64 s8, s35, v4
	v_mul_u64_e32 v[14:15], s[38:39], v[4:5]
	s_cmp_gt_i32 s35, 0xff
	v_lshl_add_u64 v[18:19], s[36:37], 4, v[0:1]
	s_cselect_b32 s42, -1, 0
	s_ashr_i32 s35, s34, 31
	s_lshl_b64 s[38:39], s[38:39], 12
	s_lshl_b64 s[18:19], s[18:19], 4
	v_or_b32_e32 v18, 8, v18
	s_lshl_b64 s[30:31], s[30:31], 4
	s_lshl_b64 s[26:27], s[26:27], 4
	;; [unrolled: 1-line block ×3, first 2 shown]
	v_lshlrev_b32_e32 v0, 4, v6
	v_lshlrev_b64_e32 v[16:17], 4, v[2:3]
	s_delay_alu instid0(VALU_DEP_1)
	v_or_b32_e32 v16, 8, v16
	s_branch .LBB374_4
.LBB374_2:                              ;   in Loop: Header=BB374_4 Depth=1
	s_wait_xcnt 0x0
	s_or_b32 exec_lo, exec_lo, s9
.LBB374_3:                              ;   in Loop: Header=BB374_4 Depth=1
	s_add_co_i32 s10, s10, 0x10000
	s_delay_alu instid0(SALU_CYCLE_1)
	s_cmp_lt_u32 s10, s33
	s_cbranch_scc0 .LBB374_46
.LBB374_4:                              ; =>This Loop Header: Depth=1
                                        ;     Child Loop BB374_20 Depth 2
	s_wait_xcnt 0x0
	s_mul_u64 s[44:45], s[14:15], s[10:11]
	s_delay_alu instid0(SALU_CYCLE_1) | instskip(NEXT) | instid1(SALU_CYCLE_1)
	s_lshl_b64 s[44:45], s[44:45], 4
	s_add_nc_u64 s[44:45], s[12:13], s[44:45]
	global_load_b128 v[6:9], v1, s[44:45]
	s_wait_xcnt 0x0
	s_mul_u64 s[44:45], s[22:23], s[10:11]
	s_delay_alu instid0(SALU_CYCLE_1) | instskip(NEXT) | instid1(SALU_CYCLE_1)
	s_lshl_b64 s[44:45], s[44:45], 4
	s_add_nc_u64 s[44:45], s[20:21], s[44:45]
	s_wait_loadcnt 0x1
	global_load_b128 v[2:5], v1, s[44:45]
	s_wait_xcnt 0x0
	s_mov_b32 s44, -1
	s_wait_loadcnt 0x1
	v_cmp_neq_f64_e32 vcc_lo, 0, v[6:7]
	v_cmp_neq_f64_e64 s9, 0, v[8:9]
	s_or_b32 s43, vcc_lo, s9
	s_mov_b32 s9, 0
	s_and_b32 vcc_lo, exec_lo, s43
	s_cbranch_vccz .LBB374_7
; %bb.5:                                ;   in Loop: Header=BB374_4 Depth=1
	v_mov_b64_e32 v[22:23], 0
	s_and_not1_b32 vcc_lo, exec_lo, s44
	s_cbranch_vccz .LBB374_8
.LBB374_6:                              ;   in Loop: Header=BB374_4 Depth=1
	s_and_not1_b32 vcc_lo, exec_lo, s9
	s_cbranch_vccnz .LBB374_3
	s_branch .LBB374_9
.LBB374_7:                              ;   in Loop: Header=BB374_4 Depth=1
	s_wait_loadcnt 0x0
	v_cmp_neq_f64_e32 vcc_lo, 1.0, v[2:3]
	v_cmp_neq_f64_e64 s9, 0, v[4:5]
	s_or_b32 s9, vcc_lo, s9
	v_mov_b64_e32 v[22:23], 0
	s_cbranch_execnz .LBB374_6
.LBB374_8:                              ;   in Loop: Header=BB374_4 Depth=1
	s_lshl_b64 s[44:45], s[10:11], 3
	s_delay_alu instid0(SALU_CYCLE_1)
	s_add_nc_u64 s[44:45], s[16:17], s[44:45]
	global_load_b64 v[10:11], v1, s[44:45]
	s_wait_loadcnt 0x0
	v_add_nc_u64_e32 v[22:23], s[18:19], v[10:11]
.LBB374_9:                              ;   in Loop: Header=BB374_4 Depth=1
	v_mov_b64_e32 v[24:25], 0
	s_and_not1_b32 vcc_lo, exec_lo, s43
	s_cbranch_vccnz .LBB374_11
; %bb.10:                               ;   in Loop: Header=BB374_4 Depth=1
	s_wait_xcnt 0x0
	s_lshl_b64 s[44:45], s[10:11], 3
	s_delay_alu instid0(SALU_CYCLE_1)
	s_add_nc_u64 s[44:45], s[28:29], s[44:45]
	global_load_b64 v[10:11], v1, s[44:45]
	s_wait_loadcnt 0x0
	v_add_nc_u64_e32 v[24:25], s[30:31], v[10:11]
.LBB374_11:                             ;   in Loop: Header=BB374_4 Depth=1
	s_wait_xcnt 0x0
	s_lshl_b64 s[44:45], s[10:11], 3
	s_xor_b32 s9, s43, -1
	s_add_nc_u64 s[44:45], s[24:25], s[44:45]
	s_and_not1_b32 vcc_lo, exec_lo, s9
	global_load_b64 v[10:11], v1, s[44:45]
	s_wait_loadcnt 0x0
	v_add_nc_u64_e32 v[20:21], s[26:27], v[10:11]
	s_cbranch_vccnz .LBB374_16
; %bb.12:                               ;   in Loop: Header=BB374_4 Depth=1
	s_wait_xcnt 0x0
	s_mov_b32 s44, 0
	s_mov_b32 s43, 0
                                        ; implicit-def: $vgpr12_vgpr13
	s_and_saveexec_b32 s45, s0
	s_cbranch_execz .LBB374_17
; %bb.13:                               ;   in Loop: Header=BB374_4 Depth=1
	v_cmp_neq_f64_e32 vcc_lo, 0, v[2:3]
	v_cmp_neq_f64_e64 s9, 0, v[4:5]
	v_mov_b64_e32 v[12:13], 0
	v_mov_b64_e32 v[10:11], 0
	s_or_b32 s9, vcc_lo, s9
	s_delay_alu instid0(SALU_CYCLE_1)
	s_and_not1_b32 vcc_lo, exec_lo, s9
	s_cbranch_vccnz .LBB374_15
; %bb.14:                               ;   in Loop: Header=BB374_4 Depth=1
	v_add_nc_u64_e32 v[10:11], s[40:41], v[20:21]
	flat_load_b128 v[26:29], v[10:11]
	s_wait_loadcnt_dscnt 0x0
	s_wait_xcnt 0x0
	v_mul_f64_e32 v[10:11], v[4:5], v[28:29]
	v_mul_f64_e32 v[12:13], v[2:3], v[28:29]
	s_delay_alu instid0(VALU_DEP_2) | instskip(NEXT) | instid1(VALU_DEP_2)
	v_fma_f64 v[10:11], v[2:3], v[26:27], -v[10:11]
	v_fmac_f64_e32 v[12:13], v[4:5], v[26:27]
.LBB374_15:                             ;   in Loop: Header=BB374_4 Depth=1
	s_mov_b32 s43, exec_lo
	s_or_b32 exec_lo, exec_lo, s45
	s_delay_alu instid0(SALU_CYCLE_1)
	s_and_b32 vcc_lo, exec_lo, s44
	s_cbranch_vccnz .LBB374_18
	s_branch .LBB374_44
.LBB374_16:                             ;   in Loop: Header=BB374_4 Depth=1
	s_wait_xcnt 0x0
	s_mov_b32 s43, 0
                                        ; implicit-def: $vgpr12_vgpr13
	s_cbranch_execnz .LBB374_18
	s_branch .LBB374_44
.LBB374_17:                             ;   in Loop: Header=BB374_4 Depth=1
	s_or_b32 exec_lo, exec_lo, s45
	s_delay_alu instid0(SALU_CYCLE_1)
	s_and_b32 vcc_lo, exec_lo, s44
	s_cbranch_vccz .LBB374_44
.LBB374_18:                             ;   in Loop: Header=BB374_4 Depth=1
	v_mov_b64_e32 v[12:13], 0
	s_and_not1_b32 vcc_lo, exec_lo, s42
	s_delay_alu instid0(VALU_DEP_1)
	v_mov_b64_e32 v[10:11], v[12:13]
	s_cbranch_vccnz .LBB374_21
; %bb.19:                               ;   in Loop: Header=BB374_4 Depth=1
	v_mov_b64_e32 v[12:13], 0
	v_add_nc_u64_e32 v[26:27], v[24:25], v[16:17]
	v_add_nc_u64_e32 v[28:29], v[22:23], v[18:19]
	s_mov_b32 s9, 0
	s_delay_alu instid0(VALU_DEP_3)
	v_mov_b64_e32 v[10:11], v[12:13]
.LBB374_20:                             ;   Parent Loop BB374_4 Depth=1
                                        ; =>  This Inner Loop Header: Depth=2
	flat_load_b128 v[32:35], v[28:29] offset:-8
	flat_load_b128 v[36:39], v[26:27] offset:-8
	s_wait_xcnt 0x0
	v_add_nc_u64_e32 v[26:27], s[38:39], v[26:27]
	v_add_nc_u64_e32 v[28:29], 0x1000, v[28:29]
	s_addk_co_i32 s9, 0x100
	s_delay_alu instid0(SALU_CYCLE_1) | instskip(SKIP_3) | instid1(VALU_DEP_2)
	s_cmp_ge_i32 s9, s34
	s_wait_loadcnt_dscnt 0x0
	v_mul_f64_e32 v[40:41], v[34:35], v[38:39]
	v_mul_f64_e32 v[34:35], v[34:35], v[36:37]
	v_fmac_f64_e32 v[40:41], v[32:33], v[36:37]
	s_delay_alu instid0(VALU_DEP_2) | instskip(NEXT) | instid1(VALU_DEP_2)
	v_fma_f64 v[32:33], v[32:33], v[38:39], -v[34:35]
	v_add_f64_e32 v[10:11], v[10:11], v[40:41]
	s_delay_alu instid0(VALU_DEP_2)
	v_add_f64_e32 v[12:13], v[12:13], v[32:33]
	s_cbranch_scc0 .LBB374_20
.LBB374_21:                             ;   in Loop: Header=BB374_4 Depth=1
	s_and_saveexec_b32 s9, s8
	s_cbranch_execz .LBB374_23
; %bb.22:                               ;   in Loop: Header=BB374_4 Depth=1
	v_add_nc_u64_e32 v[22:23], v[22:23], v[0:1]
	v_lshl_add_u64 v[32:33], v[14:15], 4, v[24:25]
	s_delay_alu instid0(VALU_DEP_2) | instskip(NEXT) | instid1(VALU_DEP_1)
	v_lshl_add_u64 v[22:23], s[36:37], 4, v[22:23]
	v_lshl_add_u64 v[34:35], s[34:35], 4, v[22:23]
	flat_load_b128 v[22:25], v[32:33]
	flat_load_b128 v[26:29], v[34:35]
	s_wait_loadcnt_dscnt 0x0
	s_wait_xcnt 0x1
	v_mul_f64_e32 v[32:33], v[28:29], v[24:25]
	v_mul_f64_e32 v[28:29], v[28:29], v[22:23]
	s_delay_alu instid0(VALU_DEP_2) | instskip(NEXT) | instid1(VALU_DEP_2)
	v_fmac_f64_e32 v[32:33], v[26:27], v[22:23]
	v_fma_f64 v[22:23], v[26:27], v[24:25], -v[28:29]
	s_delay_alu instid0(VALU_DEP_2) | instskip(NEXT) | instid1(VALU_DEP_2)
	v_add_f64_e32 v[10:11], v[10:11], v[32:33]
	v_add_f64_e32 v[12:13], v[12:13], v[22:23]
.LBB374_23:                             ;   in Loop: Header=BB374_4 Depth=1
	s_wait_xcnt 0x0
	s_or_b32 exec_lo, exec_lo, s9
	ds_store_b128 v30, v[10:13]
	s_wait_dscnt 0x0
	s_barrier_signal -1
	s_barrier_wait -1
	s_and_saveexec_b32 s9, s1
	s_cbranch_execz .LBB374_25
; %bb.24:                               ;   in Loop: Header=BB374_4 Depth=1
	ds_load_b128 v[10:13], v30 offset:2048
	ds_load_b128 v[22:25], v30
	s_wait_dscnt 0x0
	v_add_f64_e32 v[10:11], v[10:11], v[22:23]
	v_add_f64_e32 v[12:13], v[12:13], v[24:25]
	ds_store_b128 v30, v[10:13]
.LBB374_25:                             ;   in Loop: Header=BB374_4 Depth=1
	s_or_b32 exec_lo, exec_lo, s9
	s_wait_dscnt 0x0
	s_barrier_signal -1
	s_barrier_wait -1
	s_and_saveexec_b32 s9, s2
	s_cbranch_execz .LBB374_27
; %bb.26:                               ;   in Loop: Header=BB374_4 Depth=1
	ds_load_b128 v[10:13], v30 offset:1024
	ds_load_b128 v[22:25], v30
	s_wait_dscnt 0x0
	v_add_f64_e32 v[10:11], v[10:11], v[22:23]
	v_add_f64_e32 v[12:13], v[12:13], v[24:25]
	ds_store_b128 v30, v[10:13]
.LBB374_27:                             ;   in Loop: Header=BB374_4 Depth=1
	s_or_b32 exec_lo, exec_lo, s9
	;; [unrolled: 14-line block ×6, first 2 shown]
	s_wait_dscnt 0x0
	s_barrier_signal -1
	s_barrier_wait -1
	s_and_saveexec_b32 s9, s7
	s_cbranch_execz .LBB374_37
; %bb.36:                               ;   in Loop: Header=BB374_4 Depth=1
	ds_load_b128 v[10:13], v30
	ds_load_b128 v[22:25], v30 offset:32
	s_wait_dscnt 0x0
	v_add_f64_e32 v[10:11], v[22:23], v[10:11]
	v_add_f64_e32 v[12:13], v[24:25], v[12:13]
	ds_store_b128 v30, v[10:13]
.LBB374_37:                             ;   in Loop: Header=BB374_4 Depth=1
	s_or_b32 exec_lo, exec_lo, s9
	s_wait_dscnt 0x0
	s_barrier_signal -1
	s_barrier_wait -1
	s_and_saveexec_b32 s9, s0
	s_cbranch_execz .LBB374_39
; %bb.38:                               ;   in Loop: Header=BB374_4 Depth=1
	ds_load_b128 v[10:13], v1
	ds_load_b128 v[22:25], v1 offset:16
	s_wait_dscnt 0x0
	v_add_f64_e32 v[10:11], v[22:23], v[10:11]
	v_add_f64_e32 v[12:13], v[24:25], v[12:13]
	ds_store_b128 v1, v[10:13]
.LBB374_39:                             ;   in Loop: Header=BB374_4 Depth=1
	s_or_b32 exec_lo, exec_lo, s9
	s_wait_dscnt 0x0
	s_barrier_signal -1
	s_barrier_wait -1
                                        ; implicit-def: $vgpr12_vgpr13
	s_and_saveexec_b32 s44, s0
	s_cbranch_execz .LBB374_43
; %bb.40:                               ;   in Loop: Header=BB374_4 Depth=1
	ds_load_b128 v[22:25], v1
	v_cmp_neq_f64_e32 vcc_lo, 0, v[2:3]
	v_cmp_neq_f64_e64 s9, 0, v[4:5]
	s_wait_dscnt 0x0
	v_mul_f64_e32 v[10:11], v[8:9], v[24:25]
	v_mul_f64_e32 v[12:13], v[6:7], v[24:25]
	s_or_b32 s9, vcc_lo, s9
	s_delay_alu instid0(SALU_CYCLE_1) | instskip(NEXT) | instid1(VALU_DEP_2)
	s_and_not1_b32 vcc_lo, exec_lo, s9
	v_fma_f64 v[10:11], v[6:7], v[22:23], -v[10:11]
	s_delay_alu instid0(VALU_DEP_2)
	v_fmac_f64_e32 v[12:13], v[8:9], v[22:23]
	s_cbranch_vccnz .LBB374_42
; %bb.41:                               ;   in Loop: Header=BB374_4 Depth=1
	v_add_nc_u64_e32 v[6:7], s[40:41], v[20:21]
	flat_load_b128 v[6:9], v[6:7]
	s_wait_loadcnt_dscnt 0x0
	v_mul_f64_e32 v[22:23], v[4:5], v[8:9]
	v_mul_f64_e32 v[8:9], v[2:3], v[8:9]
	s_delay_alu instid0(VALU_DEP_2) | instskip(NEXT) | instid1(VALU_DEP_2)
	v_fma_f64 v[2:3], v[2:3], v[6:7], -v[22:23]
	v_fmac_f64_e32 v[8:9], v[4:5], v[6:7]
	s_delay_alu instid0(VALU_DEP_2) | instskip(NEXT) | instid1(VALU_DEP_2)
	v_add_f64_e32 v[10:11], v[10:11], v[2:3]
	v_add_f64_e32 v[12:13], v[12:13], v[8:9]
.LBB374_42:                             ;   in Loop: Header=BB374_4 Depth=1
	s_or_b32 s43, s43, exec_lo
.LBB374_43:                             ;   in Loop: Header=BB374_4 Depth=1
	s_wait_xcnt 0x0
	s_or_b32 exec_lo, exec_lo, s44
.LBB374_44:                             ;   in Loop: Header=BB374_4 Depth=1
	s_and_saveexec_b32 s9, s43
	s_cbranch_execz .LBB374_2
; %bb.45:                               ;   in Loop: Header=BB374_4 Depth=1
	v_add_nc_u64_e32 v[2:3], s[40:41], v[20:21]
	flat_store_b128 v[2:3], v[10:13]
	s_branch .LBB374_2
.LBB374_46:
	s_endpgm
	.section	.rodata,"a",@progbits
	.p2align	6, 0x0
	.amdhsa_kernel _ZL20rocblas_gemvt_kernelILb1ELi256EPK19rocblas_complex_numIdES3_KPS1_EviiT2_lPKT1_lilS9_lilS6_lPT3_lili
		.amdhsa_group_segment_fixed_size 4096
		.amdhsa_private_segment_fixed_size 0
		.amdhsa_kernarg_size 140
		.amdhsa_user_sgpr_count 2
		.amdhsa_user_sgpr_dispatch_ptr 0
		.amdhsa_user_sgpr_queue_ptr 0
		.amdhsa_user_sgpr_kernarg_segment_ptr 1
		.amdhsa_user_sgpr_dispatch_id 0
		.amdhsa_user_sgpr_kernarg_preload_length 0
		.amdhsa_user_sgpr_kernarg_preload_offset 0
		.amdhsa_user_sgpr_private_segment_size 0
		.amdhsa_wavefront_size32 1
		.amdhsa_uses_dynamic_stack 0
		.amdhsa_enable_private_segment 0
		.amdhsa_system_sgpr_workgroup_id_x 1
		.amdhsa_system_sgpr_workgroup_id_y 0
		.amdhsa_system_sgpr_workgroup_id_z 1
		.amdhsa_system_sgpr_workgroup_info 0
		.amdhsa_system_vgpr_workitem_id 0
		.amdhsa_next_free_vgpr 42
		.amdhsa_next_free_sgpr 46
		.amdhsa_named_barrier_count 0
		.amdhsa_reserve_vcc 1
		.amdhsa_float_round_mode_32 0
		.amdhsa_float_round_mode_16_64 0
		.amdhsa_float_denorm_mode_32 3
		.amdhsa_float_denorm_mode_16_64 3
		.amdhsa_fp16_overflow 0
		.amdhsa_memory_ordered 1
		.amdhsa_forward_progress 1
		.amdhsa_inst_pref_size 15
		.amdhsa_round_robin_scheduling 0
		.amdhsa_exception_fp_ieee_invalid_op 0
		.amdhsa_exception_fp_denorm_src 0
		.amdhsa_exception_fp_ieee_div_zero 0
		.amdhsa_exception_fp_ieee_overflow 0
		.amdhsa_exception_fp_ieee_underflow 0
		.amdhsa_exception_fp_ieee_inexact 0
		.amdhsa_exception_int_div_zero 0
	.end_amdhsa_kernel
	.section	.text._ZL20rocblas_gemvt_kernelILb1ELi256EPK19rocblas_complex_numIdES3_KPS1_EviiT2_lPKT1_lilS9_lilS6_lPT3_lili,"axG",@progbits,_ZL20rocblas_gemvt_kernelILb1ELi256EPK19rocblas_complex_numIdES3_KPS1_EviiT2_lPKT1_lilS9_lilS6_lPT3_lili,comdat
.Lfunc_end374:
	.size	_ZL20rocblas_gemvt_kernelILb1ELi256EPK19rocblas_complex_numIdES3_KPS1_EviiT2_lPKT1_lilS9_lilS6_lPT3_lili, .Lfunc_end374-_ZL20rocblas_gemvt_kernelILb1ELi256EPK19rocblas_complex_numIdES3_KPS1_EviiT2_lPKT1_lilS9_lilS6_lPT3_lili
                                        ; -- End function
	.set _ZL20rocblas_gemvt_kernelILb1ELi256EPK19rocblas_complex_numIdES3_KPS1_EviiT2_lPKT1_lilS9_lilS6_lPT3_lili.num_vgpr, 42
	.set _ZL20rocblas_gemvt_kernelILb1ELi256EPK19rocblas_complex_numIdES3_KPS1_EviiT2_lPKT1_lilS9_lilS6_lPT3_lili.num_agpr, 0
	.set _ZL20rocblas_gemvt_kernelILb1ELi256EPK19rocblas_complex_numIdES3_KPS1_EviiT2_lPKT1_lilS9_lilS6_lPT3_lili.numbered_sgpr, 46
	.set _ZL20rocblas_gemvt_kernelILb1ELi256EPK19rocblas_complex_numIdES3_KPS1_EviiT2_lPKT1_lilS9_lilS6_lPT3_lili.num_named_barrier, 0
	.set _ZL20rocblas_gemvt_kernelILb1ELi256EPK19rocblas_complex_numIdES3_KPS1_EviiT2_lPKT1_lilS9_lilS6_lPT3_lili.private_seg_size, 0
	.set _ZL20rocblas_gemvt_kernelILb1ELi256EPK19rocblas_complex_numIdES3_KPS1_EviiT2_lPKT1_lilS9_lilS6_lPT3_lili.uses_vcc, 1
	.set _ZL20rocblas_gemvt_kernelILb1ELi256EPK19rocblas_complex_numIdES3_KPS1_EviiT2_lPKT1_lilS9_lilS6_lPT3_lili.uses_flat_scratch, 0
	.set _ZL20rocblas_gemvt_kernelILb1ELi256EPK19rocblas_complex_numIdES3_KPS1_EviiT2_lPKT1_lilS9_lilS6_lPT3_lili.has_dyn_sized_stack, 0
	.set _ZL20rocblas_gemvt_kernelILb1ELi256EPK19rocblas_complex_numIdES3_KPS1_EviiT2_lPKT1_lilS9_lilS6_lPT3_lili.has_recursion, 0
	.set _ZL20rocblas_gemvt_kernelILb1ELi256EPK19rocblas_complex_numIdES3_KPS1_EviiT2_lPKT1_lilS9_lilS6_lPT3_lili.has_indirect_call, 0
	.section	.AMDGPU.csdata,"",@progbits
; Kernel info:
; codeLenInByte = 1800
; TotalNumSgprs: 48
; NumVgprs: 42
; ScratchSize: 0
; MemoryBound: 0
; FloatMode: 240
; IeeeMode: 1
; LDSByteSize: 4096 bytes/workgroup (compile time only)
; SGPRBlocks: 0
; VGPRBlocks: 2
; NumSGPRsForWavesPerEU: 48
; NumVGPRsForWavesPerEU: 42
; NamedBarCnt: 0
; Occupancy: 16
; WaveLimiterHint : 1
; COMPUTE_PGM_RSRC2:SCRATCH_EN: 0
; COMPUTE_PGM_RSRC2:USER_SGPR: 2
; COMPUTE_PGM_RSRC2:TRAP_HANDLER: 0
; COMPUTE_PGM_RSRC2:TGID_X_EN: 1
; COMPUTE_PGM_RSRC2:TGID_Y_EN: 0
; COMPUTE_PGM_RSRC2:TGID_Z_EN: 1
; COMPUTE_PGM_RSRC2:TIDIG_COMP_CNT: 0
	.section	.text._ZL20rocblas_gemvt_kernelILb1ELi256EPK19rocblas_complex_numIdES1_KPS1_EviiT2_lPKT1_lilS9_lilS6_lPT3_lili,"axG",@progbits,_ZL20rocblas_gemvt_kernelILb1ELi256EPK19rocblas_complex_numIdES1_KPS1_EviiT2_lPKT1_lilS9_lilS6_lPT3_lili,comdat
	.globl	_ZL20rocblas_gemvt_kernelILb1ELi256EPK19rocblas_complex_numIdES1_KPS1_EviiT2_lPKT1_lilS9_lilS6_lPT3_lili ; -- Begin function _ZL20rocblas_gemvt_kernelILb1ELi256EPK19rocblas_complex_numIdES1_KPS1_EviiT2_lPKT1_lilS9_lilS6_lPT3_lili
	.p2align	8
	.type	_ZL20rocblas_gemvt_kernelILb1ELi256EPK19rocblas_complex_numIdES1_KPS1_EviiT2_lPKT1_lilS9_lilS6_lPT3_lili,@function
_ZL20rocblas_gemvt_kernelILb1ELi256EPK19rocblas_complex_numIdES1_KPS1_EviiT2_lPKT1_lilS9_lilS6_lPT3_lili: ; @_ZL20rocblas_gemvt_kernelILb1ELi256EPK19rocblas_complex_numIdES1_KPS1_EviiT2_lPKT1_lilS9_lilS6_lPT3_lili
; %bb.0:
	s_load_b32 s9, s[0:1], 0x98
	s_bfe_u32 s2, ttmp6, 0x40014
	s_lshr_b32 s3, ttmp7, 16
	s_add_co_i32 s2, s2, 1
	s_bfe_u32 s5, ttmp6, 0x40008
	s_mul_i32 s4, s3, s2
	s_getreg_b32 s2, hwreg(HW_REG_IB_STS2, 6, 4)
	s_add_co_i32 s5, s5, s4
	s_cmp_eq_u32 s2, 0
	s_mov_b32 s11, 0
	s_cselect_b32 s10, s3, s5
	s_wait_kmcnt 0x0
	s_cmp_ge_u32 s10, s9
	s_cbranch_scc1 .LBB375_48
; %bb.1:
	s_clause 0x5
	s_load_b128 s[12:15], s[0:1], 0x8
	s_load_b128 s[16:19], s[0:1], 0x60
	s_load_b32 s36, s[0:1], 0x30
	s_load_b32 s38, s[0:1], 0x50
	;; [unrolled: 1-line block ×4, first 2 shown]
	s_bfe_u32 s5, ttmp6, 0x4000c
	s_and_b32 s21, ttmp6, 15
	s_add_co_i32 s5, s5, 1
	s_clause 0x1
	s_load_b128 s[24:27], s[0:1], 0x40
	s_load_b128 s[28:31], s[0:1], 0x78
	s_mul_i32 s5, ttmp9, s5
	v_lshlrev_b32_e32 v23, 4, v0
	s_add_co_i32 s21, s21, s5
	s_wait_kmcnt 0x0
	s_ashr_i32 s37, s36, 31
	v_cmp_neq_f64_e64 s3, s[12:13], 0
	v_cmp_neq_f64_e64 s20, s[14:15], 0
	v_cmp_neq_f64_e64 s6, s[16:17], 1.0
	v_cmp_neq_f64_e64 s7, s[18:19], 0
	v_cmp_neq_f64_e64 s8, s[16:17], 0
	s_ashr_i32 s39, s38, 31
	s_ashr_i32 s5, s4, 31
	v_cmp_gt_i32_e32 vcc_lo, s35, v0
	v_cndmask_b32_e32 v12, 0, v0, vcc_lo
	s_or_b32 s3, s3, s20
	s_or_b32 s33, s6, s7
	;; [unrolled: 1-line block ×3, first 2 shown]
	s_xor_b32 s43, s3, -1
	s_cmp_eq_u32 s2, 0
	v_cndmask_b32_e64 v22, 0, 1, s3
	s_cselect_b32 s40, ttmp9, s21
	s_ashr_i32 s2, s35, 31
	s_ashr_i32 s41, s40, 31
	s_lshr_b32 s2, s2, 24
	s_load_b128 s[20:23], s[0:1], 0x20
	s_add_co_i32 s2, s35, s2
	s_wait_xcnt 0x0
	v_cmp_eq_u32_e64 s0, 0, v0
	s_and_b32 s34, s2, 0xffffff00
	s_delay_alu instid0(SALU_CYCLE_1) | instskip(SKIP_3) | instid1(VALU_DEP_3)
	v_dual_mov_b32 v1, 0 :: v_dual_bitop2_b32 v4, s34, v0 bitop3:0x54
	s_mul_u64 s[46:47], s[4:5], s[40:41]
	v_cmp_gt_u32_e64 s1, 0x80, v0
	v_cmp_gt_u32_e64 s2, 64, v0
	v_mul_u64_e32 v[2:3], s[38:39], v[0:1]
	v_cmp_gt_u32_e64 s3, 32, v0
	v_cmp_gt_u32_e64 s4, 16, v0
	v_cmp_gt_u32_e64 s5, 8, v0
	v_cmp_gt_u32_e64 s6, 4, v0
	v_cmp_gt_u32_e64 s7, 2, v0
	v_lshlrev_b32_e32 v0, 4, v12
	s_mul_u64 s[36:37], s[36:37], s[40:41]
	v_cmp_gt_i32_e64 s8, s35, v4
	s_cmp_gt_i32 s35, 0xff
	v_lshl_add_u64 v[10:11], s[36:37], 4, v[0:1]
	v_ashrrev_i32_e32 v5, 31, v4
	v_lshlrev_b32_e32 v0, 4, v12
	s_cselect_b32 s44, -1, 0
	s_ashr_i32 s35, s34, 31
	v_or_b32_e32 v10, 8, v10
	v_mul_u64_e32 v[6:7], s[38:39], v[4:5]
	s_lshl_b64 s[38:39], s[38:39], 12
	s_wait_kmcnt 0x0
	s_lshl_b64 s[22:23], s[22:23], 4
	s_lshl_b64 s[26:27], s[26:27], 4
	;; [unrolled: 1-line block ×4, first 2 shown]
	v_lshlrev_b64_e32 v[8:9], 4, v[2:3]
	s_delay_alu instid0(VALU_DEP_1)
	v_or_b32_e32 v8, 8, v8
	s_branch .LBB375_4
.LBB375_2:                              ;   in Loop: Header=BB375_4 Depth=1
	s_wait_xcnt 0x0
	s_or_b32 exec_lo, exec_lo, s46
.LBB375_3:                              ;   in Loop: Header=BB375_4 Depth=1
	s_add_co_i32 s10, s10, 0x10000
	s_delay_alu instid0(SALU_CYCLE_1)
	s_cmp_lt_u32 s10, s9
	s_cbranch_scc0 .LBB375_48
.LBB375_4:                              ; =>This Loop Header: Depth=1
                                        ;     Child Loop BB375_22 Depth 2
	s_and_not1_b32 vcc_lo, exec_lo, s43
	s_cbranch_vccnz .LBB375_7
; %bb.5:                                ;   in Loop: Header=BB375_4 Depth=1
	s_wait_xcnt 0x0
	s_mov_b32 s46, 0
	s_and_b32 vcc_lo, exec_lo, s33
	s_mov_b32 s45, 0
	s_cbranch_vccz .LBB375_8
; %bb.6:                                ;   in Loop: Header=BB375_4 Depth=1
	s_mov_b32 s45, -1
	s_branch .LBB375_8
.LBB375_7:                              ;   in Loop: Header=BB375_4 Depth=1
	s_mov_b32 s45, 0
	s_wait_xcnt 0x0
	s_mov_b32 s46, -1
.LBB375_8:                              ;   in Loop: Header=BB375_4 Depth=1
	v_mov_b64_e32 v[14:15], 0
	s_and_b32 vcc_lo, exec_lo, s46
	s_cbranch_vccnz .LBB375_10
; %bb.9:                                ;   in Loop: Header=BB375_4 Depth=1
	s_and_not1_b32 vcc_lo, exec_lo, s45
	s_cbranch_vccnz .LBB375_3
	s_branch .LBB375_11
.LBB375_10:                             ;   in Loop: Header=BB375_4 Depth=1
	s_lshl_b64 s[46:47], s[10:11], 3
	s_delay_alu instid0(SALU_CYCLE_1)
	s_add_nc_u64 s[46:47], s[20:21], s[46:47]
	global_load_b64 v[2:3], v1, s[46:47]
	s_wait_loadcnt 0x0
	v_add_nc_u64_e32 v[14:15], s[22:23], v[2:3]
.LBB375_11:                             ;   in Loop: Header=BB375_4 Depth=1
	v_cmp_ne_u32_e32 vcc_lo, 1, v22
	v_mov_b64_e32 v[16:17], 0
	s_cbranch_vccnz .LBB375_13
; %bb.12:                               ;   in Loop: Header=BB375_4 Depth=1
	s_wait_xcnt 0x0
	s_lshl_b64 s[46:47], s[10:11], 3
	s_delay_alu instid0(SALU_CYCLE_1)
	s_add_nc_u64 s[46:47], s[24:25], s[46:47]
	global_load_b64 v[2:3], v1, s[46:47]
	s_wait_loadcnt 0x0
	v_add_nc_u64_e32 v[16:17], s[26:27], v[2:3]
.LBB375_13:                             ;   in Loop: Header=BB375_4 Depth=1
	s_wait_xcnt 0x0
	s_lshl_b64 s[46:47], s[10:11], 3
	s_and_not1_b32 vcc_lo, exec_lo, s43
	s_add_nc_u64 s[46:47], s[28:29], s[46:47]
	global_load_b64 v[2:3], v1, s[46:47]
	s_wait_loadcnt 0x0
	v_add_nc_u64_e32 v[12:13], s[30:31], v[2:3]
	s_cbranch_vccnz .LBB375_18
; %bb.14:                               ;   in Loop: Header=BB375_4 Depth=1
	s_wait_xcnt 0x0
	s_mov_b32 s46, 0
	s_mov_b32 s45, 0
                                        ; implicit-def: $vgpr4_vgpr5
	s_and_saveexec_b32 s47, s0
	s_cbranch_execz .LBB375_19
; %bb.15:                               ;   in Loop: Header=BB375_4 Depth=1
	v_mov_b64_e32 v[4:5], 0
	v_mov_b64_e32 v[2:3], 0
	s_and_not1_b32 vcc_lo, exec_lo, s42
	s_cbranch_vccnz .LBB375_17
; %bb.16:                               ;   in Loop: Header=BB375_4 Depth=1
	v_add_nc_u64_e32 v[2:3], s[40:41], v[12:13]
	flat_load_b128 v[18:21], v[2:3]
	s_wait_loadcnt_dscnt 0x0
	s_wait_xcnt 0x0
	v_mul_f64_e32 v[2:3], s[18:19], v[20:21]
	v_mul_f64_e32 v[4:5], s[16:17], v[20:21]
	s_delay_alu instid0(VALU_DEP_2) | instskip(NEXT) | instid1(VALU_DEP_2)
	v_fma_f64 v[2:3], s[16:17], v[18:19], -v[2:3]
	v_fmac_f64_e32 v[4:5], s[18:19], v[18:19]
.LBB375_17:                             ;   in Loop: Header=BB375_4 Depth=1
	s_mov_b32 s45, exec_lo
	s_or_b32 exec_lo, exec_lo, s47
	s_delay_alu instid0(SALU_CYCLE_1)
	s_and_b32 vcc_lo, exec_lo, s46
	s_cbranch_vccnz .LBB375_20
	s_branch .LBB375_46
.LBB375_18:                             ;   in Loop: Header=BB375_4 Depth=1
	s_wait_xcnt 0x0
	s_mov_b32 s45, 0
                                        ; implicit-def: $vgpr4_vgpr5
	s_cbranch_execnz .LBB375_20
	s_branch .LBB375_46
.LBB375_19:                             ;   in Loop: Header=BB375_4 Depth=1
	s_or_b32 exec_lo, exec_lo, s47
	s_delay_alu instid0(SALU_CYCLE_1)
	s_and_b32 vcc_lo, exec_lo, s46
	s_cbranch_vccz .LBB375_46
.LBB375_20:                             ;   in Loop: Header=BB375_4 Depth=1
	v_mov_b64_e32 v[4:5], 0
	s_and_not1_b32 vcc_lo, exec_lo, s44
	s_delay_alu instid0(VALU_DEP_1)
	v_mov_b64_e32 v[2:3], v[4:5]
	s_cbranch_vccnz .LBB375_23
; %bb.21:                               ;   in Loop: Header=BB375_4 Depth=1
	v_mov_b64_e32 v[4:5], 0
	v_add_nc_u64_e32 v[18:19], v[16:17], v[8:9]
	v_add_nc_u64_e32 v[20:21], v[14:15], v[10:11]
	s_mov_b32 s46, 0
	s_delay_alu instid0(VALU_DEP_3)
	v_mov_b64_e32 v[2:3], v[4:5]
.LBB375_22:                             ;   Parent Loop BB375_4 Depth=1
                                        ; =>  This Inner Loop Header: Depth=2
	flat_load_b128 v[24:27], v[20:21] offset:-8
	flat_load_b128 v[28:31], v[18:19] offset:-8
	s_wait_xcnt 0x0
	v_add_nc_u64_e32 v[18:19], s[38:39], v[18:19]
	v_add_nc_u64_e32 v[20:21], 0x1000, v[20:21]
	s_addk_co_i32 s46, 0x100
	s_delay_alu instid0(SALU_CYCLE_1) | instskip(SKIP_3) | instid1(VALU_DEP_2)
	s_cmp_ge_i32 s46, s34
	s_wait_loadcnt_dscnt 0x0
	v_mul_f64_e32 v[32:33], v[26:27], v[30:31]
	v_mul_f64_e32 v[26:27], v[26:27], v[28:29]
	v_fmac_f64_e32 v[32:33], v[24:25], v[28:29]
	s_delay_alu instid0(VALU_DEP_2) | instskip(NEXT) | instid1(VALU_DEP_2)
	v_fma_f64 v[24:25], v[24:25], v[30:31], -v[26:27]
	v_add_f64_e32 v[2:3], v[2:3], v[32:33]
	s_delay_alu instid0(VALU_DEP_2)
	v_add_f64_e32 v[4:5], v[4:5], v[24:25]
	s_cbranch_scc0 .LBB375_22
.LBB375_23:                             ;   in Loop: Header=BB375_4 Depth=1
	s_and_saveexec_b32 s46, s8
	s_cbranch_execz .LBB375_25
; %bb.24:                               ;   in Loop: Header=BB375_4 Depth=1
	v_add_nc_u64_e32 v[14:15], v[14:15], v[0:1]
	v_lshl_add_u64 v[24:25], v[6:7], 4, v[16:17]
	s_delay_alu instid0(VALU_DEP_2) | instskip(NEXT) | instid1(VALU_DEP_1)
	v_lshl_add_u64 v[14:15], s[36:37], 4, v[14:15]
	v_lshl_add_u64 v[26:27], s[34:35], 4, v[14:15]
	flat_load_b128 v[14:17], v[24:25]
	flat_load_b128 v[18:21], v[26:27]
	s_wait_loadcnt_dscnt 0x0
	s_wait_xcnt 0x1
	v_mul_f64_e32 v[24:25], v[20:21], v[16:17]
	v_mul_f64_e32 v[20:21], v[20:21], v[14:15]
	s_delay_alu instid0(VALU_DEP_2) | instskip(NEXT) | instid1(VALU_DEP_2)
	v_fmac_f64_e32 v[24:25], v[18:19], v[14:15]
	v_fma_f64 v[14:15], v[18:19], v[16:17], -v[20:21]
	s_delay_alu instid0(VALU_DEP_2) | instskip(NEXT) | instid1(VALU_DEP_2)
	v_add_f64_e32 v[2:3], v[2:3], v[24:25]
	v_add_f64_e32 v[4:5], v[4:5], v[14:15]
.LBB375_25:                             ;   in Loop: Header=BB375_4 Depth=1
	s_wait_xcnt 0x0
	s_or_b32 exec_lo, exec_lo, s46
	ds_store_b128 v23, v[2:5]
	s_wait_dscnt 0x0
	s_barrier_signal -1
	s_barrier_wait -1
	s_and_saveexec_b32 s46, s1
	s_cbranch_execz .LBB375_27
; %bb.26:                               ;   in Loop: Header=BB375_4 Depth=1
	ds_load_b128 v[2:5], v23 offset:2048
	ds_load_b128 v[14:17], v23
	s_wait_dscnt 0x0
	v_add_f64_e32 v[2:3], v[2:3], v[14:15]
	v_add_f64_e32 v[4:5], v[4:5], v[16:17]
	ds_store_b128 v23, v[2:5]
.LBB375_27:                             ;   in Loop: Header=BB375_4 Depth=1
	s_or_b32 exec_lo, exec_lo, s46
	s_wait_dscnt 0x0
	s_barrier_signal -1
	s_barrier_wait -1
	s_and_saveexec_b32 s46, s2
	s_cbranch_execz .LBB375_29
; %bb.28:                               ;   in Loop: Header=BB375_4 Depth=1
	ds_load_b128 v[2:5], v23 offset:1024
	ds_load_b128 v[14:17], v23
	s_wait_dscnt 0x0
	v_add_f64_e32 v[2:3], v[2:3], v[14:15]
	v_add_f64_e32 v[4:5], v[4:5], v[16:17]
	ds_store_b128 v23, v[2:5]
.LBB375_29:                             ;   in Loop: Header=BB375_4 Depth=1
	s_or_b32 exec_lo, exec_lo, s46
	;; [unrolled: 14-line block ×6, first 2 shown]
	s_wait_dscnt 0x0
	s_barrier_signal -1
	s_barrier_wait -1
	s_and_saveexec_b32 s46, s7
	s_cbranch_execz .LBB375_39
; %bb.38:                               ;   in Loop: Header=BB375_4 Depth=1
	ds_load_b128 v[2:5], v23
	ds_load_b128 v[14:17], v23 offset:32
	s_wait_dscnt 0x0
	v_add_f64_e32 v[2:3], v[14:15], v[2:3]
	v_add_f64_e32 v[4:5], v[16:17], v[4:5]
	ds_store_b128 v23, v[2:5]
.LBB375_39:                             ;   in Loop: Header=BB375_4 Depth=1
	s_or_b32 exec_lo, exec_lo, s46
	s_wait_dscnt 0x0
	s_barrier_signal -1
	s_barrier_wait -1
	s_and_saveexec_b32 s46, s0
	s_cbranch_execz .LBB375_41
; %bb.40:                               ;   in Loop: Header=BB375_4 Depth=1
	ds_load_b128 v[2:5], v1
	ds_load_b128 v[14:17], v1 offset:16
	s_wait_dscnt 0x0
	v_add_f64_e32 v[2:3], v[14:15], v[2:3]
	v_add_f64_e32 v[4:5], v[16:17], v[4:5]
	ds_store_b128 v1, v[2:5]
.LBB375_41:                             ;   in Loop: Header=BB375_4 Depth=1
	s_or_b32 exec_lo, exec_lo, s46
	s_wait_dscnt 0x0
	s_barrier_signal -1
	s_barrier_wait -1
                                        ; implicit-def: $vgpr4_vgpr5
	s_and_saveexec_b32 s46, s0
	s_cbranch_execz .LBB375_45
; %bb.42:                               ;   in Loop: Header=BB375_4 Depth=1
	ds_load_b128 v[14:17], v1
	s_and_not1_b32 vcc_lo, exec_lo, s42
	s_wait_dscnt 0x0
	v_mul_f64_e32 v[2:3], s[14:15], v[16:17]
	v_mul_f64_e32 v[4:5], s[12:13], v[16:17]
	s_delay_alu instid0(VALU_DEP_2) | instskip(NEXT) | instid1(VALU_DEP_2)
	v_fma_f64 v[2:3], s[12:13], v[14:15], -v[2:3]
	v_fmac_f64_e32 v[4:5], s[14:15], v[14:15]
	s_cbranch_vccnz .LBB375_44
; %bb.43:                               ;   in Loop: Header=BB375_4 Depth=1
	v_add_nc_u64_e32 v[14:15], s[40:41], v[12:13]
	flat_load_b128 v[14:17], v[14:15]
	s_wait_loadcnt_dscnt 0x0
	v_mul_f64_e32 v[18:19], s[18:19], v[16:17]
	v_mul_f64_e32 v[16:17], s[16:17], v[16:17]
	s_delay_alu instid0(VALU_DEP_2) | instskip(NEXT) | instid1(VALU_DEP_2)
	v_fma_f64 v[18:19], s[16:17], v[14:15], -v[18:19]
	v_fmac_f64_e32 v[16:17], s[18:19], v[14:15]
	s_delay_alu instid0(VALU_DEP_2) | instskip(NEXT) | instid1(VALU_DEP_2)
	v_add_f64_e32 v[2:3], v[2:3], v[18:19]
	v_add_f64_e32 v[4:5], v[4:5], v[16:17]
.LBB375_44:                             ;   in Loop: Header=BB375_4 Depth=1
	s_or_b32 s45, s45, exec_lo
.LBB375_45:                             ;   in Loop: Header=BB375_4 Depth=1
	s_wait_xcnt 0x0
	s_or_b32 exec_lo, exec_lo, s46
.LBB375_46:                             ;   in Loop: Header=BB375_4 Depth=1
	s_and_saveexec_b32 s46, s45
	s_cbranch_execz .LBB375_2
; %bb.47:                               ;   in Loop: Header=BB375_4 Depth=1
	v_add_nc_u64_e32 v[12:13], s[40:41], v[12:13]
	flat_store_b128 v[12:13], v[2:5]
	s_branch .LBB375_2
.LBB375_48:
	s_endpgm
	.section	.rodata,"a",@progbits
	.p2align	6, 0x0
	.amdhsa_kernel _ZL20rocblas_gemvt_kernelILb1ELi256EPK19rocblas_complex_numIdES1_KPS1_EviiT2_lPKT1_lilS9_lilS6_lPT3_lili
		.amdhsa_group_segment_fixed_size 4096
		.amdhsa_private_segment_fixed_size 0
		.amdhsa_kernarg_size 156
		.amdhsa_user_sgpr_count 2
		.amdhsa_user_sgpr_dispatch_ptr 0
		.amdhsa_user_sgpr_queue_ptr 0
		.amdhsa_user_sgpr_kernarg_segment_ptr 1
		.amdhsa_user_sgpr_dispatch_id 0
		.amdhsa_user_sgpr_kernarg_preload_length 0
		.amdhsa_user_sgpr_kernarg_preload_offset 0
		.amdhsa_user_sgpr_private_segment_size 0
		.amdhsa_wavefront_size32 1
		.amdhsa_uses_dynamic_stack 0
		.amdhsa_enable_private_segment 0
		.amdhsa_system_sgpr_workgroup_id_x 1
		.amdhsa_system_sgpr_workgroup_id_y 0
		.amdhsa_system_sgpr_workgroup_id_z 1
		.amdhsa_system_sgpr_workgroup_info 0
		.amdhsa_system_vgpr_workitem_id 0
		.amdhsa_next_free_vgpr 34
		.amdhsa_next_free_sgpr 48
		.amdhsa_named_barrier_count 0
		.amdhsa_reserve_vcc 1
		.amdhsa_float_round_mode_32 0
		.amdhsa_float_round_mode_16_64 0
		.amdhsa_float_denorm_mode_32 3
		.amdhsa_float_denorm_mode_16_64 3
		.amdhsa_fp16_overflow 0
		.amdhsa_memory_ordered 1
		.amdhsa_forward_progress 1
		.amdhsa_inst_pref_size 14
		.amdhsa_round_robin_scheduling 0
		.amdhsa_exception_fp_ieee_invalid_op 0
		.amdhsa_exception_fp_denorm_src 0
		.amdhsa_exception_fp_ieee_div_zero 0
		.amdhsa_exception_fp_ieee_overflow 0
		.amdhsa_exception_fp_ieee_underflow 0
		.amdhsa_exception_fp_ieee_inexact 0
		.amdhsa_exception_int_div_zero 0
	.end_amdhsa_kernel
	.section	.text._ZL20rocblas_gemvt_kernelILb1ELi256EPK19rocblas_complex_numIdES1_KPS1_EviiT2_lPKT1_lilS9_lilS6_lPT3_lili,"axG",@progbits,_ZL20rocblas_gemvt_kernelILb1ELi256EPK19rocblas_complex_numIdES1_KPS1_EviiT2_lPKT1_lilS9_lilS6_lPT3_lili,comdat
.Lfunc_end375:
	.size	_ZL20rocblas_gemvt_kernelILb1ELi256EPK19rocblas_complex_numIdES1_KPS1_EviiT2_lPKT1_lilS9_lilS6_lPT3_lili, .Lfunc_end375-_ZL20rocblas_gemvt_kernelILb1ELi256EPK19rocblas_complex_numIdES1_KPS1_EviiT2_lPKT1_lilS9_lilS6_lPT3_lili
                                        ; -- End function
	.set _ZL20rocblas_gemvt_kernelILb1ELi256EPK19rocblas_complex_numIdES1_KPS1_EviiT2_lPKT1_lilS9_lilS6_lPT3_lili.num_vgpr, 34
	.set _ZL20rocblas_gemvt_kernelILb1ELi256EPK19rocblas_complex_numIdES1_KPS1_EviiT2_lPKT1_lilS9_lilS6_lPT3_lili.num_agpr, 0
	.set _ZL20rocblas_gemvt_kernelILb1ELi256EPK19rocblas_complex_numIdES1_KPS1_EviiT2_lPKT1_lilS9_lilS6_lPT3_lili.numbered_sgpr, 48
	.set _ZL20rocblas_gemvt_kernelILb1ELi256EPK19rocblas_complex_numIdES1_KPS1_EviiT2_lPKT1_lilS9_lilS6_lPT3_lili.num_named_barrier, 0
	.set _ZL20rocblas_gemvt_kernelILb1ELi256EPK19rocblas_complex_numIdES1_KPS1_EviiT2_lPKT1_lilS9_lilS6_lPT3_lili.private_seg_size, 0
	.set _ZL20rocblas_gemvt_kernelILb1ELi256EPK19rocblas_complex_numIdES1_KPS1_EviiT2_lPKT1_lilS9_lilS6_lPT3_lili.uses_vcc, 1
	.set _ZL20rocblas_gemvt_kernelILb1ELi256EPK19rocblas_complex_numIdES1_KPS1_EviiT2_lPKT1_lilS9_lilS6_lPT3_lili.uses_flat_scratch, 0
	.set _ZL20rocblas_gemvt_kernelILb1ELi256EPK19rocblas_complex_numIdES1_KPS1_EviiT2_lPKT1_lilS9_lilS6_lPT3_lili.has_dyn_sized_stack, 0
	.set _ZL20rocblas_gemvt_kernelILb1ELi256EPK19rocblas_complex_numIdES1_KPS1_EviiT2_lPKT1_lilS9_lilS6_lPT3_lili.has_recursion, 0
	.set _ZL20rocblas_gemvt_kernelILb1ELi256EPK19rocblas_complex_numIdES1_KPS1_EviiT2_lPKT1_lilS9_lilS6_lPT3_lili.has_indirect_call, 0
	.section	.AMDGPU.csdata,"",@progbits
; Kernel info:
; codeLenInByte = 1756
; TotalNumSgprs: 50
; NumVgprs: 34
; ScratchSize: 0
; MemoryBound: 0
; FloatMode: 240
; IeeeMode: 1
; LDSByteSize: 4096 bytes/workgroup (compile time only)
; SGPRBlocks: 0
; VGPRBlocks: 2
; NumSGPRsForWavesPerEU: 50
; NumVGPRsForWavesPerEU: 34
; NamedBarCnt: 0
; Occupancy: 16
; WaveLimiterHint : 1
; COMPUTE_PGM_RSRC2:SCRATCH_EN: 0
; COMPUTE_PGM_RSRC2:USER_SGPR: 2
; COMPUTE_PGM_RSRC2:TRAP_HANDLER: 0
; COMPUTE_PGM_RSRC2:TGID_X_EN: 1
; COMPUTE_PGM_RSRC2:TGID_Y_EN: 0
; COMPUTE_PGM_RSRC2:TGID_Z_EN: 1
; COMPUTE_PGM_RSRC2:TIDIG_COMP_CNT: 0
	.section	.text._ZL32rocblas_gemvt_warp_reduce_kernelILb1ELi1024EiPK19rocblas_complex_numIdES3_KPS1_EviiT3_lPKT2_lT1_lS9_lSA_lS6_lPT4_lSA_li,"axG",@progbits,_ZL32rocblas_gemvt_warp_reduce_kernelILb1ELi1024EiPK19rocblas_complex_numIdES3_KPS1_EviiT3_lPKT2_lT1_lS9_lSA_lS6_lPT4_lSA_li,comdat
	.globl	_ZL32rocblas_gemvt_warp_reduce_kernelILb1ELi1024EiPK19rocblas_complex_numIdES3_KPS1_EviiT3_lPKT2_lT1_lS9_lSA_lS6_lPT4_lSA_li ; -- Begin function _ZL32rocblas_gemvt_warp_reduce_kernelILb1ELi1024EiPK19rocblas_complex_numIdES3_KPS1_EviiT3_lPKT2_lT1_lS9_lSA_lS6_lPT4_lSA_li
	.p2align	8
	.type	_ZL32rocblas_gemvt_warp_reduce_kernelILb1ELi1024EiPK19rocblas_complex_numIdES3_KPS1_EviiT3_lPKT2_lT1_lS9_lSA_lS6_lPT4_lSA_li,@function
_ZL32rocblas_gemvt_warp_reduce_kernelILb1ELi1024EiPK19rocblas_complex_numIdES3_KPS1_EviiT3_lPKT2_lT1_lS9_lSA_lS6_lPT4_lSA_li: ; @_ZL32rocblas_gemvt_warp_reduce_kernelILb1ELi1024EiPK19rocblas_complex_numIdES3_KPS1_EviiT3_lPKT2_lT1_lS9_lSA_lS6_lPT4_lSA_li
; %bb.0:
	s_load_b32 s33, s[0:1], 0x88
	s_bfe_u32 s2, ttmp6, 0x40014
	s_lshr_b32 s3, ttmp7, 16
	s_add_co_i32 s2, s2, 1
	s_bfe_u32 s5, ttmp6, 0x40008
	s_mul_i32 s4, s3, s2
	s_getreg_b32 s2, hwreg(HW_REG_IB_STS2, 6, 4)
	s_add_co_i32 s5, s5, s4
	s_cmp_eq_u32 s2, 0
	s_mov_b32 s7, 0
	s_cselect_b32 s6, s3, s5
	s_wait_kmcnt 0x0
	s_cmp_ge_u32 s6, s33
	s_cbranch_scc1 .LBB376_39
; %bb.1:
	s_clause 0x6
	s_load_b32 s4, s[0:1], 0x0
	s_load_b256 s[8:15], s[0:1], 0x8
	s_load_b32 s3, s[0:1], 0x28
	s_load_b128 s[24:27], s[0:1], 0x38
	s_load_b32 s5, s[0:1], 0x48
	s_load_b256 s[16:23], s[0:1], 0x58
	s_load_b32 s29, s[0:1], 0x78
	s_wait_xcnt 0x0
	s_bfe_u32 s1, ttmp6, 0x4000c
	s_and_b32 s28, ttmp6, 15
	s_add_co_i32 s1, s1, 1
	v_dual_mov_b32 v19, 0 :: v_dual_bitop2_b32 v2, 31, v0 bitop3:0x40
	s_mul_i32 s30, ttmp9, s1
	v_lshrrev_b32_e32 v3, 1, v0
	s_add_co_i32 s28, s28, s30
	s_cmp_eq_u32 s2, 0
	v_lshlrev_b32_e32 v1, 4, v2
	s_cselect_b32 s30, ttmp9, s28
	v_and_b32_e32 v28, 0x1f0, v3
	v_cmp_eq_u32_e64 s0, 0, v0
	s_wait_kmcnt 0x0
	s_ashr_i32 s2, s4, 31
	v_cmp_gt_i32_e32 vcc_lo, s4, v0
	s_lshr_b32 s28, s2, 22
	v_cmp_eq_u32_e64 s2, 0, v2
	s_add_co_i32 s28, s4, s28
	v_mul_lo_u32 v29, v0, s5
	s_and_b32 s28, s28, 0xfffffc00
	s_delay_alu instid0(SALU_CYCLE_1)
	v_dual_cndmask_b32 v2, 0, v0, vcc_lo :: v_dual_bitop2_b32 v3, s28, v0 bitop3:0x54
	s_mul_i32 s34, s29, s30
	s_mul_i32 s30, s3, s30
	v_cmp_gt_u32_e64 s1, 32, v0
	s_ashr_i32 s31, s30, 31
	v_mul_lo_u32 v20, s5, v3
	v_lshlrev_b32_e32 v18, 4, v2
	v_cmp_gt_i32_e64 s3, s28, v0
	v_cmp_gt_i32_e64 s4, s4, v3
	v_mbcnt_lo_u32_b32 v30, -1, 0
	s_ashr_i32 s35, s34, 31
	s_lshl_b32 s36, s5, 10
	s_lshl_b64 s[14:15], s[14:15], 4
	s_ashr_i32 s29, s28, 31
	s_lshl_b64 s[26:27], s[26:27], 4
	s_lshl_b64 s[22:23], s[22:23], 4
	v_ashrrev_i32_e32 v21, 31, v20
	v_lshl_add_u64 v[22:23], s[30:31], 4, v[18:19]
	v_lshlrev_b32_e32 v18, 4, v2
	s_lshl_b64 s[34:35], s[34:35], 4
	s_delay_alu instid0(VALU_DEP_2)
	v_or_b32_e32 v22, 8, v22
	s_branch .LBB376_4
.LBB376_2:                              ;   in Loop: Header=BB376_4 Depth=1
	s_wait_xcnt 0x0
	s_or_b32 exec_lo, exec_lo, s5
.LBB376_3:                              ;   in Loop: Header=BB376_4 Depth=1
	s_add_co_i32 s6, s6, 0x10000
	s_delay_alu instid0(SALU_CYCLE_1)
	s_cmp_lt_u32 s6, s33
	s_cbranch_scc0 .LBB376_39
.LBB376_4:                              ; =>This Loop Header: Depth=1
                                        ;     Child Loop BB376_28 Depth 2
	s_wait_xcnt 0x0
	s_mul_u64 s[38:39], s[10:11], s[6:7]
	s_delay_alu instid0(SALU_CYCLE_1) | instskip(NEXT) | instid1(SALU_CYCLE_1)
	s_lshl_b64 s[38:39], s[38:39], 4
	s_add_nc_u64 s[38:39], s[8:9], s[38:39]
	global_load_b128 v[6:9], v19, s[38:39]
	s_wait_xcnt 0x0
	s_mul_u64 s[38:39], s[18:19], s[6:7]
	s_delay_alu instid0(SALU_CYCLE_1) | instskip(NEXT) | instid1(SALU_CYCLE_1)
	s_lshl_b64 s[38:39], s[38:39], 4
	s_add_nc_u64 s[38:39], s[16:17], s[38:39]
	s_wait_loadcnt 0x1
	global_load_b128 v[2:5], v19, s[38:39]
	s_wait_xcnt 0x0
	s_mov_b32 s38, -1
	s_wait_loadcnt 0x1
	v_cmp_neq_f64_e32 vcc_lo, 0, v[6:7]
	v_cmp_neq_f64_e64 s5, 0, v[8:9]
	s_or_b32 s37, vcc_lo, s5
	s_mov_b32 s5, 0
	s_and_b32 vcc_lo, exec_lo, s37
	s_cbranch_vccz .LBB376_7
; %bb.5:                                ;   in Loop: Header=BB376_4 Depth=1
	s_wait_dscnt 0x0
	v_mov_b64_e32 v[14:15], 0
	s_and_not1_b32 vcc_lo, exec_lo, s38
	s_cbranch_vccz .LBB376_8
.LBB376_6:                              ;   in Loop: Header=BB376_4 Depth=1
	s_and_not1_b32 vcc_lo, exec_lo, s5
	s_cbranch_vccnz .LBB376_3
	s_branch .LBB376_9
.LBB376_7:                              ;   in Loop: Header=BB376_4 Depth=1
	s_wait_loadcnt 0x0
	v_cmp_neq_f64_e32 vcc_lo, 1.0, v[2:3]
	v_cmp_neq_f64_e64 s5, 0, v[4:5]
	s_or_b32 s5, vcc_lo, s5
	s_wait_dscnt 0x0
	v_mov_b64_e32 v[14:15], 0
	s_cbranch_execnz .LBB376_6
.LBB376_8:                              ;   in Loop: Header=BB376_4 Depth=1
	s_lshl_b64 s[38:39], s[6:7], 3
	s_delay_alu instid0(SALU_CYCLE_1)
	s_add_nc_u64 s[38:39], s[12:13], s[38:39]
	global_load_b64 v[10:11], v19, s[38:39]
	s_wait_loadcnt 0x0
	v_add_nc_u64_e32 v[14:15], s[14:15], v[10:11]
.LBB376_9:                              ;   in Loop: Header=BB376_4 Depth=1
	v_mov_b64_e32 v[16:17], 0
	s_and_not1_b32 vcc_lo, exec_lo, s37
	s_cbranch_vccnz .LBB376_11
; %bb.10:                               ;   in Loop: Header=BB376_4 Depth=1
	s_wait_xcnt 0x0
	s_lshl_b64 s[38:39], s[6:7], 3
	s_delay_alu instid0(SALU_CYCLE_1)
	s_add_nc_u64 s[38:39], s[24:25], s[38:39]
	global_load_b64 v[10:11], v19, s[38:39]
	s_wait_loadcnt 0x0
	v_add_nc_u64_e32 v[16:17], s[26:27], v[10:11]
.LBB376_11:                             ;   in Loop: Header=BB376_4 Depth=1
	s_wait_xcnt 0x0
	s_lshl_b64 s[38:39], s[6:7], 3
	s_xor_b32 s5, s37, -1
	s_add_nc_u64 s[38:39], s[20:21], s[38:39]
	s_and_not1_b32 vcc_lo, exec_lo, s5
	global_load_b64 v[10:11], v19, s[38:39]
	s_wait_loadcnt 0x0
	v_add_nc_u64_e32 v[24:25], s[22:23], v[10:11]
	s_cbranch_vccnz .LBB376_16
; %bb.12:                               ;   in Loop: Header=BB376_4 Depth=1
	s_wait_xcnt 0x0
	s_mov_b32 s38, 0
	s_mov_b32 s37, 0
                                        ; implicit-def: $vgpr12_vgpr13
	s_and_saveexec_b32 s39, s0
	s_cbranch_execz .LBB376_17
; %bb.13:                               ;   in Loop: Header=BB376_4 Depth=1
	v_cmp_neq_f64_e32 vcc_lo, 0, v[2:3]
	v_cmp_neq_f64_e64 s5, 0, v[4:5]
	v_mov_b64_e32 v[12:13], 0
	v_mov_b64_e32 v[10:11], 0
	s_or_b32 s5, vcc_lo, s5
	s_delay_alu instid0(SALU_CYCLE_1)
	s_and_not1_b32 vcc_lo, exec_lo, s5
	s_cbranch_vccnz .LBB376_15
; %bb.14:                               ;   in Loop: Header=BB376_4 Depth=1
	v_add_nc_u64_e32 v[10:11], s[34:35], v[24:25]
	flat_load_b128 v[32:35], v[10:11]
	s_wait_loadcnt_dscnt 0x0
	s_wait_xcnt 0x0
	v_mul_f64_e32 v[10:11], v[4:5], v[34:35]
	v_mul_f64_e32 v[12:13], v[2:3], v[34:35]
	s_delay_alu instid0(VALU_DEP_2) | instskip(NEXT) | instid1(VALU_DEP_2)
	v_fma_f64 v[10:11], v[2:3], v[32:33], -v[10:11]
	v_fmac_f64_e32 v[12:13], v[4:5], v[32:33]
.LBB376_15:                             ;   in Loop: Header=BB376_4 Depth=1
	s_mov_b32 s37, exec_lo
	s_or_b32 exec_lo, exec_lo, s39
	s_delay_alu instid0(SALU_CYCLE_1)
	s_and_b32 vcc_lo, exec_lo, s38
	s_cbranch_vccnz .LBB376_18
	s_branch .LBB376_37
.LBB376_16:                             ;   in Loop: Header=BB376_4 Depth=1
	s_wait_xcnt 0x0
	s_mov_b32 s37, 0
                                        ; implicit-def: $vgpr12_vgpr13
	s_cbranch_execnz .LBB376_18
	s_branch .LBB376_37
.LBB376_17:                             ;   in Loop: Header=BB376_4 Depth=1
	s_or_b32 exec_lo, exec_lo, s39
	s_delay_alu instid0(SALU_CYCLE_1)
	s_and_b32 vcc_lo, exec_lo, s38
	s_cbranch_vccz .LBB376_37
.LBB376_18:                             ;   in Loop: Header=BB376_4 Depth=1
	v_mov_b64_e32 v[10:11], 0
	v_mov_b64_e32 v[12:13], 0
	s_and_saveexec_b32 s5, s3
	s_cbranch_execnz .LBB376_27
; %bb.19:                               ;   in Loop: Header=BB376_4 Depth=1
	s_or_b32 exec_lo, exec_lo, s5
	s_and_saveexec_b32 s5, s4
	s_cbranch_execnz .LBB376_30
.LBB376_20:                             ;   in Loop: Header=BB376_4 Depth=1
	s_or_b32 exec_lo, exec_lo, s5
	s_and_saveexec_b32 s5, s1
.LBB376_21:                             ;   in Loop: Header=BB376_4 Depth=1
	v_dual_mov_b32 v14, v19 :: v_dual_mov_b32 v15, v19
	v_dual_mov_b32 v16, v19 :: v_dual_mov_b32 v17, v19
	ds_store_b128 v1, v[14:17]
.LBB376_22:                             ;   in Loop: Header=BB376_4 Depth=1
	s_or_b32 exec_lo, exec_lo, s5
	v_lshl_or_b32 v26, v30, 2, 64
	v_cmp_gt_u32_e32 vcc_lo, 24, v30
	s_wait_dscnt 0x0
	s_barrier_signal -1
	s_barrier_wait -1
	ds_bpermute_b32 v14, v26, v12
	ds_bpermute_b32 v15, v26, v13
	;; [unrolled: 1-line block ×4, first 2 shown]
	s_wait_dscnt 0x0
	v_add_f64_e32 v[12:13], v[12:13], v[14:15]
	v_cndmask_b32_e64 v14, 0, 8, vcc_lo
	v_add_f64_e32 v[10:11], v[10:11], v[16:17]
	v_cmp_gt_u32_e32 vcc_lo, 28, v30
	s_delay_alu instid0(VALU_DEP_3)
	v_add_lshl_u32 v27, v14, v30, 2
	ds_bpermute_b32 v14, v27, v12
	ds_bpermute_b32 v15, v27, v13
	;; [unrolled: 1-line block ×4, first 2 shown]
	s_wait_dscnt 0x2
	v_add_f64_e32 v[12:13], v[12:13], v[14:15]
	v_cndmask_b32_e64 v14, 0, 4, vcc_lo
	s_wait_dscnt 0x0
	v_add_f64_e32 v[10:11], v[10:11], v[16:17]
	v_cmp_gt_u32_e32 vcc_lo, 30, v30
	s_delay_alu instid0(VALU_DEP_3)
	v_add_lshl_u32 v31, v14, v30, 2
	ds_bpermute_b32 v14, v31, v12
	ds_bpermute_b32 v15, v31, v13
	;; [unrolled: 1-line block ×4, first 2 shown]
	s_wait_dscnt 0x2
	v_add_f64_e32 v[12:13], v[12:13], v[14:15]
	s_wait_dscnt 0x0
	v_add_f64_e32 v[14:15], v[10:11], v[16:17]
	v_cndmask_b32_e64 v10, 0, 2, vcc_lo
	v_cmp_ne_u32_e32 vcc_lo, 31, v30
	s_delay_alu instid0(VALU_DEP_2)
	v_add_lshl_u32 v32, v10, v30, 2
	ds_bpermute_b32 v10, v32, v12
	ds_bpermute_b32 v11, v32, v13
	;; [unrolled: 1-line block ×4, first 2 shown]
	s_wait_dscnt 0x2
	v_add_f64_e32 v[10:11], v[12:13], v[10:11]
	s_wait_dscnt 0x0
	v_add_f64_e32 v[12:13], v[14:15], v[16:17]
	v_add_co_ci_u32_e64 v14, null, 0, v30, vcc_lo
	s_delay_alu instid0(VALU_DEP_1)
	v_lshlrev_b32_e32 v33, 2, v14
	ds_bpermute_b32 v14, v33, v10
	ds_bpermute_b32 v15, v33, v11
	;; [unrolled: 1-line block ×4, first 2 shown]
	s_and_saveexec_b32 s5, s2
	s_cbranch_execz .LBB376_24
; %bb.23:                               ;   in Loop: Header=BB376_4 Depth=1
	s_wait_dscnt 0x0
	v_add_f64_e32 v[12:13], v[12:13], v[16:17]
	v_add_f64_e32 v[10:11], v[10:11], v[14:15]
	ds_store_b128 v28, v[10:13]
.LBB376_24:                             ;   in Loop: Header=BB376_4 Depth=1
	s_or_b32 exec_lo, exec_lo, s5
	s_wait_dscnt 0x0
	v_mov_b64_e32 v[16:17], 0
	v_mov_b64_e32 v[14:15], 0
	s_barrier_signal -1
	s_barrier_wait -1
	s_and_saveexec_b32 s5, s1
	s_cbranch_execnz .LBB376_31
; %bb.25:                               ;   in Loop: Header=BB376_4 Depth=1
	s_or_b32 exec_lo, exec_lo, s5
	s_and_saveexec_b32 s5, s1
	s_cbranch_execnz .LBB376_32
.LBB376_26:                             ;   in Loop: Header=BB376_4 Depth=1
	s_or_b32 exec_lo, exec_lo, s5
                                        ; implicit-def: $vgpr12_vgpr13
	s_and_saveexec_b32 s38, s0
	s_cbranch_execnz .LBB376_33
	s_branch .LBB376_36
.LBB376_27:                             ;   in Loop: Header=BB376_4 Depth=1
	v_add_nc_u64_e32 v[26:27], v[14:15], v[22:23]
	v_mov_b64_e32 v[10:11], 0
	v_mov_b64_e32 v[12:13], 0
	v_dual_mov_b32 v31, v0 :: v_dual_mov_b32 v32, v29
	s_mov_b32 s38, 0
.LBB376_28:                             ;   Parent Loop BB376_4 Depth=1
                                        ; =>  This Inner Loop Header: Depth=2
	v_readfirstlane_b32 s40, v16
	v_readfirstlane_b32 s41, v17
	s_delay_alu instid0(VALU_DEP_3)
	v_add_nc_u32_e32 v31, 0x400, v31
	flat_load_b128 v[34:37], v[26:27] offset:-8
	flat_load_b128 v[38:41], v32, s[40:41] scale_offset
	s_wait_xcnt 0x1
	v_add_nc_u64_e32 v[26:27], 0x4000, v[26:27]
	v_cmp_le_i32_e32 vcc_lo, s28, v31
	s_wait_xcnt 0x0
	v_add_nc_u32_e32 v32, s36, v32
	s_or_b32 s38, vcc_lo, s38
	s_wait_loadcnt_dscnt 0x0
	v_mul_f64_e32 v[42:43], v[36:37], v[40:41]
	v_mul_f64_e32 v[36:37], v[36:37], v[38:39]
	s_delay_alu instid0(VALU_DEP_2) | instskip(NEXT) | instid1(VALU_DEP_2)
	v_fmac_f64_e32 v[42:43], v[34:35], v[38:39]
	v_fma_f64 v[34:35], v[34:35], v[40:41], -v[36:37]
	s_delay_alu instid0(VALU_DEP_2) | instskip(NEXT) | instid1(VALU_DEP_2)
	v_add_f64_e32 v[12:13], v[12:13], v[42:43]
	v_add_f64_e32 v[10:11], v[10:11], v[34:35]
	s_and_not1_b32 exec_lo, exec_lo, s38
	s_cbranch_execnz .LBB376_28
; %bb.29:                               ;   in Loop: Header=BB376_4 Depth=1
	s_or_b32 exec_lo, exec_lo, s38
	s_delay_alu instid0(SALU_CYCLE_1)
	s_or_b32 exec_lo, exec_lo, s5
	s_and_saveexec_b32 s5, s4
	s_cbranch_execz .LBB376_20
.LBB376_30:                             ;   in Loop: Header=BB376_4 Depth=1
	v_add_nc_u64_e32 v[14:15], v[14:15], v[18:19]
	v_lshl_add_u64 v[26:27], v[20:21], 4, v[16:17]
	s_delay_alu instid0(VALU_DEP_2) | instskip(NEXT) | instid1(VALU_DEP_1)
	v_lshl_add_u64 v[14:15], s[30:31], 4, v[14:15]
	v_lshl_add_u64 v[36:37], s[28:29], 4, v[14:15]
	flat_load_b128 v[14:17], v[26:27]
	flat_load_b128 v[32:35], v[36:37]
	s_wait_loadcnt_dscnt 0x0
	s_wait_xcnt 0x1
	v_mul_f64_e32 v[26:27], v[34:35], v[16:17]
	v_mul_f64_e32 v[34:35], v[34:35], v[14:15]
	s_delay_alu instid0(VALU_DEP_2) | instskip(NEXT) | instid1(VALU_DEP_2)
	v_fmac_f64_e32 v[26:27], v[32:33], v[14:15]
	v_fma_f64 v[14:15], v[32:33], v[16:17], -v[34:35]
	s_delay_alu instid0(VALU_DEP_2) | instskip(NEXT) | instid1(VALU_DEP_2)
	v_add_f64_e32 v[12:13], v[12:13], v[26:27]
	v_add_f64_e32 v[10:11], v[10:11], v[14:15]
	s_wait_xcnt 0x0
	s_or_b32 exec_lo, exec_lo, s5
	s_and_saveexec_b32 s5, s1
	s_cbranch_execnz .LBB376_21
	s_branch .LBB376_22
.LBB376_31:                             ;   in Loop: Header=BB376_4 Depth=1
	ds_load_b128 v[14:17], v1
	s_or_b32 exec_lo, exec_lo, s5
	s_and_saveexec_b32 s5, s1
	s_cbranch_execz .LBB376_26
.LBB376_32:                             ;   in Loop: Header=BB376_4 Depth=1
	s_wait_dscnt 0x0
	ds_bpermute_b32 v10, v26, v14
	ds_bpermute_b32 v11, v26, v15
	ds_bpermute_b32 v12, v26, v16
	ds_bpermute_b32 v13, v26, v17
	s_wait_dscnt 0x2
	v_add_f64_e32 v[10:11], v[14:15], v[10:11]
	s_wait_dscnt 0x0
	v_add_f64_e32 v[12:13], v[16:17], v[12:13]
	ds_bpermute_b32 v14, v27, v10
	ds_bpermute_b32 v15, v27, v11
	ds_bpermute_b32 v16, v27, v12
	ds_bpermute_b32 v17, v27, v13
	s_wait_dscnt 0x2
	v_add_f64_e32 v[10:11], v[10:11], v[14:15]
	s_wait_dscnt 0x0
	v_add_f64_e32 v[12:13], v[12:13], v[16:17]
	;; [unrolled: 8-line block ×5, first 2 shown]
	s_or_b32 exec_lo, exec_lo, s5
                                        ; implicit-def: $vgpr12_vgpr13
	s_and_saveexec_b32 s38, s0
	s_cbranch_execz .LBB376_36
.LBB376_33:                             ;   in Loop: Header=BB376_4 Depth=1
	s_wait_dscnt 0x0
	s_delay_alu instid0(VALU_DEP_1) | instskip(SKIP_3) | instid1(VALU_DEP_4)
	v_mul_f64_e32 v[10:11], v[8:9], v[16:17]
	v_mul_f64_e32 v[12:13], v[6:7], v[16:17]
	v_cmp_neq_f64_e32 vcc_lo, 0, v[2:3]
	v_cmp_neq_f64_e64 s5, 0, v[4:5]
	v_fma_f64 v[10:11], v[6:7], v[14:15], -v[10:11]
	s_delay_alu instid0(VALU_DEP_4) | instskip(SKIP_1) | instid1(SALU_CYCLE_1)
	v_fmac_f64_e32 v[12:13], v[8:9], v[14:15]
	s_or_b32 s5, vcc_lo, s5
	s_and_not1_b32 vcc_lo, exec_lo, s5
	s_cbranch_vccnz .LBB376_35
; %bb.34:                               ;   in Loop: Header=BB376_4 Depth=1
	v_add_nc_u64_e32 v[6:7], s[34:35], v[24:25]
	flat_load_b128 v[6:9], v[6:7]
	s_wait_loadcnt_dscnt 0x0
	v_mul_f64_e32 v[14:15], v[4:5], v[8:9]
	v_mul_f64_e32 v[8:9], v[2:3], v[8:9]
	s_delay_alu instid0(VALU_DEP_2) | instskip(NEXT) | instid1(VALU_DEP_2)
	v_fma_f64 v[2:3], v[2:3], v[6:7], -v[14:15]
	v_fmac_f64_e32 v[8:9], v[4:5], v[6:7]
	s_delay_alu instid0(VALU_DEP_2) | instskip(NEXT) | instid1(VALU_DEP_2)
	v_add_f64_e32 v[10:11], v[10:11], v[2:3]
	v_add_f64_e32 v[12:13], v[12:13], v[8:9]
.LBB376_35:                             ;   in Loop: Header=BB376_4 Depth=1
	s_or_b32 s37, s37, exec_lo
.LBB376_36:                             ;   in Loop: Header=BB376_4 Depth=1
	s_wait_xcnt 0x0
	s_or_b32 exec_lo, exec_lo, s38
.LBB376_37:                             ;   in Loop: Header=BB376_4 Depth=1
	s_and_saveexec_b32 s5, s37
	s_cbranch_execz .LBB376_2
; %bb.38:                               ;   in Loop: Header=BB376_4 Depth=1
	v_add_nc_u64_e32 v[2:3], s[34:35], v[24:25]
	flat_store_b128 v[2:3], v[10:13]
	s_branch .LBB376_2
.LBB376_39:
	s_endpgm
	.section	.rodata,"a",@progbits
	.p2align	6, 0x0
	.amdhsa_kernel _ZL32rocblas_gemvt_warp_reduce_kernelILb1ELi1024EiPK19rocblas_complex_numIdES3_KPS1_EviiT3_lPKT2_lT1_lS9_lSA_lS6_lPT4_lSA_li
		.amdhsa_group_segment_fixed_size 512
		.amdhsa_private_segment_fixed_size 0
		.amdhsa_kernarg_size 140
		.amdhsa_user_sgpr_count 2
		.amdhsa_user_sgpr_dispatch_ptr 0
		.amdhsa_user_sgpr_queue_ptr 0
		.amdhsa_user_sgpr_kernarg_segment_ptr 1
		.amdhsa_user_sgpr_dispatch_id 0
		.amdhsa_user_sgpr_kernarg_preload_length 0
		.amdhsa_user_sgpr_kernarg_preload_offset 0
		.amdhsa_user_sgpr_private_segment_size 0
		.amdhsa_wavefront_size32 1
		.amdhsa_uses_dynamic_stack 0
		.amdhsa_enable_private_segment 0
		.amdhsa_system_sgpr_workgroup_id_x 1
		.amdhsa_system_sgpr_workgroup_id_y 0
		.amdhsa_system_sgpr_workgroup_id_z 1
		.amdhsa_system_sgpr_workgroup_info 0
		.amdhsa_system_vgpr_workitem_id 0
		.amdhsa_next_free_vgpr 44
		.amdhsa_next_free_sgpr 42
		.amdhsa_named_barrier_count 0
		.amdhsa_reserve_vcc 1
		.amdhsa_float_round_mode_32 0
		.amdhsa_float_round_mode_16_64 0
		.amdhsa_float_denorm_mode_32 3
		.amdhsa_float_denorm_mode_16_64 3
		.amdhsa_fp16_overflow 0
		.amdhsa_memory_ordered 1
		.amdhsa_forward_progress 1
		.amdhsa_inst_pref_size 17
		.amdhsa_round_robin_scheduling 0
		.amdhsa_exception_fp_ieee_invalid_op 0
		.amdhsa_exception_fp_denorm_src 0
		.amdhsa_exception_fp_ieee_div_zero 0
		.amdhsa_exception_fp_ieee_overflow 0
		.amdhsa_exception_fp_ieee_underflow 0
		.amdhsa_exception_fp_ieee_inexact 0
		.amdhsa_exception_int_div_zero 0
	.end_amdhsa_kernel
	.section	.text._ZL32rocblas_gemvt_warp_reduce_kernelILb1ELi1024EiPK19rocblas_complex_numIdES3_KPS1_EviiT3_lPKT2_lT1_lS9_lSA_lS6_lPT4_lSA_li,"axG",@progbits,_ZL32rocblas_gemvt_warp_reduce_kernelILb1ELi1024EiPK19rocblas_complex_numIdES3_KPS1_EviiT3_lPKT2_lT1_lS9_lSA_lS6_lPT4_lSA_li,comdat
.Lfunc_end376:
	.size	_ZL32rocblas_gemvt_warp_reduce_kernelILb1ELi1024EiPK19rocblas_complex_numIdES3_KPS1_EviiT3_lPKT2_lT1_lS9_lSA_lS6_lPT4_lSA_li, .Lfunc_end376-_ZL32rocblas_gemvt_warp_reduce_kernelILb1ELi1024EiPK19rocblas_complex_numIdES3_KPS1_EviiT3_lPKT2_lT1_lS9_lSA_lS6_lPT4_lSA_li
                                        ; -- End function
	.set _ZL32rocblas_gemvt_warp_reduce_kernelILb1ELi1024EiPK19rocblas_complex_numIdES3_KPS1_EviiT3_lPKT2_lT1_lS9_lSA_lS6_lPT4_lSA_li.num_vgpr, 44
	.set _ZL32rocblas_gemvt_warp_reduce_kernelILb1ELi1024EiPK19rocblas_complex_numIdES3_KPS1_EviiT3_lPKT2_lT1_lS9_lSA_lS6_lPT4_lSA_li.num_agpr, 0
	.set _ZL32rocblas_gemvt_warp_reduce_kernelILb1ELi1024EiPK19rocblas_complex_numIdES3_KPS1_EviiT3_lPKT2_lT1_lS9_lSA_lS6_lPT4_lSA_li.numbered_sgpr, 42
	.set _ZL32rocblas_gemvt_warp_reduce_kernelILb1ELi1024EiPK19rocblas_complex_numIdES3_KPS1_EviiT3_lPKT2_lT1_lS9_lSA_lS6_lPT4_lSA_li.num_named_barrier, 0
	.set _ZL32rocblas_gemvt_warp_reduce_kernelILb1ELi1024EiPK19rocblas_complex_numIdES3_KPS1_EviiT3_lPKT2_lT1_lS9_lSA_lS6_lPT4_lSA_li.private_seg_size, 0
	.set _ZL32rocblas_gemvt_warp_reduce_kernelILb1ELi1024EiPK19rocblas_complex_numIdES3_KPS1_EviiT3_lPKT2_lT1_lS9_lSA_lS6_lPT4_lSA_li.uses_vcc, 1
	.set _ZL32rocblas_gemvt_warp_reduce_kernelILb1ELi1024EiPK19rocblas_complex_numIdES3_KPS1_EviiT3_lPKT2_lT1_lS9_lSA_lS6_lPT4_lSA_li.uses_flat_scratch, 0
	.set _ZL32rocblas_gemvt_warp_reduce_kernelILb1ELi1024EiPK19rocblas_complex_numIdES3_KPS1_EviiT3_lPKT2_lT1_lS9_lSA_lS6_lPT4_lSA_li.has_dyn_sized_stack, 0
	.set _ZL32rocblas_gemvt_warp_reduce_kernelILb1ELi1024EiPK19rocblas_complex_numIdES3_KPS1_EviiT3_lPKT2_lT1_lS9_lSA_lS6_lPT4_lSA_li.has_recursion, 0
	.set _ZL32rocblas_gemvt_warp_reduce_kernelILb1ELi1024EiPK19rocblas_complex_numIdES3_KPS1_EviiT3_lPKT2_lT1_lS9_lSA_lS6_lPT4_lSA_li.has_indirect_call, 0
	.section	.AMDGPU.csdata,"",@progbits
; Kernel info:
; codeLenInByte = 2052
; TotalNumSgprs: 44
; NumVgprs: 44
; ScratchSize: 0
; MemoryBound: 0
; FloatMode: 240
; IeeeMode: 1
; LDSByteSize: 512 bytes/workgroup (compile time only)
; SGPRBlocks: 0
; VGPRBlocks: 2
; NumSGPRsForWavesPerEU: 44
; NumVGPRsForWavesPerEU: 44
; NamedBarCnt: 0
; Occupancy: 16
; WaveLimiterHint : 1
; COMPUTE_PGM_RSRC2:SCRATCH_EN: 0
; COMPUTE_PGM_RSRC2:USER_SGPR: 2
; COMPUTE_PGM_RSRC2:TRAP_HANDLER: 0
; COMPUTE_PGM_RSRC2:TGID_X_EN: 1
; COMPUTE_PGM_RSRC2:TGID_Y_EN: 0
; COMPUTE_PGM_RSRC2:TGID_Z_EN: 1
; COMPUTE_PGM_RSRC2:TIDIG_COMP_CNT: 0
	.section	.text._ZL32rocblas_gemvt_warp_reduce_kernelILb1ELi1024ElPK19rocblas_complex_numIdES3_KPS1_EviiT3_lPKT2_lT1_lS9_lSA_lS6_lPT4_lSA_li,"axG",@progbits,_ZL32rocblas_gemvt_warp_reduce_kernelILb1ELi1024ElPK19rocblas_complex_numIdES3_KPS1_EviiT3_lPKT2_lT1_lS9_lSA_lS6_lPT4_lSA_li,comdat
	.globl	_ZL32rocblas_gemvt_warp_reduce_kernelILb1ELi1024ElPK19rocblas_complex_numIdES3_KPS1_EviiT3_lPKT2_lT1_lS9_lSA_lS6_lPT4_lSA_li ; -- Begin function _ZL32rocblas_gemvt_warp_reduce_kernelILb1ELi1024ElPK19rocblas_complex_numIdES3_KPS1_EviiT3_lPKT2_lT1_lS9_lSA_lS6_lPT4_lSA_li
	.p2align	8
	.type	_ZL32rocblas_gemvt_warp_reduce_kernelILb1ELi1024ElPK19rocblas_complex_numIdES3_KPS1_EviiT3_lPKT2_lT1_lS9_lSA_lS6_lPT4_lSA_li,@function
_ZL32rocblas_gemvt_warp_reduce_kernelILb1ELi1024ElPK19rocblas_complex_numIdES3_KPS1_EviiT3_lPKT2_lT1_lS9_lSA_lS6_lPT4_lSA_li: ; @_ZL32rocblas_gemvt_warp_reduce_kernelILb1ELi1024ElPK19rocblas_complex_numIdES3_KPS1_EviiT3_lPKT2_lT1_lS9_lSA_lS6_lPT4_lSA_li
; %bb.0:
	s_load_b32 s33, s[0:1], 0x88
	s_bfe_u32 s2, ttmp6, 0x40014
	s_lshr_b32 s3, ttmp7, 16
	s_add_co_i32 s2, s2, 1
	s_bfe_u32 s5, ttmp6, 0x40008
	s_mul_i32 s4, s3, s2
	s_getreg_b32 s2, hwreg(HW_REG_IB_STS2, 6, 4)
	s_add_co_i32 s5, s5, s4
	s_cmp_eq_u32 s2, 0
	s_mov_b32 s7, 0
	s_cselect_b32 s6, s3, s5
	s_wait_kmcnt 0x0
	s_cmp_ge_u32 s6, s33
	s_cbranch_scc1 .LBB377_39
; %bb.1:
	s_clause 0x1
	s_load_b32 s29, s[0:1], 0x0
	s_load_b64 s[34:35], s[0:1], 0x48
	s_bfe_u32 s3, ttmp6, 0x4000c
	s_and_b32 s4, ttmp6, 15
	s_add_co_i32 s3, s3, 1
	s_clause 0x2
	s_load_b256 s[8:15], s[0:1], 0x8
	s_load_b128 s[24:27], s[0:1], 0x38
	s_load_b256 s[16:23], s[0:1], 0x58
	s_mul_i32 s3, ttmp9, s3
	v_mbcnt_lo_u32_b32 v33, -1, 0
	s_add_co_i32 s4, s4, s3
	s_cmp_eq_u32 s2, 0
	s_load_b64 s[30:31], s[0:1], 0x28
	s_cselect_b32 s2, ttmp9, s4
	s_load_b64 s[4:5], s[0:1], 0x78
	s_wait_xcnt 0x0
	v_cmp_eq_u32_e64 s0, 0, v0
	s_wait_kmcnt 0x0
	s_ashr_i32 s3, s29, 31
	v_cmp_gt_i32_e32 vcc_lo, s29, v0
	s_lshr_b32 s3, s3, 22
	s_lshl_b64 s[14:15], s[14:15], 4
	s_add_co_i32 s3, s29, s3
	s_lshl_b64 s[26:27], s[26:27], 4
	s_and_b32 s28, s3, 0xfffffc00
	s_delay_alu instid0(SALU_CYCLE_1) | instskip(SKIP_3) | instid1(VALU_DEP_3)
	v_dual_mov_b32 v19, 0 :: v_dual_bitop2_b32 v4, s28, v0 bitop3:0x54
	v_cndmask_b32_e32 v6, 0, v0, vcc_lo
	s_ashr_i32 s3, s2, 31
	v_cmp_gt_i32_e64 s1, s28, v0
	v_dual_mov_b32 v1, v19 :: v_dual_ashrrev_i32 v5, 31, v4
	s_mul_u64 s[36:37], s[4:5], s[2:3]
	s_mul_u64 s[30:31], s[30:31], s[2:3]
	v_cmp_gt_i32_e64 s2, s29, v4
	s_delay_alu instid0(VALU_DEP_2)
	v_mul_u64_e32 v[2:3], s[34:35], v[0:1]
	v_mul_u64_e32 v[20:21], s[34:35], v[4:5]
	v_dual_lshlrev_b32 v18, 4, v6 :: v_dual_bitop2_b32 v4, 31, v0 bitop3:0x40
	v_lshrrev_b32_e32 v5, 1, v0
	v_cmp_gt_u32_e64 s3, 32, v0
	s_ashr_i32 s29, s28, 31
	v_cmp_eq_u32_e64 s4, 0, v4
	v_lshl_add_u64 v[24:25], s[30:31], 4, v[18:19]
	v_and_b32_e32 v32, 0x1f0, v5
	s_lshl_b64 s[34:35], s[34:35], 14
	v_lshlrev_b32_e32 v18, 4, v6
	s_lshl_b64 s[22:23], s[22:23], 4
	v_or_b32_e32 v24, 8, v24
	s_lshl_b64 s[36:37], s[36:37], 4
	v_lshlrev_b64_e32 v[22:23], 4, v[2:3]
	s_delay_alu instid0(VALU_DEP_1)
	v_dual_lshlrev_b32 v1, 4, v4 :: v_dual_bitop2_b32 v22, 8, v22 bitop3:0x54
	s_branch .LBB377_4
.LBB377_2:                              ;   in Loop: Header=BB377_4 Depth=1
	s_wait_xcnt 0x0
	s_or_b32 exec_lo, exec_lo, s5
.LBB377_3:                              ;   in Loop: Header=BB377_4 Depth=1
	s_add_co_i32 s6, s6, 0x10000
	s_delay_alu instid0(SALU_CYCLE_1)
	s_cmp_lt_u32 s6, s33
	s_cbranch_scc0 .LBB377_39
.LBB377_4:                              ; =>This Loop Header: Depth=1
                                        ;     Child Loop BB377_28 Depth 2
	s_mul_u64 s[38:39], s[10:11], s[6:7]
	s_delay_alu instid0(SALU_CYCLE_1) | instskip(NEXT) | instid1(SALU_CYCLE_1)
	s_lshl_b64 s[38:39], s[38:39], 4
	s_add_nc_u64 s[38:39], s[8:9], s[38:39]
	global_load_b128 v[6:9], v19, s[38:39]
	s_wait_xcnt 0x0
	s_mul_u64 s[38:39], s[18:19], s[6:7]
	s_delay_alu instid0(SALU_CYCLE_1) | instskip(NEXT) | instid1(SALU_CYCLE_1)
	s_lshl_b64 s[38:39], s[38:39], 4
	s_add_nc_u64 s[38:39], s[16:17], s[38:39]
	s_wait_loadcnt 0x1
	global_load_b128 v[2:5], v19, s[38:39]
	s_wait_xcnt 0x0
	s_mov_b32 s39, -1
	s_wait_loadcnt 0x1
	v_cmp_neq_f64_e32 vcc_lo, 0, v[6:7]
	v_cmp_neq_f64_e64 s5, 0, v[8:9]
	s_or_b32 s38, vcc_lo, s5
	s_mov_b32 s5, 0
	s_and_b32 vcc_lo, exec_lo, s38
	s_cbranch_vccz .LBB377_7
; %bb.5:                                ;   in Loop: Header=BB377_4 Depth=1
	s_wait_dscnt 0x0
	v_mov_b64_e32 v[14:15], 0
	s_and_not1_b32 vcc_lo, exec_lo, s39
	s_cbranch_vccz .LBB377_8
.LBB377_6:                              ;   in Loop: Header=BB377_4 Depth=1
	s_and_not1_b32 vcc_lo, exec_lo, s5
	s_cbranch_vccnz .LBB377_3
	s_branch .LBB377_9
.LBB377_7:                              ;   in Loop: Header=BB377_4 Depth=1
	s_wait_loadcnt 0x0
	v_cmp_neq_f64_e32 vcc_lo, 1.0, v[2:3]
	v_cmp_neq_f64_e64 s5, 0, v[4:5]
	s_or_b32 s5, vcc_lo, s5
	s_wait_dscnt 0x0
	v_mov_b64_e32 v[14:15], 0
	s_cbranch_execnz .LBB377_6
.LBB377_8:                              ;   in Loop: Header=BB377_4 Depth=1
	s_lshl_b64 s[40:41], s[6:7], 3
	s_delay_alu instid0(SALU_CYCLE_1)
	s_add_nc_u64 s[40:41], s[12:13], s[40:41]
	global_load_b64 v[10:11], v19, s[40:41]
	s_wait_loadcnt 0x0
	v_add_nc_u64_e32 v[14:15], s[14:15], v[10:11]
.LBB377_9:                              ;   in Loop: Header=BB377_4 Depth=1
	v_mov_b64_e32 v[16:17], 0
	s_and_not1_b32 vcc_lo, exec_lo, s38
	s_cbranch_vccnz .LBB377_11
; %bb.10:                               ;   in Loop: Header=BB377_4 Depth=1
	s_wait_xcnt 0x0
	s_lshl_b64 s[40:41], s[6:7], 3
	s_delay_alu instid0(SALU_CYCLE_1)
	s_add_nc_u64 s[40:41], s[24:25], s[40:41]
	global_load_b64 v[10:11], v19, s[40:41]
	s_wait_loadcnt 0x0
	v_add_nc_u64_e32 v[16:17], s[26:27], v[10:11]
.LBB377_11:                             ;   in Loop: Header=BB377_4 Depth=1
	s_wait_xcnt 0x0
	s_lshl_b64 s[40:41], s[6:7], 3
	s_xor_b32 s5, s38, -1
	s_add_nc_u64 s[40:41], s[20:21], s[40:41]
	s_and_not1_b32 vcc_lo, exec_lo, s5
	global_load_b64 v[10:11], v19, s[40:41]
	s_wait_loadcnt 0x0
	v_add_nc_u64_e32 v[26:27], s[22:23], v[10:11]
	s_cbranch_vccnz .LBB377_16
; %bb.12:                               ;   in Loop: Header=BB377_4 Depth=1
	s_mov_b32 s39, 0
	s_mov_b32 s38, 0
                                        ; implicit-def: $vgpr12_vgpr13
	s_wait_xcnt 0x0
	s_and_saveexec_b32 s40, s0
	s_cbranch_execz .LBB377_17
; %bb.13:                               ;   in Loop: Header=BB377_4 Depth=1
	v_cmp_neq_f64_e32 vcc_lo, 0, v[2:3]
	v_cmp_neq_f64_e64 s5, 0, v[4:5]
	v_mov_b64_e32 v[12:13], 0
	v_mov_b64_e32 v[10:11], 0
	s_or_b32 s5, vcc_lo, s5
	s_delay_alu instid0(SALU_CYCLE_1)
	s_and_not1_b32 vcc_lo, exec_lo, s5
	s_cbranch_vccnz .LBB377_15
; %bb.14:                               ;   in Loop: Header=BB377_4 Depth=1
	v_add_nc_u64_e32 v[10:11], s[36:37], v[26:27]
	flat_load_b128 v[28:31], v[10:11]
	s_wait_loadcnt_dscnt 0x0
	s_wait_xcnt 0x0
	v_mul_f64_e32 v[10:11], v[4:5], v[30:31]
	v_mul_f64_e32 v[12:13], v[2:3], v[30:31]
	s_delay_alu instid0(VALU_DEP_2) | instskip(NEXT) | instid1(VALU_DEP_2)
	v_fma_f64 v[10:11], v[2:3], v[28:29], -v[10:11]
	v_fmac_f64_e32 v[12:13], v[4:5], v[28:29]
.LBB377_15:                             ;   in Loop: Header=BB377_4 Depth=1
	s_mov_b32 s38, exec_lo
	s_or_b32 exec_lo, exec_lo, s40
	s_delay_alu instid0(SALU_CYCLE_1)
	s_and_b32 vcc_lo, exec_lo, s39
	s_cbranch_vccnz .LBB377_18
	s_branch .LBB377_37
.LBB377_16:                             ;   in Loop: Header=BB377_4 Depth=1
	s_mov_b32 s38, 0
                                        ; implicit-def: $vgpr12_vgpr13
	s_cbranch_execnz .LBB377_18
	s_branch .LBB377_37
.LBB377_17:                             ;   in Loop: Header=BB377_4 Depth=1
	s_or_b32 exec_lo, exec_lo, s40
	s_delay_alu instid0(SALU_CYCLE_1)
	s_and_b32 vcc_lo, exec_lo, s39
	s_cbranch_vccz .LBB377_37
.LBB377_18:                             ;   in Loop: Header=BB377_4 Depth=1
	v_mov_b64_e32 v[10:11], 0
	v_mov_b64_e32 v[12:13], 0
	s_wait_xcnt 0x0
	s_and_saveexec_b32 s5, s1
	s_cbranch_execnz .LBB377_27
; %bb.19:                               ;   in Loop: Header=BB377_4 Depth=1
	s_or_b32 exec_lo, exec_lo, s5
	s_and_saveexec_b32 s5, s2
	s_cbranch_execnz .LBB377_30
.LBB377_20:                             ;   in Loop: Header=BB377_4 Depth=1
	s_or_b32 exec_lo, exec_lo, s5
	s_and_saveexec_b32 s5, s3
.LBB377_21:                             ;   in Loop: Header=BB377_4 Depth=1
	v_dual_mov_b32 v14, v19 :: v_dual_mov_b32 v15, v19
	v_dual_mov_b32 v16, v19 :: v_dual_mov_b32 v17, v19
	ds_store_b128 v1, v[14:17]
.LBB377_22:                             ;   in Loop: Header=BB377_4 Depth=1
	s_or_b32 exec_lo, exec_lo, s5
	v_lshl_or_b32 v28, v33, 2, 64
	v_cmp_gt_u32_e32 vcc_lo, 24, v33
	s_wait_dscnt 0x0
	s_barrier_signal -1
	s_barrier_wait -1
	ds_bpermute_b32 v14, v28, v12
	ds_bpermute_b32 v15, v28, v13
	ds_bpermute_b32 v16, v28, v10
	ds_bpermute_b32 v17, v28, v11
	s_wait_dscnt 0x0
	v_add_f64_e32 v[12:13], v[12:13], v[14:15]
	v_cndmask_b32_e64 v14, 0, 8, vcc_lo
	v_add_f64_e32 v[10:11], v[10:11], v[16:17]
	v_cmp_gt_u32_e32 vcc_lo, 28, v33
	s_delay_alu instid0(VALU_DEP_3)
	v_add_lshl_u32 v29, v14, v33, 2
	ds_bpermute_b32 v14, v29, v12
	ds_bpermute_b32 v15, v29, v13
	;; [unrolled: 1-line block ×4, first 2 shown]
	s_wait_dscnt 0x2
	v_add_f64_e32 v[12:13], v[12:13], v[14:15]
	v_cndmask_b32_e64 v14, 0, 4, vcc_lo
	s_wait_dscnt 0x0
	v_add_f64_e32 v[10:11], v[10:11], v[16:17]
	v_cmp_gt_u32_e32 vcc_lo, 30, v33
	s_delay_alu instid0(VALU_DEP_3)
	v_add_lshl_u32 v30, v14, v33, 2
	ds_bpermute_b32 v14, v30, v12
	ds_bpermute_b32 v15, v30, v13
	;; [unrolled: 1-line block ×4, first 2 shown]
	s_wait_dscnt 0x2
	v_add_f64_e32 v[12:13], v[12:13], v[14:15]
	s_wait_dscnt 0x0
	v_add_f64_e32 v[14:15], v[10:11], v[16:17]
	v_cndmask_b32_e64 v10, 0, 2, vcc_lo
	v_cmp_ne_u32_e32 vcc_lo, 31, v33
	s_delay_alu instid0(VALU_DEP_2)
	v_add_lshl_u32 v31, v10, v33, 2
	ds_bpermute_b32 v10, v31, v12
	ds_bpermute_b32 v11, v31, v13
	;; [unrolled: 1-line block ×4, first 2 shown]
	s_wait_dscnt 0x2
	v_add_f64_e32 v[10:11], v[12:13], v[10:11]
	s_wait_dscnt 0x0
	v_add_f64_e32 v[12:13], v[14:15], v[16:17]
	v_add_co_ci_u32_e64 v14, null, 0, v33, vcc_lo
	s_delay_alu instid0(VALU_DEP_1)
	v_lshlrev_b32_e32 v34, 2, v14
	ds_bpermute_b32 v14, v34, v10
	ds_bpermute_b32 v15, v34, v11
	;; [unrolled: 1-line block ×4, first 2 shown]
	s_and_saveexec_b32 s5, s4
	s_cbranch_execz .LBB377_24
; %bb.23:                               ;   in Loop: Header=BB377_4 Depth=1
	s_wait_dscnt 0x0
	v_add_f64_e32 v[12:13], v[12:13], v[16:17]
	v_add_f64_e32 v[10:11], v[10:11], v[14:15]
	ds_store_b128 v32, v[10:13]
.LBB377_24:                             ;   in Loop: Header=BB377_4 Depth=1
	s_or_b32 exec_lo, exec_lo, s5
	s_wait_dscnt 0x0
	v_mov_b64_e32 v[16:17], 0
	v_mov_b64_e32 v[14:15], 0
	s_barrier_signal -1
	s_barrier_wait -1
	s_and_saveexec_b32 s5, s3
	s_cbranch_execnz .LBB377_31
; %bb.25:                               ;   in Loop: Header=BB377_4 Depth=1
	s_or_b32 exec_lo, exec_lo, s5
	s_and_saveexec_b32 s5, s3
	s_cbranch_execnz .LBB377_32
.LBB377_26:                             ;   in Loop: Header=BB377_4 Depth=1
	s_or_b32 exec_lo, exec_lo, s5
                                        ; implicit-def: $vgpr12_vgpr13
	s_and_saveexec_b32 s39, s0
	s_cbranch_execnz .LBB377_33
	s_branch .LBB377_36
.LBB377_27:                             ;   in Loop: Header=BB377_4 Depth=1
	v_add_nc_u64_e32 v[28:29], v[14:15], v[24:25]
	v_add_nc_u64_e32 v[30:31], v[16:17], v[22:23]
	v_mov_b64_e32 v[10:11], 0
	v_mov_b64_e32 v[12:13], 0
	v_mov_b32_e32 v34, v0
	s_mov_b32 s39, 0
.LBB377_28:                             ;   Parent Loop BB377_4 Depth=1
                                        ; =>  This Inner Loop Header: Depth=2
	flat_load_b128 v[36:39], v[28:29] offset:-8
	flat_load_b128 v[40:43], v[30:31] offset:-8
	v_add_nc_u32_e32 v34, 0x400, v34
	s_wait_xcnt 0x1
	v_add_nc_u64_e32 v[28:29], 0x4000, v[28:29]
	s_wait_xcnt 0x0
	v_add_nc_u64_e32 v[30:31], s[34:35], v[30:31]
	v_cmp_le_i32_e32 vcc_lo, s28, v34
	s_or_b32 s39, vcc_lo, s39
	s_wait_loadcnt_dscnt 0x0
	v_mul_f64_e32 v[44:45], v[38:39], v[42:43]
	v_mul_f64_e32 v[38:39], v[38:39], v[40:41]
	s_delay_alu instid0(VALU_DEP_2) | instskip(NEXT) | instid1(VALU_DEP_2)
	v_fmac_f64_e32 v[44:45], v[36:37], v[40:41]
	v_fma_f64 v[36:37], v[36:37], v[42:43], -v[38:39]
	s_delay_alu instid0(VALU_DEP_2) | instskip(NEXT) | instid1(VALU_DEP_2)
	v_add_f64_e32 v[12:13], v[12:13], v[44:45]
	v_add_f64_e32 v[10:11], v[10:11], v[36:37]
	s_and_not1_b32 exec_lo, exec_lo, s39
	s_cbranch_execnz .LBB377_28
; %bb.29:                               ;   in Loop: Header=BB377_4 Depth=1
	s_or_b32 exec_lo, exec_lo, s39
	s_delay_alu instid0(SALU_CYCLE_1)
	s_or_b32 exec_lo, exec_lo, s5
	s_and_saveexec_b32 s5, s2
	s_cbranch_execz .LBB377_20
.LBB377_30:                             ;   in Loop: Header=BB377_4 Depth=1
	v_add_nc_u64_e32 v[14:15], v[14:15], v[18:19]
	v_lshl_add_u64 v[34:35], v[20:21], 4, v[16:17]
	s_delay_alu instid0(VALU_DEP_2) | instskip(NEXT) | instid1(VALU_DEP_1)
	v_lshl_add_u64 v[14:15], s[30:31], 4, v[14:15]
	v_lshl_add_u64 v[36:37], s[28:29], 4, v[14:15]
	flat_load_b128 v[14:17], v[34:35]
	flat_load_b128 v[28:31], v[36:37]
	s_wait_loadcnt_dscnt 0x0
	s_wait_xcnt 0x1
	v_mul_f64_e32 v[34:35], v[30:31], v[16:17]
	v_mul_f64_e32 v[30:31], v[30:31], v[14:15]
	s_delay_alu instid0(VALU_DEP_2) | instskip(NEXT) | instid1(VALU_DEP_2)
	v_fmac_f64_e32 v[34:35], v[28:29], v[14:15]
	v_fma_f64 v[14:15], v[28:29], v[16:17], -v[30:31]
	s_delay_alu instid0(VALU_DEP_2) | instskip(NEXT) | instid1(VALU_DEP_2)
	v_add_f64_e32 v[12:13], v[12:13], v[34:35]
	v_add_f64_e32 v[10:11], v[10:11], v[14:15]
	s_wait_xcnt 0x0
	s_or_b32 exec_lo, exec_lo, s5
	s_and_saveexec_b32 s5, s3
	s_cbranch_execnz .LBB377_21
	s_branch .LBB377_22
.LBB377_31:                             ;   in Loop: Header=BB377_4 Depth=1
	ds_load_b128 v[14:17], v1
	s_or_b32 exec_lo, exec_lo, s5
	s_and_saveexec_b32 s5, s3
	s_cbranch_execz .LBB377_26
.LBB377_32:                             ;   in Loop: Header=BB377_4 Depth=1
	s_wait_dscnt 0x0
	ds_bpermute_b32 v10, v28, v14
	ds_bpermute_b32 v11, v28, v15
	ds_bpermute_b32 v12, v28, v16
	ds_bpermute_b32 v13, v28, v17
	s_wait_dscnt 0x2
	v_add_f64_e32 v[10:11], v[14:15], v[10:11]
	s_wait_dscnt 0x0
	v_add_f64_e32 v[12:13], v[16:17], v[12:13]
	ds_bpermute_b32 v14, v29, v10
	ds_bpermute_b32 v15, v29, v11
	ds_bpermute_b32 v16, v29, v12
	ds_bpermute_b32 v17, v29, v13
	s_wait_dscnt 0x2
	v_add_f64_e32 v[10:11], v[10:11], v[14:15]
	s_wait_dscnt 0x0
	v_add_f64_e32 v[12:13], v[12:13], v[16:17]
	;; [unrolled: 8-line block ×5, first 2 shown]
	s_or_b32 exec_lo, exec_lo, s5
                                        ; implicit-def: $vgpr12_vgpr13
	s_and_saveexec_b32 s39, s0
	s_cbranch_execz .LBB377_36
.LBB377_33:                             ;   in Loop: Header=BB377_4 Depth=1
	s_wait_dscnt 0x0
	s_delay_alu instid0(VALU_DEP_1) | instskip(SKIP_3) | instid1(VALU_DEP_4)
	v_mul_f64_e32 v[10:11], v[8:9], v[16:17]
	v_mul_f64_e32 v[12:13], v[6:7], v[16:17]
	v_cmp_neq_f64_e32 vcc_lo, 0, v[2:3]
	v_cmp_neq_f64_e64 s5, 0, v[4:5]
	v_fma_f64 v[10:11], v[6:7], v[14:15], -v[10:11]
	s_delay_alu instid0(VALU_DEP_4) | instskip(SKIP_1) | instid1(SALU_CYCLE_1)
	v_fmac_f64_e32 v[12:13], v[8:9], v[14:15]
	s_or_b32 s5, vcc_lo, s5
	s_and_not1_b32 vcc_lo, exec_lo, s5
	s_cbranch_vccnz .LBB377_35
; %bb.34:                               ;   in Loop: Header=BB377_4 Depth=1
	v_add_nc_u64_e32 v[6:7], s[36:37], v[26:27]
	flat_load_b128 v[6:9], v[6:7]
	s_wait_loadcnt_dscnt 0x0
	v_mul_f64_e32 v[14:15], v[4:5], v[8:9]
	v_mul_f64_e32 v[8:9], v[2:3], v[8:9]
	s_delay_alu instid0(VALU_DEP_2) | instskip(NEXT) | instid1(VALU_DEP_2)
	v_fma_f64 v[2:3], v[2:3], v[6:7], -v[14:15]
	v_fmac_f64_e32 v[8:9], v[4:5], v[6:7]
	s_delay_alu instid0(VALU_DEP_2) | instskip(NEXT) | instid1(VALU_DEP_2)
	v_add_f64_e32 v[10:11], v[10:11], v[2:3]
	v_add_f64_e32 v[12:13], v[12:13], v[8:9]
.LBB377_35:                             ;   in Loop: Header=BB377_4 Depth=1
	s_or_b32 s38, s38, exec_lo
.LBB377_36:                             ;   in Loop: Header=BB377_4 Depth=1
	s_wait_xcnt 0x0
	s_or_b32 exec_lo, exec_lo, s39
.LBB377_37:                             ;   in Loop: Header=BB377_4 Depth=1
	s_wait_xcnt 0x0
	s_and_saveexec_b32 s5, s38
	s_cbranch_execz .LBB377_2
; %bb.38:                               ;   in Loop: Header=BB377_4 Depth=1
	v_add_nc_u64_e32 v[2:3], s[36:37], v[26:27]
	flat_store_b128 v[2:3], v[10:13]
	s_branch .LBB377_2
.LBB377_39:
	s_endpgm
	.section	.rodata,"a",@progbits
	.p2align	6, 0x0
	.amdhsa_kernel _ZL32rocblas_gemvt_warp_reduce_kernelILb1ELi1024ElPK19rocblas_complex_numIdES3_KPS1_EviiT3_lPKT2_lT1_lS9_lSA_lS6_lPT4_lSA_li
		.amdhsa_group_segment_fixed_size 512
		.amdhsa_private_segment_fixed_size 0
		.amdhsa_kernarg_size 140
		.amdhsa_user_sgpr_count 2
		.amdhsa_user_sgpr_dispatch_ptr 0
		.amdhsa_user_sgpr_queue_ptr 0
		.amdhsa_user_sgpr_kernarg_segment_ptr 1
		.amdhsa_user_sgpr_dispatch_id 0
		.amdhsa_user_sgpr_kernarg_preload_length 0
		.amdhsa_user_sgpr_kernarg_preload_offset 0
		.amdhsa_user_sgpr_private_segment_size 0
		.amdhsa_wavefront_size32 1
		.amdhsa_uses_dynamic_stack 0
		.amdhsa_enable_private_segment 0
		.amdhsa_system_sgpr_workgroup_id_x 1
		.amdhsa_system_sgpr_workgroup_id_y 0
		.amdhsa_system_sgpr_workgroup_id_z 1
		.amdhsa_system_sgpr_workgroup_info 0
		.amdhsa_system_vgpr_workitem_id 0
		.amdhsa_next_free_vgpr 46
		.amdhsa_next_free_sgpr 42
		.amdhsa_named_barrier_count 0
		.amdhsa_reserve_vcc 1
		.amdhsa_float_round_mode_32 0
		.amdhsa_float_round_mode_16_64 0
		.amdhsa_float_denorm_mode_32 3
		.amdhsa_float_denorm_mode_16_64 3
		.amdhsa_fp16_overflow 0
		.amdhsa_memory_ordered 1
		.amdhsa_forward_progress 1
		.amdhsa_inst_pref_size 17
		.amdhsa_round_robin_scheduling 0
		.amdhsa_exception_fp_ieee_invalid_op 0
		.amdhsa_exception_fp_denorm_src 0
		.amdhsa_exception_fp_ieee_div_zero 0
		.amdhsa_exception_fp_ieee_overflow 0
		.amdhsa_exception_fp_ieee_underflow 0
		.amdhsa_exception_fp_ieee_inexact 0
		.amdhsa_exception_int_div_zero 0
	.end_amdhsa_kernel
	.section	.text._ZL32rocblas_gemvt_warp_reduce_kernelILb1ELi1024ElPK19rocblas_complex_numIdES3_KPS1_EviiT3_lPKT2_lT1_lS9_lSA_lS6_lPT4_lSA_li,"axG",@progbits,_ZL32rocblas_gemvt_warp_reduce_kernelILb1ELi1024ElPK19rocblas_complex_numIdES3_KPS1_EviiT3_lPKT2_lT1_lS9_lSA_lS6_lPT4_lSA_li,comdat
.Lfunc_end377:
	.size	_ZL32rocblas_gemvt_warp_reduce_kernelILb1ELi1024ElPK19rocblas_complex_numIdES3_KPS1_EviiT3_lPKT2_lT1_lS9_lSA_lS6_lPT4_lSA_li, .Lfunc_end377-_ZL32rocblas_gemvt_warp_reduce_kernelILb1ELi1024ElPK19rocblas_complex_numIdES3_KPS1_EviiT3_lPKT2_lT1_lS9_lSA_lS6_lPT4_lSA_li
                                        ; -- End function
	.set _ZL32rocblas_gemvt_warp_reduce_kernelILb1ELi1024ElPK19rocblas_complex_numIdES3_KPS1_EviiT3_lPKT2_lT1_lS9_lSA_lS6_lPT4_lSA_li.num_vgpr, 46
	.set _ZL32rocblas_gemvt_warp_reduce_kernelILb1ELi1024ElPK19rocblas_complex_numIdES3_KPS1_EviiT3_lPKT2_lT1_lS9_lSA_lS6_lPT4_lSA_li.num_agpr, 0
	.set _ZL32rocblas_gemvt_warp_reduce_kernelILb1ELi1024ElPK19rocblas_complex_numIdES3_KPS1_EviiT3_lPKT2_lT1_lS9_lSA_lS6_lPT4_lSA_li.numbered_sgpr, 42
	.set _ZL32rocblas_gemvt_warp_reduce_kernelILb1ELi1024ElPK19rocblas_complex_numIdES3_KPS1_EviiT3_lPKT2_lT1_lS9_lSA_lS6_lPT4_lSA_li.num_named_barrier, 0
	.set _ZL32rocblas_gemvt_warp_reduce_kernelILb1ELi1024ElPK19rocblas_complex_numIdES3_KPS1_EviiT3_lPKT2_lT1_lS9_lSA_lS6_lPT4_lSA_li.private_seg_size, 0
	.set _ZL32rocblas_gemvt_warp_reduce_kernelILb1ELi1024ElPK19rocblas_complex_numIdES3_KPS1_EviiT3_lPKT2_lT1_lS9_lSA_lS6_lPT4_lSA_li.uses_vcc, 1
	.set _ZL32rocblas_gemvt_warp_reduce_kernelILb1ELi1024ElPK19rocblas_complex_numIdES3_KPS1_EviiT3_lPKT2_lT1_lS9_lSA_lS6_lPT4_lSA_li.uses_flat_scratch, 0
	.set _ZL32rocblas_gemvt_warp_reduce_kernelILb1ELi1024ElPK19rocblas_complex_numIdES3_KPS1_EviiT3_lPKT2_lT1_lS9_lSA_lS6_lPT4_lSA_li.has_dyn_sized_stack, 0
	.set _ZL32rocblas_gemvt_warp_reduce_kernelILb1ELi1024ElPK19rocblas_complex_numIdES3_KPS1_EviiT3_lPKT2_lT1_lS9_lSA_lS6_lPT4_lSA_li.has_recursion, 0
	.set _ZL32rocblas_gemvt_warp_reduce_kernelILb1ELi1024ElPK19rocblas_complex_numIdES3_KPS1_EviiT3_lPKT2_lT1_lS9_lSA_lS6_lPT4_lSA_li.has_indirect_call, 0
	.section	.AMDGPU.csdata,"",@progbits
; Kernel info:
; codeLenInByte = 2056
; TotalNumSgprs: 44
; NumVgprs: 46
; ScratchSize: 0
; MemoryBound: 0
; FloatMode: 240
; IeeeMode: 1
; LDSByteSize: 512 bytes/workgroup (compile time only)
; SGPRBlocks: 0
; VGPRBlocks: 2
; NumSGPRsForWavesPerEU: 44
; NumVGPRsForWavesPerEU: 46
; NamedBarCnt: 0
; Occupancy: 16
; WaveLimiterHint : 1
; COMPUTE_PGM_RSRC2:SCRATCH_EN: 0
; COMPUTE_PGM_RSRC2:USER_SGPR: 2
; COMPUTE_PGM_RSRC2:TRAP_HANDLER: 0
; COMPUTE_PGM_RSRC2:TGID_X_EN: 1
; COMPUTE_PGM_RSRC2:TGID_Y_EN: 0
; COMPUTE_PGM_RSRC2:TGID_Z_EN: 1
; COMPUTE_PGM_RSRC2:TIDIG_COMP_CNT: 0
	.section	.text._ZL32rocblas_gemvt_warp_reduce_kernelILb1ELi1024EiPK19rocblas_complex_numIdES1_KPS1_EviiT3_lPKT2_lT1_lS9_lSA_lS6_lPT4_lSA_li,"axG",@progbits,_ZL32rocblas_gemvt_warp_reduce_kernelILb1ELi1024EiPK19rocblas_complex_numIdES1_KPS1_EviiT3_lPKT2_lT1_lS9_lSA_lS6_lPT4_lSA_li,comdat
	.globl	_ZL32rocblas_gemvt_warp_reduce_kernelILb1ELi1024EiPK19rocblas_complex_numIdES1_KPS1_EviiT3_lPKT2_lT1_lS9_lSA_lS6_lPT4_lSA_li ; -- Begin function _ZL32rocblas_gemvt_warp_reduce_kernelILb1ELi1024EiPK19rocblas_complex_numIdES1_KPS1_EviiT3_lPKT2_lT1_lS9_lSA_lS6_lPT4_lSA_li
	.p2align	8
	.type	_ZL32rocblas_gemvt_warp_reduce_kernelILb1ELi1024EiPK19rocblas_complex_numIdES1_KPS1_EviiT3_lPKT2_lT1_lS9_lSA_lS6_lPT4_lSA_li,@function
_ZL32rocblas_gemvt_warp_reduce_kernelILb1ELi1024EiPK19rocblas_complex_numIdES1_KPS1_EviiT3_lPKT2_lT1_lS9_lSA_lS6_lPT4_lSA_li: ; @_ZL32rocblas_gemvt_warp_reduce_kernelILb1ELi1024EiPK19rocblas_complex_numIdES1_KPS1_EviiT3_lPKT2_lT1_lS9_lSA_lS6_lPT4_lSA_li
; %bb.0:
	s_load_b32 s5, s[0:1], 0x98
	s_bfe_u32 s2, ttmp6, 0x40014
	s_lshr_b32 s3, ttmp7, 16
	s_add_co_i32 s2, s2, 1
	s_bfe_u32 s6, ttmp6, 0x40008
	s_mul_i32 s4, s3, s2
	s_getreg_b32 s2, hwreg(HW_REG_IB_STS2, 6, 4)
	s_add_co_i32 s6, s6, s4
	s_cmp_eq_u32 s2, 0
	s_mov_b32 s7, 0
	s_cselect_b32 s6, s3, s6
	s_wait_kmcnt 0x0
	s_cmp_ge_u32 s6, s5
	s_cbranch_scc1 .LBB378_41
; %bb.1:
	s_clause 0x8
	s_load_b128 s[8:11], s[0:1], 0x8
	s_load_b128 s[12:15], s[0:1], 0x60
	s_load_b32 s39, s[0:1], 0x0
	s_load_b128 s[16:19], s[0:1], 0x78
	s_load_b128 s[20:23], s[0:1], 0x20
	s_load_b32 s31, s[0:1], 0x30
	s_load_b128 s[24:27], s[0:1], 0x40
	s_load_b32 s34, s[0:1], 0x50
	s_load_b32 s35, s[0:1], 0x88
	s_bfe_u32 s36, ttmp6, 0x4000c
	s_and_b32 s33, ttmp6, 15
	s_add_co_i32 s36, s36, 1
	v_dual_mov_b32 v11, 0 :: v_dual_bitop2_b32 v2, 31, v0 bitop3:0x40
	s_mul_i32 s36, ttmp9, s36
	v_lshrrev_b32_e32 v3, 1, v0
	s_add_co_i32 s38, s33, s36
	s_wait_xcnt 0x0
	v_cmp_eq_u32_e64 s0, 0, v0
	v_lshlrev_b32_e32 v1, 4, v2
	v_cmp_gt_u32_e64 s1, 32, v0
	v_and_b32_e32 v21, 0x1f0, v3
	v_mbcnt_lo_u32_b32 v23, -1, 0
	s_wait_kmcnt 0x0
	v_cmp_gt_i32_e32 vcc_lo, s39, v0
	v_cmp_neq_f64_e64 s3, s[8:9], 0
	v_cmp_neq_f64_e64 s30, s[10:11], 0
	v_cmp_neq_f64_e64 s4, s[12:13], 1.0
	v_cmp_neq_f64_e64 s28, s[14:15], 0
	v_cmp_neq_f64_e64 s29, s[12:13], 0
	v_mul_lo_u32 v22, v0, s34
	s_or_b32 s3, s3, s30
	s_or_b32 s33, s4, s28
	;; [unrolled: 1-line block ×3, first 2 shown]
	s_xor_b32 s37, s3, -1
	s_cmp_eq_u32 s2, 0
	v_cndmask_b32_e64 v20, 0, 1, s3
	s_cselect_b32 s3, ttmp9, s38
	s_ashr_i32 s4, s39, 31
	v_cmp_eq_u32_e64 s2, 0, v2
	s_lshr_b32 s4, s4, 22
	s_mul_i32 s30, s31, s3
	s_add_co_i32 s4, s39, s4
	s_ashr_i32 s31, s30, 31
	s_and_b32 s28, s4, 0xfffffc00
	s_delay_alu instid0(SALU_CYCLE_1)
	v_dual_cndmask_b32 v2, 0, v0, vcc_lo :: v_dual_bitop2_b32 v3, s28, v0 bitop3:0x54
	s_lshl_b32 s38, s34, 10
	s_lshl_b64 s[22:23], s[22:23], 4
	s_ashr_i32 s29, s28, 31
	s_lshl_b64 s[26:27], s[26:27], 4
	v_mul_lo_u32 v12, s34, v3
	v_lshlrev_b32_e32 v10, 4, v2
	s_mul_i32 s34, s35, s3
	v_cmp_gt_i32_e64 s3, s28, v0
	v_cmp_gt_i32_e64 s4, s39, v3
	s_ashr_i32 s35, s34, 31
	s_lshl_b64 s[18:19], s[18:19], 4
	s_lshl_b64 s[34:35], s[34:35], 4
	v_ashrrev_i32_e32 v13, 31, v12
	v_lshl_add_u64 v[14:15], s[30:31], 4, v[10:11]
	v_lshlrev_b32_e32 v10, 4, v2
	s_delay_alu instid0(VALU_DEP_2)
	v_or_b32_e32 v14, 8, v14
	s_branch .LBB378_4
.LBB378_2:                              ;   in Loop: Header=BB378_4 Depth=1
	s_wait_xcnt 0x0
	s_or_b32 exec_lo, exec_lo, s40
.LBB378_3:                              ;   in Loop: Header=BB378_4 Depth=1
	s_add_co_i32 s6, s6, 0x10000
	s_delay_alu instid0(SALU_CYCLE_1)
	s_cmp_lt_u32 s6, s5
	s_cbranch_scc0 .LBB378_41
.LBB378_4:                              ; =>This Loop Header: Depth=1
                                        ;     Child Loop BB378_30 Depth 2
	s_and_not1_b32 vcc_lo, exec_lo, s37
	s_cbranch_vccnz .LBB378_7
; %bb.5:                                ;   in Loop: Header=BB378_4 Depth=1
	s_wait_xcnt 0x0
	s_mov_b32 s40, 0
	s_and_b32 vcc_lo, exec_lo, s33
	s_mov_b32 s39, 0
	s_cbranch_vccz .LBB378_8
; %bb.6:                                ;   in Loop: Header=BB378_4 Depth=1
	s_mov_b32 s39, -1
	s_branch .LBB378_8
.LBB378_7:                              ;   in Loop: Header=BB378_4 Depth=1
	s_mov_b32 s39, 0
	s_wait_xcnt 0x0
	s_mov_b32 s40, -1
.LBB378_8:                              ;   in Loop: Header=BB378_4 Depth=1
	s_wait_dscnt 0x0
	v_mov_b64_e32 v[6:7], 0
	s_and_b32 vcc_lo, exec_lo, s40
	s_cbranch_vccnz .LBB378_10
; %bb.9:                                ;   in Loop: Header=BB378_4 Depth=1
	s_and_not1_b32 vcc_lo, exec_lo, s39
	s_cbranch_vccnz .LBB378_3
	s_branch .LBB378_11
.LBB378_10:                             ;   in Loop: Header=BB378_4 Depth=1
	s_lshl_b64 s[40:41], s[6:7], 3
	s_delay_alu instid0(SALU_CYCLE_1)
	s_add_nc_u64 s[40:41], s[20:21], s[40:41]
	global_load_b64 v[2:3], v11, s[40:41]
	s_wait_loadcnt 0x0
	v_add_nc_u64_e32 v[6:7], s[22:23], v[2:3]
.LBB378_11:                             ;   in Loop: Header=BB378_4 Depth=1
	v_cmp_ne_u32_e32 vcc_lo, 1, v20
	v_mov_b64_e32 v[8:9], 0
	s_cbranch_vccnz .LBB378_13
; %bb.12:                               ;   in Loop: Header=BB378_4 Depth=1
	s_wait_xcnt 0x0
	s_lshl_b64 s[40:41], s[6:7], 3
	s_delay_alu instid0(SALU_CYCLE_1)
	s_add_nc_u64 s[40:41], s[24:25], s[40:41]
	global_load_b64 v[2:3], v11, s[40:41]
	s_wait_loadcnt 0x0
	v_add_nc_u64_e32 v[8:9], s[26:27], v[2:3]
.LBB378_13:                             ;   in Loop: Header=BB378_4 Depth=1
	s_wait_xcnt 0x0
	s_lshl_b64 s[40:41], s[6:7], 3
	s_and_not1_b32 vcc_lo, exec_lo, s37
	s_add_nc_u64 s[40:41], s[16:17], s[40:41]
	global_load_b64 v[2:3], v11, s[40:41]
	s_wait_loadcnt 0x0
	v_add_nc_u64_e32 v[16:17], s[18:19], v[2:3]
	s_cbranch_vccnz .LBB378_18
; %bb.14:                               ;   in Loop: Header=BB378_4 Depth=1
	s_wait_xcnt 0x0
	s_mov_b32 s40, 0
	s_mov_b32 s39, 0
                                        ; implicit-def: $vgpr4_vgpr5
	s_and_saveexec_b32 s41, s0
	s_cbranch_execz .LBB378_19
; %bb.15:                               ;   in Loop: Header=BB378_4 Depth=1
	v_mov_b64_e32 v[4:5], 0
	v_mov_b64_e32 v[2:3], 0
	s_and_not1_b32 vcc_lo, exec_lo, s36
	s_cbranch_vccnz .LBB378_17
; %bb.16:                               ;   in Loop: Header=BB378_4 Depth=1
	v_add_nc_u64_e32 v[2:3], s[34:35], v[16:17]
	flat_load_b128 v[24:27], v[2:3]
	s_wait_loadcnt_dscnt 0x0
	s_wait_xcnt 0x0
	v_mul_f64_e32 v[2:3], s[14:15], v[26:27]
	v_mul_f64_e32 v[4:5], s[12:13], v[26:27]
	s_delay_alu instid0(VALU_DEP_2) | instskip(NEXT) | instid1(VALU_DEP_2)
	v_fma_f64 v[2:3], s[12:13], v[24:25], -v[2:3]
	v_fmac_f64_e32 v[4:5], s[14:15], v[24:25]
.LBB378_17:                             ;   in Loop: Header=BB378_4 Depth=1
	s_mov_b32 s39, exec_lo
	s_or_b32 exec_lo, exec_lo, s41
	s_delay_alu instid0(SALU_CYCLE_1)
	s_and_b32 vcc_lo, exec_lo, s40
	s_cbranch_vccnz .LBB378_20
	s_branch .LBB378_39
.LBB378_18:                             ;   in Loop: Header=BB378_4 Depth=1
	s_wait_xcnt 0x0
	s_mov_b32 s39, 0
                                        ; implicit-def: $vgpr4_vgpr5
	s_cbranch_execnz .LBB378_20
	s_branch .LBB378_39
.LBB378_19:                             ;   in Loop: Header=BB378_4 Depth=1
	s_or_b32 exec_lo, exec_lo, s41
	s_delay_alu instid0(SALU_CYCLE_1)
	s_and_b32 vcc_lo, exec_lo, s40
	s_cbranch_vccz .LBB378_39
.LBB378_20:                             ;   in Loop: Header=BB378_4 Depth=1
	v_mov_b64_e32 v[2:3], 0
	v_mov_b64_e32 v[4:5], 0
	s_and_saveexec_b32 s40, s3
	s_cbranch_execnz .LBB378_29
; %bb.21:                               ;   in Loop: Header=BB378_4 Depth=1
	s_or_b32 exec_lo, exec_lo, s40
	s_and_saveexec_b32 s40, s4
	s_cbranch_execnz .LBB378_32
.LBB378_22:                             ;   in Loop: Header=BB378_4 Depth=1
	s_or_b32 exec_lo, exec_lo, s40
	s_and_saveexec_b32 s40, s1
.LBB378_23:                             ;   in Loop: Header=BB378_4 Depth=1
	v_dual_mov_b32 v6, v11 :: v_dual_mov_b32 v7, v11
	v_dual_mov_b32 v8, v11 :: v_dual_mov_b32 v9, v11
	ds_store_b128 v1, v[6:9]
.LBB378_24:                             ;   in Loop: Header=BB378_4 Depth=1
	s_or_b32 exec_lo, exec_lo, s40
	v_lshl_or_b32 v18, v23, 2, 64
	v_cmp_gt_u32_e32 vcc_lo, 24, v23
	s_wait_dscnt 0x0
	s_barrier_signal -1
	s_barrier_wait -1
	ds_bpermute_b32 v6, v18, v4
	ds_bpermute_b32 v7, v18, v5
	;; [unrolled: 1-line block ×4, first 2 shown]
	s_wait_dscnt 0x0
	v_add_f64_e32 v[4:5], v[4:5], v[6:7]
	v_cndmask_b32_e64 v6, 0, 8, vcc_lo
	v_add_f64_e32 v[2:3], v[2:3], v[8:9]
	v_cmp_gt_u32_e32 vcc_lo, 28, v23
	s_delay_alu instid0(VALU_DEP_3)
	v_add_lshl_u32 v19, v6, v23, 2
	ds_bpermute_b32 v6, v19, v4
	ds_bpermute_b32 v7, v19, v5
	;; [unrolled: 1-line block ×4, first 2 shown]
	s_wait_dscnt 0x2
	v_add_f64_e32 v[4:5], v[4:5], v[6:7]
	v_cndmask_b32_e64 v6, 0, 4, vcc_lo
	s_wait_dscnt 0x0
	v_add_f64_e32 v[2:3], v[2:3], v[8:9]
	v_cmp_gt_u32_e32 vcc_lo, 30, v23
	s_delay_alu instid0(VALU_DEP_3)
	v_add_lshl_u32 v24, v6, v23, 2
	ds_bpermute_b32 v6, v24, v4
	ds_bpermute_b32 v7, v24, v5
	;; [unrolled: 1-line block ×4, first 2 shown]
	s_wait_dscnt 0x2
	v_add_f64_e32 v[4:5], v[4:5], v[6:7]
	s_wait_dscnt 0x0
	v_add_f64_e32 v[6:7], v[2:3], v[8:9]
	v_cndmask_b32_e64 v2, 0, 2, vcc_lo
	v_cmp_ne_u32_e32 vcc_lo, 31, v23
	s_delay_alu instid0(VALU_DEP_2)
	v_add_lshl_u32 v25, v2, v23, 2
	ds_bpermute_b32 v2, v25, v4
	ds_bpermute_b32 v3, v25, v5
	;; [unrolled: 1-line block ×4, first 2 shown]
	s_wait_dscnt 0x2
	v_add_f64_e32 v[2:3], v[4:5], v[2:3]
	s_wait_dscnt 0x0
	v_add_f64_e32 v[4:5], v[6:7], v[8:9]
	v_add_co_ci_u32_e64 v6, null, 0, v23, vcc_lo
	s_delay_alu instid0(VALU_DEP_1)
	v_lshlrev_b32_e32 v26, 2, v6
	ds_bpermute_b32 v6, v26, v2
	ds_bpermute_b32 v7, v26, v3
	;; [unrolled: 1-line block ×4, first 2 shown]
	s_and_saveexec_b32 s40, s2
	s_cbranch_execz .LBB378_26
; %bb.25:                               ;   in Loop: Header=BB378_4 Depth=1
	s_wait_dscnt 0x0
	v_add_f64_e32 v[4:5], v[4:5], v[8:9]
	v_add_f64_e32 v[2:3], v[2:3], v[6:7]
	ds_store_b128 v21, v[2:5]
.LBB378_26:                             ;   in Loop: Header=BB378_4 Depth=1
	s_or_b32 exec_lo, exec_lo, s40
	s_wait_dscnt 0x0
	v_mov_b64_e32 v[8:9], 0
	v_mov_b64_e32 v[6:7], 0
	s_barrier_signal -1
	s_barrier_wait -1
	s_and_saveexec_b32 s40, s1
	s_cbranch_execnz .LBB378_33
; %bb.27:                               ;   in Loop: Header=BB378_4 Depth=1
	s_or_b32 exec_lo, exec_lo, s40
	s_and_saveexec_b32 s40, s1
	s_cbranch_execnz .LBB378_34
.LBB378_28:                             ;   in Loop: Header=BB378_4 Depth=1
	s_or_b32 exec_lo, exec_lo, s40
                                        ; implicit-def: $vgpr4_vgpr5
	s_and_saveexec_b32 s40, s0
	s_cbranch_execnz .LBB378_35
	s_branch .LBB378_38
.LBB378_29:                             ;   in Loop: Header=BB378_4 Depth=1
	v_add_nc_u64_e32 v[18:19], v[6:7], v[14:15]
	v_mov_b64_e32 v[2:3], 0
	v_mov_b64_e32 v[4:5], 0
	v_dual_mov_b32 v24, v0 :: v_dual_mov_b32 v25, v22
	s_mov_b32 s41, 0
.LBB378_30:                             ;   Parent Loop BB378_4 Depth=1
                                        ; =>  This Inner Loop Header: Depth=2
	v_readfirstlane_b32 s42, v8
	v_readfirstlane_b32 s43, v9
	s_delay_alu instid0(VALU_DEP_3)
	v_add_nc_u32_e32 v24, 0x400, v24
	flat_load_b128 v[26:29], v[18:19] offset:-8
	flat_load_b128 v[30:33], v25, s[42:43] scale_offset
	s_wait_xcnt 0x1
	v_add_nc_u64_e32 v[18:19], 0x4000, v[18:19]
	v_cmp_le_i32_e32 vcc_lo, s28, v24
	s_wait_xcnt 0x0
	v_add_nc_u32_e32 v25, s38, v25
	s_or_b32 s41, vcc_lo, s41
	s_wait_loadcnt_dscnt 0x0
	v_mul_f64_e32 v[34:35], v[28:29], v[32:33]
	v_mul_f64_e32 v[28:29], v[28:29], v[30:31]
	s_delay_alu instid0(VALU_DEP_2) | instskip(NEXT) | instid1(VALU_DEP_2)
	v_fmac_f64_e32 v[34:35], v[26:27], v[30:31]
	v_fma_f64 v[26:27], v[26:27], v[32:33], -v[28:29]
	s_delay_alu instid0(VALU_DEP_2) | instskip(NEXT) | instid1(VALU_DEP_2)
	v_add_f64_e32 v[4:5], v[4:5], v[34:35]
	v_add_f64_e32 v[2:3], v[2:3], v[26:27]
	s_and_not1_b32 exec_lo, exec_lo, s41
	s_cbranch_execnz .LBB378_30
; %bb.31:                               ;   in Loop: Header=BB378_4 Depth=1
	s_or_b32 exec_lo, exec_lo, s41
	s_delay_alu instid0(SALU_CYCLE_1)
	s_or_b32 exec_lo, exec_lo, s40
	s_and_saveexec_b32 s40, s4
	s_cbranch_execz .LBB378_22
.LBB378_32:                             ;   in Loop: Header=BB378_4 Depth=1
	v_add_nc_u64_e32 v[6:7], v[6:7], v[10:11]
	v_lshl_add_u64 v[18:19], v[12:13], 4, v[8:9]
	s_delay_alu instid0(VALU_DEP_2) | instskip(NEXT) | instid1(VALU_DEP_1)
	v_lshl_add_u64 v[6:7], s[30:31], 4, v[6:7]
	v_lshl_add_u64 v[28:29], s[28:29], 4, v[6:7]
	flat_load_b128 v[6:9], v[18:19]
	flat_load_b128 v[24:27], v[28:29]
	s_wait_loadcnt_dscnt 0x0
	s_wait_xcnt 0x1
	v_mul_f64_e32 v[18:19], v[26:27], v[8:9]
	v_mul_f64_e32 v[26:27], v[26:27], v[6:7]
	s_delay_alu instid0(VALU_DEP_2) | instskip(NEXT) | instid1(VALU_DEP_2)
	v_fmac_f64_e32 v[18:19], v[24:25], v[6:7]
	v_fma_f64 v[6:7], v[24:25], v[8:9], -v[26:27]
	s_delay_alu instid0(VALU_DEP_2) | instskip(NEXT) | instid1(VALU_DEP_2)
	v_add_f64_e32 v[4:5], v[4:5], v[18:19]
	v_add_f64_e32 v[2:3], v[2:3], v[6:7]
	s_wait_xcnt 0x0
	s_or_b32 exec_lo, exec_lo, s40
	s_and_saveexec_b32 s40, s1
	s_cbranch_execnz .LBB378_23
	s_branch .LBB378_24
.LBB378_33:                             ;   in Loop: Header=BB378_4 Depth=1
	ds_load_b128 v[6:9], v1
	s_or_b32 exec_lo, exec_lo, s40
	s_and_saveexec_b32 s40, s1
	s_cbranch_execz .LBB378_28
.LBB378_34:                             ;   in Loop: Header=BB378_4 Depth=1
	s_wait_dscnt 0x0
	ds_bpermute_b32 v2, v18, v6
	ds_bpermute_b32 v3, v18, v7
	ds_bpermute_b32 v4, v18, v8
	ds_bpermute_b32 v5, v18, v9
	s_wait_dscnt 0x2
	v_add_f64_e32 v[2:3], v[6:7], v[2:3]
	s_wait_dscnt 0x0
	v_add_f64_e32 v[4:5], v[8:9], v[4:5]
	ds_bpermute_b32 v6, v19, v2
	ds_bpermute_b32 v7, v19, v3
	ds_bpermute_b32 v8, v19, v4
	ds_bpermute_b32 v9, v19, v5
	s_wait_dscnt 0x2
	v_add_f64_e32 v[2:3], v[2:3], v[6:7]
	s_wait_dscnt 0x0
	v_add_f64_e32 v[4:5], v[4:5], v[8:9]
	;; [unrolled: 8-line block ×5, first 2 shown]
	s_or_b32 exec_lo, exec_lo, s40
                                        ; implicit-def: $vgpr4_vgpr5
	s_and_saveexec_b32 s40, s0
	s_cbranch_execz .LBB378_38
.LBB378_35:                             ;   in Loop: Header=BB378_4 Depth=1
	s_wait_dscnt 0x0
	s_delay_alu instid0(VALU_DEP_1) | instskip(SKIP_2) | instid1(VALU_DEP_2)
	v_mul_f64_e32 v[2:3], s[10:11], v[8:9]
	v_mul_f64_e32 v[4:5], s[8:9], v[8:9]
	s_and_not1_b32 vcc_lo, exec_lo, s36
	v_fma_f64 v[2:3], s[8:9], v[6:7], -v[2:3]
	s_delay_alu instid0(VALU_DEP_2)
	v_fmac_f64_e32 v[4:5], s[10:11], v[6:7]
	s_cbranch_vccnz .LBB378_37
; %bb.36:                               ;   in Loop: Header=BB378_4 Depth=1
	v_add_nc_u64_e32 v[6:7], s[34:35], v[16:17]
	flat_load_b128 v[6:9], v[6:7]
	s_wait_loadcnt_dscnt 0x0
	v_mul_f64_e32 v[18:19], s[14:15], v[8:9]
	v_mul_f64_e32 v[8:9], s[12:13], v[8:9]
	s_delay_alu instid0(VALU_DEP_2) | instskip(NEXT) | instid1(VALU_DEP_2)
	v_fma_f64 v[18:19], s[12:13], v[6:7], -v[18:19]
	v_fmac_f64_e32 v[8:9], s[14:15], v[6:7]
	s_delay_alu instid0(VALU_DEP_2) | instskip(NEXT) | instid1(VALU_DEP_2)
	v_add_f64_e32 v[2:3], v[2:3], v[18:19]
	v_add_f64_e32 v[4:5], v[4:5], v[8:9]
.LBB378_37:                             ;   in Loop: Header=BB378_4 Depth=1
	s_or_b32 s39, s39, exec_lo
.LBB378_38:                             ;   in Loop: Header=BB378_4 Depth=1
	s_wait_xcnt 0x0
	s_or_b32 exec_lo, exec_lo, s40
.LBB378_39:                             ;   in Loop: Header=BB378_4 Depth=1
	s_and_saveexec_b32 s40, s39
	s_cbranch_execz .LBB378_2
; %bb.40:                               ;   in Loop: Header=BB378_4 Depth=1
	s_wait_dscnt 0x0
	v_add_nc_u64_e32 v[6:7], s[34:35], v[16:17]
	flat_store_b128 v[6:7], v[2:5]
	s_branch .LBB378_2
.LBB378_41:
	s_endpgm
	.section	.rodata,"a",@progbits
	.p2align	6, 0x0
	.amdhsa_kernel _ZL32rocblas_gemvt_warp_reduce_kernelILb1ELi1024EiPK19rocblas_complex_numIdES1_KPS1_EviiT3_lPKT2_lT1_lS9_lSA_lS6_lPT4_lSA_li
		.amdhsa_group_segment_fixed_size 512
		.amdhsa_private_segment_fixed_size 0
		.amdhsa_kernarg_size 156
		.amdhsa_user_sgpr_count 2
		.amdhsa_user_sgpr_dispatch_ptr 0
		.amdhsa_user_sgpr_queue_ptr 0
		.amdhsa_user_sgpr_kernarg_segment_ptr 1
		.amdhsa_user_sgpr_dispatch_id 0
		.amdhsa_user_sgpr_kernarg_preload_length 0
		.amdhsa_user_sgpr_kernarg_preload_offset 0
		.amdhsa_user_sgpr_private_segment_size 0
		.amdhsa_wavefront_size32 1
		.amdhsa_uses_dynamic_stack 0
		.amdhsa_enable_private_segment 0
		.amdhsa_system_sgpr_workgroup_id_x 1
		.amdhsa_system_sgpr_workgroup_id_y 0
		.amdhsa_system_sgpr_workgroup_id_z 1
		.amdhsa_system_sgpr_workgroup_info 0
		.amdhsa_system_vgpr_workitem_id 0
		.amdhsa_next_free_vgpr 36
		.amdhsa_next_free_sgpr 44
		.amdhsa_named_barrier_count 0
		.amdhsa_reserve_vcc 1
		.amdhsa_float_round_mode_32 0
		.amdhsa_float_round_mode_16_64 0
		.amdhsa_float_denorm_mode_32 3
		.amdhsa_float_denorm_mode_16_64 3
		.amdhsa_fp16_overflow 0
		.amdhsa_memory_ordered 1
		.amdhsa_forward_progress 1
		.amdhsa_inst_pref_size 16
		.amdhsa_round_robin_scheduling 0
		.amdhsa_exception_fp_ieee_invalid_op 0
		.amdhsa_exception_fp_denorm_src 0
		.amdhsa_exception_fp_ieee_div_zero 0
		.amdhsa_exception_fp_ieee_overflow 0
		.amdhsa_exception_fp_ieee_underflow 0
		.amdhsa_exception_fp_ieee_inexact 0
		.amdhsa_exception_int_div_zero 0
	.end_amdhsa_kernel
	.section	.text._ZL32rocblas_gemvt_warp_reduce_kernelILb1ELi1024EiPK19rocblas_complex_numIdES1_KPS1_EviiT3_lPKT2_lT1_lS9_lSA_lS6_lPT4_lSA_li,"axG",@progbits,_ZL32rocblas_gemvt_warp_reduce_kernelILb1ELi1024EiPK19rocblas_complex_numIdES1_KPS1_EviiT3_lPKT2_lT1_lS9_lSA_lS6_lPT4_lSA_li,comdat
.Lfunc_end378:
	.size	_ZL32rocblas_gemvt_warp_reduce_kernelILb1ELi1024EiPK19rocblas_complex_numIdES1_KPS1_EviiT3_lPKT2_lT1_lS9_lSA_lS6_lPT4_lSA_li, .Lfunc_end378-_ZL32rocblas_gemvt_warp_reduce_kernelILb1ELi1024EiPK19rocblas_complex_numIdES1_KPS1_EviiT3_lPKT2_lT1_lS9_lSA_lS6_lPT4_lSA_li
                                        ; -- End function
	.set _ZL32rocblas_gemvt_warp_reduce_kernelILb1ELi1024EiPK19rocblas_complex_numIdES1_KPS1_EviiT3_lPKT2_lT1_lS9_lSA_lS6_lPT4_lSA_li.num_vgpr, 36
	.set _ZL32rocblas_gemvt_warp_reduce_kernelILb1ELi1024EiPK19rocblas_complex_numIdES1_KPS1_EviiT3_lPKT2_lT1_lS9_lSA_lS6_lPT4_lSA_li.num_agpr, 0
	.set _ZL32rocblas_gemvt_warp_reduce_kernelILb1ELi1024EiPK19rocblas_complex_numIdES1_KPS1_EviiT3_lPKT2_lT1_lS9_lSA_lS6_lPT4_lSA_li.numbered_sgpr, 44
	.set _ZL32rocblas_gemvt_warp_reduce_kernelILb1ELi1024EiPK19rocblas_complex_numIdES1_KPS1_EviiT3_lPKT2_lT1_lS9_lSA_lS6_lPT4_lSA_li.num_named_barrier, 0
	.set _ZL32rocblas_gemvt_warp_reduce_kernelILb1ELi1024EiPK19rocblas_complex_numIdES1_KPS1_EviiT3_lPKT2_lT1_lS9_lSA_lS6_lPT4_lSA_li.private_seg_size, 0
	.set _ZL32rocblas_gemvt_warp_reduce_kernelILb1ELi1024EiPK19rocblas_complex_numIdES1_KPS1_EviiT3_lPKT2_lT1_lS9_lSA_lS6_lPT4_lSA_li.uses_vcc, 1
	.set _ZL32rocblas_gemvt_warp_reduce_kernelILb1ELi1024EiPK19rocblas_complex_numIdES1_KPS1_EviiT3_lPKT2_lT1_lS9_lSA_lS6_lPT4_lSA_li.uses_flat_scratch, 0
	.set _ZL32rocblas_gemvt_warp_reduce_kernelILb1ELi1024EiPK19rocblas_complex_numIdES1_KPS1_EviiT3_lPKT2_lT1_lS9_lSA_lS6_lPT4_lSA_li.has_dyn_sized_stack, 0
	.set _ZL32rocblas_gemvt_warp_reduce_kernelILb1ELi1024EiPK19rocblas_complex_numIdES1_KPS1_EviiT3_lPKT2_lT1_lS9_lSA_lS6_lPT4_lSA_li.has_recursion, 0
	.set _ZL32rocblas_gemvt_warp_reduce_kernelILb1ELi1024EiPK19rocblas_complex_numIdES1_KPS1_EviiT3_lPKT2_lT1_lS9_lSA_lS6_lPT4_lSA_li.has_indirect_call, 0
	.section	.AMDGPU.csdata,"",@progbits
; Kernel info:
; codeLenInByte = 2004
; TotalNumSgprs: 46
; NumVgprs: 36
; ScratchSize: 0
; MemoryBound: 0
; FloatMode: 240
; IeeeMode: 1
; LDSByteSize: 512 bytes/workgroup (compile time only)
; SGPRBlocks: 0
; VGPRBlocks: 2
; NumSGPRsForWavesPerEU: 46
; NumVGPRsForWavesPerEU: 36
; NamedBarCnt: 0
; Occupancy: 16
; WaveLimiterHint : 1
; COMPUTE_PGM_RSRC2:SCRATCH_EN: 0
; COMPUTE_PGM_RSRC2:USER_SGPR: 2
; COMPUTE_PGM_RSRC2:TRAP_HANDLER: 0
; COMPUTE_PGM_RSRC2:TGID_X_EN: 1
; COMPUTE_PGM_RSRC2:TGID_Y_EN: 0
; COMPUTE_PGM_RSRC2:TGID_Z_EN: 1
; COMPUTE_PGM_RSRC2:TIDIG_COMP_CNT: 0
	.section	.text._ZL32rocblas_gemvt_warp_reduce_kernelILb1ELi1024ElPK19rocblas_complex_numIdES1_KPS1_EviiT3_lPKT2_lT1_lS9_lSA_lS6_lPT4_lSA_li,"axG",@progbits,_ZL32rocblas_gemvt_warp_reduce_kernelILb1ELi1024ElPK19rocblas_complex_numIdES1_KPS1_EviiT3_lPKT2_lT1_lS9_lSA_lS6_lPT4_lSA_li,comdat
	.globl	_ZL32rocblas_gemvt_warp_reduce_kernelILb1ELi1024ElPK19rocblas_complex_numIdES1_KPS1_EviiT3_lPKT2_lT1_lS9_lSA_lS6_lPT4_lSA_li ; -- Begin function _ZL32rocblas_gemvt_warp_reduce_kernelILb1ELi1024ElPK19rocblas_complex_numIdES1_KPS1_EviiT3_lPKT2_lT1_lS9_lSA_lS6_lPT4_lSA_li
	.p2align	8
	.type	_ZL32rocblas_gemvt_warp_reduce_kernelILb1ELi1024ElPK19rocblas_complex_numIdES1_KPS1_EviiT3_lPKT2_lT1_lS9_lSA_lS6_lPT4_lSA_li,@function
_ZL32rocblas_gemvt_warp_reduce_kernelILb1ELi1024ElPK19rocblas_complex_numIdES1_KPS1_EviiT3_lPKT2_lT1_lS9_lSA_lS6_lPT4_lSA_li: ; @_ZL32rocblas_gemvt_warp_reduce_kernelILb1ELi1024ElPK19rocblas_complex_numIdES1_KPS1_EviiT3_lPKT2_lT1_lS9_lSA_lS6_lPT4_lSA_li
; %bb.0:
	s_load_b32 s5, s[0:1], 0x98
	s_bfe_u32 s2, ttmp6, 0x40014
	s_lshr_b32 s3, ttmp7, 16
	s_add_co_i32 s2, s2, 1
	s_bfe_u32 s6, ttmp6, 0x40008
	s_mul_i32 s4, s3, s2
	s_getreg_b32 s2, hwreg(HW_REG_IB_STS2, 6, 4)
	s_add_co_i32 s6, s6, s4
	s_cmp_eq_u32 s2, 0
	s_mov_b32 s7, 0
	s_cselect_b32 s6, s3, s6
	s_wait_kmcnt 0x0
	s_cmp_ge_u32 s6, s5
	s_cbranch_scc1 .LBB379_41
; %bb.1:
	s_clause 0x3
	s_load_b128 s[8:11], s[0:1], 0x8
	s_load_b128 s[12:15], s[0:1], 0x60
	s_load_b32 s29, s[0:1], 0x0
	s_load_b64 s[34:35], s[0:1], 0x50
	s_bfe_u32 s19, ttmp6, 0x4000c
	s_and_b32 s20, ttmp6, 15
	s_add_co_i32 s19, s19, 1
	s_load_b64 s[30:31], s[0:1], 0x88
	s_mul_i32 s19, ttmp9, s19
	s_load_b64 s[36:37], s[0:1], 0x30
	s_add_co_i32 s20, s20, s19
	v_mbcnt_lo_u32_b32 v26, -1, 0
	s_load_b128 s[24:27], s[0:1], 0x78
	s_wait_kmcnt 0x0
	v_cmp_neq_f64_e64 s3, s[8:9], 0
	v_cmp_neq_f64_e64 s18, s[10:11], 0
	v_cmp_neq_f64_e64 s4, s[12:13], 1.0
	v_cmp_neq_f64_e64 s16, s[14:15], 0
	v_cmp_neq_f64_e64 s17, s[12:13], 0
	v_cmp_gt_i32_e32 vcc_lo, s29, v0
	v_cndmask_b32_e32 v6, 0, v0, vcc_lo
	s_or_b32 s3, s3, s18
	s_or_b32 s33, s4, s16
	;; [unrolled: 1-line block ×3, first 2 shown]
	s_xor_b32 s39, s3, -1
	s_cmp_eq_u32 s2, 0
	v_cndmask_b32_e64 v24, 0, 1, s3
	s_cselect_b32 s2, ttmp9, s20
	s_ashr_i32 s3, s29, 31
	s_load_b128 s[16:19], s[0:1], 0x40
	s_lshr_b32 s3, s3, 22
	s_load_b128 s[20:23], s[0:1], 0x20
	s_add_co_i32 s3, s29, s3
	s_wait_xcnt 0x0
	v_cmp_eq_u32_e64 s0, 0, v0
	s_and_b32 s28, s3, 0xfffffc00
	s_delay_alu instid0(SALU_CYCLE_1)
	v_dual_mov_b32 v11, 0 :: v_dual_bitop2_b32 v4, s28, v0 bitop3:0x54
	s_ashr_i32 s3, s2, 31
	v_cmp_gt_i32_e64 s1, s28, v0
	s_mul_u64 s[40:41], s[30:31], s[2:3]
	v_dual_mov_b32 v1, v11 :: v_dual_ashrrev_i32 v5, 31, v4
	s_mul_u64 s[30:31], s[36:37], s[2:3]
	v_cmp_gt_i32_e64 s2, s29, v4
	v_cmp_gt_u32_e64 s3, 32, v0
	s_delay_alu instid0(VALU_DEP_3)
	v_mul_u64_e32 v[2:3], s[34:35], v[0:1]
	v_mul_u64_e32 v[12:13], s[34:35], v[4:5]
	v_dual_lshlrev_b32 v10, 4, v6 :: v_dual_bitop2_b32 v4, 31, v0 bitop3:0x40
	v_lshrrev_b32_e32 v5, 1, v0
	s_ashr_i32 s29, s28, 31
	s_lshl_b64 s[34:35], s[34:35], 14
	s_delay_alu instid0(VALU_DEP_2)
	v_cmp_eq_u32_e64 s4, 0, v4
	v_lshl_add_u64 v[16:17], s[30:31], 4, v[10:11]
	v_and_b32_e32 v25, 0x1f0, v5
	v_lshlrev_b32_e32 v10, 4, v6
	s_wait_kmcnt 0x0
	s_lshl_b64 s[22:23], s[22:23], 4
	s_lshl_b64 s[18:19], s[18:19], 4
	v_or_b32_e32 v16, 8, v16
	s_lshl_b64 s[26:27], s[26:27], 4
	s_lshl_b64 s[36:37], s[40:41], 4
	v_lshlrev_b64_e32 v[14:15], 4, v[2:3]
	s_delay_alu instid0(VALU_DEP_1)
	v_dual_lshlrev_b32 v1, 4, v4 :: v_dual_bitop2_b32 v14, 8, v14 bitop3:0x54
	s_branch .LBB379_4
.LBB379_2:                              ;   in Loop: Header=BB379_4 Depth=1
	s_wait_xcnt 0x0
	s_or_b32 exec_lo, exec_lo, s41
.LBB379_3:                              ;   in Loop: Header=BB379_4 Depth=1
	s_add_co_i32 s6, s6, 0x10000
	s_delay_alu instid0(SALU_CYCLE_1)
	s_cmp_lt_u32 s6, s5
	s_cbranch_scc0 .LBB379_41
.LBB379_4:                              ; =>This Loop Header: Depth=1
                                        ;     Child Loop BB379_30 Depth 2
	s_and_not1_b32 vcc_lo, exec_lo, s39
	s_cbranch_vccnz .LBB379_7
; %bb.5:                                ;   in Loop: Header=BB379_4 Depth=1
	s_mov_b32 s41, 0
	s_and_b32 vcc_lo, exec_lo, s33
	s_mov_b32 s40, 0
	s_cbranch_vccz .LBB379_8
; %bb.6:                                ;   in Loop: Header=BB379_4 Depth=1
	s_mov_b32 s40, -1
	s_branch .LBB379_8
.LBB379_7:                              ;   in Loop: Header=BB379_4 Depth=1
	s_mov_b32 s40, 0
	s_mov_b32 s41, -1
.LBB379_8:                              ;   in Loop: Header=BB379_4 Depth=1
	s_wait_dscnt 0x0
	v_mov_b64_e32 v[6:7], 0
	s_and_b32 vcc_lo, exec_lo, s41
	s_cbranch_vccnz .LBB379_10
; %bb.9:                                ;   in Loop: Header=BB379_4 Depth=1
	s_and_not1_b32 vcc_lo, exec_lo, s40
	s_cbranch_vccnz .LBB379_3
	s_branch .LBB379_11
.LBB379_10:                             ;   in Loop: Header=BB379_4 Depth=1
	s_lshl_b64 s[40:41], s[6:7], 3
	s_delay_alu instid0(SALU_CYCLE_1)
	s_add_nc_u64 s[40:41], s[20:21], s[40:41]
	global_load_b64 v[2:3], v11, s[40:41]
	s_wait_xcnt 0x0
	s_wait_loadcnt 0x0
	v_add_nc_u64_e32 v[6:7], s[22:23], v[2:3]
.LBB379_11:                             ;   in Loop: Header=BB379_4 Depth=1
	v_cmp_ne_u32_e32 vcc_lo, 1, v24
	v_mov_b64_e32 v[8:9], 0
	s_cbranch_vccnz .LBB379_13
; %bb.12:                               ;   in Loop: Header=BB379_4 Depth=1
	s_lshl_b64 s[40:41], s[6:7], 3
	s_delay_alu instid0(SALU_CYCLE_1)
	s_add_nc_u64 s[40:41], s[16:17], s[40:41]
	global_load_b64 v[2:3], v11, s[40:41]
	s_wait_loadcnt 0x0
	v_add_nc_u64_e32 v[8:9], s[18:19], v[2:3]
.LBB379_13:                             ;   in Loop: Header=BB379_4 Depth=1
	s_wait_xcnt 0x0
	s_lshl_b64 s[40:41], s[6:7], 3
	s_and_not1_b32 vcc_lo, exec_lo, s39
	s_add_nc_u64 s[40:41], s[24:25], s[40:41]
	global_load_b64 v[2:3], v11, s[40:41]
	s_wait_loadcnt 0x0
	v_add_nc_u64_e32 v[18:19], s[26:27], v[2:3]
	s_cbranch_vccnz .LBB379_18
; %bb.14:                               ;   in Loop: Header=BB379_4 Depth=1
	s_wait_xcnt 0x0
	s_mov_b32 s41, 0
	s_mov_b32 s40, 0
                                        ; implicit-def: $vgpr4_vgpr5
	s_and_saveexec_b32 s42, s0
	s_cbranch_execz .LBB379_19
; %bb.15:                               ;   in Loop: Header=BB379_4 Depth=1
	v_mov_b64_e32 v[4:5], 0
	v_mov_b64_e32 v[2:3], 0
	s_and_not1_b32 vcc_lo, exec_lo, s38
	s_cbranch_vccnz .LBB379_17
; %bb.16:                               ;   in Loop: Header=BB379_4 Depth=1
	v_add_nc_u64_e32 v[2:3], s[36:37], v[18:19]
	flat_load_b128 v[20:23], v[2:3]
	s_wait_loadcnt_dscnt 0x0
	s_wait_xcnt 0x0
	v_mul_f64_e32 v[2:3], s[14:15], v[22:23]
	v_mul_f64_e32 v[4:5], s[12:13], v[22:23]
	s_delay_alu instid0(VALU_DEP_2) | instskip(NEXT) | instid1(VALU_DEP_2)
	v_fma_f64 v[2:3], s[12:13], v[20:21], -v[2:3]
	v_fmac_f64_e32 v[4:5], s[14:15], v[20:21]
.LBB379_17:                             ;   in Loop: Header=BB379_4 Depth=1
	s_mov_b32 s40, exec_lo
	s_or_b32 exec_lo, exec_lo, s42
	s_delay_alu instid0(SALU_CYCLE_1)
	s_and_b32 vcc_lo, exec_lo, s41
	s_cbranch_vccnz .LBB379_20
	s_branch .LBB379_39
.LBB379_18:                             ;   in Loop: Header=BB379_4 Depth=1
	s_wait_xcnt 0x0
	s_mov_b32 s40, 0
                                        ; implicit-def: $vgpr4_vgpr5
	s_cbranch_execnz .LBB379_20
	s_branch .LBB379_39
.LBB379_19:                             ;   in Loop: Header=BB379_4 Depth=1
	s_or_b32 exec_lo, exec_lo, s42
	s_delay_alu instid0(SALU_CYCLE_1)
	s_and_b32 vcc_lo, exec_lo, s41
	s_cbranch_vccz .LBB379_39
.LBB379_20:                             ;   in Loop: Header=BB379_4 Depth=1
	v_mov_b64_e32 v[2:3], 0
	v_mov_b64_e32 v[4:5], 0
	s_and_saveexec_b32 s41, s1
	s_cbranch_execnz .LBB379_29
; %bb.21:                               ;   in Loop: Header=BB379_4 Depth=1
	s_or_b32 exec_lo, exec_lo, s41
	s_and_saveexec_b32 s41, s2
	s_cbranch_execnz .LBB379_32
.LBB379_22:                             ;   in Loop: Header=BB379_4 Depth=1
	s_or_b32 exec_lo, exec_lo, s41
	s_and_saveexec_b32 s41, s3
.LBB379_23:                             ;   in Loop: Header=BB379_4 Depth=1
	v_dual_mov_b32 v6, v11 :: v_dual_mov_b32 v7, v11
	v_dual_mov_b32 v8, v11 :: v_dual_mov_b32 v9, v11
	ds_store_b128 v1, v[6:9]
.LBB379_24:                             ;   in Loop: Header=BB379_4 Depth=1
	s_or_b32 exec_lo, exec_lo, s41
	v_lshl_or_b32 v20, v26, 2, 64
	v_cmp_gt_u32_e32 vcc_lo, 24, v26
	s_wait_dscnt 0x0
	s_barrier_signal -1
	s_barrier_wait -1
	ds_bpermute_b32 v6, v20, v4
	ds_bpermute_b32 v7, v20, v5
	;; [unrolled: 1-line block ×4, first 2 shown]
	s_wait_dscnt 0x0
	v_add_f64_e32 v[4:5], v[4:5], v[6:7]
	v_cndmask_b32_e64 v6, 0, 8, vcc_lo
	v_add_f64_e32 v[2:3], v[2:3], v[8:9]
	v_cmp_gt_u32_e32 vcc_lo, 28, v26
	s_delay_alu instid0(VALU_DEP_3)
	v_add_lshl_u32 v21, v6, v26, 2
	ds_bpermute_b32 v6, v21, v4
	ds_bpermute_b32 v7, v21, v5
	;; [unrolled: 1-line block ×4, first 2 shown]
	s_wait_dscnt 0x2
	v_add_f64_e32 v[4:5], v[4:5], v[6:7]
	v_cndmask_b32_e64 v6, 0, 4, vcc_lo
	s_wait_dscnt 0x0
	v_add_f64_e32 v[2:3], v[2:3], v[8:9]
	v_cmp_gt_u32_e32 vcc_lo, 30, v26
	s_delay_alu instid0(VALU_DEP_3)
	v_add_lshl_u32 v22, v6, v26, 2
	ds_bpermute_b32 v6, v22, v4
	ds_bpermute_b32 v7, v22, v5
	;; [unrolled: 1-line block ×4, first 2 shown]
	s_wait_dscnt 0x2
	v_add_f64_e32 v[4:5], v[4:5], v[6:7]
	s_wait_dscnt 0x0
	v_add_f64_e32 v[6:7], v[2:3], v[8:9]
	v_cndmask_b32_e64 v2, 0, 2, vcc_lo
	v_cmp_ne_u32_e32 vcc_lo, 31, v26
	s_delay_alu instid0(VALU_DEP_2)
	v_add_lshl_u32 v23, v2, v26, 2
	ds_bpermute_b32 v2, v23, v4
	ds_bpermute_b32 v3, v23, v5
	;; [unrolled: 1-line block ×4, first 2 shown]
	s_wait_dscnt 0x2
	v_add_f64_e32 v[2:3], v[4:5], v[2:3]
	s_wait_dscnt 0x0
	v_add_f64_e32 v[4:5], v[6:7], v[8:9]
	v_add_co_ci_u32_e64 v6, null, 0, v26, vcc_lo
	s_delay_alu instid0(VALU_DEP_1)
	v_lshlrev_b32_e32 v27, 2, v6
	ds_bpermute_b32 v6, v27, v2
	ds_bpermute_b32 v7, v27, v3
	;; [unrolled: 1-line block ×4, first 2 shown]
	s_and_saveexec_b32 s41, s4
	s_cbranch_execz .LBB379_26
; %bb.25:                               ;   in Loop: Header=BB379_4 Depth=1
	s_wait_dscnt 0x0
	v_add_f64_e32 v[4:5], v[4:5], v[8:9]
	v_add_f64_e32 v[2:3], v[2:3], v[6:7]
	ds_store_b128 v25, v[2:5]
.LBB379_26:                             ;   in Loop: Header=BB379_4 Depth=1
	s_or_b32 exec_lo, exec_lo, s41
	s_wait_dscnt 0x0
	v_mov_b64_e32 v[8:9], 0
	v_mov_b64_e32 v[6:7], 0
	s_barrier_signal -1
	s_barrier_wait -1
	s_and_saveexec_b32 s41, s3
	s_cbranch_execnz .LBB379_33
; %bb.27:                               ;   in Loop: Header=BB379_4 Depth=1
	s_or_b32 exec_lo, exec_lo, s41
	s_and_saveexec_b32 s41, s3
	s_cbranch_execnz .LBB379_34
.LBB379_28:                             ;   in Loop: Header=BB379_4 Depth=1
	s_or_b32 exec_lo, exec_lo, s41
                                        ; implicit-def: $vgpr4_vgpr5
	s_and_saveexec_b32 s41, s0
	s_cbranch_execnz .LBB379_35
	s_branch .LBB379_38
.LBB379_29:                             ;   in Loop: Header=BB379_4 Depth=1
	v_add_nc_u64_e32 v[20:21], v[6:7], v[16:17]
	v_add_nc_u64_e32 v[22:23], v[8:9], v[14:15]
	v_mov_b64_e32 v[2:3], 0
	v_mov_b64_e32 v[4:5], 0
	v_mov_b32_e32 v27, v0
	s_mov_b32 s42, 0
.LBB379_30:                             ;   Parent Loop BB379_4 Depth=1
                                        ; =>  This Inner Loop Header: Depth=2
	flat_load_b128 v[28:31], v[20:21] offset:-8
	flat_load_b128 v[32:35], v[22:23] offset:-8
	v_add_nc_u32_e32 v27, 0x400, v27
	s_wait_xcnt 0x1
	v_add_nc_u64_e32 v[20:21], 0x4000, v[20:21]
	s_wait_xcnt 0x0
	v_add_nc_u64_e32 v[22:23], s[34:35], v[22:23]
	v_cmp_le_i32_e32 vcc_lo, s28, v27
	s_or_b32 s42, vcc_lo, s42
	s_wait_loadcnt_dscnt 0x0
	v_mul_f64_e32 v[36:37], v[30:31], v[34:35]
	v_mul_f64_e32 v[30:31], v[30:31], v[32:33]
	s_delay_alu instid0(VALU_DEP_2) | instskip(NEXT) | instid1(VALU_DEP_2)
	v_fmac_f64_e32 v[36:37], v[28:29], v[32:33]
	v_fma_f64 v[28:29], v[28:29], v[34:35], -v[30:31]
	s_delay_alu instid0(VALU_DEP_2) | instskip(NEXT) | instid1(VALU_DEP_2)
	v_add_f64_e32 v[4:5], v[4:5], v[36:37]
	v_add_f64_e32 v[2:3], v[2:3], v[28:29]
	s_and_not1_b32 exec_lo, exec_lo, s42
	s_cbranch_execnz .LBB379_30
; %bb.31:                               ;   in Loop: Header=BB379_4 Depth=1
	s_or_b32 exec_lo, exec_lo, s42
	s_delay_alu instid0(SALU_CYCLE_1)
	s_or_b32 exec_lo, exec_lo, s41
	s_and_saveexec_b32 s41, s2
	s_cbranch_execz .LBB379_22
.LBB379_32:                             ;   in Loop: Header=BB379_4 Depth=1
	v_add_nc_u64_e32 v[6:7], v[6:7], v[10:11]
	v_lshl_add_u64 v[28:29], v[12:13], 4, v[8:9]
	s_delay_alu instid0(VALU_DEP_2) | instskip(NEXT) | instid1(VALU_DEP_1)
	v_lshl_add_u64 v[6:7], s[30:31], 4, v[6:7]
	v_lshl_add_u64 v[30:31], s[28:29], 4, v[6:7]
	flat_load_b128 v[6:9], v[28:29]
	flat_load_b128 v[20:23], v[30:31]
	s_wait_loadcnt_dscnt 0x0
	s_wait_xcnt 0x1
	v_mul_f64_e32 v[28:29], v[22:23], v[8:9]
	v_mul_f64_e32 v[22:23], v[22:23], v[6:7]
	s_delay_alu instid0(VALU_DEP_2) | instskip(NEXT) | instid1(VALU_DEP_2)
	v_fmac_f64_e32 v[28:29], v[20:21], v[6:7]
	v_fma_f64 v[6:7], v[20:21], v[8:9], -v[22:23]
	s_delay_alu instid0(VALU_DEP_2) | instskip(NEXT) | instid1(VALU_DEP_2)
	v_add_f64_e32 v[4:5], v[4:5], v[28:29]
	v_add_f64_e32 v[2:3], v[2:3], v[6:7]
	s_wait_xcnt 0x0
	s_or_b32 exec_lo, exec_lo, s41
	s_and_saveexec_b32 s41, s3
	s_cbranch_execnz .LBB379_23
	s_branch .LBB379_24
.LBB379_33:                             ;   in Loop: Header=BB379_4 Depth=1
	ds_load_b128 v[6:9], v1
	s_or_b32 exec_lo, exec_lo, s41
	s_and_saveexec_b32 s41, s3
	s_cbranch_execz .LBB379_28
.LBB379_34:                             ;   in Loop: Header=BB379_4 Depth=1
	s_wait_dscnt 0x0
	ds_bpermute_b32 v2, v20, v6
	ds_bpermute_b32 v3, v20, v7
	ds_bpermute_b32 v4, v20, v8
	ds_bpermute_b32 v5, v20, v9
	s_wait_dscnt 0x2
	v_add_f64_e32 v[2:3], v[6:7], v[2:3]
	s_wait_dscnt 0x0
	v_add_f64_e32 v[4:5], v[8:9], v[4:5]
	ds_bpermute_b32 v6, v21, v2
	ds_bpermute_b32 v7, v21, v3
	ds_bpermute_b32 v8, v21, v4
	ds_bpermute_b32 v9, v21, v5
	s_wait_dscnt 0x2
	v_add_f64_e32 v[2:3], v[2:3], v[6:7]
	s_wait_dscnt 0x0
	v_add_f64_e32 v[4:5], v[4:5], v[8:9]
	;; [unrolled: 8-line block ×5, first 2 shown]
	s_or_b32 exec_lo, exec_lo, s41
                                        ; implicit-def: $vgpr4_vgpr5
	s_and_saveexec_b32 s41, s0
	s_cbranch_execz .LBB379_38
.LBB379_35:                             ;   in Loop: Header=BB379_4 Depth=1
	s_wait_dscnt 0x0
	s_delay_alu instid0(VALU_DEP_1) | instskip(SKIP_2) | instid1(VALU_DEP_2)
	v_mul_f64_e32 v[2:3], s[10:11], v[8:9]
	v_mul_f64_e32 v[4:5], s[8:9], v[8:9]
	s_and_not1_b32 vcc_lo, exec_lo, s38
	v_fma_f64 v[2:3], s[8:9], v[6:7], -v[2:3]
	s_delay_alu instid0(VALU_DEP_2)
	v_fmac_f64_e32 v[4:5], s[10:11], v[6:7]
	s_cbranch_vccnz .LBB379_37
; %bb.36:                               ;   in Loop: Header=BB379_4 Depth=1
	v_add_nc_u64_e32 v[6:7], s[36:37], v[18:19]
	flat_load_b128 v[6:9], v[6:7]
	s_wait_loadcnt_dscnt 0x0
	v_mul_f64_e32 v[20:21], s[14:15], v[8:9]
	v_mul_f64_e32 v[8:9], s[12:13], v[8:9]
	s_delay_alu instid0(VALU_DEP_2) | instskip(NEXT) | instid1(VALU_DEP_2)
	v_fma_f64 v[20:21], s[12:13], v[6:7], -v[20:21]
	v_fmac_f64_e32 v[8:9], s[14:15], v[6:7]
	s_delay_alu instid0(VALU_DEP_2) | instskip(NEXT) | instid1(VALU_DEP_2)
	v_add_f64_e32 v[2:3], v[2:3], v[20:21]
	v_add_f64_e32 v[4:5], v[4:5], v[8:9]
.LBB379_37:                             ;   in Loop: Header=BB379_4 Depth=1
	s_or_b32 s40, s40, exec_lo
.LBB379_38:                             ;   in Loop: Header=BB379_4 Depth=1
	s_wait_xcnt 0x0
	s_or_b32 exec_lo, exec_lo, s41
.LBB379_39:                             ;   in Loop: Header=BB379_4 Depth=1
	s_and_saveexec_b32 s41, s40
	s_cbranch_execz .LBB379_2
; %bb.40:                               ;   in Loop: Header=BB379_4 Depth=1
	s_wait_dscnt 0x0
	v_add_nc_u64_e32 v[6:7], s[36:37], v[18:19]
	flat_store_b128 v[6:7], v[2:5]
	s_branch .LBB379_2
.LBB379_41:
	s_endpgm
	.section	.rodata,"a",@progbits
	.p2align	6, 0x0
	.amdhsa_kernel _ZL32rocblas_gemvt_warp_reduce_kernelILb1ELi1024ElPK19rocblas_complex_numIdES1_KPS1_EviiT3_lPKT2_lT1_lS9_lSA_lS6_lPT4_lSA_li
		.amdhsa_group_segment_fixed_size 512
		.amdhsa_private_segment_fixed_size 0
		.amdhsa_kernarg_size 156
		.amdhsa_user_sgpr_count 2
		.amdhsa_user_sgpr_dispatch_ptr 0
		.amdhsa_user_sgpr_queue_ptr 0
		.amdhsa_user_sgpr_kernarg_segment_ptr 1
		.amdhsa_user_sgpr_dispatch_id 0
		.amdhsa_user_sgpr_kernarg_preload_length 0
		.amdhsa_user_sgpr_kernarg_preload_offset 0
		.amdhsa_user_sgpr_private_segment_size 0
		.amdhsa_wavefront_size32 1
		.amdhsa_uses_dynamic_stack 0
		.amdhsa_enable_private_segment 0
		.amdhsa_system_sgpr_workgroup_id_x 1
		.amdhsa_system_sgpr_workgroup_id_y 0
		.amdhsa_system_sgpr_workgroup_id_z 1
		.amdhsa_system_sgpr_workgroup_info 0
		.amdhsa_system_vgpr_workitem_id 0
		.amdhsa_next_free_vgpr 38
		.amdhsa_next_free_sgpr 43
		.amdhsa_named_barrier_count 0
		.amdhsa_reserve_vcc 1
		.amdhsa_float_round_mode_32 0
		.amdhsa_float_round_mode_16_64 0
		.amdhsa_float_denorm_mode_32 3
		.amdhsa_float_denorm_mode_16_64 3
		.amdhsa_fp16_overflow 0
		.amdhsa_memory_ordered 1
		.amdhsa_forward_progress 1
		.amdhsa_inst_pref_size 16
		.amdhsa_round_robin_scheduling 0
		.amdhsa_exception_fp_ieee_invalid_op 0
		.amdhsa_exception_fp_denorm_src 0
		.amdhsa_exception_fp_ieee_div_zero 0
		.amdhsa_exception_fp_ieee_overflow 0
		.amdhsa_exception_fp_ieee_underflow 0
		.amdhsa_exception_fp_ieee_inexact 0
		.amdhsa_exception_int_div_zero 0
	.end_amdhsa_kernel
	.section	.text._ZL32rocblas_gemvt_warp_reduce_kernelILb1ELi1024ElPK19rocblas_complex_numIdES1_KPS1_EviiT3_lPKT2_lT1_lS9_lSA_lS6_lPT4_lSA_li,"axG",@progbits,_ZL32rocblas_gemvt_warp_reduce_kernelILb1ELi1024ElPK19rocblas_complex_numIdES1_KPS1_EviiT3_lPKT2_lT1_lS9_lSA_lS6_lPT4_lSA_li,comdat
.Lfunc_end379:
	.size	_ZL32rocblas_gemvt_warp_reduce_kernelILb1ELi1024ElPK19rocblas_complex_numIdES1_KPS1_EviiT3_lPKT2_lT1_lS9_lSA_lS6_lPT4_lSA_li, .Lfunc_end379-_ZL32rocblas_gemvt_warp_reduce_kernelILb1ELi1024ElPK19rocblas_complex_numIdES1_KPS1_EviiT3_lPKT2_lT1_lS9_lSA_lS6_lPT4_lSA_li
                                        ; -- End function
	.set _ZL32rocblas_gemvt_warp_reduce_kernelILb1ELi1024ElPK19rocblas_complex_numIdES1_KPS1_EviiT3_lPKT2_lT1_lS9_lSA_lS6_lPT4_lSA_li.num_vgpr, 38
	.set _ZL32rocblas_gemvt_warp_reduce_kernelILb1ELi1024ElPK19rocblas_complex_numIdES1_KPS1_EviiT3_lPKT2_lT1_lS9_lSA_lS6_lPT4_lSA_li.num_agpr, 0
	.set _ZL32rocblas_gemvt_warp_reduce_kernelILb1ELi1024ElPK19rocblas_complex_numIdES1_KPS1_EviiT3_lPKT2_lT1_lS9_lSA_lS6_lPT4_lSA_li.numbered_sgpr, 43
	.set _ZL32rocblas_gemvt_warp_reduce_kernelILb1ELi1024ElPK19rocblas_complex_numIdES1_KPS1_EviiT3_lPKT2_lT1_lS9_lSA_lS6_lPT4_lSA_li.num_named_barrier, 0
	.set _ZL32rocblas_gemvt_warp_reduce_kernelILb1ELi1024ElPK19rocblas_complex_numIdES1_KPS1_EviiT3_lPKT2_lT1_lS9_lSA_lS6_lPT4_lSA_li.private_seg_size, 0
	.set _ZL32rocblas_gemvt_warp_reduce_kernelILb1ELi1024ElPK19rocblas_complex_numIdES1_KPS1_EviiT3_lPKT2_lT1_lS9_lSA_lS6_lPT4_lSA_li.uses_vcc, 1
	.set _ZL32rocblas_gemvt_warp_reduce_kernelILb1ELi1024ElPK19rocblas_complex_numIdES1_KPS1_EviiT3_lPKT2_lT1_lS9_lSA_lS6_lPT4_lSA_li.uses_flat_scratch, 0
	.set _ZL32rocblas_gemvt_warp_reduce_kernelILb1ELi1024ElPK19rocblas_complex_numIdES1_KPS1_EviiT3_lPKT2_lT1_lS9_lSA_lS6_lPT4_lSA_li.has_dyn_sized_stack, 0
	.set _ZL32rocblas_gemvt_warp_reduce_kernelILb1ELi1024ElPK19rocblas_complex_numIdES1_KPS1_EviiT3_lPKT2_lT1_lS9_lSA_lS6_lPT4_lSA_li.has_recursion, 0
	.set _ZL32rocblas_gemvt_warp_reduce_kernelILb1ELi1024ElPK19rocblas_complex_numIdES1_KPS1_EviiT3_lPKT2_lT1_lS9_lSA_lS6_lPT4_lSA_li.has_indirect_call, 0
	.section	.AMDGPU.csdata,"",@progbits
; Kernel info:
; codeLenInByte = 2004
; TotalNumSgprs: 45
; NumVgprs: 38
; ScratchSize: 0
; MemoryBound: 0
; FloatMode: 240
; IeeeMode: 1
; LDSByteSize: 512 bytes/workgroup (compile time only)
; SGPRBlocks: 0
; VGPRBlocks: 2
; NumSGPRsForWavesPerEU: 45
; NumVGPRsForWavesPerEU: 38
; NamedBarCnt: 0
; Occupancy: 16
; WaveLimiterHint : 1
; COMPUTE_PGM_RSRC2:SCRATCH_EN: 0
; COMPUTE_PGM_RSRC2:USER_SGPR: 2
; COMPUTE_PGM_RSRC2:TRAP_HANDLER: 0
; COMPUTE_PGM_RSRC2:TGID_X_EN: 1
; COMPUTE_PGM_RSRC2:TGID_Y_EN: 0
; COMPUTE_PGM_RSRC2:TGID_Z_EN: 1
; COMPUTE_PGM_RSRC2:TIDIG_COMP_CNT: 0
	.section	.text._ZL34rocblas_gemvn_sm_mn_batched_kernelILi32ELi24EDF16_PKfDF16_EviiT2_lPKT1_lilS5_lilS2_lPT3_lili,"axG",@progbits,_ZL34rocblas_gemvn_sm_mn_batched_kernelILi32ELi24EDF16_PKfDF16_EviiT2_lPKT1_lilS5_lilS2_lPT3_lili,comdat
	.globl	_ZL34rocblas_gemvn_sm_mn_batched_kernelILi32ELi24EDF16_PKfDF16_EviiT2_lPKT1_lilS5_lilS2_lPT3_lili ; -- Begin function _ZL34rocblas_gemvn_sm_mn_batched_kernelILi32ELi24EDF16_PKfDF16_EviiT2_lPKT1_lilS5_lilS2_lPT3_lili
	.p2align	8
	.type	_ZL34rocblas_gemvn_sm_mn_batched_kernelILi32ELi24EDF16_PKfDF16_EviiT2_lPKT1_lilS5_lilS2_lPT3_lili,@function
_ZL34rocblas_gemvn_sm_mn_batched_kernelILi32ELi24EDF16_PKfDF16_EviiT2_lPKT1_lilS5_lilS2_lPT3_lili: ; @_ZL34rocblas_gemvn_sm_mn_batched_kernelILi32ELi24EDF16_PKfDF16_EviiT2_lPKT1_lilS5_lilS2_lPT3_lili
; %bb.0:
	s_endpgm
	.section	.rodata,"a",@progbits
	.p2align	6, 0x0
	.amdhsa_kernel _ZL34rocblas_gemvn_sm_mn_batched_kernelILi32ELi24EDF16_PKfDF16_EviiT2_lPKT1_lilS5_lilS2_lPT3_lili
		.amdhsa_group_segment_fixed_size 0
		.amdhsa_private_segment_fixed_size 0
		.amdhsa_kernarg_size 140
		.amdhsa_user_sgpr_count 2
		.amdhsa_user_sgpr_dispatch_ptr 0
		.amdhsa_user_sgpr_queue_ptr 0
		.amdhsa_user_sgpr_kernarg_segment_ptr 1
		.amdhsa_user_sgpr_dispatch_id 0
		.amdhsa_user_sgpr_kernarg_preload_length 0
		.amdhsa_user_sgpr_kernarg_preload_offset 0
		.amdhsa_user_sgpr_private_segment_size 0
		.amdhsa_wavefront_size32 1
		.amdhsa_uses_dynamic_stack 0
		.amdhsa_enable_private_segment 0
		.amdhsa_system_sgpr_workgroup_id_x 1
		.amdhsa_system_sgpr_workgroup_id_y 0
		.amdhsa_system_sgpr_workgroup_id_z 0
		.amdhsa_system_sgpr_workgroup_info 0
		.amdhsa_system_vgpr_workitem_id 0
		.amdhsa_next_free_vgpr 1
		.amdhsa_next_free_sgpr 1
		.amdhsa_named_barrier_count 0
		.amdhsa_reserve_vcc 0
		.amdhsa_float_round_mode_32 0
		.amdhsa_float_round_mode_16_64 0
		.amdhsa_float_denorm_mode_32 3
		.amdhsa_float_denorm_mode_16_64 3
		.amdhsa_fp16_overflow 0
		.amdhsa_memory_ordered 1
		.amdhsa_forward_progress 1
		.amdhsa_inst_pref_size 1
		.amdhsa_round_robin_scheduling 0
		.amdhsa_exception_fp_ieee_invalid_op 0
		.amdhsa_exception_fp_denorm_src 0
		.amdhsa_exception_fp_ieee_div_zero 0
		.amdhsa_exception_fp_ieee_overflow 0
		.amdhsa_exception_fp_ieee_underflow 0
		.amdhsa_exception_fp_ieee_inexact 0
		.amdhsa_exception_int_div_zero 0
	.end_amdhsa_kernel
	.section	.text._ZL34rocblas_gemvn_sm_mn_batched_kernelILi32ELi24EDF16_PKfDF16_EviiT2_lPKT1_lilS5_lilS2_lPT3_lili,"axG",@progbits,_ZL34rocblas_gemvn_sm_mn_batched_kernelILi32ELi24EDF16_PKfDF16_EviiT2_lPKT1_lilS5_lilS2_lPT3_lili,comdat
.Lfunc_end380:
	.size	_ZL34rocblas_gemvn_sm_mn_batched_kernelILi32ELi24EDF16_PKfDF16_EviiT2_lPKT1_lilS5_lilS2_lPT3_lili, .Lfunc_end380-_ZL34rocblas_gemvn_sm_mn_batched_kernelILi32ELi24EDF16_PKfDF16_EviiT2_lPKT1_lilS5_lilS2_lPT3_lili
                                        ; -- End function
	.set _ZL34rocblas_gemvn_sm_mn_batched_kernelILi32ELi24EDF16_PKfDF16_EviiT2_lPKT1_lilS5_lilS2_lPT3_lili.num_vgpr, 0
	.set _ZL34rocblas_gemvn_sm_mn_batched_kernelILi32ELi24EDF16_PKfDF16_EviiT2_lPKT1_lilS5_lilS2_lPT3_lili.num_agpr, 0
	.set _ZL34rocblas_gemvn_sm_mn_batched_kernelILi32ELi24EDF16_PKfDF16_EviiT2_lPKT1_lilS5_lilS2_lPT3_lili.numbered_sgpr, 0
	.set _ZL34rocblas_gemvn_sm_mn_batched_kernelILi32ELi24EDF16_PKfDF16_EviiT2_lPKT1_lilS5_lilS2_lPT3_lili.num_named_barrier, 0
	.set _ZL34rocblas_gemvn_sm_mn_batched_kernelILi32ELi24EDF16_PKfDF16_EviiT2_lPKT1_lilS5_lilS2_lPT3_lili.private_seg_size, 0
	.set _ZL34rocblas_gemvn_sm_mn_batched_kernelILi32ELi24EDF16_PKfDF16_EviiT2_lPKT1_lilS5_lilS2_lPT3_lili.uses_vcc, 0
	.set _ZL34rocblas_gemvn_sm_mn_batched_kernelILi32ELi24EDF16_PKfDF16_EviiT2_lPKT1_lilS5_lilS2_lPT3_lili.uses_flat_scratch, 0
	.set _ZL34rocblas_gemvn_sm_mn_batched_kernelILi32ELi24EDF16_PKfDF16_EviiT2_lPKT1_lilS5_lilS2_lPT3_lili.has_dyn_sized_stack, 0
	.set _ZL34rocblas_gemvn_sm_mn_batched_kernelILi32ELi24EDF16_PKfDF16_EviiT2_lPKT1_lilS5_lilS2_lPT3_lili.has_recursion, 0
	.set _ZL34rocblas_gemvn_sm_mn_batched_kernelILi32ELi24EDF16_PKfDF16_EviiT2_lPKT1_lilS5_lilS2_lPT3_lili.has_indirect_call, 0
	.section	.AMDGPU.csdata,"",@progbits
; Kernel info:
; codeLenInByte = 4
; TotalNumSgprs: 0
; NumVgprs: 0
; ScratchSize: 0
; MemoryBound: 0
; FloatMode: 240
; IeeeMode: 1
; LDSByteSize: 0 bytes/workgroup (compile time only)
; SGPRBlocks: 0
; VGPRBlocks: 0
; NumSGPRsForWavesPerEU: 1
; NumVGPRsForWavesPerEU: 1
; NamedBarCnt: 0
; Occupancy: 16
; WaveLimiterHint : 0
; COMPUTE_PGM_RSRC2:SCRATCH_EN: 0
; COMPUTE_PGM_RSRC2:USER_SGPR: 2
; COMPUTE_PGM_RSRC2:TRAP_HANDLER: 0
; COMPUTE_PGM_RSRC2:TGID_X_EN: 1
; COMPUTE_PGM_RSRC2:TGID_Y_EN: 0
; COMPUTE_PGM_RSRC2:TGID_Z_EN: 0
; COMPUTE_PGM_RSRC2:TIDIG_COMP_CNT: 0
	.section	.text._ZL34rocblas_gemvn_sm_mn_batched_kernelILi32ELi24EDF16_fDF16_EviiT2_lPKT1_lilS3_lilS0_lPT3_lili,"axG",@progbits,_ZL34rocblas_gemvn_sm_mn_batched_kernelILi32ELi24EDF16_fDF16_EviiT2_lPKT1_lilS3_lilS0_lPT3_lili,comdat
	.globl	_ZL34rocblas_gemvn_sm_mn_batched_kernelILi32ELi24EDF16_fDF16_EviiT2_lPKT1_lilS3_lilS0_lPT3_lili ; -- Begin function _ZL34rocblas_gemvn_sm_mn_batched_kernelILi32ELi24EDF16_fDF16_EviiT2_lPKT1_lilS3_lilS0_lPT3_lili
	.p2align	8
	.type	_ZL34rocblas_gemvn_sm_mn_batched_kernelILi32ELi24EDF16_fDF16_EviiT2_lPKT1_lilS3_lilS0_lPT3_lili,@function
_ZL34rocblas_gemvn_sm_mn_batched_kernelILi32ELi24EDF16_fDF16_EviiT2_lPKT1_lilS3_lilS0_lPT3_lili: ; @_ZL34rocblas_gemvn_sm_mn_batched_kernelILi32ELi24EDF16_fDF16_EviiT2_lPKT1_lilS3_lilS0_lPT3_lili
; %bb.0:
	s_endpgm
	.section	.rodata,"a",@progbits
	.p2align	6, 0x0
	.amdhsa_kernel _ZL34rocblas_gemvn_sm_mn_batched_kernelILi32ELi24EDF16_fDF16_EviiT2_lPKT1_lilS3_lilS0_lPT3_lili
		.amdhsa_group_segment_fixed_size 0
		.amdhsa_private_segment_fixed_size 0
		.amdhsa_kernarg_size 140
		.amdhsa_user_sgpr_count 2
		.amdhsa_user_sgpr_dispatch_ptr 0
		.amdhsa_user_sgpr_queue_ptr 0
		.amdhsa_user_sgpr_kernarg_segment_ptr 1
		.amdhsa_user_sgpr_dispatch_id 0
		.amdhsa_user_sgpr_kernarg_preload_length 0
		.amdhsa_user_sgpr_kernarg_preload_offset 0
		.amdhsa_user_sgpr_private_segment_size 0
		.amdhsa_wavefront_size32 1
		.amdhsa_uses_dynamic_stack 0
		.amdhsa_enable_private_segment 0
		.amdhsa_system_sgpr_workgroup_id_x 1
		.amdhsa_system_sgpr_workgroup_id_y 0
		.amdhsa_system_sgpr_workgroup_id_z 0
		.amdhsa_system_sgpr_workgroup_info 0
		.amdhsa_system_vgpr_workitem_id 0
		.amdhsa_next_free_vgpr 1
		.amdhsa_next_free_sgpr 1
		.amdhsa_named_barrier_count 0
		.amdhsa_reserve_vcc 0
		.amdhsa_float_round_mode_32 0
		.amdhsa_float_round_mode_16_64 0
		.amdhsa_float_denorm_mode_32 3
		.amdhsa_float_denorm_mode_16_64 3
		.amdhsa_fp16_overflow 0
		.amdhsa_memory_ordered 1
		.amdhsa_forward_progress 1
		.amdhsa_inst_pref_size 1
		.amdhsa_round_robin_scheduling 0
		.amdhsa_exception_fp_ieee_invalid_op 0
		.amdhsa_exception_fp_denorm_src 0
		.amdhsa_exception_fp_ieee_div_zero 0
		.amdhsa_exception_fp_ieee_overflow 0
		.amdhsa_exception_fp_ieee_underflow 0
		.amdhsa_exception_fp_ieee_inexact 0
		.amdhsa_exception_int_div_zero 0
	.end_amdhsa_kernel
	.section	.text._ZL34rocblas_gemvn_sm_mn_batched_kernelILi32ELi24EDF16_fDF16_EviiT2_lPKT1_lilS3_lilS0_lPT3_lili,"axG",@progbits,_ZL34rocblas_gemvn_sm_mn_batched_kernelILi32ELi24EDF16_fDF16_EviiT2_lPKT1_lilS3_lilS0_lPT3_lili,comdat
.Lfunc_end381:
	.size	_ZL34rocblas_gemvn_sm_mn_batched_kernelILi32ELi24EDF16_fDF16_EviiT2_lPKT1_lilS3_lilS0_lPT3_lili, .Lfunc_end381-_ZL34rocblas_gemvn_sm_mn_batched_kernelILi32ELi24EDF16_fDF16_EviiT2_lPKT1_lilS3_lilS0_lPT3_lili
                                        ; -- End function
	.set _ZL34rocblas_gemvn_sm_mn_batched_kernelILi32ELi24EDF16_fDF16_EviiT2_lPKT1_lilS3_lilS0_lPT3_lili.num_vgpr, 0
	.set _ZL34rocblas_gemvn_sm_mn_batched_kernelILi32ELi24EDF16_fDF16_EviiT2_lPKT1_lilS3_lilS0_lPT3_lili.num_agpr, 0
	.set _ZL34rocblas_gemvn_sm_mn_batched_kernelILi32ELi24EDF16_fDF16_EviiT2_lPKT1_lilS3_lilS0_lPT3_lili.numbered_sgpr, 0
	.set _ZL34rocblas_gemvn_sm_mn_batched_kernelILi32ELi24EDF16_fDF16_EviiT2_lPKT1_lilS3_lilS0_lPT3_lili.num_named_barrier, 0
	.set _ZL34rocblas_gemvn_sm_mn_batched_kernelILi32ELi24EDF16_fDF16_EviiT2_lPKT1_lilS3_lilS0_lPT3_lili.private_seg_size, 0
	.set _ZL34rocblas_gemvn_sm_mn_batched_kernelILi32ELi24EDF16_fDF16_EviiT2_lPKT1_lilS3_lilS0_lPT3_lili.uses_vcc, 0
	.set _ZL34rocblas_gemvn_sm_mn_batched_kernelILi32ELi24EDF16_fDF16_EviiT2_lPKT1_lilS3_lilS0_lPT3_lili.uses_flat_scratch, 0
	.set _ZL34rocblas_gemvn_sm_mn_batched_kernelILi32ELi24EDF16_fDF16_EviiT2_lPKT1_lilS3_lilS0_lPT3_lili.has_dyn_sized_stack, 0
	.set _ZL34rocblas_gemvn_sm_mn_batched_kernelILi32ELi24EDF16_fDF16_EviiT2_lPKT1_lilS3_lilS0_lPT3_lili.has_recursion, 0
	.set _ZL34rocblas_gemvn_sm_mn_batched_kernelILi32ELi24EDF16_fDF16_EviiT2_lPKT1_lilS3_lilS0_lPT3_lili.has_indirect_call, 0
	.section	.AMDGPU.csdata,"",@progbits
; Kernel info:
; codeLenInByte = 4
; TotalNumSgprs: 0
; NumVgprs: 0
; ScratchSize: 0
; MemoryBound: 0
; FloatMode: 240
; IeeeMode: 1
; LDSByteSize: 0 bytes/workgroup (compile time only)
; SGPRBlocks: 0
; VGPRBlocks: 0
; NumSGPRsForWavesPerEU: 1
; NumVGPRsForWavesPerEU: 1
; NamedBarCnt: 0
; Occupancy: 16
; WaveLimiterHint : 0
; COMPUTE_PGM_RSRC2:SCRATCH_EN: 0
; COMPUTE_PGM_RSRC2:USER_SGPR: 2
; COMPUTE_PGM_RSRC2:TRAP_HANDLER: 0
; COMPUTE_PGM_RSRC2:TGID_X_EN: 1
; COMPUTE_PGM_RSRC2:TGID_Y_EN: 0
; COMPUTE_PGM_RSRC2:TGID_Z_EN: 0
; COMPUTE_PGM_RSRC2:TIDIG_COMP_CNT: 0
	.section	.text._ZL20rocblas_gemvn_kernelILi64ELi4EiDF16_PKfDF16_EviiT3_lPKT2_lT1_lS5_lS6_lS2_lPT4_lS6_li,"axG",@progbits,_ZL20rocblas_gemvn_kernelILi64ELi4EiDF16_PKfDF16_EviiT3_lPKT2_lT1_lS5_lS6_lS2_lPT4_lS6_li,comdat
	.globl	_ZL20rocblas_gemvn_kernelILi64ELi4EiDF16_PKfDF16_EviiT3_lPKT2_lT1_lS5_lS6_lS2_lPT4_lS6_li ; -- Begin function _ZL20rocblas_gemvn_kernelILi64ELi4EiDF16_PKfDF16_EviiT3_lPKT2_lT1_lS5_lS6_lS2_lPT4_lS6_li
	.p2align	8
	.type	_ZL20rocblas_gemvn_kernelILi64ELi4EiDF16_PKfDF16_EviiT3_lPKT2_lT1_lS5_lS6_lS2_lPT4_lS6_li,@function
_ZL20rocblas_gemvn_kernelILi64ELi4EiDF16_PKfDF16_EviiT3_lPKT2_lT1_lS5_lS6_lS2_lPT4_lS6_li: ; @_ZL20rocblas_gemvn_kernelILi64ELi4EiDF16_PKfDF16_EviiT3_lPKT2_lT1_lS5_lS6_lS2_lPT4_lS6_li
; %bb.0:
	s_load_b64 s[2:3], s[0:1], 0x9c
	s_wait_kmcnt 0x0
	s_lshr_b32 s4, s2, 16
	s_and_b32 s2, s2, 0xffff
	s_and_b32 s3, s3, 0xffff
	s_mul_i32 s2, s4, s2
	s_delay_alu instid0(SALU_CYCLE_1) | instskip(NEXT) | instid1(SALU_CYCLE_1)
	s_mul_i32 s2, s2, s3
	s_cmp_lg_u32 s2, 0x100
	s_cbranch_scc1 .LBB382_53
; %bb.1:
	s_load_b32 s31, s[0:1], 0x88
	s_bfe_u32 s2, ttmp6, 0x40014
	s_lshr_b32 s3, ttmp7, 16
	s_add_co_i32 s2, s2, 1
	s_bfe_u32 s5, ttmp6, 0x40008
	s_mul_i32 s4, s3, s2
	s_getreg_b32 s2, hwreg(HW_REG_IB_STS2, 6, 4)
	s_add_co_i32 s5, s5, s4
	s_cmp_eq_u32 s2, 0
	s_mov_b32 s35, 0
	s_cselect_b32 s34, s3, s5
	s_wait_kmcnt 0x0
	s_cmp_ge_u32 s34, s31
	s_cbranch_scc1 .LBB382_53
; %bb.2:
	s_clause 0x7
	s_load_b256 s[8:15], s[0:1], 0x8
	s_load_b96 s[28:30], s[0:1], 0x40
	s_load_b96 s[4:6], s[0:1], 0x70
	s_load_b64 s[36:37], s[0:1], 0x0
	s_load_b32 s33, s[0:1], 0x28
	s_load_b128 s[24:27], s[0:1], 0x30
	s_load_b256 s[16:23], s[0:1], 0x50
	s_load_b64 s[38:39], s[0:1], 0x80
	s_wait_xcnt 0x0
	s_bfe_u32 s0, ttmp6, 0x4000c
	v_and_b32_e32 v6, 0x3ff, v0
	s_add_co_i32 s0, s0, 1
	v_bfe_u32 v5, v0, 10, 10
	s_and_b32 s1, ttmp6, 15
	s_mul_i32 s0, ttmp9, s0
	s_delay_alu instid0(SALU_CYCLE_1) | instskip(NEXT) | instid1(VALU_DEP_1)
	s_add_co_i32 s7, s1, s0
	v_lshl_add_u32 v4, v5, 6, v6
	s_wait_kmcnt 0x0
	s_lshl_b64 s[0:1], s[14:15], 1
	s_lshl_b64 s[14:15], s[28:29], 1
	;; [unrolled: 1-line block ×3, first 2 shown]
	s_ashr_i32 s3, s6, 31
	s_cmp_eq_u32 s2, 0
	s_mov_b32 s2, s6
	s_cselect_b32 s7, ttmp9, s7
	s_mov_b32 s28, s36
	s_lshl_b32 s42, s7, 8
	s_delay_alu instid0(SALU_CYCLE_1)
	v_dual_mov_b32 v1, 0 :: v_dual_add_nc_u32 v0, s42, v4
	v_or_b32_e32 v16, s42, v6
	s_ashr_i32 s29, s36, 31
	s_add_nc_u64 s[12:13], s[12:13], s[0:1]
	s_ashr_i32 s0, s37, 31
	v_mul_u64_e32 v[2:3], s[2:3], v[0:1]
	v_cmp_gt_i64_e32 vcc_lo, s[28:29], v[0:1]
	v_dual_lshlrev_b32 v0, 2, v5 :: v_dual_add_nc_u32 v7, 64, v16
	v_add_nc_u32_e32 v8, 0x80, v16
	s_lshr_b32 s0, s0, 28
	v_mul_lo_u32 v13, v5, s30
	s_add_co_i32 s0, s37, s0
	v_or_b32_e32 v9, s42, v4
	v_cmp_gt_i32_e64 s3, s36, v8
	v_lshlrev_b32_e32 v8, 2, v6
	v_cmp_gt_i32_e64 s2, s36, v7
	v_add_nc_u32_e32 v7, 0xc0, v16
	s_and_b32 s43, s0, -16
	s_add_nc_u64 s[22:23], s[22:23], s[4:5]
	s_sub_co_i32 s4, s37, s43
	v_cmp_gt_u32_e64 s5, 0x100, v4
	s_cmp_gt_i32 s4, 0
	v_cmp_gt_i32_e64 s4, s36, v7
	v_mul_lo_u32 v4, s6, v9
	v_dual_lshlrev_b32 v26, 2, v13 :: v_dual_bitop2_b32 v7, 2, v0 bitop3:0x54
	v_or_b32_e32 v10, 3, v0
	v_mul_lo_u32 v11, s33, v0
	v_mul_lo_u32 v12, v5, s33
	s_delay_alu instid0(VALU_DEP_4)
	v_mad_u32 v18, s33, v7, v6
	v_mad_u32 v20, s30, v0, s30
	v_mad_u32 v19, s33, v10, v6
	v_mul_lo_u32 v21, s30, v7
	v_mul_lo_u32 v22, s30, v10
	v_cmp_gt_i32_e64 s0, s43, v0
	v_cmp_gt_i32_e64 s1, s36, v16
	v_lshl_add_u32 v17, v5, 10, v8
	v_lshl_add_u32 v23, v5, 8, v8
	v_ashrrev_i32_e32 v5, 31, v4
	v_cmp_gt_i32_e64 s6, s36, v9
	v_add3_u32 v24, v11, s33, v6
	v_lshl_add_u32 v25, v12, 2, v6
	s_add_nc_u64 s[14:15], s[26:27], s[14:15]
	s_cselect_b32 s44, -1, 0
	s_and_b32 s36, s5, vcc_lo
	s_lshl_b32 s45, s33, 4
	s_lshl_b32 s46, s30, 4
	s_branch .LBB382_5
.LBB382_3:                              ;   in Loop: Header=BB382_5 Depth=1
	s_wait_xcnt 0x0
	s_or_b32 exec_lo, exec_lo, s7
.LBB382_4:                              ;   in Loop: Header=BB382_5 Depth=1
	s_add_co_i32 s34, s34, 0x10000
	s_delay_alu instid0(SALU_CYCLE_1)
	s_cmp_lt_u32 s34, s31
	s_cbranch_scc0 .LBB382_53
.LBB382_5:                              ; =>This Loop Header: Depth=1
                                        ;     Child Loop BB382_21 Depth 2
	s_wait_xcnt 0x1
	s_mul_u64 s[26:27], s[10:11], s[34:35]
	s_wait_xcnt 0x0
	s_mul_u64 s[28:29], s[20:21], s[34:35]
	s_lshl_b64 s[26:27], s[26:27], 2
	s_lshl_b64 s[28:29], s[28:29], 2
	s_add_nc_u64 s[26:27], s[8:9], s[26:27]
	s_add_nc_u64 s[28:29], s[18:19], s[28:29]
	s_clause 0x1
	global_load_b32 v27, v1, s[26:27]
	global_load_b32 v6, v1, s[28:29]
	s_wait_loadcnt 0x1
	v_cmp_eq_f32_e32 vcc_lo, 0, v27
	s_wait_loadcnt 0x0
	v_cmp_eq_f32_e64 s7, 1.0, v6
	v_readfirstlane_b32 s48, v6
	s_and_b32 s7, vcc_lo, s7
	s_delay_alu instid0(SALU_CYCLE_1)
	s_and_b32 vcc_lo, exec_lo, s7
	s_cbranch_vccnz .LBB382_4
; %bb.6:                                ;   in Loop: Header=BB382_5 Depth=1
	v_cmp_neq_f32_e32 vcc_lo, 0, v27
	s_wait_xcnt 0x1
	s_mul_u64 s[26:27], s[38:39], s[34:35]
	s_delay_alu instid0(SALU_CYCLE_1) | instskip(NEXT) | instid1(SALU_CYCLE_1)
	s_lshl_b64 s[26:27], s[26:27], 1
	s_add_nc_u64 s[26:27], s[22:23], s[26:27]
	s_cbranch_vccnz .LBB382_10
; %bb.7:                                ;   in Loop: Header=BB382_5 Depth=1
	s_mov_b32 s7, 0
	s_mov_b32 s47, 0
                                        ; implicit-def: $vgpr8
	s_wait_xcnt 0x0
	s_and_saveexec_b32 s28, s36
	s_cbranch_execz .LBB382_11
; %bb.8:                                ;   in Loop: Header=BB382_5 Depth=1
	s_cmp_eq_f32 s48, 0
	s_cbranch_scc1 .LBB382_13
; %bb.9:                                ;   in Loop: Header=BB382_5 Depth=1
	v_lshl_add_u64 v[6:7], v[2:3], 1, s[26:27]
	global_load_u16 v6, v[6:7], off
	s_wait_loadcnt 0x0
	v_fma_mixlo_f16 v8, s48, v6, 0 op_sel_hi:[0,1,0]
	s_branch .LBB382_14
.LBB382_10:                             ;   in Loop: Header=BB382_5 Depth=1
	s_mov_b32 s47, 0
                                        ; implicit-def: $vgpr8
	s_cbranch_execz .LBB382_12
	s_branch .LBB382_15
.LBB382_11:                             ;   in Loop: Header=BB382_5 Depth=1
	s_or_b32 exec_lo, exec_lo, s28
	s_delay_alu instid0(SALU_CYCLE_1)
	s_and_b32 vcc_lo, exec_lo, s7
	s_cbranch_vccnz .LBB382_15
.LBB382_12:                             ;   in Loop: Header=BB382_5 Depth=1
	v_mov_b64_e32 v[6:7], v[2:3]
	s_wait_xcnt 0x0
	s_and_saveexec_b32 s7, s47
	s_cbranch_execz .LBB382_3
	s_branch .LBB382_52
.LBB382_13:                             ;   in Loop: Header=BB382_5 Depth=1
	v_mov_b32_e32 v8, 0
.LBB382_14:                             ;   in Loop: Header=BB382_5 Depth=1
	s_mov_b32 s47, exec_lo
	s_wait_xcnt 0x0
	s_or_b32 exec_lo, exec_lo, s28
	s_delay_alu instid0(SALU_CYCLE_1)
	s_and_b32 vcc_lo, exec_lo, s7
	s_cbranch_vccz .LBB382_12
.LBB382_15:                             ;   in Loop: Header=BB382_5 Depth=1
	s_wait_xcnt 0x0
	s_mul_u64 s[28:29], s[24:25], s[34:35]
	s_mul_u64 s[40:41], s[16:17], s[34:35]
	v_dual_mov_b32 v28, 0 :: v_dual_mov_b32 v32, v0
	v_dual_mov_b32 v29, 0 :: v_dual_mov_b32 v30, 0
	v_mov_b32_e32 v31, 0
	s_lshl_b64 s[28:29], s[28:29], 1
	s_lshl_b64 s[40:41], s[40:41], 1
	s_add_nc_u64 s[28:29], s[12:13], s[28:29]
	s_add_nc_u64 s[40:41], s[14:15], s[40:41]
	s_and_saveexec_b32 s7, s0
	s_cbranch_execz .LBB382_27
; %bb.16:                               ;   in Loop: Header=BB382_5 Depth=1
	v_dual_mov_b32 v28, 0 :: v_dual_mov_b32 v33, v25
	v_dual_mov_b32 v34, v19 :: v_dual_mov_b32 v35, v18
	;; [unrolled: 1-line block ×4, first 2 shown]
	v_mov_b32_e32 v31, 0
	s_mov_b32 s49, 0
	s_mov_b32 s50, 0
	s_branch .LBB382_21
.LBB382_17:                             ;   in Loop: Header=BB382_21 Depth=2
	s_wait_xcnt 0x0
	s_or_b32 exec_lo, exec_lo, s54
	s_wait_loadcnt 0x3
	v_fma_mix_f32 v6, v47, v51, v30 op_sel_hi:[0,1,0]
	s_wait_loadcnt 0x2
	s_delay_alu instid0(VALU_DEP_1) | instskip(SKIP_1) | instid1(VALU_DEP_1)
	v_fma_mix_f32 v6, v48, v52, v6 op_sel_hi:[0,1,0]
	s_wait_loadcnt 0x1
	v_fma_mix_f32 v6, v49, v53, v6 op_sel_hi:[0,1,0]
	s_wait_loadcnt 0x0
	s_delay_alu instid0(VALU_DEP_1)
	v_fma_mix_f32 v30, v50, v54, v6 op_sel_hi:[0,1,0]
.LBB382_18:                             ;   in Loop: Header=BB382_21 Depth=2
	s_or_b32 exec_lo, exec_lo, s53
	s_wait_loadcnt 0x3
	v_fma_mix_f32 v6, v47, v12, v29 op_sel_hi:[0,1,0]
	s_wait_loadcnt 0x2
	s_delay_alu instid0(VALU_DEP_1) | instskip(SKIP_1) | instid1(VALU_DEP_1)
	v_fma_mix_f32 v6, v48, v13, v6 op_sel_hi:[0,1,0]
	s_wait_loadcnt 0x1
	v_fma_mix_f32 v6, v49, v45, v6 op_sel_hi:[0,1,0]
	s_wait_loadcnt 0x0
	s_delay_alu instid0(VALU_DEP_1)
	v_fma_mix_f32 v29, v50, v46, v6 op_sel_hi:[0,1,0]
.LBB382_19:                             ;   in Loop: Header=BB382_21 Depth=2
	s_or_b32 exec_lo, exec_lo, s52
	s_wait_loadcnt 0x3
	v_fma_mix_f32 v6, v37, v41, v28 op_sel_hi:[1,1,0]
	s_wait_loadcnt 0x2
	s_delay_alu instid0(VALU_DEP_1) | instskip(SKIP_1) | instid1(VALU_DEP_1)
	v_fma_mix_f32 v6, v38, v42, v6 op_sel_hi:[1,1,0]
	s_wait_loadcnt 0x1
	v_fma_mix_f32 v6, v39, v43, v6 op_sel_hi:[1,1,0]
	s_wait_loadcnt 0x0
	s_delay_alu instid0(VALU_DEP_1)
	v_fma_mix_f32 v28, v40, v44, v6 op_sel_hi:[1,1,0]
.LBB382_20:                             ;   in Loop: Header=BB382_21 Depth=2
	s_or_b32 exec_lo, exec_lo, s51
	v_dual_add_nc_u32 v32, 16, v32 :: v_dual_add_nc_u32 v35, s45, v35
	v_dual_add_nc_u32 v36, s45, v36 :: v_dual_add_nc_u32 v34, s45, v34
	v_add_nc_u32_e32 v33, s45, v33
	s_delay_alu instid0(VALU_DEP_3) | instskip(SKIP_2) | instid1(SALU_CYCLE_1)
	v_cmp_le_i32_e32 vcc_lo, s43, v32
	s_add_co_i32 s50, s50, s46
	s_or_b32 s49, vcc_lo, s49
	s_and_not1_b32 exec_lo, exec_lo, s49
	s_cbranch_execz .LBB382_26
.LBB382_21:                             ;   Parent Loop BB382_5 Depth=1
                                        ; =>  This Inner Loop Header: Depth=2
	s_and_saveexec_b32 s51, s1
	s_cbranch_execz .LBB382_20
; %bb.22:                               ;   in Loop: Header=BB382_21 Depth=2
	v_dual_add_nc_u32 v7, s50, v26 :: v_dual_add_nc_u32 v9, s50, v20
	v_dual_add_nc_u32 v11, s50, v21 :: v_dual_add_nc_u32 v13, s50, v22
	;; [unrolled: 1-line block ×4, first 2 shown]
	s_clause 0x3
	global_load_u16 v37, v7, s[40:41] scale_offset
	global_load_u16 v38, v9, s[40:41] scale_offset
	;; [unrolled: 1-line block ×4, first 2 shown]
	s_clause 0x3
	global_load_u16 v41, v6, s[28:29] scale_offset
	global_load_u16 v42, v8, s[28:29] scale_offset
	;; [unrolled: 1-line block ×4, first 2 shown]
	s_wait_xcnt 0x0
	s_and_saveexec_b32 s52, s2
	s_cbranch_execz .LBB382_19
; %bb.23:                               ;   in Loop: Header=BB382_21 Depth=2
	v_dual_ashrrev_i32 v7, 31, v6 :: v_dual_ashrrev_i32 v9, 31, v8
	v_dual_ashrrev_i32 v13, 31, v12 :: v_dual_ashrrev_i32 v11, 31, v10
	s_wait_loadcnt 0x7
	v_cvt_f32_f16_e32 v47, v37
	s_delay_alu instid0(VALU_DEP_3)
	v_lshl_add_u64 v[14:15], v[6:7], 1, s[28:29]
	v_lshl_add_u64 v[8:9], v[8:9], 1, s[28:29]
	;; [unrolled: 1-line block ×4, first 2 shown]
	s_wait_loadcnt 0x6
	v_cvt_f32_f16_e32 v48, v38
	s_clause 0x3
	global_load_u16 v12, v[14:15], off offset:128
	global_load_u16 v13, v[8:9], off offset:128
	;; [unrolled: 1-line block ×4, first 2 shown]
	s_wait_loadcnt 0x9
	v_cvt_f32_f16_e32 v49, v39
	s_wait_loadcnt 0x8
	v_cvt_f32_f16_e32 v50, v40
	s_wait_xcnt 0x0
	s_and_saveexec_b32 s53, s3
	s_cbranch_execz .LBB382_18
; %bb.24:                               ;   in Loop: Header=BB382_21 Depth=2
	s_clause 0x3
	global_load_u16 v51, v[14:15], off offset:256
	global_load_u16 v52, v[8:9], off offset:256
	;; [unrolled: 1-line block ×4, first 2 shown]
	s_wait_xcnt 0x0
	s_and_saveexec_b32 s54, s4
	s_cbranch_execz .LBB382_17
; %bb.25:                               ;   in Loop: Header=BB382_21 Depth=2
	s_clause 0x3
	global_load_u16 v14, v[14:15], off offset:384
	global_load_u16 v8, v[8:9], off offset:384
	;; [unrolled: 1-line block ×4, first 2 shown]
	s_wait_loadcnt 0x3
	v_fma_mix_f32 v9, v47, v14, v31 op_sel_hi:[0,1,0]
	s_wait_loadcnt 0x2
	s_delay_alu instid0(VALU_DEP_1) | instskip(SKIP_1) | instid1(VALU_DEP_1)
	v_fma_mix_f32 v8, v48, v8, v9 op_sel_hi:[0,1,0]
	s_wait_loadcnt 0x1
	v_fma_mix_f32 v6, v49, v6, v8 op_sel_hi:[0,1,0]
	s_wait_loadcnt 0x0
	s_delay_alu instid0(VALU_DEP_1)
	v_fma_mix_f32 v31, v50, v7, v6 op_sel_hi:[0,1,0]
	s_branch .LBB382_17
.LBB382_26:                             ;   in Loop: Header=BB382_5 Depth=1
	s_or_b32 exec_lo, exec_lo, s49
.LBB382_27:                             ;   in Loop: Header=BB382_5 Depth=1
	s_delay_alu instid0(SALU_CYCLE_1) | instskip(NEXT) | instid1(SALU_CYCLE_1)
	s_or_b32 exec_lo, exec_lo, s7
	s_and_not1_b32 vcc_lo, exec_lo, s44
	s_cbranch_vccnz .LBB382_45
; %bb.28:                               ;   in Loop: Header=BB382_5 Depth=1
	v_cmp_gt_i32_e32 vcc_lo, s37, v32
	v_dual_mov_b32 v14, 0 :: v_dual_bitop2_b32 v6, 1, v32 bitop3:0x54
	v_dual_mov_b32 v15, 0 :: v_dual_mov_b32 v33, 0
	v_mov_b32_e32 v34, 0
	s_and_saveexec_b32 s49, vcc_lo
	s_cbranch_execz .LBB382_36
; %bb.29:                               ;   in Loop: Header=BB382_5 Depth=1
	v_mul_lo_u32 v7, v32, s30
	v_dual_mov_b32 v33, 0 :: v_dual_mov_b32 v15, 0
	v_mov_b32_e32 v14, 0
	s_mov_b32 s50, exec_lo
	global_load_u16 v7, v7, s[40:41] scale_offset
	s_wait_xcnt 0x0
	v_cmpx_gt_i32_e64 s37, v6
	s_cbranch_execz .LBB382_35
; %bb.30:                               ;   in Loop: Header=BB382_5 Depth=1
	v_mul_lo_u32 v8, v6, s30
	v_dual_mov_b32 v15, 0 :: v_dual_bitop2_b32 v9, 2, v32 bitop3:0x54
	v_mov_b32_e32 v14, 0
	s_mov_b32 s51, exec_lo
	global_load_u16 v8, v8, s[40:41] scale_offset
	s_wait_xcnt 0x0
	v_cmpx_gt_i32_e64 s37, v9
	s_cbranch_execz .LBB382_34
; %bb.31:                               ;   in Loop: Header=BB382_5 Depth=1
	v_mul_lo_u32 v9, v9, s30
	v_dual_mov_b32 v14, 0 :: v_dual_bitop2_b32 v10, 3, v32 bitop3:0x54
	s_mov_b32 s52, exec_lo
	global_load_u16 v9, v9, s[40:41] scale_offset
	s_wait_xcnt 0x0
	v_cmpx_gt_i32_e64 s37, v10
	s_cbranch_execz .LBB382_33
; %bb.32:                               ;   in Loop: Header=BB382_5 Depth=1
	v_mul_lo_u32 v10, v10, s30
	global_load_u16 v10, v10, s[40:41] scale_offset
	s_wait_loadcnt 0x0
	v_cvt_f32_f16_e32 v14, v10
.LBB382_33:                             ;   in Loop: Header=BB382_5 Depth=1
	s_wait_xcnt 0x0
	s_or_b32 exec_lo, exec_lo, s52
	s_wait_loadcnt 0x0
	v_cvt_f32_f16_e32 v15, v9
.LBB382_34:                             ;   in Loop: Header=BB382_5 Depth=1
	s_or_b32 exec_lo, exec_lo, s51
	s_wait_loadcnt 0x0
	v_cvt_f32_f16_e32 v33, v8
.LBB382_35:                             ;   in Loop: Header=BB382_5 Depth=1
	s_or_b32 exec_lo, exec_lo, s50
	s_wait_loadcnt 0x0
	v_cvt_f32_f16_e32 v34, v7
.LBB382_36:                             ;   in Loop: Header=BB382_5 Depth=1
	s_or_b32 exec_lo, exec_lo, s49
	s_and_saveexec_b32 s7, s1
	s_cbranch_execz .LBB382_44
; %bb.37:                               ;   in Loop: Header=BB382_5 Depth=1
	v_mul_lo_u32 v8, v32, s33
	v_mul_lo_u32 v10, v6, s33
	s_delay_alu instid0(VALU_DEP_2) | instskip(SKIP_1) | instid1(VALU_DEP_3)
	v_cndmask_b32_e32 v8, 0, v8, vcc_lo
	v_cmp_gt_i32_e32 vcc_lo, s37, v6
	v_dual_cndmask_b32 v10, 0, v10, vcc_lo :: v_dual_bitop2_b32 v7, 2, v32 bitop3:0x54
	s_delay_alu instid0(VALU_DEP_1) | instskip(SKIP_2) | instid1(VALU_DEP_4)
	v_mul_lo_u32 v11, v7, s33
	v_cmp_gt_i32_e32 vcc_lo, s37, v7
	v_or_b32_e32 v9, 3, v32
	v_dual_add_nc_u32 v6, v8, v16 :: v_dual_add_nc_u32 v8, v10, v16
	s_delay_alu instid0(VALU_DEP_4) | instskip(NEXT) | instid1(VALU_DEP_3)
	v_cndmask_b32_e32 v7, 0, v11, vcc_lo
	v_mul_lo_u32 v12, v9, s33
	v_cmp_gt_i32_e32 vcc_lo, s37, v9
	s_delay_alu instid0(VALU_DEP_2) | instskip(NEXT) | instid1(VALU_DEP_1)
	v_cndmask_b32_e32 v9, 0, v12, vcc_lo
	v_dual_add_nc_u32 v10, v7, v16 :: v_dual_add_nc_u32 v12, v9, v16
	s_clause 0x3
	global_load_u16 v32, v6, s[28:29] scale_offset
	global_load_u16 v35, v8, s[28:29] scale_offset
	;; [unrolled: 1-line block ×4, first 2 shown]
	s_wait_xcnt 0x0
	s_and_saveexec_b32 s40, s2
	s_cbranch_execz .LBB382_43
; %bb.38:                               ;   in Loop: Header=BB382_5 Depth=1
	v_dual_ashrrev_i32 v7, 31, v6 :: v_dual_ashrrev_i32 v9, 31, v8
	v_dual_ashrrev_i32 v11, 31, v10 :: v_dual_ashrrev_i32 v13, 31, v12
	s_delay_alu instid0(VALU_DEP_2) | instskip(NEXT) | instid1(VALU_DEP_3)
	v_lshl_add_u64 v[6:7], v[6:7], 1, s[28:29]
	v_lshl_add_u64 v[8:9], v[8:9], 1, s[28:29]
	s_delay_alu instid0(VALU_DEP_3) | instskip(NEXT) | instid1(VALU_DEP_4)
	v_lshl_add_u64 v[10:11], v[10:11], 1, s[28:29]
	v_lshl_add_u64 v[12:13], v[12:13], 1, s[28:29]
	s_clause 0x3
	global_load_u16 v38, v[6:7], off offset:128
	global_load_u16 v39, v[8:9], off offset:128
	;; [unrolled: 1-line block ×4, first 2 shown]
	s_wait_xcnt 0x0
	s_and_saveexec_b32 s28, s3
	s_cbranch_execz .LBB382_42
; %bb.39:                               ;   in Loop: Header=BB382_5 Depth=1
	s_clause 0x3
	global_load_u16 v42, v[6:7], off offset:256
	global_load_u16 v43, v[8:9], off offset:256
	;; [unrolled: 1-line block ×4, first 2 shown]
	s_wait_xcnt 0x0
	s_and_saveexec_b32 s29, s4
	s_cbranch_execz .LBB382_41
; %bb.40:                               ;   in Loop: Header=BB382_5 Depth=1
	s_clause 0x3
	global_load_u16 v46, v[6:7], off offset:384
	global_load_u16 v47, v[8:9], off offset:384
	;; [unrolled: 1-line block ×4, first 2 shown]
	s_wait_loadcnt 0x3
	s_wait_xcnt 0x3
	v_fma_mix_f32 v6, v34, v46, v31 op_sel_hi:[0,1,0]
	s_wait_loadcnt 0x2
	s_delay_alu instid0(VALU_DEP_1) | instskip(SKIP_1) | instid1(VALU_DEP_1)
	v_fma_mix_f32 v6, v33, v47, v6 op_sel_hi:[0,1,0]
	s_wait_loadcnt 0x1
	v_fma_mix_f32 v6, v15, v48, v6 op_sel_hi:[0,1,0]
	s_wait_loadcnt 0x0
	s_delay_alu instid0(VALU_DEP_1)
	v_fma_mix_f32 v31, v14, v49, v6 op_sel_hi:[0,1,0]
.LBB382_41:                             ;   in Loop: Header=BB382_5 Depth=1
	s_wait_xcnt 0x0
	s_or_b32 exec_lo, exec_lo, s29
	s_wait_loadcnt 0x3
	v_fma_mix_f32 v6, v34, v42, v30 op_sel_hi:[0,1,0]
	s_wait_loadcnt 0x2
	s_delay_alu instid0(VALU_DEP_1) | instskip(SKIP_1) | instid1(VALU_DEP_1)
	v_fma_mix_f32 v6, v33, v43, v6 op_sel_hi:[0,1,0]
	s_wait_loadcnt 0x1
	v_fma_mix_f32 v6, v15, v44, v6 op_sel_hi:[0,1,0]
	s_wait_loadcnt 0x0
	s_delay_alu instid0(VALU_DEP_1)
	v_fma_mix_f32 v30, v14, v45, v6 op_sel_hi:[0,1,0]
.LBB382_42:                             ;   in Loop: Header=BB382_5 Depth=1
	s_or_b32 exec_lo, exec_lo, s28
	s_wait_loadcnt 0x3
	v_fma_mix_f32 v6, v34, v38, v29 op_sel_hi:[0,1,0]
	s_wait_loadcnt 0x2
	s_delay_alu instid0(VALU_DEP_1) | instskip(SKIP_1) | instid1(VALU_DEP_1)
	v_fma_mix_f32 v6, v33, v39, v6 op_sel_hi:[0,1,0]
	s_wait_loadcnt 0x1
	v_fma_mix_f32 v6, v15, v40, v6 op_sel_hi:[0,1,0]
	s_wait_loadcnt 0x0
	s_delay_alu instid0(VALU_DEP_1)
	v_fma_mix_f32 v29, v14, v41, v6 op_sel_hi:[0,1,0]
.LBB382_43:                             ;   in Loop: Header=BB382_5 Depth=1
	s_or_b32 exec_lo, exec_lo, s40
	s_wait_loadcnt 0x3
	v_fma_mix_f32 v6, v34, v32, v28 op_sel_hi:[0,1,0]
	s_wait_loadcnt 0x2
	s_delay_alu instid0(VALU_DEP_1) | instskip(SKIP_1) | instid1(VALU_DEP_1)
	v_fma_mix_f32 v6, v33, v35, v6 op_sel_hi:[0,1,0]
	s_wait_loadcnt 0x1
	v_fma_mix_f32 v6, v15, v36, v6 op_sel_hi:[0,1,0]
	s_wait_loadcnt 0x0
	s_delay_alu instid0(VALU_DEP_1)
	v_fma_mix_f32 v28, v14, v37, v6 op_sel_hi:[0,1,0]
.LBB382_44:                             ;   in Loop: Header=BB382_5 Depth=1
	s_or_b32 exec_lo, exec_lo, s7
.LBB382_45:                             ;   in Loop: Header=BB382_5 Depth=1
	ds_store_2addr_stride64_b32 v17, v28, v29 offset1:1
	ds_store_2addr_stride64_b32 v17, v30, v31 offset0:2 offset1:3
	s_wait_dscnt 0x0
	s_barrier_signal -1
	s_barrier_wait -1
                                        ; implicit-def: $vgpr8
	s_and_saveexec_b32 s7, s5
	s_cbranch_execz .LBB382_51
; %bb.46:                               ;   in Loop: Header=BB382_5 Depth=1
	ds_load_2addr_stride64_b32 v[6:7], v23 offset1:4
	ds_load_2addr_stride64_b32 v[8:9], v23 offset0:8 offset1:12
	s_mov_b32 s29, s47
	s_wait_dscnt 0x1
	v_add_f32_e32 v6, v6, v7
	s_wait_dscnt 0x0
	s_delay_alu instid0(VALU_DEP_1) | instskip(NEXT) | instid1(VALU_DEP_1)
	v_add_f32_e32 v6, v8, v6
                                        ; implicit-def: $vgpr8
	v_add_f32_e32 v6, v9, v6
	ds_store_b32 v23, v6
	s_and_saveexec_b32 s28, s6
	s_cbranch_execz .LBB382_50
; %bb.47:                               ;   in Loop: Header=BB382_5 Depth=1
	v_mul_f32_e32 v6, v27, v6
	s_cmp_eq_f32 s48, 0
	s_cbranch_scc1 .LBB382_49
; %bb.48:                               ;   in Loop: Header=BB382_5 Depth=1
	v_lshl_add_u64 v[8:9], v[4:5], 1, s[26:27]
	global_load_u16 v7, v[8:9], off
	s_wait_loadcnt 0x0
	v_fma_mix_f32 v6, s48, v7, v6 op_sel_hi:[0,1,0]
.LBB382_49:                             ;   in Loop: Header=BB382_5 Depth=1
	s_wait_xcnt 0x0
	s_delay_alu instid0(VALU_DEP_1)
	v_cvt_f16_f32_e32 v8, v6
	s_or_b32 s29, s47, exec_lo
.LBB382_50:                             ;   in Loop: Header=BB382_5 Depth=1
	s_or_b32 exec_lo, exec_lo, s28
	s_delay_alu instid0(SALU_CYCLE_1) | instskip(SKIP_1) | instid1(SALU_CYCLE_1)
	s_and_not1_b32 s28, s47, exec_lo
	s_and_b32 s29, s29, exec_lo
	s_or_b32 s47, s28, s29
.LBB382_51:                             ;   in Loop: Header=BB382_5 Depth=1
	s_or_b32 exec_lo, exec_lo, s7
	v_mov_b64_e32 v[6:7], v[4:5]
	s_and_saveexec_b32 s7, s47
	s_cbranch_execz .LBB382_3
.LBB382_52:                             ;   in Loop: Header=BB382_5 Depth=1
	s_delay_alu instid0(VALU_DEP_1)
	v_lshl_add_u64 v[6:7], v[6:7], 1, s[26:27]
	global_store_b16 v[6:7], v8, off
	s_branch .LBB382_3
.LBB382_53:
	s_endpgm
	.section	.rodata,"a",@progbits
	.p2align	6, 0x0
	.amdhsa_kernel _ZL20rocblas_gemvn_kernelILi64ELi4EiDF16_PKfDF16_EviiT3_lPKT2_lT1_lS5_lS6_lS2_lPT4_lS6_li
		.amdhsa_group_segment_fixed_size 4096
		.amdhsa_private_segment_fixed_size 0
		.amdhsa_kernarg_size 400
		.amdhsa_user_sgpr_count 2
		.amdhsa_user_sgpr_dispatch_ptr 0
		.amdhsa_user_sgpr_queue_ptr 0
		.amdhsa_user_sgpr_kernarg_segment_ptr 1
		.amdhsa_user_sgpr_dispatch_id 0
		.amdhsa_user_sgpr_kernarg_preload_length 0
		.amdhsa_user_sgpr_kernarg_preload_offset 0
		.amdhsa_user_sgpr_private_segment_size 0
		.amdhsa_wavefront_size32 1
		.amdhsa_uses_dynamic_stack 0
		.amdhsa_enable_private_segment 0
		.amdhsa_system_sgpr_workgroup_id_x 1
		.amdhsa_system_sgpr_workgroup_id_y 0
		.amdhsa_system_sgpr_workgroup_id_z 1
		.amdhsa_system_sgpr_workgroup_info 0
		.amdhsa_system_vgpr_workitem_id 1
		.amdhsa_next_free_vgpr 55
		.amdhsa_next_free_sgpr 55
		.amdhsa_named_barrier_count 0
		.amdhsa_reserve_vcc 1
		.amdhsa_float_round_mode_32 0
		.amdhsa_float_round_mode_16_64 0
		.amdhsa_float_denorm_mode_32 3
		.amdhsa_float_denorm_mode_16_64 3
		.amdhsa_fp16_overflow 0
		.amdhsa_memory_ordered 1
		.amdhsa_forward_progress 1
		.amdhsa_inst_pref_size 23
		.amdhsa_round_robin_scheduling 0
		.amdhsa_exception_fp_ieee_invalid_op 0
		.amdhsa_exception_fp_denorm_src 0
		.amdhsa_exception_fp_ieee_div_zero 0
		.amdhsa_exception_fp_ieee_overflow 0
		.amdhsa_exception_fp_ieee_underflow 0
		.amdhsa_exception_fp_ieee_inexact 0
		.amdhsa_exception_int_div_zero 0
	.end_amdhsa_kernel
	.section	.text._ZL20rocblas_gemvn_kernelILi64ELi4EiDF16_PKfDF16_EviiT3_lPKT2_lT1_lS5_lS6_lS2_lPT4_lS6_li,"axG",@progbits,_ZL20rocblas_gemvn_kernelILi64ELi4EiDF16_PKfDF16_EviiT3_lPKT2_lT1_lS5_lS6_lS2_lPT4_lS6_li,comdat
.Lfunc_end382:
	.size	_ZL20rocblas_gemvn_kernelILi64ELi4EiDF16_PKfDF16_EviiT3_lPKT2_lT1_lS5_lS6_lS2_lPT4_lS6_li, .Lfunc_end382-_ZL20rocblas_gemvn_kernelILi64ELi4EiDF16_PKfDF16_EviiT3_lPKT2_lT1_lS5_lS6_lS2_lPT4_lS6_li
                                        ; -- End function
	.set _ZL20rocblas_gemvn_kernelILi64ELi4EiDF16_PKfDF16_EviiT3_lPKT2_lT1_lS5_lS6_lS2_lPT4_lS6_li.num_vgpr, 55
	.set _ZL20rocblas_gemvn_kernelILi64ELi4EiDF16_PKfDF16_EviiT3_lPKT2_lT1_lS5_lS6_lS2_lPT4_lS6_li.num_agpr, 0
	.set _ZL20rocblas_gemvn_kernelILi64ELi4EiDF16_PKfDF16_EviiT3_lPKT2_lT1_lS5_lS6_lS2_lPT4_lS6_li.numbered_sgpr, 55
	.set _ZL20rocblas_gemvn_kernelILi64ELi4EiDF16_PKfDF16_EviiT3_lPKT2_lT1_lS5_lS6_lS2_lPT4_lS6_li.num_named_barrier, 0
	.set _ZL20rocblas_gemvn_kernelILi64ELi4EiDF16_PKfDF16_EviiT3_lPKT2_lT1_lS5_lS6_lS2_lPT4_lS6_li.private_seg_size, 0
	.set _ZL20rocblas_gemvn_kernelILi64ELi4EiDF16_PKfDF16_EviiT3_lPKT2_lT1_lS5_lS6_lS2_lPT4_lS6_li.uses_vcc, 1
	.set _ZL20rocblas_gemvn_kernelILi64ELi4EiDF16_PKfDF16_EviiT3_lPKT2_lT1_lS5_lS6_lS2_lPT4_lS6_li.uses_flat_scratch, 0
	.set _ZL20rocblas_gemvn_kernelILi64ELi4EiDF16_PKfDF16_EviiT3_lPKT2_lT1_lS5_lS6_lS2_lPT4_lS6_li.has_dyn_sized_stack, 0
	.set _ZL20rocblas_gemvn_kernelILi64ELi4EiDF16_PKfDF16_EviiT3_lPKT2_lT1_lS5_lS6_lS2_lPT4_lS6_li.has_recursion, 0
	.set _ZL20rocblas_gemvn_kernelILi64ELi4EiDF16_PKfDF16_EviiT3_lPKT2_lT1_lS5_lS6_lS2_lPT4_lS6_li.has_indirect_call, 0
	.section	.AMDGPU.csdata,"",@progbits
; Kernel info:
; codeLenInByte = 2944
; TotalNumSgprs: 57
; NumVgprs: 55
; ScratchSize: 0
; MemoryBound: 0
; FloatMode: 240
; IeeeMode: 1
; LDSByteSize: 4096 bytes/workgroup (compile time only)
; SGPRBlocks: 0
; VGPRBlocks: 3
; NumSGPRsForWavesPerEU: 57
; NumVGPRsForWavesPerEU: 55
; NamedBarCnt: 0
; Occupancy: 16
; WaveLimiterHint : 1
; COMPUTE_PGM_RSRC2:SCRATCH_EN: 0
; COMPUTE_PGM_RSRC2:USER_SGPR: 2
; COMPUTE_PGM_RSRC2:TRAP_HANDLER: 0
; COMPUTE_PGM_RSRC2:TGID_X_EN: 1
; COMPUTE_PGM_RSRC2:TGID_Y_EN: 0
; COMPUTE_PGM_RSRC2:TGID_Z_EN: 1
; COMPUTE_PGM_RSRC2:TIDIG_COMP_CNT: 1
	.section	.text._ZL20rocblas_gemvn_kernelILi64ELi4ElDF16_PKfDF16_EviiT3_lPKT2_lT1_lS5_lS6_lS2_lPT4_lS6_li,"axG",@progbits,_ZL20rocblas_gemvn_kernelILi64ELi4ElDF16_PKfDF16_EviiT3_lPKT2_lT1_lS5_lS6_lS2_lPT4_lS6_li,comdat
	.globl	_ZL20rocblas_gemvn_kernelILi64ELi4ElDF16_PKfDF16_EviiT3_lPKT2_lT1_lS5_lS6_lS2_lPT4_lS6_li ; -- Begin function _ZL20rocblas_gemvn_kernelILi64ELi4ElDF16_PKfDF16_EviiT3_lPKT2_lT1_lS5_lS6_lS2_lPT4_lS6_li
	.p2align	8
	.type	_ZL20rocblas_gemvn_kernelILi64ELi4ElDF16_PKfDF16_EviiT3_lPKT2_lT1_lS5_lS6_lS2_lPT4_lS6_li,@function
_ZL20rocblas_gemvn_kernelILi64ELi4ElDF16_PKfDF16_EviiT3_lPKT2_lT1_lS5_lS6_lS2_lPT4_lS6_li: ; @_ZL20rocblas_gemvn_kernelILi64ELi4ElDF16_PKfDF16_EviiT3_lPKT2_lT1_lS5_lS6_lS2_lPT4_lS6_li
; %bb.0:
	s_load_b64 s[2:3], s[0:1], 0x9c
	s_wait_kmcnt 0x0
	s_lshr_b32 s4, s2, 16
	s_and_b32 s2, s2, 0xffff
	s_and_b32 s3, s3, 0xffff
	s_mul_i32 s2, s4, s2
	s_delay_alu instid0(SALU_CYCLE_1) | instskip(NEXT) | instid1(SALU_CYCLE_1)
	s_mul_i32 s2, s2, s3
	s_cmp_lg_u32 s2, 0x100
	s_cbranch_scc1 .LBB383_53
; %bb.1:
	s_load_b32 s33, s[0:1], 0x88
	s_bfe_u32 s2, ttmp6, 0x40014
	s_lshr_b32 s3, ttmp7, 16
	s_add_co_i32 s2, s2, 1
	s_bfe_u32 s5, ttmp6, 0x40008
	s_mul_i32 s4, s3, s2
	s_getreg_b32 s2, hwreg(HW_REG_IB_STS2, 6, 4)
	s_add_co_i32 s5, s5, s4
	s_cmp_eq_u32 s2, 0
	s_mov_b32 s11, 0
	s_cselect_b32 s10, s3, s5
	s_wait_kmcnt 0x0
	s_cmp_ge_u32 s10, s33
	s_cbranch_scc1 .LBB383_53
; %bb.2:
	s_clause 0x2
	s_load_b512 s[12:27], s[0:1], 0x8
	s_load_b512 s[36:51], s[0:1], 0x48
	s_load_b64 s[28:29], s[0:1], 0x0
	s_wait_xcnt 0x0
	s_bfe_u32 s0, ttmp6, 0x4000c
	v_and_b32_e32 v24, 0x3ff, v0
	s_add_co_i32 s0, s0, 1
	v_bfe_u32 v4, v0, 10, 10
	s_and_b32 s1, ttmp6, 15
	s_mul_i32 s0, ttmp9, s0
	v_dual_mov_b32 v1, 0 :: v_dual_lshlrev_b32 v2, 2, v24
	s_add_co_i32 s1, s1, s0
	v_lshl_add_u32 v6, v4, 6, v24
	s_delay_alu instid0(VALU_DEP_2) | instskip(NEXT) | instid1(VALU_DEP_3)
	v_dual_mov_b32 v5, v1 :: v_dual_lshlrev_b32 v48, 2, v4
	v_lshl_add_u32 v49, v4, 10, v2
	v_lshl_add_u32 v50, v4, 8, v2
	s_wait_kmcnt 0x0
	s_lshl_b64 s[4:5], s[18:19], 1
	s_lshl_b64 s[18:19], s[26:27], 1
	;; [unrolled: 1-line block ×3, first 2 shown]
	s_cmp_eq_u32 s2, 0
	s_mov_b32 s2, s28
	s_cselect_b32 s0, ttmp9, s1
	s_ashr_i32 s3, s28, 31
	s_lshl_b32 s1, s0, 8
	v_cmp_gt_u32_e64 s0, 0x100, v6
	v_dual_add_nc_u32 v0, s1, v6 :: v_dual_bitop2_b32 v6, s1, v6 bitop3:0x54
	v_mul_u64_e32 v[10:11], s[36:37], v[4:5]
	v_mul_u64_e32 v[12:13], s[20:21], v[4:5]
	v_mad_nc_u64_u32 v[8:9], s36, v48, s[36:37]
	s_delay_alu instid0(VALU_DEP_4)
	v_cmp_gt_i64_e32 vcc_lo, s[2:3], v[0:1]
	v_mul_u64_e32 v[2:3], s[48:49], v[0:1]
	v_dual_ashrrev_i32 v7, 31, v6 :: v_dual_bitop2_b32 v0, 3, v48 bitop3:0x54
	v_mad_nc_u64_u32 v[22:23], s20, v48, s[20:21]
	s_ashr_i32 s2, s29, 31
	v_or_b32_e32 v24, s1, v24
	s_delay_alu instid0(VALU_DEP_3)
	v_mul_u64_e32 v[14:15], s[20:21], v[0:1]
	v_mul_u64_e32 v[16:17], s[36:37], v[0:1]
	v_or_b32_e32 v0, 2, v48
	v_mul_u64_e32 v[4:5], s[48:49], v[6:7]
	v_mad_u32 v9, s37, v48, v9
	s_lshr_b32 s2, s2, 28
	v_ashrrev_i32_e32 v25, 31, v24
	v_mul_u64_e32 v[18:19], s[20:21], v[0:1]
	v_mul_u64_e32 v[20:21], s[36:37], v[0:1]
	v_mad_u32 v23, s21, v48, v23
	s_add_co_i32 s2, s29, s2
	v_add_nc_u32_e32 v7, 0x80, v24
	s_and_b32 s52, s2, -16
	v_add_nc_u32_e32 v0, 64, v24
	v_add_nc_u32_e32 v26, 0xc0, v24
	s_sub_co_i32 s3, s29, s52
	s_add_nc_u64 s[16:17], s[16:17], s[4:5]
	s_cmp_gt_i32 s3, 0
	v_cmp_gt_i32_e64 s3, s28, v6
	v_cmp_gt_i32_e64 s5, s28, v7
	v_lshlrev_b64_e32 v[6:7], 1, v[24:25]
	s_add_nc_u64 s[30:31], s[44:45], s[6:7]
	v_cmp_gt_i32_e64 s1, s52, v48
	v_cmp_gt_i32_e64 s2, s28, v24
	;; [unrolled: 1-line block ×4, first 2 shown]
	v_lshl_add_u64 v[8:9], v[8:9], 1, s[24:25]
	v_lshl_add_u64 v[10:11], v[10:11], 3, s[24:25]
	;; [unrolled: 1-line block ×4, first 2 shown]
	s_add_nc_u64 s[26:27], s[24:25], s[18:19]
	s_cselect_b32 s53, -1, 0
	v_lshl_add_u64 v[14:15], v[14:15], 1, s[16:17]
	v_lshl_add_u64 v[16:17], v[16:17], 1, s[24:25]
	s_lshl_b64 s[34:35], s[38:39], 1
	s_and_b32 s28, s0, vcc_lo
	s_lshl_b64 s[44:45], s[22:23], 1
	s_lshl_b64 s[46:47], s[20:21], 5
	v_lshl_add_u64 v[18:19], v[18:19], 1, s[16:17]
	v_lshl_add_u64 v[20:21], v[20:21], 1, s[24:25]
	s_lshl_b64 s[24:25], s[36:37], 5
	s_branch .LBB383_5
.LBB383_3:                              ;   in Loop: Header=BB383_5 Depth=1
	s_wait_xcnt 0x0
	s_or_b32 exec_lo, exec_lo, s7
.LBB383_4:                              ;   in Loop: Header=BB383_5 Depth=1
	s_add_co_i32 s10, s10, 0x10000
	s_delay_alu instid0(SALU_CYCLE_1)
	s_cmp_lt_u32 s10, s33
	s_cbranch_scc0 .LBB383_53
.LBB383_5:                              ; =>This Loop Header: Depth=1
                                        ;     Child Loop BB383_21 Depth 2
	s_wait_xcnt 0x1
	s_mul_u64 s[8:9], s[14:15], s[10:11]
	s_wait_xcnt 0x0
	s_mul_u64 s[48:49], s[42:43], s[10:11]
	s_lshl_b64 s[8:9], s[8:9], 2
	s_lshl_b64 s[48:49], s[48:49], 2
	s_add_nc_u64 s[8:9], s[12:13], s[8:9]
	s_add_nc_u64 s[48:49], s[40:41], s[48:49]
	s_clause 0x1
	global_load_b32 v51, v1, s[8:9]
	global_load_b32 v0, v1, s[48:49]
	s_wait_loadcnt 0x1
	v_cmp_eq_f32_e32 vcc_lo, 0, v51
	s_wait_loadcnt 0x0
	v_cmp_eq_f32_e64 s7, 1.0, v0
	v_readfirstlane_b32 s55, v0
	s_and_b32 s7, vcc_lo, s7
	s_delay_alu instid0(SALU_CYCLE_1)
	s_and_b32 vcc_lo, exec_lo, s7
	s_cbranch_vccnz .LBB383_4
; %bb.6:                                ;   in Loop: Header=BB383_5 Depth=1
	v_cmp_neq_f32_e32 vcc_lo, 0, v51
	s_wait_xcnt 0x1
	s_mul_u64 s[8:9], s[50:51], s[10:11]
	s_delay_alu instid0(SALU_CYCLE_1)
	s_lshl_b64 s[8:9], s[8:9], 1
	s_wait_xcnt 0x0
	s_add_nc_u64 s[48:49], s[30:31], s[8:9]
	s_cbranch_vccnz .LBB383_10
; %bb.7:                                ;   in Loop: Header=BB383_5 Depth=1
	s_mov_b32 s7, 0
	s_mov_b32 s54, 0
                                        ; implicit-def: $vgpr0
	s_and_saveexec_b32 s8, s28
	s_cbranch_execz .LBB383_11
; %bb.8:                                ;   in Loop: Header=BB383_5 Depth=1
	s_cmp_eq_f32 s55, 0
	s_cbranch_scc1 .LBB383_13
; %bb.9:                                ;   in Loop: Header=BB383_5 Depth=1
	v_lshl_add_u64 v[24:25], v[2:3], 1, s[48:49]
	global_load_u16 v0, v[24:25], off
	s_wait_loadcnt 0x0
	v_fma_mixlo_f16 v0, s55, v0, 0 op_sel_hi:[0,1,0]
	s_branch .LBB383_14
.LBB383_10:                             ;   in Loop: Header=BB383_5 Depth=1
	s_mov_b32 s54, 0
                                        ; implicit-def: $vgpr0
	s_cbranch_execz .LBB383_12
	s_branch .LBB383_15
.LBB383_11:                             ;   in Loop: Header=BB383_5 Depth=1
	s_or_b32 exec_lo, exec_lo, s8
	s_delay_alu instid0(SALU_CYCLE_1)
	s_and_b32 vcc_lo, exec_lo, s7
	s_cbranch_vccnz .LBB383_15
.LBB383_12:                             ;   in Loop: Header=BB383_5 Depth=1
	v_mov_b64_e32 v[24:25], v[2:3]
	s_and_saveexec_b32 s7, s54
	s_cbranch_execz .LBB383_3
	s_branch .LBB383_52
.LBB383_13:                             ;   in Loop: Header=BB383_5 Depth=1
	v_mov_b32_e32 v0, 0
.LBB383_14:                             ;   in Loop: Header=BB383_5 Depth=1
	s_mov_b32 s54, exec_lo
	s_wait_xcnt 0x0
	s_or_b32 exec_lo, exec_lo, s8
	s_delay_alu instid0(SALU_CYCLE_1)
	s_and_b32 vcc_lo, exec_lo, s7
	s_cbranch_vccz .LBB383_12
.LBB383_15:                             ;   in Loop: Header=BB383_5 Depth=1
	v_dual_mov_b32 v52, 0 :: v_dual_mov_b32 v0, v48
	v_dual_mov_b32 v53, 0 :: v_dual_mov_b32 v54, 0
	v_mov_b32_e32 v55, 0
	s_and_saveexec_b32 s7, s1
	s_cbranch_execz .LBB383_27
; %bb.16:                               ;   in Loop: Header=BB383_5 Depth=1
	s_mul_u64 s[8:9], s[34:35], s[10:11]
	s_mul_u64 s[56:57], s[44:45], s[10:11]
	v_add_nc_u64_e32 v[24:25], s[8:9], v[10:11]
	v_add_nc_u64_e32 v[26:27], s[56:57], v[14:15]
	;; [unrolled: 1-line block ×8, first 2 shown]
	v_dual_mov_b32 v52, 0 :: v_dual_mov_b32 v0, v48
	v_dual_mov_b32 v53, 0 :: v_dual_mov_b32 v54, 0
	v_mov_b32_e32 v55, 0
	s_mov_b32 s8, 0
	s_branch .LBB383_21
.LBB383_17:                             ;   in Loop: Header=BB383_21 Depth=2
	s_wait_xcnt 0x0
	s_or_b32 exec_lo, exec_lo, s58
	s_wait_loadcnt 0x3
	v_fma_mix_f32 v40, v68, v72, v54 op_sel_hi:[0,1,0]
	s_wait_loadcnt 0x2
	s_delay_alu instid0(VALU_DEP_1) | instskip(SKIP_1) | instid1(VALU_DEP_1)
	v_fma_mix_f32 v40, v69, v73, v40 op_sel_hi:[0,1,0]
	s_wait_loadcnt 0x1
	v_fma_mix_f32 v40, v70, v74, v40 op_sel_hi:[0,1,0]
	s_wait_loadcnt 0x0
	s_delay_alu instid0(VALU_DEP_1)
	v_fma_mix_f32 v54, v71, v75, v40 op_sel_hi:[0,1,0]
.LBB383_18:                             ;   in Loop: Header=BB383_21 Depth=2
	s_or_b32 exec_lo, exec_lo, s57
	s_wait_loadcnt 0x3
	v_fma_mix_f32 v40, v68, v64, v53 op_sel_hi:[0,1,0]
	s_wait_loadcnt 0x2
	s_delay_alu instid0(VALU_DEP_1) | instskip(SKIP_1) | instid1(VALU_DEP_1)
	v_fma_mix_f32 v40, v69, v65, v40 op_sel_hi:[0,1,0]
	s_wait_loadcnt 0x1
	v_fma_mix_f32 v40, v70, v66, v40 op_sel_hi:[0,1,0]
	s_wait_loadcnt 0x0
	s_delay_alu instid0(VALU_DEP_1)
	v_fma_mix_f32 v53, v71, v67, v40 op_sel_hi:[0,1,0]
.LBB383_19:                             ;   in Loop: Header=BB383_21 Depth=2
	s_or_b32 exec_lo, exec_lo, s56
	s_wait_loadcnt 0x3
	v_fma_mix_f32 v40, v56, v60, v52 op_sel_hi:[1,1,0]
	s_wait_loadcnt 0x2
	s_delay_alu instid0(VALU_DEP_1) | instskip(SKIP_1) | instid1(VALU_DEP_1)
	v_fma_mix_f32 v40, v57, v61, v40 op_sel_hi:[1,1,0]
	s_wait_loadcnt 0x1
	v_fma_mix_f32 v40, v58, v62, v40 op_sel_hi:[1,1,0]
	s_wait_loadcnt 0x0
	s_delay_alu instid0(VALU_DEP_1)
	v_fma_mix_f32 v52, v59, v63, v40 op_sel_hi:[1,1,0]
.LBB383_20:                             ;   in Loop: Header=BB383_21 Depth=2
	s_or_b32 exec_lo, exec_lo, s9
	v_add_nc_u32_e32 v0, 16, v0
	v_add_nc_u64_e32 v[24:25], s[24:25], v[24:25]
	v_add_nc_u64_e32 v[26:27], s[46:47], v[26:27]
	;; [unrolled: 1-line block ×7, first 2 shown]
	v_cmp_le_i32_e32 vcc_lo, s52, v0
	v_add_nc_u64_e32 v[38:39], s[46:47], v[38:39]
	s_or_b32 s8, vcc_lo, s8
	s_delay_alu instid0(SALU_CYCLE_1)
	s_and_not1_b32 exec_lo, exec_lo, s8
	s_cbranch_execz .LBB383_26
.LBB383_21:                             ;   Parent Loop BB383_5 Depth=1
                                        ; =>  This Inner Loop Header: Depth=2
	s_and_saveexec_b32 s9, s2
	s_cbranch_execz .LBB383_20
; %bb.22:                               ;   in Loop: Header=BB383_21 Depth=2
	v_add_nc_u64_e32 v[46:47], s[18:19], v[24:25]
	v_add_nc_u64_e32 v[58:59], s[18:19], v[36:37]
	;; [unrolled: 1-line block ×7, first 2 shown]
	global_load_u16 v56, v[46:47], off
	s_wait_xcnt 0x0
	v_add_nc_u64_e32 v[46:47], v[26:27], v[6:7]
	global_load_u16 v57, v[58:59], off
	global_load_u16 v58, v[60:61], off
	;; [unrolled: 1-line block ×7, first 2 shown]
	s_wait_xcnt 0x0
	s_and_saveexec_b32 s56, s4
	s_cbranch_execz .LBB383_19
; %bb.23:                               ;   in Loop: Header=BB383_21 Depth=2
	global_load_u16 v64, v[40:41], off offset:128
	global_load_u16 v65, v[42:43], off offset:128
	;; [unrolled: 1-line block ×4, first 2 shown]
	s_wait_loadcnt 0xb
	v_cvt_f32_f16_e32 v68, v56
	s_wait_loadcnt 0xa
	v_cvt_f32_f16_e32 v69, v57
	s_wait_loadcnt 0x9
	v_cvt_f32_f16_e32 v70, v58
	s_wait_loadcnt 0x8
	v_cvt_f32_f16_e32 v71, v59
	s_wait_xcnt 0x0
	s_and_saveexec_b32 s57, s5
	s_cbranch_execz .LBB383_18
; %bb.24:                               ;   in Loop: Header=BB383_21 Depth=2
	global_load_u16 v72, v[40:41], off offset:256
	global_load_u16 v73, v[42:43], off offset:256
	;; [unrolled: 1-line block ×4, first 2 shown]
	s_wait_xcnt 0x0
	s_and_saveexec_b32 s58, s6
	s_cbranch_execz .LBB383_17
; %bb.25:                               ;   in Loop: Header=BB383_21 Depth=2
	global_load_u16 v40, v[40:41], off offset:384
	global_load_u16 v41, v[42:43], off offset:384
	;; [unrolled: 1-line block ×4, first 2 shown]
	s_wait_loadcnt 0x3
	v_fma_mix_f32 v40, v68, v40, v55 op_sel_hi:[0,1,0]
	s_wait_loadcnt 0x2
	s_delay_alu instid0(VALU_DEP_1) | instskip(SKIP_1) | instid1(VALU_DEP_1)
	v_fma_mix_f32 v40, v69, v41, v40 op_sel_hi:[0,1,0]
	s_wait_loadcnt 0x1
	v_fma_mix_f32 v40, v70, v42, v40 op_sel_hi:[0,1,0]
	s_wait_loadcnt 0x0
	s_delay_alu instid0(VALU_DEP_1)
	v_fma_mix_f32 v55, v71, v43, v40 op_sel_hi:[0,1,0]
	s_branch .LBB383_17
.LBB383_26:                             ;   in Loop: Header=BB383_5 Depth=1
	s_or_b32 exec_lo, exec_lo, s8
.LBB383_27:                             ;   in Loop: Header=BB383_5 Depth=1
	s_delay_alu instid0(SALU_CYCLE_1) | instskip(NEXT) | instid1(SALU_CYCLE_1)
	s_or_b32 exec_lo, exec_lo, s7
	s_and_not1_b32 vcc_lo, exec_lo, s53
	s_cbranch_vccnz .LBB383_45
; %bb.28:                               ;   in Loop: Header=BB383_5 Depth=1
	v_cmp_gt_i32_e32 vcc_lo, s29, v0
	v_dual_mov_b32 v32, 0 :: v_dual_bitop2_b32 v24, 1, v0 bitop3:0x54
	v_dual_mov_b32 v33, 0 :: v_dual_mov_b32 v34, 0
	v_mov_b32_e32 v35, 0
	s_and_saveexec_b32 s56, vcc_lo
	s_cbranch_execz .LBB383_36
; %bb.29:                               ;   in Loop: Header=BB383_5 Depth=1
	v_mul_u64_e32 v[26:27], s[36:37], v[0:1]
	s_mul_u64 s[8:9], s[38:39], s[10:11]
	v_dual_mov_b32 v34, 0 :: v_dual_mov_b32 v33, 0
	s_lshl_b64 s[8:9], s[8:9], 1
	v_mov_b32_e32 v32, 0
	s_add_nc_u64 s[8:9], s[26:27], s[8:9]
	s_mov_b32 s57, exec_lo
	s_delay_alu instid0(VALU_DEP_3)
	v_lshl_add_u64 v[26:27], v[26:27], 1, s[8:9]
	global_load_u16 v28, v[26:27], off
	s_wait_xcnt 0x0
	v_cmpx_gt_i32_e64 s29, v24
	s_cbranch_execz .LBB383_35
; %bb.30:                               ;   in Loop: Header=BB383_5 Depth=1
	v_dual_mov_b32 v25, v1 :: v_dual_mov_b32 v33, 0
	v_mov_b32_e32 v32, 0
	s_mov_b32 s58, exec_lo
	s_delay_alu instid0(VALU_DEP_2) | instskip(NEXT) | instid1(VALU_DEP_1)
	v_mul_u64_e32 v[26:27], s[36:37], v[24:25]
	v_lshl_add_u64 v[26:27], v[26:27], 1, s[8:9]
	global_load_u16 v25, v[26:27], off
	s_wait_xcnt 0x0
	v_or_b32_e32 v26, 2, v0
	s_delay_alu instid0(VALU_DEP_1)
	v_cmpx_gt_i32_e64 s29, v26
	s_cbranch_execz .LBB383_34
; %bb.31:                               ;   in Loop: Header=BB383_5 Depth=1
	v_dual_mov_b32 v27, v1 :: v_dual_mov_b32 v32, 0
	s_mov_b32 s59, exec_lo
	s_delay_alu instid0(VALU_DEP_1) | instskip(NEXT) | instid1(VALU_DEP_1)
	v_mul_u64_e32 v[26:27], s[36:37], v[26:27]
	v_lshl_add_u64 v[26:27], v[26:27], 1, s[8:9]
	global_load_u16 v29, v[26:27], off
	s_wait_xcnt 0x0
	v_or_b32_e32 v26, 3, v0
	s_delay_alu instid0(VALU_DEP_1)
	v_cmpx_gt_i32_e64 s29, v26
	s_cbranch_execz .LBB383_33
; %bb.32:                               ;   in Loop: Header=BB383_5 Depth=1
	v_mov_b32_e32 v27, v1
	s_delay_alu instid0(VALU_DEP_1) | instskip(NEXT) | instid1(VALU_DEP_1)
	v_mul_u64_e32 v[26:27], s[36:37], v[26:27]
	v_lshl_add_u64 v[26:27], v[26:27], 1, s[8:9]
	global_load_u16 v26, v[26:27], off
	s_wait_loadcnt 0x0
	v_cvt_f32_f16_e32 v32, v26
.LBB383_33:                             ;   in Loop: Header=BB383_5 Depth=1
	s_wait_xcnt 0x0
	s_or_b32 exec_lo, exec_lo, s59
	s_wait_loadcnt 0x0
	v_cvt_f32_f16_e32 v33, v29
.LBB383_34:                             ;   in Loop: Header=BB383_5 Depth=1
	s_or_b32 exec_lo, exec_lo, s58
	s_wait_loadcnt 0x0
	v_cvt_f32_f16_e32 v34, v25
.LBB383_35:                             ;   in Loop: Header=BB383_5 Depth=1
	s_or_b32 exec_lo, exec_lo, s57
	s_wait_loadcnt 0x0
	v_cvt_f32_f16_e32 v35, v28
.LBB383_36:                             ;   in Loop: Header=BB383_5 Depth=1
	s_or_b32 exec_lo, exec_lo, s56
	s_and_saveexec_b32 s56, s2
	s_cbranch_execz .LBB383_44
; %bb.37:                               ;   in Loop: Header=BB383_5 Depth=1
	v_dual_mov_b32 v25, v1 :: v_dual_bitop2_b32 v26, 2, v0 bitop3:0x54
	v_mov_b32_e32 v27, v1
	v_mul_u64_e32 v[28:29], s[20:21], v[0:1]
	v_or_b32_e32 v0, 3, v0
	s_delay_alu instid0(VALU_DEP_4)
	v_mul_u64_e32 v[30:31], s[20:21], v[24:25]
	s_mul_u64 s[8:9], s[22:23], s[10:11]
	v_mul_u64_e32 v[36:37], s[20:21], v[26:27]
	v_cmp_gt_i32_e64 s7, s29, v24
	v_mul_u64_e32 v[38:39], s[20:21], v[0:1]
	s_lshl_b64 s[58:59], s[8:9], 1
	v_cmp_gt_i32_e64 s8, s29, v26
	v_cmp_gt_i32_e64 s9, s29, v0
	v_dual_cndmask_b32 v25, 0, v29 :: v_dual_cndmask_b32 v24, 0, v28
	v_dual_cndmask_b32 v27, 0, v31, s7 :: v_dual_cndmask_b32 v26, 0, v30, s7
	s_delay_alu instid0(VALU_DEP_4) | instskip(NEXT) | instid1(VALU_DEP_4)
	v_dual_cndmask_b32 v29, 0, v37, s8 :: v_dual_cndmask_b32 v28, 0, v36, s8
	v_dual_cndmask_b32 v31, 0, v39, s9 :: v_dual_cndmask_b32 v30, 0, v38, s9
	s_add_nc_u64 s[8:9], s[16:17], s[58:59]
	s_delay_alu instid0(SALU_CYCLE_1) | instskip(SKIP_3) | instid1(VALU_DEP_4)
	v_lshl_add_u64 v[24:25], v[24:25], 1, s[8:9]
	v_lshl_add_u64 v[26:27], v[26:27], 1, s[8:9]
	;; [unrolled: 1-line block ×4, first 2 shown]
	v_add_nc_u64_e32 v[30:31], v[24:25], v[6:7]
	s_delay_alu instid0(VALU_DEP_4) | instskip(NEXT) | instid1(VALU_DEP_4)
	v_add_nc_u64_e32 v[28:29], v[26:27], v[6:7]
	v_add_nc_u64_e32 v[26:27], v[36:37], v[6:7]
	s_delay_alu instid0(VALU_DEP_4)
	v_add_nc_u64_e32 v[24:25], v[38:39], v[6:7]
	s_clause 0x3
	global_load_u16 v0, v[30:31], off
	global_load_u16 v36, v[28:29], off
	;; [unrolled: 1-line block ×4, first 2 shown]
	s_wait_xcnt 0x0
	s_and_saveexec_b32 s7, s4
	s_cbranch_execz .LBB383_43
; %bb.38:                               ;   in Loop: Header=BB383_5 Depth=1
	s_clause 0x3
	global_load_u16 v39, v[30:31], off offset:128
	global_load_u16 v40, v[28:29], off offset:128
	global_load_u16 v41, v[26:27], off offset:128
	global_load_u16 v42, v[24:25], off offset:128
	s_wait_xcnt 0x0
	s_and_saveexec_b32 s8, s5
	s_cbranch_execz .LBB383_42
; %bb.39:                               ;   in Loop: Header=BB383_5 Depth=1
	s_clause 0x3
	global_load_u16 v43, v[30:31], off offset:256
	global_load_u16 v44, v[28:29], off offset:256
	global_load_u16 v45, v[26:27], off offset:256
	global_load_u16 v46, v[24:25], off offset:256
	;; [unrolled: 9-line block ×3, first 2 shown]
	s_wait_loadcnt 0x3
	s_wait_xcnt 0x0
	v_fma_mix_f32 v25, v35, v30, v55 op_sel_hi:[0,1,0]
	s_wait_loadcnt 0x2
	s_delay_alu instid0(VALU_DEP_1) | instskip(SKIP_1) | instid1(VALU_DEP_1)
	v_fma_mix_f32 v25, v34, v28, v25 op_sel_hi:[0,1,0]
	s_wait_loadcnt 0x1
	v_fma_mix_f32 v25, v33, v26, v25 op_sel_hi:[0,1,0]
	s_wait_loadcnt 0x0
	s_delay_alu instid0(VALU_DEP_1)
	v_fma_mix_f32 v55, v32, v24, v25 op_sel_hi:[0,1,0]
.LBB383_41:                             ;   in Loop: Header=BB383_5 Depth=1
	s_or_b32 exec_lo, exec_lo, s9
	s_wait_loadcnt 0x3
	v_fma_mix_f32 v24, v35, v43, v54 op_sel_hi:[0,1,0]
	s_wait_loadcnt 0x2
	s_delay_alu instid0(VALU_DEP_1) | instskip(SKIP_1) | instid1(VALU_DEP_1)
	v_fma_mix_f32 v24, v34, v44, v24 op_sel_hi:[0,1,0]
	s_wait_loadcnt 0x1
	v_fma_mix_f32 v24, v33, v45, v24 op_sel_hi:[0,1,0]
	s_wait_loadcnt 0x0
	s_delay_alu instid0(VALU_DEP_1)
	v_fma_mix_f32 v54, v32, v46, v24 op_sel_hi:[0,1,0]
.LBB383_42:                             ;   in Loop: Header=BB383_5 Depth=1
	s_or_b32 exec_lo, exec_lo, s8
	s_wait_loadcnt 0x3
	v_fma_mix_f32 v24, v35, v39, v53 op_sel_hi:[0,1,0]
	s_wait_loadcnt 0x2
	s_delay_alu instid0(VALU_DEP_1) | instskip(SKIP_1) | instid1(VALU_DEP_1)
	v_fma_mix_f32 v24, v34, v40, v24 op_sel_hi:[0,1,0]
	s_wait_loadcnt 0x1
	v_fma_mix_f32 v24, v33, v41, v24 op_sel_hi:[0,1,0]
	s_wait_loadcnt 0x0
	s_delay_alu instid0(VALU_DEP_1)
	v_fma_mix_f32 v53, v32, v42, v24 op_sel_hi:[0,1,0]
.LBB383_43:                             ;   in Loop: Header=BB383_5 Depth=1
	s_or_b32 exec_lo, exec_lo, s7
	s_wait_loadcnt 0x3
	v_fma_mix_f32 v0, v35, v0, v52 op_sel_hi:[0,1,0]
	s_wait_loadcnt 0x2
	s_delay_alu instid0(VALU_DEP_1) | instskip(SKIP_1) | instid1(VALU_DEP_1)
	v_fma_mix_f32 v0, v34, v36, v0 op_sel_hi:[0,1,0]
	s_wait_loadcnt 0x1
	v_fma_mix_f32 v0, v33, v37, v0 op_sel_hi:[0,1,0]
	s_wait_loadcnt 0x0
	s_delay_alu instid0(VALU_DEP_1)
	v_fma_mix_f32 v52, v32, v38, v0 op_sel_hi:[0,1,0]
.LBB383_44:                             ;   in Loop: Header=BB383_5 Depth=1
	s_or_b32 exec_lo, exec_lo, s56
.LBB383_45:                             ;   in Loop: Header=BB383_5 Depth=1
	ds_store_2addr_stride64_b32 v49, v52, v53 offset1:1
	ds_store_2addr_stride64_b32 v49, v54, v55 offset0:2 offset1:3
	s_wait_dscnt 0x0
	s_barrier_signal -1
	s_barrier_wait -1
                                        ; implicit-def: $vgpr0
	s_and_saveexec_b32 s7, s0
	s_cbranch_execz .LBB383_51
; %bb.46:                               ;   in Loop: Header=BB383_5 Depth=1
	ds_load_2addr_stride64_b32 v[24:25], v50 offset1:4
	ds_load_2addr_stride64_b32 v[26:27], v50 offset0:8 offset1:12
	s_mov_b32 s9, s54
	s_wait_dscnt 0x1
	v_add_f32_e32 v0, v24, v25
	s_wait_dscnt 0x0
	s_delay_alu instid0(VALU_DEP_1) | instskip(NEXT) | instid1(VALU_DEP_1)
	v_add_f32_e32 v0, v26, v0
	v_add_f32_e32 v24, v27, v0
                                        ; implicit-def: $vgpr0
	ds_store_b32 v50, v24
	s_and_saveexec_b32 s8, s3
	s_cbranch_execz .LBB383_50
; %bb.47:                               ;   in Loop: Header=BB383_5 Depth=1
	v_mul_f32_e32 v0, v51, v24
	s_cmp_eq_f32 s55, 0
	s_cbranch_scc1 .LBB383_49
; %bb.48:                               ;   in Loop: Header=BB383_5 Depth=1
	v_lshl_add_u64 v[24:25], v[4:5], 1, s[48:49]
	global_load_u16 v24, v[24:25], off
	s_wait_loadcnt 0x0
	v_fma_mix_f32 v0, s55, v24, v0 op_sel_hi:[0,1,0]
.LBB383_49:                             ;   in Loop: Header=BB383_5 Depth=1
	s_delay_alu instid0(VALU_DEP_1)
	v_cvt_f16_f32_e32 v0, v0
	s_or_b32 s9, s54, exec_lo
.LBB383_50:                             ;   in Loop: Header=BB383_5 Depth=1
	s_wait_xcnt 0x0
	s_or_b32 exec_lo, exec_lo, s8
	s_delay_alu instid0(SALU_CYCLE_1) | instskip(SKIP_1) | instid1(SALU_CYCLE_1)
	s_and_not1_b32 s8, s54, exec_lo
	s_and_b32 s9, s9, exec_lo
	s_or_b32 s54, s8, s9
.LBB383_51:                             ;   in Loop: Header=BB383_5 Depth=1
	s_or_b32 exec_lo, exec_lo, s7
	v_mov_b64_e32 v[24:25], v[4:5]
	s_and_saveexec_b32 s7, s54
	s_cbranch_execz .LBB383_3
.LBB383_52:                             ;   in Loop: Header=BB383_5 Depth=1
	s_delay_alu instid0(VALU_DEP_1)
	v_lshl_add_u64 v[24:25], v[24:25], 1, s[48:49]
	global_store_b16 v[24:25], v0, off
	s_branch .LBB383_3
.LBB383_53:
	s_sendmsg sendmsg(MSG_DEALLOC_VGPRS)
	s_endpgm
	.section	.rodata,"a",@progbits
	.p2align	6, 0x0
	.amdhsa_kernel _ZL20rocblas_gemvn_kernelILi64ELi4ElDF16_PKfDF16_EviiT3_lPKT2_lT1_lS5_lS6_lS2_lPT4_lS6_li
		.amdhsa_group_segment_fixed_size 4096
		.amdhsa_private_segment_fixed_size 0
		.amdhsa_kernarg_size 400
		.amdhsa_user_sgpr_count 2
		.amdhsa_user_sgpr_dispatch_ptr 0
		.amdhsa_user_sgpr_queue_ptr 0
		.amdhsa_user_sgpr_kernarg_segment_ptr 1
		.amdhsa_user_sgpr_dispatch_id 0
		.amdhsa_user_sgpr_kernarg_preload_length 0
		.amdhsa_user_sgpr_kernarg_preload_offset 0
		.amdhsa_user_sgpr_private_segment_size 0
		.amdhsa_wavefront_size32 1
		.amdhsa_uses_dynamic_stack 0
		.amdhsa_enable_private_segment 0
		.amdhsa_system_sgpr_workgroup_id_x 1
		.amdhsa_system_sgpr_workgroup_id_y 0
		.amdhsa_system_sgpr_workgroup_id_z 1
		.amdhsa_system_sgpr_workgroup_info 0
		.amdhsa_system_vgpr_workitem_id 1
		.amdhsa_next_free_vgpr 76
		.amdhsa_next_free_sgpr 60
		.amdhsa_named_barrier_count 0
		.amdhsa_reserve_vcc 1
		.amdhsa_float_round_mode_32 0
		.amdhsa_float_round_mode_16_64 0
		.amdhsa_float_denorm_mode_32 3
		.amdhsa_float_denorm_mode_16_64 3
		.amdhsa_fp16_overflow 0
		.amdhsa_memory_ordered 1
		.amdhsa_forward_progress 1
		.amdhsa_inst_pref_size 23
		.amdhsa_round_robin_scheduling 0
		.amdhsa_exception_fp_ieee_invalid_op 0
		.amdhsa_exception_fp_denorm_src 0
		.amdhsa_exception_fp_ieee_div_zero 0
		.amdhsa_exception_fp_ieee_overflow 0
		.amdhsa_exception_fp_ieee_underflow 0
		.amdhsa_exception_fp_ieee_inexact 0
		.amdhsa_exception_int_div_zero 0
	.end_amdhsa_kernel
	.section	.text._ZL20rocblas_gemvn_kernelILi64ELi4ElDF16_PKfDF16_EviiT3_lPKT2_lT1_lS5_lS6_lS2_lPT4_lS6_li,"axG",@progbits,_ZL20rocblas_gemvn_kernelILi64ELi4ElDF16_PKfDF16_EviiT3_lPKT2_lT1_lS5_lS6_lS2_lPT4_lS6_li,comdat
.Lfunc_end383:
	.size	_ZL20rocblas_gemvn_kernelILi64ELi4ElDF16_PKfDF16_EviiT3_lPKT2_lT1_lS5_lS6_lS2_lPT4_lS6_li, .Lfunc_end383-_ZL20rocblas_gemvn_kernelILi64ELi4ElDF16_PKfDF16_EviiT3_lPKT2_lT1_lS5_lS6_lS2_lPT4_lS6_li
                                        ; -- End function
	.set _ZL20rocblas_gemvn_kernelILi64ELi4ElDF16_PKfDF16_EviiT3_lPKT2_lT1_lS5_lS6_lS2_lPT4_lS6_li.num_vgpr, 76
	.set _ZL20rocblas_gemvn_kernelILi64ELi4ElDF16_PKfDF16_EviiT3_lPKT2_lT1_lS5_lS6_lS2_lPT4_lS6_li.num_agpr, 0
	.set _ZL20rocblas_gemvn_kernelILi64ELi4ElDF16_PKfDF16_EviiT3_lPKT2_lT1_lS5_lS6_lS2_lPT4_lS6_li.numbered_sgpr, 60
	.set _ZL20rocblas_gemvn_kernelILi64ELi4ElDF16_PKfDF16_EviiT3_lPKT2_lT1_lS5_lS6_lS2_lPT4_lS6_li.num_named_barrier, 0
	.set _ZL20rocblas_gemvn_kernelILi64ELi4ElDF16_PKfDF16_EviiT3_lPKT2_lT1_lS5_lS6_lS2_lPT4_lS6_li.private_seg_size, 0
	.set _ZL20rocblas_gemvn_kernelILi64ELi4ElDF16_PKfDF16_EviiT3_lPKT2_lT1_lS5_lS6_lS2_lPT4_lS6_li.uses_vcc, 1
	.set _ZL20rocblas_gemvn_kernelILi64ELi4ElDF16_PKfDF16_EviiT3_lPKT2_lT1_lS5_lS6_lS2_lPT4_lS6_li.uses_flat_scratch, 0
	.set _ZL20rocblas_gemvn_kernelILi64ELi4ElDF16_PKfDF16_EviiT3_lPKT2_lT1_lS5_lS6_lS2_lPT4_lS6_li.has_dyn_sized_stack, 0
	.set _ZL20rocblas_gemvn_kernelILi64ELi4ElDF16_PKfDF16_EviiT3_lPKT2_lT1_lS5_lS6_lS2_lPT4_lS6_li.has_recursion, 0
	.set _ZL20rocblas_gemvn_kernelILi64ELi4ElDF16_PKfDF16_EviiT3_lPKT2_lT1_lS5_lS6_lS2_lPT4_lS6_li.has_indirect_call, 0
	.section	.AMDGPU.csdata,"",@progbits
; Kernel info:
; codeLenInByte = 2908
; TotalNumSgprs: 62
; NumVgprs: 76
; ScratchSize: 0
; MemoryBound: 0
; FloatMode: 240
; IeeeMode: 1
; LDSByteSize: 4096 bytes/workgroup (compile time only)
; SGPRBlocks: 0
; VGPRBlocks: 4
; NumSGPRsForWavesPerEU: 62
; NumVGPRsForWavesPerEU: 76
; NamedBarCnt: 0
; Occupancy: 12
; WaveLimiterHint : 1
; COMPUTE_PGM_RSRC2:SCRATCH_EN: 0
; COMPUTE_PGM_RSRC2:USER_SGPR: 2
; COMPUTE_PGM_RSRC2:TRAP_HANDLER: 0
; COMPUTE_PGM_RSRC2:TGID_X_EN: 1
; COMPUTE_PGM_RSRC2:TGID_Y_EN: 0
; COMPUTE_PGM_RSRC2:TGID_Z_EN: 1
; COMPUTE_PGM_RSRC2:TIDIG_COMP_CNT: 1
	.section	.text._ZL20rocblas_gemvn_kernelILi64ELi4EiDF16_fDF16_EviiT3_lPKT2_lT1_lS3_lS4_lS0_lPT4_lS4_li,"axG",@progbits,_ZL20rocblas_gemvn_kernelILi64ELi4EiDF16_fDF16_EviiT3_lPKT2_lT1_lS3_lS4_lS0_lPT4_lS4_li,comdat
	.globl	_ZL20rocblas_gemvn_kernelILi64ELi4EiDF16_fDF16_EviiT3_lPKT2_lT1_lS3_lS4_lS0_lPT4_lS4_li ; -- Begin function _ZL20rocblas_gemvn_kernelILi64ELi4EiDF16_fDF16_EviiT3_lPKT2_lT1_lS3_lS4_lS0_lPT4_lS4_li
	.p2align	8
	.type	_ZL20rocblas_gemvn_kernelILi64ELi4EiDF16_fDF16_EviiT3_lPKT2_lT1_lS3_lS4_lS0_lPT4_lS4_li,@function
_ZL20rocblas_gemvn_kernelILi64ELi4EiDF16_fDF16_EviiT3_lPKT2_lT1_lS3_lS4_lS0_lPT4_lS4_li: ; @_ZL20rocblas_gemvn_kernelILi64ELi4EiDF16_fDF16_EviiT3_lPKT2_lT1_lS3_lS4_lS0_lPT4_lS4_li
; %bb.0:
	s_load_b64 s[2:3], s[0:1], 0x9c
	s_wait_kmcnt 0x0
	s_lshr_b32 s4, s2, 16
	s_and_b32 s2, s2, 0xffff
	s_and_b32 s3, s3, 0xffff
	s_mul_i32 s2, s4, s2
	s_delay_alu instid0(SALU_CYCLE_1) | instskip(NEXT) | instid1(SALU_CYCLE_1)
	s_mul_i32 s2, s2, s3
	s_cmp_lg_u32 s2, 0x100
	s_cbranch_scc1 .LBB384_53
; %bb.1:
	s_load_b32 s19, s[0:1], 0x88
	s_bfe_u32 s2, ttmp6, 0x40014
	s_lshr_b32 s3, ttmp7, 16
	s_add_co_i32 s2, s2, 1
	s_bfe_u32 s5, ttmp6, 0x40008
	s_mul_i32 s4, s3, s2
	s_getreg_b32 s2, hwreg(HW_REG_IB_STS2, 6, 4)
	s_add_co_i32 s5, s5, s4
	s_cmp_eq_u32 s2, 0
	s_mov_b32 s29, 0
	s_cselect_b32 s28, s3, s5
	s_wait_kmcnt 0x0
	s_cmp_ge_u32 s28, s19
	s_cbranch_scc1 .LBB384_53
; %bb.2:
	s_clause 0x7
	s_load_b128 s[4:7], s[0:1], 0x18
	s_load_b96 s[16:18], s[0:1], 0x40
	s_load_b128 s[12:15], s[0:1], 0x68
	s_load_b32 s30, s[0:1], 0x78
	s_load_b96 s[20:22], s[0:1], 0x0
	s_load_b96 s[24:26], s[0:1], 0x50
	s_load_b32 s23, s[0:1], 0x28
	s_load_b128 s[8:11], s[0:1], 0x30
	v_and_b32_e32 v4, 0x3ff, v0
	v_bfe_u32 v3, v0, 10, 10
	s_delay_alu instid0(VALU_DEP_1) | instskip(NEXT) | instid1(VALU_DEP_3)
	v_dual_mov_b32 v1, 0 :: v_dual_lshlrev_b32 v14, 2, v3
	v_lshl_add_u32 v5, v3, 6, v4
	s_wait_kmcnt 0x0
	s_lshl_b64 s[6:7], s[6:7], 1
	s_lshl_b64 s[34:35], s[16:17], 1
	s_lshl_b64 s[36:37], s[14:15], 1
	s_ashr_i32 s31, s30, 31
	s_cmp_eq_f32 s22, 0
	s_load_b64 s[14:15], s[0:1], 0x80
	s_add_nc_u64 s[16:17], s[4:5], s[6:7]
	s_wait_xcnt 0x0
	s_mov_b32 s0, s20
	s_cselect_b32 s27, -1, 0
	s_cmp_neq_f32 s22, 0
	v_mul_lo_u32 v11, v3, s18
	v_mad_u32 v20, s18, v14, s18
	s_add_nc_u64 s[10:11], s[10:11], s[34:35]
	s_cselect_b32 s1, -1, 0
	s_cmp_neq_f32 s26, 1.0
	s_add_nc_u64 s[12:13], s[12:13], s[36:37]
	s_cselect_b32 s3, -1, 0
	s_bfe_u32 s4, ttmp6, 0x4000c
	s_and_b32 s5, ttmp6, 15
	s_add_co_i32 s4, s4, 1
	s_or_b32 s33, s1, s3
	s_mul_i32 s4, ttmp9, s4
	v_lshlrev_b32_e32 v25, 2, v11
	s_add_co_i32 s5, s5, s4
	s_cmp_eq_u32 s2, 0
	s_cselect_b32 s2, ttmp9, s5
	s_ashr_i32 s1, s20, 31
	s_lshl_b32 s38, s2, 8
	s_delay_alu instid0(SALU_CYCLE_1) | instskip(SKIP_3) | instid1(VALU_DEP_3)
	v_dual_lshlrev_b32 v6, 2, v4 :: v_dual_add_nc_u32 v0, s38, v5
	v_or_b32_e32 v7, s38, v5
	s_cmp_neq_f32 s26, 0
	v_cmp_gt_u32_e64 s5, 0x100, v5
	v_lshl_add_u32 v16, v3, 10, v6
	v_cmp_gt_i64_e32 vcc_lo, s[0:1], v[0:1]
	v_mul_u64_e32 v[0:1], s[30:31], v[0:1]
	v_mul_lo_u32 v2, s30, v7
	v_or_b32_e32 v15, s38, v4
	s_cselect_b32 s39, -1, 0
	s_ashr_i32 s2, s21, 31
	v_lshl_add_u32 v17, v3, 8, v6
	s_lshr_b32 s1, s2, 28
	v_add_nc_u32_e32 v10, 0xc0, v15
	s_add_co_i32 s1, s21, s1
	v_mul_lo_u32 v5, s23, v14
	s_and_b32 s40, s1, -16
	s_delay_alu instid0(VALU_DEP_2)
	v_cmp_gt_i32_e64 s3, s20, v10
	v_mul_lo_u32 v10, v3, s23
	v_dual_ashrrev_i32 v3, 31, v2 :: v_dual_add_nc_u32 v8, 64, v15
	v_add_nc_u32_e32 v9, 0x80, v15
	s_sub_co_i32 s4, s21, s40
	v_cmp_gt_i32_e64 s0, s20, v15
	s_cmp_gt_i32 s4, 0
	v_cmp_gt_i32_e64 s1, s20, v8
	v_cmp_gt_i32_e64 s2, s20, v9
	v_or_b32_e32 v8, 2, v14
	v_or_b32_e32 v9, 3, v14
	v_cmp_gt_i32_e64 s4, s40, v14
	v_cmp_gt_i32_e64 s6, s20, v7
	v_add3_u32 v23, v5, s23, v4
	v_mad_u32 v18, s23, v8, v4
	v_mad_u32 v19, s23, v9, v4
	v_mul_lo_u32 v21, s18, v8
	v_mul_lo_u32 v22, s18, v9
	v_lshl_add_u32 v24, v10, 2, v4
	s_cselect_b32 s41, -1, 0
	s_and_b32 s20, s5, vcc_lo
	s_lshl_b32 s42, s23, 4
	s_lshl_b32 s43, s18, 4
	s_branch .LBB384_5
.LBB384_3:                              ;   in Loop: Header=BB384_5 Depth=1
	s_wait_xcnt 0x0
	s_or_b32 exec_lo, exec_lo, s7
.LBB384_4:                              ;   in Loop: Header=BB384_5 Depth=1
	s_add_co_i32 s28, s28, 0x10000
	s_delay_alu instid0(SALU_CYCLE_1)
	s_cmp_lt_u32 s28, s19
	s_cbranch_scc0 .LBB384_53
.LBB384_5:                              ; =>This Loop Header: Depth=1
                                        ;     Child Loop BB384_21 Depth 2
	s_and_not1_b32 vcc_lo, exec_lo, s33
	s_cbranch_vccnz .LBB384_4
; %bb.6:                                ;   in Loop: Header=BB384_5 Depth=1
	s_wait_kmcnt 0x0
	s_mul_u64 s[30:31], s[14:15], s[28:29]
	s_and_not1_b32 vcc_lo, exec_lo, s27
	s_lshl_b64 s[30:31], s[30:31], 1
	s_delay_alu instid0(SALU_CYCLE_1)
	s_add_nc_u64 s[30:31], s[12:13], s[30:31]
	s_cbranch_vccnz .LBB384_10
; %bb.7:                                ;   in Loop: Header=BB384_5 Depth=1
	s_mov_b32 s7, 0
	s_mov_b32 s44, 0
                                        ; implicit-def: $vgpr6
	s_and_saveexec_b32 s34, s20
	s_cbranch_execz .LBB384_11
; %bb.8:                                ;   in Loop: Header=BB384_5 Depth=1
	s_and_not1_b32 vcc_lo, exec_lo, s39
	s_cbranch_vccnz .LBB384_13
; %bb.9:                                ;   in Loop: Header=BB384_5 Depth=1
	v_lshl_add_u64 v[4:5], v[0:1], 1, s[30:31]
	global_load_u16 v4, v[4:5], off
	s_wait_loadcnt 0x0
	v_fma_mixlo_f16 v6, s26, v4, 0 op_sel_hi:[0,1,0]
	s_branch .LBB384_14
.LBB384_10:                             ;   in Loop: Header=BB384_5 Depth=1
	s_mov_b32 s44, 0
                                        ; implicit-def: $vgpr6
	s_cbranch_execz .LBB384_12
	s_branch .LBB384_15
.LBB384_11:                             ;   in Loop: Header=BB384_5 Depth=1
	s_or_b32 exec_lo, exec_lo, s34
	s_delay_alu instid0(SALU_CYCLE_1)
	s_and_b32 vcc_lo, exec_lo, s7
	s_cbranch_vccnz .LBB384_15
.LBB384_12:                             ;   in Loop: Header=BB384_5 Depth=1
	v_mov_b64_e32 v[4:5], v[0:1]
	s_and_saveexec_b32 s7, s44
	s_cbranch_execz .LBB384_3
	s_branch .LBB384_52
.LBB384_13:                             ;   in Loop: Header=BB384_5 Depth=1
	v_mov_b32_e32 v6, 0
.LBB384_14:                             ;   in Loop: Header=BB384_5 Depth=1
	s_mov_b32 s44, exec_lo
	s_wait_xcnt 0x0
	s_or_b32 exec_lo, exec_lo, s34
	s_delay_alu instid0(SALU_CYCLE_1)
	s_and_b32 vcc_lo, exec_lo, s7
	s_cbranch_vccz .LBB384_12
.LBB384_15:                             ;   in Loop: Header=BB384_5 Depth=1
	s_mul_u64 s[34:35], s[8:9], s[28:29]
	s_mul_u64 s[36:37], s[24:25], s[28:29]
	v_dual_mov_b32 v26, 0 :: v_dual_mov_b32 v12, v14
	v_dual_mov_b32 v27, 0 :: v_dual_mov_b32 v28, 0
	v_mov_b32_e32 v29, 0
	s_lshl_b64 s[34:35], s[34:35], 1
	s_lshl_b64 s[36:37], s[36:37], 1
	s_add_nc_u64 s[34:35], s[16:17], s[34:35]
	s_add_nc_u64 s[36:37], s[10:11], s[36:37]
	s_and_saveexec_b32 s7, s4
	s_cbranch_execz .LBB384_27
; %bb.16:                               ;   in Loop: Header=BB384_5 Depth=1
	v_dual_mov_b32 v26, 0 :: v_dual_mov_b32 v13, v24
	v_dual_mov_b32 v30, v19 :: v_dual_mov_b32 v31, v18
	;; [unrolled: 1-line block ×4, first 2 shown]
	v_mov_b32_e32 v29, 0
	s_mov_b32 s45, 0
	s_mov_b32 s46, 0
	s_branch .LBB384_21
.LBB384_17:                             ;   in Loop: Header=BB384_21 Depth=2
	s_wait_xcnt 0x0
	s_or_b32 exec_lo, exec_lo, s50
	s_wait_loadcnt 0x3
	v_fma_mix_f32 v4, v45, v49, v28 op_sel_hi:[0,1,0]
	s_wait_loadcnt 0x2
	s_delay_alu instid0(VALU_DEP_1) | instskip(SKIP_1) | instid1(VALU_DEP_1)
	v_fma_mix_f32 v4, v46, v50, v4 op_sel_hi:[0,1,0]
	s_wait_loadcnt 0x1
	v_fma_mix_f32 v4, v47, v51, v4 op_sel_hi:[0,1,0]
	s_wait_loadcnt 0x0
	s_delay_alu instid0(VALU_DEP_1)
	v_fma_mix_f32 v28, v48, v52, v4 op_sel_hi:[0,1,0]
.LBB384_18:                             ;   in Loop: Header=BB384_21 Depth=2
	s_or_b32 exec_lo, exec_lo, s49
	s_wait_loadcnt 0x3
	v_fma_mix_f32 v4, v45, v41, v27 op_sel_hi:[0,1,0]
	s_wait_loadcnt 0x2
	s_delay_alu instid0(VALU_DEP_1) | instskip(SKIP_1) | instid1(VALU_DEP_1)
	v_fma_mix_f32 v4, v46, v42, v4 op_sel_hi:[0,1,0]
	s_wait_loadcnt 0x1
	v_fma_mix_f32 v4, v47, v43, v4 op_sel_hi:[0,1,0]
	s_wait_loadcnt 0x0
	s_delay_alu instid0(VALU_DEP_1)
	v_fma_mix_f32 v27, v48, v44, v4 op_sel_hi:[0,1,0]
.LBB384_19:                             ;   in Loop: Header=BB384_21 Depth=2
	s_or_b32 exec_lo, exec_lo, s48
	s_wait_loadcnt 0x3
	v_fma_mix_f32 v4, v33, v37, v26 op_sel_hi:[1,1,0]
	s_wait_loadcnt 0x2
	s_delay_alu instid0(VALU_DEP_1) | instskip(SKIP_1) | instid1(VALU_DEP_1)
	v_fma_mix_f32 v4, v34, v38, v4 op_sel_hi:[1,1,0]
	s_wait_loadcnt 0x1
	v_fma_mix_f32 v4, v35, v39, v4 op_sel_hi:[1,1,0]
	s_wait_loadcnt 0x0
	s_delay_alu instid0(VALU_DEP_1)
	v_fma_mix_f32 v26, v36, v40, v4 op_sel_hi:[1,1,0]
.LBB384_20:                             ;   in Loop: Header=BB384_21 Depth=2
	s_or_b32 exec_lo, exec_lo, s47
	v_dual_add_nc_u32 v12, 16, v12 :: v_dual_add_nc_u32 v31, s42, v31
	v_dual_add_nc_u32 v32, s42, v32 :: v_dual_add_nc_u32 v30, s42, v30
	v_add_nc_u32_e32 v13, s42, v13
	s_delay_alu instid0(VALU_DEP_3) | instskip(SKIP_2) | instid1(SALU_CYCLE_1)
	v_cmp_le_i32_e32 vcc_lo, s40, v12
	s_add_co_i32 s46, s46, s43
	s_or_b32 s45, vcc_lo, s45
	s_and_not1_b32 exec_lo, exec_lo, s45
	s_cbranch_execz .LBB384_26
.LBB384_21:                             ;   Parent Loop BB384_5 Depth=1
                                        ; =>  This Inner Loop Header: Depth=2
	s_and_saveexec_b32 s47, s0
	s_cbranch_execz .LBB384_20
; %bb.22:                               ;   in Loop: Header=BB384_21 Depth=2
	v_dual_add_nc_u32 v5, s46, v25 :: v_dual_add_nc_u32 v7, s46, v20
	v_dual_add_nc_u32 v9, s46, v21 :: v_dual_add_nc_u32 v11, s46, v22
	;; [unrolled: 1-line block ×4, first 2 shown]
	s_clause 0x3
	global_load_u16 v33, v5, s[36:37] scale_offset
	global_load_u16 v34, v7, s[36:37] scale_offset
	;; [unrolled: 1-line block ×4, first 2 shown]
	s_clause 0x3
	global_load_u16 v37, v4, s[34:35] scale_offset
	global_load_u16 v38, v6, s[34:35] scale_offset
	;; [unrolled: 1-line block ×4, first 2 shown]
	s_wait_xcnt 0x0
	s_and_saveexec_b32 s48, s1
	s_cbranch_execz .LBB384_19
; %bb.23:                               ;   in Loop: Header=BB384_21 Depth=2
	v_dual_ashrrev_i32 v5, 31, v4 :: v_dual_ashrrev_i32 v7, 31, v6
	v_dual_ashrrev_i32 v11, 31, v10 :: v_dual_ashrrev_i32 v9, 31, v8
	s_wait_loadcnt 0x7
	v_cvt_f32_f16_e32 v45, v33
	s_delay_alu instid0(VALU_DEP_3)
	v_lshl_add_u64 v[4:5], v[4:5], 1, s[34:35]
	v_lshl_add_u64 v[6:7], v[6:7], 1, s[34:35]
	;; [unrolled: 1-line block ×4, first 2 shown]
	s_wait_loadcnt 0x6
	v_cvt_f32_f16_e32 v46, v34
	s_clause 0x3
	global_load_u16 v41, v[4:5], off offset:128
	global_load_u16 v42, v[6:7], off offset:128
	;; [unrolled: 1-line block ×4, first 2 shown]
	s_wait_loadcnt 0x9
	v_cvt_f32_f16_e32 v47, v35
	s_wait_loadcnt 0x8
	v_cvt_f32_f16_e32 v48, v36
	s_wait_xcnt 0x0
	s_and_saveexec_b32 s49, s2
	s_cbranch_execz .LBB384_18
; %bb.24:                               ;   in Loop: Header=BB384_21 Depth=2
	s_clause 0x3
	global_load_u16 v49, v[4:5], off offset:256
	global_load_u16 v50, v[6:7], off offset:256
	;; [unrolled: 1-line block ×4, first 2 shown]
	s_wait_xcnt 0x0
	s_and_saveexec_b32 s50, s3
	s_cbranch_execz .LBB384_17
; %bb.25:                               ;   in Loop: Header=BB384_21 Depth=2
	s_clause 0x3
	global_load_u16 v53, v[4:5], off offset:384
	global_load_u16 v54, v[6:7], off offset:384
	;; [unrolled: 1-line block ×4, first 2 shown]
	s_wait_loadcnt 0x3
	s_wait_xcnt 0x3
	v_fma_mix_f32 v4, v45, v53, v29 op_sel_hi:[0,1,0]
	s_wait_loadcnt 0x2
	s_delay_alu instid0(VALU_DEP_1) | instskip(SKIP_1) | instid1(VALU_DEP_1)
	v_fma_mix_f32 v4, v46, v54, v4 op_sel_hi:[0,1,0]
	s_wait_loadcnt 0x1
	v_fma_mix_f32 v4, v47, v55, v4 op_sel_hi:[0,1,0]
	s_wait_loadcnt 0x0
	s_delay_alu instid0(VALU_DEP_1)
	v_fma_mix_f32 v29, v48, v56, v4 op_sel_hi:[0,1,0]
	s_branch .LBB384_17
.LBB384_26:                             ;   in Loop: Header=BB384_5 Depth=1
	s_or_b32 exec_lo, exec_lo, s45
.LBB384_27:                             ;   in Loop: Header=BB384_5 Depth=1
	s_delay_alu instid0(SALU_CYCLE_1) | instskip(NEXT) | instid1(SALU_CYCLE_1)
	s_or_b32 exec_lo, exec_lo, s7
	s_and_not1_b32 vcc_lo, exec_lo, s41
	s_cbranch_vccnz .LBB384_45
; %bb.28:                               ;   in Loop: Header=BB384_5 Depth=1
	v_cmp_gt_i32_e32 vcc_lo, s21, v12
	v_dual_mov_b32 v30, 0 :: v_dual_bitop2_b32 v4, 1, v12 bitop3:0x54
	v_dual_mov_b32 v31, 0 :: v_dual_mov_b32 v32, 0
	v_mov_b32_e32 v33, 0
	s_and_saveexec_b32 s45, vcc_lo
	s_cbranch_execz .LBB384_36
; %bb.29:                               ;   in Loop: Header=BB384_5 Depth=1
	v_mul_lo_u32 v5, v12, s18
	v_dual_mov_b32 v32, 0 :: v_dual_mov_b32 v31, 0
	v_mov_b32_e32 v30, 0
	s_mov_b32 s46, exec_lo
	global_load_u16 v5, v5, s[36:37] scale_offset
	s_wait_xcnt 0x0
	v_cmpx_gt_i32_e64 s21, v4
	s_cbranch_execz .LBB384_35
; %bb.30:                               ;   in Loop: Header=BB384_5 Depth=1
	v_mul_lo_u32 v6, v4, s18
	v_dual_mov_b32 v31, 0 :: v_dual_bitop2_b32 v7, 2, v12 bitop3:0x54
	v_mov_b32_e32 v30, 0
	s_mov_b32 s47, exec_lo
	global_load_u16 v6, v6, s[36:37] scale_offset
	s_wait_xcnt 0x0
	v_cmpx_gt_i32_e64 s21, v7
	s_cbranch_execz .LBB384_34
; %bb.31:                               ;   in Loop: Header=BB384_5 Depth=1
	v_mul_lo_u32 v7, v7, s18
	v_dual_mov_b32 v30, 0 :: v_dual_bitop2_b32 v8, 3, v12 bitop3:0x54
	s_mov_b32 s48, exec_lo
	global_load_u16 v7, v7, s[36:37] scale_offset
	s_wait_xcnt 0x0
	v_cmpx_gt_i32_e64 s21, v8
	s_cbranch_execz .LBB384_33
; %bb.32:                               ;   in Loop: Header=BB384_5 Depth=1
	v_mul_lo_u32 v8, v8, s18
	global_load_u16 v8, v8, s[36:37] scale_offset
	s_wait_loadcnt 0x0
	v_cvt_f32_f16_e32 v30, v8
.LBB384_33:                             ;   in Loop: Header=BB384_5 Depth=1
	s_wait_xcnt 0x0
	s_or_b32 exec_lo, exec_lo, s48
	s_wait_loadcnt 0x0
	v_cvt_f32_f16_e32 v31, v7
.LBB384_34:                             ;   in Loop: Header=BB384_5 Depth=1
	s_or_b32 exec_lo, exec_lo, s47
	s_wait_loadcnt 0x0
	v_cvt_f32_f16_e32 v32, v6
.LBB384_35:                             ;   in Loop: Header=BB384_5 Depth=1
	s_or_b32 exec_lo, exec_lo, s46
	s_wait_loadcnt 0x0
	v_cvt_f32_f16_e32 v33, v5
.LBB384_36:                             ;   in Loop: Header=BB384_5 Depth=1
	s_or_b32 exec_lo, exec_lo, s45
	s_and_saveexec_b32 s7, s0
	s_cbranch_execz .LBB384_44
; %bb.37:                               ;   in Loop: Header=BB384_5 Depth=1
	v_mul_lo_u32 v6, v12, s23
	v_or_b32_e32 v5, 2, v12
	v_mul_lo_u32 v8, v4, s23
	s_delay_alu instid0(VALU_DEP_3) | instskip(NEXT) | instid1(VALU_DEP_3)
	v_cndmask_b32_e32 v6, 0, v6, vcc_lo
	v_mul_lo_u32 v9, v5, s23
	v_cmp_gt_i32_e32 vcc_lo, s21, v4
	s_delay_alu instid0(VALU_DEP_4) | instskip(SKIP_1) | instid1(VALU_DEP_4)
	v_cndmask_b32_e32 v8, 0, v8, vcc_lo
	v_cmp_gt_i32_e32 vcc_lo, s21, v5
	v_dual_cndmask_b32 v5, 0, v9, vcc_lo :: v_dual_bitop2_b32 v7, 3, v12 bitop3:0x54
	s_delay_alu instid0(VALU_DEP_1) | instskip(SKIP_1) | instid1(VALU_DEP_2)
	v_mul_lo_u32 v10, v7, s23
	v_cmp_gt_i32_e32 vcc_lo, s21, v7
	v_dual_cndmask_b32 v7, 0, v10 :: v_dual_add_nc_u32 v4, v6, v15
	s_delay_alu instid0(VALU_DEP_4) | instskip(NEXT) | instid1(VALU_DEP_2)
	v_dual_add_nc_u32 v8, v8, v15 :: v_dual_add_nc_u32 v12, v5, v15
	v_add_nc_u32_e32 v10, v7, v15
	s_clause 0x3
	global_load_u16 v34, v4, s[34:35] scale_offset
	global_load_u16 v35, v8, s[34:35] scale_offset
	;; [unrolled: 1-line block ×4, first 2 shown]
	s_wait_xcnt 0x0
	s_and_saveexec_b32 s36, s1
	s_cbranch_execz .LBB384_43
; %bb.38:                               ;   in Loop: Header=BB384_5 Depth=1
	v_dual_ashrrev_i32 v5, 31, v4 :: v_dual_ashrrev_i32 v11, 31, v10
	v_ashrrev_i32_e32 v9, 31, v8
	v_ashrrev_i32_e32 v13, 31, v12
	s_delay_alu instid0(VALU_DEP_3) | instskip(NEXT) | instid1(VALU_DEP_4)
	v_lshl_add_u64 v[6:7], v[4:5], 1, s[34:35]
	v_lshl_add_u64 v[10:11], v[10:11], 1, s[34:35]
	s_delay_alu instid0(VALU_DEP_4) | instskip(NEXT) | instid1(VALU_DEP_4)
	v_lshl_add_u64 v[4:5], v[8:9], 1, s[34:35]
	v_lshl_add_u64 v[8:9], v[12:13], 1, s[34:35]
	s_clause 0x3
	global_load_u16 v12, v[6:7], off offset:128
	global_load_u16 v13, v[4:5], off offset:128
	;; [unrolled: 1-line block ×4, first 2 shown]
	s_wait_xcnt 0x0
	s_and_saveexec_b32 s34, s2
	s_cbranch_execz .LBB384_42
; %bb.39:                               ;   in Loop: Header=BB384_5 Depth=1
	s_clause 0x3
	global_load_u16 v40, v[6:7], off offset:256
	global_load_u16 v41, v[4:5], off offset:256
	;; [unrolled: 1-line block ×4, first 2 shown]
	s_wait_xcnt 0x0
	s_and_saveexec_b32 s35, s3
	s_cbranch_execz .LBB384_41
; %bb.40:                               ;   in Loop: Header=BB384_5 Depth=1
	s_clause 0x3
	global_load_u16 v44, v[6:7], off offset:384
	global_load_u16 v45, v[4:5], off offset:384
	;; [unrolled: 1-line block ×4, first 2 shown]
	s_wait_loadcnt 0x3
	s_wait_xcnt 0x2
	v_fma_mix_f32 v4, v33, v44, v29 op_sel_hi:[0,1,0]
	s_wait_loadcnt 0x2
	s_delay_alu instid0(VALU_DEP_1) | instskip(SKIP_1) | instid1(VALU_DEP_1)
	v_fma_mix_f32 v4, v32, v45, v4 op_sel_hi:[0,1,0]
	s_wait_loadcnt 0x1
	v_fma_mix_f32 v4, v31, v46, v4 op_sel_hi:[0,1,0]
	s_wait_loadcnt 0x0
	s_delay_alu instid0(VALU_DEP_1)
	v_fma_mix_f32 v29, v30, v47, v4 op_sel_hi:[0,1,0]
.LBB384_41:                             ;   in Loop: Header=BB384_5 Depth=1
	s_wait_xcnt 0x0
	s_or_b32 exec_lo, exec_lo, s35
	s_wait_loadcnt 0x3
	v_fma_mix_f32 v4, v33, v40, v28 op_sel_hi:[0,1,0]
	s_wait_loadcnt 0x2
	s_delay_alu instid0(VALU_DEP_1) | instskip(SKIP_1) | instid1(VALU_DEP_1)
	v_fma_mix_f32 v4, v32, v41, v4 op_sel_hi:[0,1,0]
	s_wait_loadcnt 0x1
	v_fma_mix_f32 v4, v31, v42, v4 op_sel_hi:[0,1,0]
	s_wait_loadcnt 0x0
	s_delay_alu instid0(VALU_DEP_1)
	v_fma_mix_f32 v28, v30, v43, v4 op_sel_hi:[0,1,0]
.LBB384_42:                             ;   in Loop: Header=BB384_5 Depth=1
	s_or_b32 exec_lo, exec_lo, s34
	s_wait_loadcnt 0x3
	v_fma_mix_f32 v4, v33, v12, v27 op_sel_hi:[0,1,0]
	s_wait_loadcnt 0x2
	s_delay_alu instid0(VALU_DEP_1) | instskip(SKIP_1) | instid1(VALU_DEP_1)
	v_fma_mix_f32 v4, v32, v13, v4 op_sel_hi:[0,1,0]
	s_wait_loadcnt 0x1
	v_fma_mix_f32 v4, v31, v38, v4 op_sel_hi:[0,1,0]
	s_wait_loadcnt 0x0
	s_delay_alu instid0(VALU_DEP_1)
	v_fma_mix_f32 v27, v30, v39, v4 op_sel_hi:[0,1,0]
.LBB384_43:                             ;   in Loop: Header=BB384_5 Depth=1
	s_or_b32 exec_lo, exec_lo, s36
	s_wait_loadcnt 0x3
	v_fma_mix_f32 v4, v33, v34, v26 op_sel_hi:[0,1,0]
	s_wait_loadcnt 0x2
	s_delay_alu instid0(VALU_DEP_1) | instskip(SKIP_1) | instid1(VALU_DEP_1)
	v_fma_mix_f32 v4, v32, v35, v4 op_sel_hi:[0,1,0]
	s_wait_loadcnt 0x1
	v_fma_mix_f32 v4, v31, v36, v4 op_sel_hi:[0,1,0]
	s_wait_loadcnt 0x0
	s_delay_alu instid0(VALU_DEP_1)
	v_fma_mix_f32 v26, v30, v37, v4 op_sel_hi:[0,1,0]
.LBB384_44:                             ;   in Loop: Header=BB384_5 Depth=1
	s_or_b32 exec_lo, exec_lo, s7
.LBB384_45:                             ;   in Loop: Header=BB384_5 Depth=1
	ds_store_2addr_stride64_b32 v16, v26, v27 offset1:1
	ds_store_2addr_stride64_b32 v16, v28, v29 offset0:2 offset1:3
	s_wait_dscnt 0x0
	s_barrier_signal -1
	s_barrier_wait -1
                                        ; implicit-def: $vgpr6
	s_and_saveexec_b32 s7, s5
	s_cbranch_execz .LBB384_51
; %bb.46:                               ;   in Loop: Header=BB384_5 Depth=1
	ds_load_2addr_stride64_b32 v[4:5], v17 offset1:4
	ds_load_2addr_stride64_b32 v[6:7], v17 offset0:8 offset1:12
	s_mov_b32 s35, s44
	s_wait_dscnt 0x1
	v_add_f32_e32 v4, v4, v5
	s_wait_dscnt 0x0
	s_delay_alu instid0(VALU_DEP_1) | instskip(NEXT) | instid1(VALU_DEP_1)
	v_add_f32_e32 v4, v6, v4
                                        ; implicit-def: $vgpr6
	v_add_f32_e32 v4, v7, v4
	ds_store_b32 v17, v4
	s_and_saveexec_b32 s34, s6
	s_cbranch_execz .LBB384_50
; %bb.47:                               ;   in Loop: Header=BB384_5 Depth=1
	v_mul_f32_e32 v4, s22, v4
	s_and_not1_b32 vcc_lo, exec_lo, s39
	s_cbranch_vccnz .LBB384_49
; %bb.48:                               ;   in Loop: Header=BB384_5 Depth=1
	v_lshl_add_u64 v[6:7], v[2:3], 1, s[30:31]
	global_load_u16 v5, v[6:7], off
	s_wait_loadcnt 0x0
	v_fma_mix_f32 v4, s26, v5, v4 op_sel_hi:[0,1,0]
.LBB384_49:                             ;   in Loop: Header=BB384_5 Depth=1
	s_wait_xcnt 0x0
	s_delay_alu instid0(VALU_DEP_1)
	v_cvt_f16_f32_e32 v6, v4
	s_or_b32 s35, s44, exec_lo
.LBB384_50:                             ;   in Loop: Header=BB384_5 Depth=1
	s_or_b32 exec_lo, exec_lo, s34
	s_delay_alu instid0(SALU_CYCLE_1) | instskip(SKIP_1) | instid1(SALU_CYCLE_1)
	s_and_not1_b32 s34, s44, exec_lo
	s_and_b32 s35, s35, exec_lo
	s_or_b32 s44, s34, s35
.LBB384_51:                             ;   in Loop: Header=BB384_5 Depth=1
	s_or_b32 exec_lo, exec_lo, s7
	v_mov_b64_e32 v[4:5], v[2:3]
	s_and_saveexec_b32 s7, s44
	s_cbranch_execz .LBB384_3
.LBB384_52:                             ;   in Loop: Header=BB384_5 Depth=1
	s_delay_alu instid0(VALU_DEP_1)
	v_lshl_add_u64 v[4:5], v[4:5], 1, s[30:31]
	global_store_b16 v[4:5], v6, off
	s_branch .LBB384_3
.LBB384_53:
	s_endpgm
	.section	.rodata,"a",@progbits
	.p2align	6, 0x0
	.amdhsa_kernel _ZL20rocblas_gemvn_kernelILi64ELi4EiDF16_fDF16_EviiT3_lPKT2_lT1_lS3_lS4_lS0_lPT4_lS4_li
		.amdhsa_group_segment_fixed_size 4096
		.amdhsa_private_segment_fixed_size 0
		.amdhsa_kernarg_size 400
		.amdhsa_user_sgpr_count 2
		.amdhsa_user_sgpr_dispatch_ptr 0
		.amdhsa_user_sgpr_queue_ptr 0
		.amdhsa_user_sgpr_kernarg_segment_ptr 1
		.amdhsa_user_sgpr_dispatch_id 0
		.amdhsa_user_sgpr_kernarg_preload_length 0
		.amdhsa_user_sgpr_kernarg_preload_offset 0
		.amdhsa_user_sgpr_private_segment_size 0
		.amdhsa_wavefront_size32 1
		.amdhsa_uses_dynamic_stack 0
		.amdhsa_enable_private_segment 0
		.amdhsa_system_sgpr_workgroup_id_x 1
		.amdhsa_system_sgpr_workgroup_id_y 0
		.amdhsa_system_sgpr_workgroup_id_z 1
		.amdhsa_system_sgpr_workgroup_info 0
		.amdhsa_system_vgpr_workitem_id 1
		.amdhsa_next_free_vgpr 57
		.amdhsa_next_free_sgpr 51
		.amdhsa_named_barrier_count 0
		.amdhsa_reserve_vcc 1
		.amdhsa_float_round_mode_32 0
		.amdhsa_float_round_mode_16_64 0
		.amdhsa_float_denorm_mode_32 3
		.amdhsa_float_denorm_mode_16_64 3
		.amdhsa_fp16_overflow 0
		.amdhsa_memory_ordered 1
		.amdhsa_forward_progress 1
		.amdhsa_inst_pref_size 23
		.amdhsa_round_robin_scheduling 0
		.amdhsa_exception_fp_ieee_invalid_op 0
		.amdhsa_exception_fp_denorm_src 0
		.amdhsa_exception_fp_ieee_div_zero 0
		.amdhsa_exception_fp_ieee_overflow 0
		.amdhsa_exception_fp_ieee_underflow 0
		.amdhsa_exception_fp_ieee_inexact 0
		.amdhsa_exception_int_div_zero 0
	.end_amdhsa_kernel
	.section	.text._ZL20rocblas_gemvn_kernelILi64ELi4EiDF16_fDF16_EviiT3_lPKT2_lT1_lS3_lS4_lS0_lPT4_lS4_li,"axG",@progbits,_ZL20rocblas_gemvn_kernelILi64ELi4EiDF16_fDF16_EviiT3_lPKT2_lT1_lS3_lS4_lS0_lPT4_lS4_li,comdat
.Lfunc_end384:
	.size	_ZL20rocblas_gemvn_kernelILi64ELi4EiDF16_fDF16_EviiT3_lPKT2_lT1_lS3_lS4_lS0_lPT4_lS4_li, .Lfunc_end384-_ZL20rocblas_gemvn_kernelILi64ELi4EiDF16_fDF16_EviiT3_lPKT2_lT1_lS3_lS4_lS0_lPT4_lS4_li
                                        ; -- End function
	.set _ZL20rocblas_gemvn_kernelILi64ELi4EiDF16_fDF16_EviiT3_lPKT2_lT1_lS3_lS4_lS0_lPT4_lS4_li.num_vgpr, 57
	.set _ZL20rocblas_gemvn_kernelILi64ELi4EiDF16_fDF16_EviiT3_lPKT2_lT1_lS3_lS4_lS0_lPT4_lS4_li.num_agpr, 0
	.set _ZL20rocblas_gemvn_kernelILi64ELi4EiDF16_fDF16_EviiT3_lPKT2_lT1_lS3_lS4_lS0_lPT4_lS4_li.numbered_sgpr, 51
	.set _ZL20rocblas_gemvn_kernelILi64ELi4EiDF16_fDF16_EviiT3_lPKT2_lT1_lS3_lS4_lS0_lPT4_lS4_li.num_named_barrier, 0
	.set _ZL20rocblas_gemvn_kernelILi64ELi4EiDF16_fDF16_EviiT3_lPKT2_lT1_lS3_lS4_lS0_lPT4_lS4_li.private_seg_size, 0
	.set _ZL20rocblas_gemvn_kernelILi64ELi4EiDF16_fDF16_EviiT3_lPKT2_lT1_lS3_lS4_lS0_lPT4_lS4_li.uses_vcc, 1
	.set _ZL20rocblas_gemvn_kernelILi64ELi4EiDF16_fDF16_EviiT3_lPKT2_lT1_lS3_lS4_lS0_lPT4_lS4_li.uses_flat_scratch, 0
	.set _ZL20rocblas_gemvn_kernelILi64ELi4EiDF16_fDF16_EviiT3_lPKT2_lT1_lS3_lS4_lS0_lPT4_lS4_li.has_dyn_sized_stack, 0
	.set _ZL20rocblas_gemvn_kernelILi64ELi4EiDF16_fDF16_EviiT3_lPKT2_lT1_lS3_lS4_lS0_lPT4_lS4_li.has_recursion, 0
	.set _ZL20rocblas_gemvn_kernelILi64ELi4EiDF16_fDF16_EviiT3_lPKT2_lT1_lS3_lS4_lS0_lPT4_lS4_li.has_indirect_call, 0
	.section	.AMDGPU.csdata,"",@progbits
; Kernel info:
; codeLenInByte = 2868
; TotalNumSgprs: 53
; NumVgprs: 57
; ScratchSize: 0
; MemoryBound: 0
; FloatMode: 240
; IeeeMode: 1
; LDSByteSize: 4096 bytes/workgroup (compile time only)
; SGPRBlocks: 0
; VGPRBlocks: 3
; NumSGPRsForWavesPerEU: 53
; NumVGPRsForWavesPerEU: 57
; NamedBarCnt: 0
; Occupancy: 16
; WaveLimiterHint : 1
; COMPUTE_PGM_RSRC2:SCRATCH_EN: 0
; COMPUTE_PGM_RSRC2:USER_SGPR: 2
; COMPUTE_PGM_RSRC2:TRAP_HANDLER: 0
; COMPUTE_PGM_RSRC2:TGID_X_EN: 1
; COMPUTE_PGM_RSRC2:TGID_Y_EN: 0
; COMPUTE_PGM_RSRC2:TGID_Z_EN: 1
; COMPUTE_PGM_RSRC2:TIDIG_COMP_CNT: 1
	.section	.text._ZL20rocblas_gemvn_kernelILi64ELi4ElDF16_fDF16_EviiT3_lPKT2_lT1_lS3_lS4_lS0_lPT4_lS4_li,"axG",@progbits,_ZL20rocblas_gemvn_kernelILi64ELi4ElDF16_fDF16_EviiT3_lPKT2_lT1_lS3_lS4_lS0_lPT4_lS4_li,comdat
	.globl	_ZL20rocblas_gemvn_kernelILi64ELi4ElDF16_fDF16_EviiT3_lPKT2_lT1_lS3_lS4_lS0_lPT4_lS4_li ; -- Begin function _ZL20rocblas_gemvn_kernelILi64ELi4ElDF16_fDF16_EviiT3_lPKT2_lT1_lS3_lS4_lS0_lPT4_lS4_li
	.p2align	8
	.type	_ZL20rocblas_gemvn_kernelILi64ELi4ElDF16_fDF16_EviiT3_lPKT2_lT1_lS3_lS4_lS0_lPT4_lS4_li,@function
_ZL20rocblas_gemvn_kernelILi64ELi4ElDF16_fDF16_EviiT3_lPKT2_lT1_lS3_lS4_lS0_lPT4_lS4_li: ; @_ZL20rocblas_gemvn_kernelILi64ELi4ElDF16_fDF16_EviiT3_lPKT2_lT1_lS3_lS4_lS0_lPT4_lS4_li
; %bb.0:
	s_load_b64 s[2:3], s[0:1], 0x9c
	s_wait_kmcnt 0x0
	s_lshr_b32 s4, s2, 16
	s_and_b32 s2, s2, 0xffff
	s_and_b32 s3, s3, 0xffff
	s_mul_i32 s2, s4, s2
	s_delay_alu instid0(SALU_CYCLE_1) | instskip(NEXT) | instid1(SALU_CYCLE_1)
	s_mul_i32 s2, s2, s3
	s_cmp_lg_u32 s2, 0x100
	s_cbranch_scc1 .LBB385_53
; %bb.1:
	s_load_b32 s33, s[0:1], 0x88
	s_bfe_u32 s2, ttmp6, 0x40014
	s_lshr_b32 s3, ttmp7, 16
	s_add_co_i32 s2, s2, 1
	s_bfe_u32 s4, ttmp6, 0x40008
	s_mul_i32 s2, s3, s2
	s_getreg_b32 s6, hwreg(HW_REG_IB_STS2, 6, 4)
	s_add_co_i32 s4, s4, s2
	s_cmp_eq_u32 s6, 0
	s_mov_b32 s35, 0
	s_cselect_b32 s34, s3, s4
	s_wait_kmcnt 0x0
	s_cmp_ge_u32 s34, s33
	s_cbranch_scc1 .LBB385_53
; %bb.2:
	s_clause 0x3
	s_load_b512 s[8:23], s[0:1], 0x18
	s_load_b256 s[24:31], s[0:1], 0x68
	s_load_b96 s[36:38], s[0:1], 0x0
	s_load_b32 s39, s[0:1], 0x58
	v_and_b32_e32 v6, 0x3ff, v0
	v_bfe_u32 v2, v0, 10, 10
	s_delay_alu instid0(VALU_DEP_2) | instskip(NEXT) | instid1(VALU_DEP_2)
	v_dual_mov_b32 v1, 0 :: v_dual_lshlrev_b32 v0, 2, v6
	v_lshl_add_u32 v7, v2, 6, v6
	s_delay_alu instid0(VALU_DEP_2) | instskip(NEXT) | instid1(VALU_DEP_3)
	v_dual_mov_b32 v3, v1 :: v_dual_lshlrev_b32 v48, 2, v2
	v_lshl_add_u32 v49, v2, 10, v0
	v_lshl_add_u32 v50, v2, 8, v0
	s_wait_xcnt 0x0
	v_cmp_gt_u32_e64 s0, 0x100, v7
	s_wait_kmcnt 0x0
	s_lshl_b64 s[4:5], s[10:11], 1
	s_lshl_b64 s[10:11], s[18:19], 1
	;; [unrolled: 1-line block ×3, first 2 shown]
	s_cmp_eq_f32 s38, 0
	v_mul_u64_e32 v[10:11], s[20:21], v[2:3]
	v_mul_u64_e32 v[12:13], s[12:13], v[2:3]
	v_mad_nc_u64_u32 v[4:5], s20, v48, s[20:21]
	s_cselect_b32 s46, -1, 0
	s_cmp_neq_f32 s38, 0
	v_mad_nc_u64_u32 v[8:9], s12, v48, s[12:13]
	s_add_nc_u64 s[24:25], s[24:25], s[2:3]
	s_add_nc_u64 s[26:27], s[16:17], s[10:11]
	s_cselect_b32 s1, -1, 0
	s_cmp_neq_f32 s39, 1.0
	s_cselect_b32 s7, -1, 0
	s_bfe_u32 s18, ttmp6, 0x4000c
	s_and_b32 s19, ttmp6, 15
	s_add_co_i32 s18, s18, 1
	s_or_b32 s47, s1, s7
	s_mul_i32 s18, ttmp9, s18
	v_mad_u32 v5, s21, v48, v5
	s_add_co_i32 s19, s19, s18
	s_cmp_eq_u32 s6, 0
	s_mov_b32 s6, s36
	s_cselect_b32 s1, ttmp9, s19
	s_ashr_i32 s7, s36, 31
	s_lshl_b32 s1, s1, 8
	s_cmp_neq_f32 s39, 0
	v_dual_add_nc_u32 v0, s1, v7 :: v_dual_bitop2_b32 v14, s1, v7 bitop3:0x54
	v_or_b32_e32 v24, s1, v6
	v_mad_u32 v9, s13, v48, v9
	s_cselect_b32 s48, -1, 0
	s_delay_alu instid0(VALU_DEP_3)
	v_cmp_gt_i64_e32 vcc_lo, s[6:7], v[0:1]
	v_mul_u64_e32 v[2:3], s[28:29], v[0:1]
	v_dual_ashrrev_i32 v15, 31, v14 :: v_dual_bitop2_b32 v0, 3, v48 bitop3:0x54
	s_ashr_i32 s1, s37, 31
	v_ashrrev_i32_e32 v25, 31, v24
	s_lshr_b32 s3, s1, 28
	s_delay_alu instid0(VALU_DEP_2)
	v_mul_u64_e32 v[16:17], s[12:13], v[0:1]
	v_mul_u64_e32 v[18:19], s[20:21], v[0:1]
	v_or_b32_e32 v0, 2, v48
	v_mul_u64_e32 v[6:7], s[28:29], v[14:15]
	v_add_nc_u32_e32 v15, 0x80, v24
	s_add_co_i32 s3, s37, s3
	v_add_nc_u32_e32 v26, 0xc0, v24
	v_mul_u64_e32 v[20:21], s[12:13], v[0:1]
	v_mul_u64_e32 v[22:23], s[20:21], v[0:1]
	v_add_nc_u32_e32 v0, 64, v24
	s_and_b32 s49, s3, -16
	s_add_nc_u64 s[18:19], s[8:9], s[4:5]
	v_cmp_gt_i32_e64 s2, s36, v14
	v_cmp_gt_i32_e64 s4, s36, v15
	s_sub_co_i32 s6, s37, s49
	v_lshlrev_b64_e32 v[14:15], 1, v[24:25]
	v_lshl_add_u64 v[4:5], v[4:5], 1, s[16:17]
	v_lshl_add_u64 v[8:9], v[8:9], 1, s[18:19]
	v_cmp_gt_i32_e64 s1, s36, v24
	v_lshl_add_u64 v[10:11], v[10:11], 3, s[16:17]
	v_lshl_add_u64 v[12:13], v[12:13], 3, s[18:19]
	v_cmp_gt_i32_e64 s3, s36, v0
	v_cmp_gt_i32_e64 s5, s36, v26
	s_cmp_gt_i32 s6, 0
	v_cmp_gt_i32_e64 s6, s49, v48
	s_cselect_b32 s36, -1, 0
	s_and_b32 s50, s0, vcc_lo
	s_lshl_b64 s[28:29], s[22:23], 1
	s_lshl_b64 s[40:41], s[14:15], 1
	;; [unrolled: 1-line block ×3, first 2 shown]
	v_lshl_add_u64 v[16:17], v[16:17], 1, s[18:19]
	v_lshl_add_u64 v[18:19], v[18:19], 1, s[16:17]
	;; [unrolled: 1-line block ×4, first 2 shown]
	s_lshl_b64 s[16:17], s[20:21], 5
	s_branch .LBB385_5
.LBB385_3:                              ;   in Loop: Header=BB385_5 Depth=1
	s_wait_xcnt 0x0
	s_or_b32 exec_lo, exec_lo, s7
.LBB385_4:                              ;   in Loop: Header=BB385_5 Depth=1
	s_add_co_i32 s34, s34, 0x10000
	s_delay_alu instid0(SALU_CYCLE_1)
	s_cmp_lt_u32 s34, s33
	s_cbranch_scc0 .LBB385_53
.LBB385_5:                              ; =>This Loop Header: Depth=1
                                        ;     Child Loop BB385_21 Depth 2
	s_and_not1_b32 vcc_lo, exec_lo, s47
	s_cbranch_vccnz .LBB385_4
; %bb.6:                                ;   in Loop: Header=BB385_5 Depth=1
	s_mul_u64 s[8:9], s[30:31], s[34:35]
	s_and_not1_b32 vcc_lo, exec_lo, s46
	s_lshl_b64 s[8:9], s[8:9], 1
	s_delay_alu instid0(SALU_CYCLE_1)
	s_add_nc_u64 s[44:45], s[24:25], s[8:9]
	s_cbranch_vccnz .LBB385_10
; %bb.7:                                ;   in Loop: Header=BB385_5 Depth=1
	s_mov_b32 s7, 0
	s_mov_b32 s51, 0
                                        ; implicit-def: $vgpr0
	s_and_saveexec_b32 s8, s50
	s_cbranch_execz .LBB385_11
; %bb.8:                                ;   in Loop: Header=BB385_5 Depth=1
	s_and_not1_b32 vcc_lo, exec_lo, s48
	s_cbranch_vccnz .LBB385_13
; %bb.9:                                ;   in Loop: Header=BB385_5 Depth=1
	v_lshl_add_u64 v[24:25], v[2:3], 1, s[44:45]
	global_load_u16 v0, v[24:25], off
	s_wait_loadcnt 0x0
	v_fma_mixlo_f16 v0, s39, v0, 0 op_sel_hi:[0,1,0]
	s_branch .LBB385_14
.LBB385_10:                             ;   in Loop: Header=BB385_5 Depth=1
	s_mov_b32 s51, 0
                                        ; implicit-def: $vgpr0
	s_cbranch_execz .LBB385_12
	s_branch .LBB385_15
.LBB385_11:                             ;   in Loop: Header=BB385_5 Depth=1
	s_or_b32 exec_lo, exec_lo, s8
	s_delay_alu instid0(SALU_CYCLE_1)
	s_and_b32 vcc_lo, exec_lo, s7
	s_cbranch_vccnz .LBB385_15
.LBB385_12:                             ;   in Loop: Header=BB385_5 Depth=1
	v_mov_b64_e32 v[24:25], v[2:3]
	s_and_saveexec_b32 s7, s51
	s_cbranch_execz .LBB385_3
	s_branch .LBB385_52
.LBB385_13:                             ;   in Loop: Header=BB385_5 Depth=1
	v_mov_b32_e32 v0, 0
.LBB385_14:                             ;   in Loop: Header=BB385_5 Depth=1
	s_mov_b32 s51, exec_lo
	s_wait_xcnt 0x0
	s_or_b32 exec_lo, exec_lo, s8
	s_delay_alu instid0(SALU_CYCLE_1)
	s_and_b32 vcc_lo, exec_lo, s7
	s_cbranch_vccz .LBB385_12
.LBB385_15:                             ;   in Loop: Header=BB385_5 Depth=1
	v_dual_mov_b32 v51, 0 :: v_dual_mov_b32 v0, v48
	v_dual_mov_b32 v52, 0 :: v_dual_mov_b32 v53, 0
	v_mov_b32_e32 v54, 0
	s_and_saveexec_b32 s7, s6
	s_cbranch_execz .LBB385_27
; %bb.16:                               ;   in Loop: Header=BB385_5 Depth=1
	s_mul_u64 s[8:9], s[28:29], s[34:35]
	s_mul_u64 s[52:53], s[40:41], s[34:35]
	v_add_nc_u64_e32 v[24:25], s[8:9], v[10:11]
	v_add_nc_u64_e32 v[26:27], s[52:53], v[16:17]
	;; [unrolled: 1-line block ×8, first 2 shown]
	v_dual_mov_b32 v51, 0 :: v_dual_mov_b32 v0, v48
	v_dual_mov_b32 v52, 0 :: v_dual_mov_b32 v53, 0
	v_mov_b32_e32 v54, 0
	s_mov_b32 s8, 0
	s_branch .LBB385_21
.LBB385_17:                             ;   in Loop: Header=BB385_21 Depth=2
	s_wait_xcnt 0x0
	s_or_b32 exec_lo, exec_lo, s54
	s_wait_loadcnt 0x3
	v_fma_mix_f32 v40, v67, v71, v53 op_sel_hi:[0,1,0]
	s_wait_loadcnt 0x2
	s_delay_alu instid0(VALU_DEP_1) | instskip(SKIP_1) | instid1(VALU_DEP_1)
	v_fma_mix_f32 v40, v68, v72, v40 op_sel_hi:[0,1,0]
	s_wait_loadcnt 0x1
	v_fma_mix_f32 v40, v69, v73, v40 op_sel_hi:[0,1,0]
	s_wait_loadcnt 0x0
	s_delay_alu instid0(VALU_DEP_1)
	v_fma_mix_f32 v53, v70, v74, v40 op_sel_hi:[0,1,0]
.LBB385_18:                             ;   in Loop: Header=BB385_21 Depth=2
	s_or_b32 exec_lo, exec_lo, s53
	s_wait_loadcnt 0x3
	v_fma_mix_f32 v40, v67, v63, v52 op_sel_hi:[0,1,0]
	s_wait_loadcnt 0x2
	s_delay_alu instid0(VALU_DEP_1) | instskip(SKIP_1) | instid1(VALU_DEP_1)
	v_fma_mix_f32 v40, v68, v64, v40 op_sel_hi:[0,1,0]
	s_wait_loadcnt 0x1
	v_fma_mix_f32 v40, v69, v65, v40 op_sel_hi:[0,1,0]
	s_wait_loadcnt 0x0
	s_delay_alu instid0(VALU_DEP_1)
	v_fma_mix_f32 v52, v70, v66, v40 op_sel_hi:[0,1,0]
.LBB385_19:                             ;   in Loop: Header=BB385_21 Depth=2
	s_or_b32 exec_lo, exec_lo, s52
	s_wait_loadcnt 0x3
	v_fma_mix_f32 v40, v55, v59, v51 op_sel_hi:[1,1,0]
	s_wait_loadcnt 0x2
	s_delay_alu instid0(VALU_DEP_1) | instskip(SKIP_1) | instid1(VALU_DEP_1)
	v_fma_mix_f32 v40, v56, v60, v40 op_sel_hi:[1,1,0]
	s_wait_loadcnt 0x1
	v_fma_mix_f32 v40, v57, v61, v40 op_sel_hi:[1,1,0]
	s_wait_loadcnt 0x0
	s_delay_alu instid0(VALU_DEP_1)
	v_fma_mix_f32 v51, v58, v62, v40 op_sel_hi:[1,1,0]
.LBB385_20:                             ;   in Loop: Header=BB385_21 Depth=2
	s_or_b32 exec_lo, exec_lo, s9
	v_add_nc_u32_e32 v0, 16, v0
	v_add_nc_u64_e32 v[24:25], s[16:17], v[24:25]
	v_add_nc_u64_e32 v[26:27], s[42:43], v[26:27]
	;; [unrolled: 1-line block ×7, first 2 shown]
	v_cmp_le_i32_e32 vcc_lo, s49, v0
	v_add_nc_u64_e32 v[38:39], s[42:43], v[38:39]
	s_or_b32 s8, vcc_lo, s8
	s_delay_alu instid0(SALU_CYCLE_1)
	s_and_not1_b32 exec_lo, exec_lo, s8
	s_cbranch_execz .LBB385_26
.LBB385_21:                             ;   Parent Loop BB385_5 Depth=1
                                        ; =>  This Inner Loop Header: Depth=2
	s_and_saveexec_b32 s9, s1
	s_cbranch_execz .LBB385_20
; %bb.22:                               ;   in Loop: Header=BB385_21 Depth=2
	v_add_nc_u64_e32 v[46:47], s[10:11], v[24:25]
	v_add_nc_u64_e32 v[64:65], s[10:11], v[36:37]
	v_add_nc_u64_e32 v[66:67], s[10:11], v[34:35]
	v_add_nc_u64_e32 v[68:69], s[10:11], v[28:29]
	v_add_nc_u64_e32 v[40:41], v[30:31], v[14:15]
	v_add_nc_u64_e32 v[42:43], v[38:39], v[14:15]
	v_add_nc_u64_e32 v[44:45], v[32:33], v[14:15]
	global_load_u16 v55, v[46:47], off
	s_wait_xcnt 0x0
	v_add_nc_u64_e32 v[46:47], v[26:27], v[14:15]
	global_load_u16 v56, v[64:65], off
	global_load_u16 v57, v[66:67], off
	;; [unrolled: 1-line block ×7, first 2 shown]
	s_wait_xcnt 0x0
	s_and_saveexec_b32 s52, s3
	s_cbranch_execz .LBB385_19
; %bb.23:                               ;   in Loop: Header=BB385_21 Depth=2
	global_load_u16 v63, v[40:41], off offset:128
	global_load_u16 v64, v[42:43], off offset:128
	;; [unrolled: 1-line block ×4, first 2 shown]
	s_wait_loadcnt 0xb
	v_cvt_f32_f16_e32 v67, v55
	s_wait_loadcnt 0xa
	v_cvt_f32_f16_e32 v68, v56
	;; [unrolled: 2-line block ×4, first 2 shown]
	s_wait_xcnt 0x0
	s_and_saveexec_b32 s53, s4
	s_cbranch_execz .LBB385_18
; %bb.24:                               ;   in Loop: Header=BB385_21 Depth=2
	global_load_u16 v71, v[40:41], off offset:256
	global_load_u16 v72, v[42:43], off offset:256
	;; [unrolled: 1-line block ×4, first 2 shown]
	s_wait_xcnt 0x0
	s_and_saveexec_b32 s54, s5
	s_cbranch_execz .LBB385_17
; %bb.25:                               ;   in Loop: Header=BB385_21 Depth=2
	global_load_u16 v40, v[40:41], off offset:384
	global_load_u16 v41, v[42:43], off offset:384
	;; [unrolled: 1-line block ×4, first 2 shown]
	s_wait_loadcnt 0x3
	v_fma_mix_f32 v40, v67, v40, v54 op_sel_hi:[0,1,0]
	s_wait_loadcnt 0x2
	s_delay_alu instid0(VALU_DEP_1) | instskip(SKIP_1) | instid1(VALU_DEP_1)
	v_fma_mix_f32 v40, v68, v41, v40 op_sel_hi:[0,1,0]
	s_wait_loadcnt 0x1
	v_fma_mix_f32 v40, v69, v42, v40 op_sel_hi:[0,1,0]
	s_wait_loadcnt 0x0
	s_delay_alu instid0(VALU_DEP_1)
	v_fma_mix_f32 v54, v70, v43, v40 op_sel_hi:[0,1,0]
	s_branch .LBB385_17
.LBB385_26:                             ;   in Loop: Header=BB385_5 Depth=1
	s_or_b32 exec_lo, exec_lo, s8
.LBB385_27:                             ;   in Loop: Header=BB385_5 Depth=1
	s_delay_alu instid0(SALU_CYCLE_1) | instskip(NEXT) | instid1(SALU_CYCLE_1)
	s_or_b32 exec_lo, exec_lo, s7
	s_and_not1_b32 vcc_lo, exec_lo, s36
	s_cbranch_vccnz .LBB385_45
; %bb.28:                               ;   in Loop: Header=BB385_5 Depth=1
	v_cmp_gt_i32_e32 vcc_lo, s37, v0
	v_dual_mov_b32 v32, 0 :: v_dual_bitop2_b32 v24, 1, v0 bitop3:0x54
	v_dual_mov_b32 v33, 0 :: v_dual_mov_b32 v34, 0
	v_mov_b32_e32 v35, 0
	s_and_saveexec_b32 s52, vcc_lo
	s_cbranch_execz .LBB385_36
; %bb.29:                               ;   in Loop: Header=BB385_5 Depth=1
	v_mul_u64_e32 v[26:27], s[20:21], v[0:1]
	s_mul_u64 s[8:9], s[22:23], s[34:35]
	v_dual_mov_b32 v34, 0 :: v_dual_mov_b32 v33, 0
	s_lshl_b64 s[8:9], s[8:9], 1
	v_mov_b32_e32 v32, 0
	s_add_nc_u64 s[8:9], s[26:27], s[8:9]
	s_mov_b32 s53, exec_lo
	s_delay_alu instid0(VALU_DEP_3)
	v_lshl_add_u64 v[26:27], v[26:27], 1, s[8:9]
	global_load_u16 v28, v[26:27], off
	s_wait_xcnt 0x0
	v_cmpx_gt_i32_e64 s37, v24
	s_cbranch_execz .LBB385_35
; %bb.30:                               ;   in Loop: Header=BB385_5 Depth=1
	v_dual_mov_b32 v25, v1 :: v_dual_mov_b32 v33, 0
	v_mov_b32_e32 v32, 0
	s_mov_b32 s54, exec_lo
	s_delay_alu instid0(VALU_DEP_2) | instskip(NEXT) | instid1(VALU_DEP_1)
	v_mul_u64_e32 v[26:27], s[20:21], v[24:25]
	v_lshl_add_u64 v[26:27], v[26:27], 1, s[8:9]
	global_load_u16 v25, v[26:27], off
	s_wait_xcnt 0x0
	v_or_b32_e32 v26, 2, v0
	s_delay_alu instid0(VALU_DEP_1)
	v_cmpx_gt_i32_e64 s37, v26
	s_cbranch_execz .LBB385_34
; %bb.31:                               ;   in Loop: Header=BB385_5 Depth=1
	v_dual_mov_b32 v27, v1 :: v_dual_mov_b32 v32, 0
	s_mov_b32 s55, exec_lo
	s_delay_alu instid0(VALU_DEP_1) | instskip(NEXT) | instid1(VALU_DEP_1)
	v_mul_u64_e32 v[26:27], s[20:21], v[26:27]
	v_lshl_add_u64 v[26:27], v[26:27], 1, s[8:9]
	global_load_u16 v29, v[26:27], off
	s_wait_xcnt 0x0
	v_or_b32_e32 v26, 3, v0
	s_delay_alu instid0(VALU_DEP_1)
	v_cmpx_gt_i32_e64 s37, v26
	s_cbranch_execz .LBB385_33
; %bb.32:                               ;   in Loop: Header=BB385_5 Depth=1
	v_mov_b32_e32 v27, v1
	s_delay_alu instid0(VALU_DEP_1) | instskip(NEXT) | instid1(VALU_DEP_1)
	v_mul_u64_e32 v[26:27], s[20:21], v[26:27]
	v_lshl_add_u64 v[26:27], v[26:27], 1, s[8:9]
	global_load_u16 v26, v[26:27], off
	s_wait_loadcnt 0x0
	v_cvt_f32_f16_e32 v32, v26
.LBB385_33:                             ;   in Loop: Header=BB385_5 Depth=1
	s_wait_xcnt 0x0
	s_or_b32 exec_lo, exec_lo, s55
	s_wait_loadcnt 0x0
	v_cvt_f32_f16_e32 v33, v29
.LBB385_34:                             ;   in Loop: Header=BB385_5 Depth=1
	s_or_b32 exec_lo, exec_lo, s54
	s_wait_loadcnt 0x0
	v_cvt_f32_f16_e32 v34, v25
.LBB385_35:                             ;   in Loop: Header=BB385_5 Depth=1
	s_or_b32 exec_lo, exec_lo, s53
	s_wait_loadcnt 0x0
	v_cvt_f32_f16_e32 v35, v28
.LBB385_36:                             ;   in Loop: Header=BB385_5 Depth=1
	s_or_b32 exec_lo, exec_lo, s52
	s_and_saveexec_b32 s52, s1
	s_cbranch_execz .LBB385_44
; %bb.37:                               ;   in Loop: Header=BB385_5 Depth=1
	v_dual_mov_b32 v25, v1 :: v_dual_bitop2_b32 v26, 2, v0 bitop3:0x54
	v_mov_b32_e32 v27, v1
	v_mul_u64_e32 v[28:29], s[12:13], v[0:1]
	v_or_b32_e32 v0, 3, v0
	s_delay_alu instid0(VALU_DEP_4)
	v_mul_u64_e32 v[30:31], s[12:13], v[24:25]
	s_mul_u64 s[8:9], s[14:15], s[34:35]
	v_mul_u64_e32 v[36:37], s[12:13], v[26:27]
	v_cmp_gt_i32_e64 s7, s37, v24
	v_mul_u64_e32 v[38:39], s[12:13], v[0:1]
	s_lshl_b64 s[54:55], s[8:9], 1
	v_cmp_gt_i32_e64 s8, s37, v26
	v_cmp_gt_i32_e64 s9, s37, v0
	v_dual_cndmask_b32 v25, 0, v29 :: v_dual_cndmask_b32 v24, 0, v28
	v_dual_cndmask_b32 v27, 0, v31, s7 :: v_dual_cndmask_b32 v26, 0, v30, s7
	s_delay_alu instid0(VALU_DEP_4) | instskip(NEXT) | instid1(VALU_DEP_4)
	v_dual_cndmask_b32 v29, 0, v37, s8 :: v_dual_cndmask_b32 v28, 0, v36, s8
	v_dual_cndmask_b32 v31, 0, v39, s9 :: v_dual_cndmask_b32 v30, 0, v38, s9
	s_add_nc_u64 s[8:9], s[18:19], s[54:55]
	s_delay_alu instid0(SALU_CYCLE_1) | instskip(SKIP_3) | instid1(VALU_DEP_4)
	v_lshl_add_u64 v[24:25], v[24:25], 1, s[8:9]
	v_lshl_add_u64 v[26:27], v[26:27], 1, s[8:9]
	;; [unrolled: 1-line block ×4, first 2 shown]
	v_add_nc_u64_e32 v[28:29], v[24:25], v[14:15]
	s_delay_alu instid0(VALU_DEP_4) | instskip(NEXT) | instid1(VALU_DEP_4)
	v_add_nc_u64_e32 v[24:25], v[26:27], v[14:15]
	v_add_nc_u64_e32 v[26:27], v[36:37], v[14:15]
	s_delay_alu instid0(VALU_DEP_4)
	v_add_nc_u64_e32 v[30:31], v[30:31], v[14:15]
	s_clause 0x3
	global_load_u16 v0, v[28:29], off
	global_load_u16 v36, v[24:25], off
	global_load_u16 v37, v[26:27], off
	global_load_u16 v38, v[30:31], off
	s_wait_xcnt 0x0
	s_and_saveexec_b32 s7, s3
	s_cbranch_execz .LBB385_43
; %bb.38:                               ;   in Loop: Header=BB385_5 Depth=1
	s_clause 0x3
	global_load_u16 v39, v[28:29], off offset:128
	global_load_u16 v40, v[24:25], off offset:128
	global_load_u16 v41, v[26:27], off offset:128
	global_load_u16 v42, v[30:31], off offset:128
	s_wait_xcnt 0x0
	s_and_saveexec_b32 s8, s4
	s_cbranch_execz .LBB385_42
; %bb.39:                               ;   in Loop: Header=BB385_5 Depth=1
	s_clause 0x3
	global_load_u16 v43, v[28:29], off offset:256
	global_load_u16 v44, v[24:25], off offset:256
	global_load_u16 v45, v[26:27], off offset:256
	global_load_u16 v46, v[30:31], off offset:256
	;; [unrolled: 9-line block ×3, first 2 shown]
	s_wait_loadcnt 0x3
	s_wait_xcnt 0x2
	v_fma_mix_f32 v24, v35, v47, v54 op_sel_hi:[0,1,0]
	s_wait_loadcnt 0x2
	s_delay_alu instid0(VALU_DEP_1) | instskip(SKIP_1) | instid1(VALU_DEP_1)
	v_fma_mix_f32 v24, v34, v55, v24 op_sel_hi:[0,1,0]
	s_wait_loadcnt 0x1
	v_fma_mix_f32 v24, v33, v56, v24 op_sel_hi:[0,1,0]
	s_wait_loadcnt 0x0
	s_delay_alu instid0(VALU_DEP_1)
	v_fma_mix_f32 v54, v32, v57, v24 op_sel_hi:[0,1,0]
.LBB385_41:                             ;   in Loop: Header=BB385_5 Depth=1
	s_wait_xcnt 0x0
	s_or_b32 exec_lo, exec_lo, s9
	s_wait_loadcnt 0x3
	v_fma_mix_f32 v24, v35, v43, v53 op_sel_hi:[0,1,0]
	s_wait_loadcnt 0x2
	s_delay_alu instid0(VALU_DEP_1) | instskip(SKIP_1) | instid1(VALU_DEP_1)
	v_fma_mix_f32 v24, v34, v44, v24 op_sel_hi:[0,1,0]
	s_wait_loadcnt 0x1
	v_fma_mix_f32 v24, v33, v45, v24 op_sel_hi:[0,1,0]
	s_wait_loadcnt 0x0
	s_delay_alu instid0(VALU_DEP_1)
	v_fma_mix_f32 v53, v32, v46, v24 op_sel_hi:[0,1,0]
.LBB385_42:                             ;   in Loop: Header=BB385_5 Depth=1
	s_or_b32 exec_lo, exec_lo, s8
	s_wait_loadcnt 0x3
	v_fma_mix_f32 v24, v35, v39, v52 op_sel_hi:[0,1,0]
	s_wait_loadcnt 0x2
	s_delay_alu instid0(VALU_DEP_1) | instskip(SKIP_1) | instid1(VALU_DEP_1)
	v_fma_mix_f32 v24, v34, v40, v24 op_sel_hi:[0,1,0]
	s_wait_loadcnt 0x1
	v_fma_mix_f32 v24, v33, v41, v24 op_sel_hi:[0,1,0]
	s_wait_loadcnt 0x0
	s_delay_alu instid0(VALU_DEP_1)
	v_fma_mix_f32 v52, v32, v42, v24 op_sel_hi:[0,1,0]
.LBB385_43:                             ;   in Loop: Header=BB385_5 Depth=1
	s_or_b32 exec_lo, exec_lo, s7
	s_wait_loadcnt 0x3
	v_fma_mix_f32 v0, v35, v0, v51 op_sel_hi:[0,1,0]
	s_wait_loadcnt 0x2
	s_delay_alu instid0(VALU_DEP_1) | instskip(SKIP_1) | instid1(VALU_DEP_1)
	v_fma_mix_f32 v0, v34, v36, v0 op_sel_hi:[0,1,0]
	s_wait_loadcnt 0x1
	v_fma_mix_f32 v0, v33, v37, v0 op_sel_hi:[0,1,0]
	s_wait_loadcnt 0x0
	s_delay_alu instid0(VALU_DEP_1)
	v_fma_mix_f32 v51, v32, v38, v0 op_sel_hi:[0,1,0]
.LBB385_44:                             ;   in Loop: Header=BB385_5 Depth=1
	s_or_b32 exec_lo, exec_lo, s52
.LBB385_45:                             ;   in Loop: Header=BB385_5 Depth=1
	ds_store_2addr_stride64_b32 v49, v51, v52 offset1:1
	ds_store_2addr_stride64_b32 v49, v53, v54 offset0:2 offset1:3
	s_wait_dscnt 0x0
	s_barrier_signal -1
	s_barrier_wait -1
                                        ; implicit-def: $vgpr0
	s_and_saveexec_b32 s7, s0
	s_cbranch_execz .LBB385_51
; %bb.46:                               ;   in Loop: Header=BB385_5 Depth=1
	ds_load_2addr_stride64_b32 v[24:25], v50 offset1:4
	ds_load_2addr_stride64_b32 v[26:27], v50 offset0:8 offset1:12
	s_mov_b32 s9, s51
	s_wait_dscnt 0x1
	v_add_f32_e32 v0, v24, v25
	s_wait_dscnt 0x0
	s_delay_alu instid0(VALU_DEP_1) | instskip(NEXT) | instid1(VALU_DEP_1)
	v_add_f32_e32 v0, v26, v0
	v_add_f32_e32 v24, v27, v0
                                        ; implicit-def: $vgpr0
	ds_store_b32 v50, v24
	s_and_saveexec_b32 s8, s2
	s_cbranch_execz .LBB385_50
; %bb.47:                               ;   in Loop: Header=BB385_5 Depth=1
	v_mul_f32_e32 v0, s38, v24
	s_and_not1_b32 vcc_lo, exec_lo, s48
	s_cbranch_vccnz .LBB385_49
; %bb.48:                               ;   in Loop: Header=BB385_5 Depth=1
	v_lshl_add_u64 v[24:25], v[6:7], 1, s[44:45]
	global_load_u16 v24, v[24:25], off
	s_wait_loadcnt 0x0
	v_fma_mix_f32 v0, s39, v24, v0 op_sel_hi:[0,1,0]
.LBB385_49:                             ;   in Loop: Header=BB385_5 Depth=1
	s_delay_alu instid0(VALU_DEP_1)
	v_cvt_f16_f32_e32 v0, v0
	s_or_b32 s9, s51, exec_lo
.LBB385_50:                             ;   in Loop: Header=BB385_5 Depth=1
	s_wait_xcnt 0x0
	s_or_b32 exec_lo, exec_lo, s8
	s_delay_alu instid0(SALU_CYCLE_1) | instskip(SKIP_1) | instid1(SALU_CYCLE_1)
	s_and_not1_b32 s8, s51, exec_lo
	s_and_b32 s9, s9, exec_lo
	s_or_b32 s51, s8, s9
.LBB385_51:                             ;   in Loop: Header=BB385_5 Depth=1
	s_or_b32 exec_lo, exec_lo, s7
	v_mov_b64_e32 v[24:25], v[6:7]
	s_and_saveexec_b32 s7, s51
	s_cbranch_execz .LBB385_3
.LBB385_52:                             ;   in Loop: Header=BB385_5 Depth=1
	s_delay_alu instid0(VALU_DEP_1)
	v_lshl_add_u64 v[24:25], v[24:25], 1, s[44:45]
	global_store_b16 v[24:25], v0, off
	s_branch .LBB385_3
.LBB385_53:
	s_sendmsg sendmsg(MSG_DEALLOC_VGPRS)
	s_endpgm
	.section	.rodata,"a",@progbits
	.p2align	6, 0x0
	.amdhsa_kernel _ZL20rocblas_gemvn_kernelILi64ELi4ElDF16_fDF16_EviiT3_lPKT2_lT1_lS3_lS4_lS0_lPT4_lS4_li
		.amdhsa_group_segment_fixed_size 4096
		.amdhsa_private_segment_fixed_size 0
		.amdhsa_kernarg_size 400
		.amdhsa_user_sgpr_count 2
		.amdhsa_user_sgpr_dispatch_ptr 0
		.amdhsa_user_sgpr_queue_ptr 0
		.amdhsa_user_sgpr_kernarg_segment_ptr 1
		.amdhsa_user_sgpr_dispatch_id 0
		.amdhsa_user_sgpr_kernarg_preload_length 0
		.amdhsa_user_sgpr_kernarg_preload_offset 0
		.amdhsa_user_sgpr_private_segment_size 0
		.amdhsa_wavefront_size32 1
		.amdhsa_uses_dynamic_stack 0
		.amdhsa_enable_private_segment 0
		.amdhsa_system_sgpr_workgroup_id_x 1
		.amdhsa_system_sgpr_workgroup_id_y 0
		.amdhsa_system_sgpr_workgroup_id_z 1
		.amdhsa_system_sgpr_workgroup_info 0
		.amdhsa_system_vgpr_workitem_id 1
		.amdhsa_next_free_vgpr 75
		.amdhsa_next_free_sgpr 56
		.amdhsa_named_barrier_count 0
		.amdhsa_reserve_vcc 1
		.amdhsa_float_round_mode_32 0
		.amdhsa_float_round_mode_16_64 0
		.amdhsa_float_denorm_mode_32 3
		.amdhsa_float_denorm_mode_16_64 3
		.amdhsa_fp16_overflow 0
		.amdhsa_memory_ordered 1
		.amdhsa_forward_progress 1
		.amdhsa_inst_pref_size 23
		.amdhsa_round_robin_scheduling 0
		.amdhsa_exception_fp_ieee_invalid_op 0
		.amdhsa_exception_fp_denorm_src 0
		.amdhsa_exception_fp_ieee_div_zero 0
		.amdhsa_exception_fp_ieee_overflow 0
		.amdhsa_exception_fp_ieee_underflow 0
		.amdhsa_exception_fp_ieee_inexact 0
		.amdhsa_exception_int_div_zero 0
	.end_amdhsa_kernel
	.section	.text._ZL20rocblas_gemvn_kernelILi64ELi4ElDF16_fDF16_EviiT3_lPKT2_lT1_lS3_lS4_lS0_lPT4_lS4_li,"axG",@progbits,_ZL20rocblas_gemvn_kernelILi64ELi4ElDF16_fDF16_EviiT3_lPKT2_lT1_lS3_lS4_lS0_lPT4_lS4_li,comdat
.Lfunc_end385:
	.size	_ZL20rocblas_gemvn_kernelILi64ELi4ElDF16_fDF16_EviiT3_lPKT2_lT1_lS3_lS4_lS0_lPT4_lS4_li, .Lfunc_end385-_ZL20rocblas_gemvn_kernelILi64ELi4ElDF16_fDF16_EviiT3_lPKT2_lT1_lS3_lS4_lS0_lPT4_lS4_li
                                        ; -- End function
	.set _ZL20rocblas_gemvn_kernelILi64ELi4ElDF16_fDF16_EviiT3_lPKT2_lT1_lS3_lS4_lS0_lPT4_lS4_li.num_vgpr, 75
	.set _ZL20rocblas_gemvn_kernelILi64ELi4ElDF16_fDF16_EviiT3_lPKT2_lT1_lS3_lS4_lS0_lPT4_lS4_li.num_agpr, 0
	.set _ZL20rocblas_gemvn_kernelILi64ELi4ElDF16_fDF16_EviiT3_lPKT2_lT1_lS3_lS4_lS0_lPT4_lS4_li.numbered_sgpr, 56
	.set _ZL20rocblas_gemvn_kernelILi64ELi4ElDF16_fDF16_EviiT3_lPKT2_lT1_lS3_lS4_lS0_lPT4_lS4_li.num_named_barrier, 0
	.set _ZL20rocblas_gemvn_kernelILi64ELi4ElDF16_fDF16_EviiT3_lPKT2_lT1_lS3_lS4_lS0_lPT4_lS4_li.private_seg_size, 0
	.set _ZL20rocblas_gemvn_kernelILi64ELi4ElDF16_fDF16_EviiT3_lPKT2_lT1_lS3_lS4_lS0_lPT4_lS4_li.uses_vcc, 1
	.set _ZL20rocblas_gemvn_kernelILi64ELi4ElDF16_fDF16_EviiT3_lPKT2_lT1_lS3_lS4_lS0_lPT4_lS4_li.uses_flat_scratch, 0
	.set _ZL20rocblas_gemvn_kernelILi64ELi4ElDF16_fDF16_EviiT3_lPKT2_lT1_lS3_lS4_lS0_lPT4_lS4_li.has_dyn_sized_stack, 0
	.set _ZL20rocblas_gemvn_kernelILi64ELi4ElDF16_fDF16_EviiT3_lPKT2_lT1_lS3_lS4_lS0_lPT4_lS4_li.has_recursion, 0
	.set _ZL20rocblas_gemvn_kernelILi64ELi4ElDF16_fDF16_EviiT3_lPKT2_lT1_lS3_lS4_lS0_lPT4_lS4_li.has_indirect_call, 0
	.section	.AMDGPU.csdata,"",@progbits
; Kernel info:
; codeLenInByte = 2852
; TotalNumSgprs: 58
; NumVgprs: 75
; ScratchSize: 0
; MemoryBound: 0
; FloatMode: 240
; IeeeMode: 1
; LDSByteSize: 4096 bytes/workgroup (compile time only)
; SGPRBlocks: 0
; VGPRBlocks: 4
; NumSGPRsForWavesPerEU: 58
; NumVGPRsForWavesPerEU: 75
; NamedBarCnt: 0
; Occupancy: 12
; WaveLimiterHint : 1
; COMPUTE_PGM_RSRC2:SCRATCH_EN: 0
; COMPUTE_PGM_RSRC2:USER_SGPR: 2
; COMPUTE_PGM_RSRC2:TRAP_HANDLER: 0
; COMPUTE_PGM_RSRC2:TGID_X_EN: 1
; COMPUTE_PGM_RSRC2:TGID_Y_EN: 0
; COMPUTE_PGM_RSRC2:TGID_Z_EN: 1
; COMPUTE_PGM_RSRC2:TIDIG_COMP_CNT: 1
	.section	.text._ZL20rocblas_gemvn_kernelILi32ELi16EiDF16_PKfDF16_EviiT3_lPKT2_lT1_lS5_lS6_lS2_lPT4_lS6_li,"axG",@progbits,_ZL20rocblas_gemvn_kernelILi32ELi16EiDF16_PKfDF16_EviiT3_lPKT2_lT1_lS5_lS6_lS2_lPT4_lS6_li,comdat
	.globl	_ZL20rocblas_gemvn_kernelILi32ELi16EiDF16_PKfDF16_EviiT3_lPKT2_lT1_lS5_lS6_lS2_lPT4_lS6_li ; -- Begin function _ZL20rocblas_gemvn_kernelILi32ELi16EiDF16_PKfDF16_EviiT3_lPKT2_lT1_lS5_lS6_lS2_lPT4_lS6_li
	.p2align	8
	.type	_ZL20rocblas_gemvn_kernelILi32ELi16EiDF16_PKfDF16_EviiT3_lPKT2_lT1_lS5_lS6_lS2_lPT4_lS6_li,@function
_ZL20rocblas_gemvn_kernelILi32ELi16EiDF16_PKfDF16_EviiT3_lPKT2_lT1_lS5_lS6_lS2_lPT4_lS6_li: ; @_ZL20rocblas_gemvn_kernelILi32ELi16EiDF16_PKfDF16_EviiT3_lPKT2_lT1_lS5_lS6_lS2_lPT4_lS6_li
; %bb.0:
	s_load_b64 s[2:3], s[0:1], 0x9c
	s_wait_kmcnt 0x0
	s_lshr_b32 s4, s2, 16
	s_and_b32 s2, s2, 0xffff
	s_and_b32 s3, s3, 0xffff
	s_mul_i32 s2, s4, s2
	s_delay_alu instid0(SALU_CYCLE_1) | instskip(NEXT) | instid1(SALU_CYCLE_1)
	s_mul_i32 s2, s2, s3
	s_cmp_lg_u32 s2, 0x200
	s_cbranch_scc1 .LBB386_53
; %bb.1:
	s_load_b32 s31, s[0:1], 0x88
	s_bfe_u32 s2, ttmp6, 0x40014
	s_lshr_b32 s3, ttmp7, 16
	s_add_co_i32 s2, s2, 1
	s_bfe_u32 s5, ttmp6, 0x40008
	s_mul_i32 s4, s3, s2
	s_getreg_b32 s2, hwreg(HW_REG_IB_STS2, 6, 4)
	s_add_co_i32 s5, s5, s4
	s_cmp_eq_u32 s2, 0
	s_mov_b32 s35, 0
	s_cselect_b32 s34, s3, s5
	s_wait_kmcnt 0x0
	s_cmp_ge_u32 s34, s31
	s_cbranch_scc1 .LBB386_53
; %bb.2:
	s_clause 0x7
	s_load_b256 s[8:15], s[0:1], 0x8
	s_load_b96 s[28:30], s[0:1], 0x40
	s_load_b96 s[4:6], s[0:1], 0x70
	s_load_b64 s[36:37], s[0:1], 0x0
	s_load_b32 s33, s[0:1], 0x28
	s_load_b128 s[24:27], s[0:1], 0x30
	s_load_b256 s[16:23], s[0:1], 0x50
	s_load_b64 s[38:39], s[0:1], 0x80
	s_wait_xcnt 0x0
	s_bfe_u32 s0, ttmp6, 0x4000c
	v_and_b32_e32 v6, 0x3ff, v0
	s_add_co_i32 s0, s0, 1
	v_bfe_u32 v5, v0, 10, 10
	s_and_b32 s1, ttmp6, 15
	s_mul_i32 s0, ttmp9, s0
	s_delay_alu instid0(SALU_CYCLE_1) | instskip(NEXT) | instid1(VALU_DEP_1)
	s_add_co_i32 s7, s1, s0
	v_lshl_add_u32 v4, v5, 5, v6
	v_lshlrev_b32_e32 v17, 2, v5
	s_wait_kmcnt 0x0
	s_lshl_b64 s[0:1], s[14:15], 1
	s_lshl_b64 s[14:15], s[28:29], 1
	s_lshl_b64 s[4:5], s[4:5], 1
	s_ashr_i32 s3, s6, 31
	s_cmp_eq_u32 s2, 0
	s_mov_b32 s2, s6
	s_cselect_b32 s7, ttmp9, s7
	s_mov_b32 s28, s36
	s_lshl_b32 s42, s7, 7
	s_delay_alu instid0(SALU_CYCLE_1)
	v_dual_mov_b32 v1, 0 :: v_dual_add_nc_u32 v0, s42, v4
	v_add_nc_u32_e32 v16, s42, v6
	s_ashr_i32 s29, s36, 31
	s_add_nc_u64 s[12:13], s[12:13], s[0:1]
	s_ashr_i32 s0, s37, 31
	v_cmp_gt_i64_e32 vcc_lo, s[28:29], v[0:1]
	v_mul_u64_e32 v[2:3], s[2:3], v[0:1]
	v_dual_add_nc_u32 v0, 32, v16 :: v_dual_add_nc_u32 v7, 64, v16
	s_lshr_b32 s0, s0, 26
	v_lshlrev_b32_e32 v9, 2, v6
	s_add_co_i32 s43, s37, s0
	s_add_nc_u64 s[22:23], s[22:23], s[4:5]
	v_cmp_gt_i32_e64 s3, s36, v7
	v_or_b32_e32 v7, s42, v4
	s_and_not1_b32 s43, s43, 63
	v_add_nc_u32_e32 v8, 0x60, v16
	s_sub_co_i32 s5, s37, s43
	v_or_b32_e32 v11, 3, v17
	s_cmp_gt_i32 s5, 0
	v_cmp_gt_u32_e64 s5, 0x80, v4
	v_mul_lo_u32 v4, s6, v7
	v_cmp_gt_i32_e64 s4, s36, v8
	v_mul_lo_u32 v8, s33, v17
	v_or_b32_e32 v10, 2, v17
	v_mul_lo_u32 v12, v5, s33
	v_mul_lo_u32 v13, v5, s30
	v_cmp_gt_i32_e64 s2, s36, v0
	v_lshl_add_u32 v0, v5, 9, v9
	v_lshl_add_u32 v18, v5, 7, v9
	v_mad_u32 v20, s33, v11, v6
	v_mad_u32 v21, s30, v17, s30
	v_mul_lo_u32 v23, s30, v11
	v_ashrrev_i32_e32 v5, 31, v4
	v_mad_u32 v19, s33, v10, v6
	v_mul_lo_u32 v22, s30, v10
	v_cmp_gt_i32_e64 s0, s43, v17
	v_cmp_gt_i32_e64 s1, s36, v16
	;; [unrolled: 1-line block ×3, first 2 shown]
	v_add3_u32 v24, v8, s33, v6
	v_lshl_add_u32 v25, v12, 2, v6
	v_lshlrev_b32_e32 v26, 2, v13
	s_add_nc_u64 s[14:15], s[26:27], s[14:15]
	s_cselect_b32 s36, -1, 0
	s_and_b32 s44, s5, vcc_lo
	s_lshl_b32 s45, s33, 6
	s_lshl_b32 s46, s30, 6
	s_branch .LBB386_5
.LBB386_3:                              ;   in Loop: Header=BB386_5 Depth=1
	s_wait_xcnt 0x0
	s_or_b32 exec_lo, exec_lo, s7
.LBB386_4:                              ;   in Loop: Header=BB386_5 Depth=1
	s_add_co_i32 s34, s34, 0x10000
	s_delay_alu instid0(SALU_CYCLE_1)
	s_cmp_lt_u32 s34, s31
	s_cbranch_scc0 .LBB386_53
.LBB386_5:                              ; =>This Loop Header: Depth=1
                                        ;     Child Loop BB386_21 Depth 2
	s_wait_xcnt 0x1
	s_mul_u64 s[26:27], s[10:11], s[34:35]
	s_wait_xcnt 0x0
	s_mul_u64 s[28:29], s[20:21], s[34:35]
	s_lshl_b64 s[26:27], s[26:27], 2
	s_lshl_b64 s[28:29], s[28:29], 2
	s_add_nc_u64 s[26:27], s[8:9], s[26:27]
	s_add_nc_u64 s[28:29], s[18:19], s[28:29]
	s_clause 0x1
	global_load_b32 v27, v1, s[26:27]
	global_load_b32 v6, v1, s[28:29]
	s_wait_loadcnt 0x1
	v_cmp_eq_f32_e32 vcc_lo, 0, v27
	s_wait_loadcnt 0x0
	v_cmp_eq_f32_e64 s7, 1.0, v6
	v_readfirstlane_b32 s48, v6
	s_and_b32 s7, vcc_lo, s7
	s_delay_alu instid0(SALU_CYCLE_1)
	s_and_b32 vcc_lo, exec_lo, s7
	s_cbranch_vccnz .LBB386_4
; %bb.6:                                ;   in Loop: Header=BB386_5 Depth=1
	v_cmp_neq_f32_e32 vcc_lo, 0, v27
	s_wait_xcnt 0x1
	s_mul_u64 s[26:27], s[38:39], s[34:35]
	s_delay_alu instid0(SALU_CYCLE_1) | instskip(NEXT) | instid1(SALU_CYCLE_1)
	s_lshl_b64 s[26:27], s[26:27], 1
	s_add_nc_u64 s[26:27], s[22:23], s[26:27]
	s_cbranch_vccnz .LBB386_10
; %bb.7:                                ;   in Loop: Header=BB386_5 Depth=1
	s_mov_b32 s7, 0
	s_mov_b32 s47, 0
                                        ; implicit-def: $vgpr8
	s_wait_xcnt 0x0
	s_and_saveexec_b32 s28, s44
	s_cbranch_execz .LBB386_11
; %bb.8:                                ;   in Loop: Header=BB386_5 Depth=1
	s_cmp_eq_f32 s48, 0
	s_cbranch_scc1 .LBB386_13
; %bb.9:                                ;   in Loop: Header=BB386_5 Depth=1
	v_lshl_add_u64 v[6:7], v[2:3], 1, s[26:27]
	global_load_u16 v6, v[6:7], off
	s_wait_loadcnt 0x0
	v_fma_mixlo_f16 v8, s48, v6, 0 op_sel_hi:[0,1,0]
	s_branch .LBB386_14
.LBB386_10:                             ;   in Loop: Header=BB386_5 Depth=1
	s_mov_b32 s47, 0
                                        ; implicit-def: $vgpr8
	s_cbranch_execz .LBB386_12
	s_branch .LBB386_15
.LBB386_11:                             ;   in Loop: Header=BB386_5 Depth=1
	s_or_b32 exec_lo, exec_lo, s28
	s_delay_alu instid0(SALU_CYCLE_1)
	s_and_b32 vcc_lo, exec_lo, s7
	s_cbranch_vccnz .LBB386_15
.LBB386_12:                             ;   in Loop: Header=BB386_5 Depth=1
	v_mov_b64_e32 v[6:7], v[2:3]
	s_wait_xcnt 0x0
	s_and_saveexec_b32 s7, s47
	s_cbranch_execz .LBB386_3
	s_branch .LBB386_52
.LBB386_13:                             ;   in Loop: Header=BB386_5 Depth=1
	v_mov_b32_e32 v8, 0
.LBB386_14:                             ;   in Loop: Header=BB386_5 Depth=1
	s_mov_b32 s47, exec_lo
	s_wait_xcnt 0x0
	s_or_b32 exec_lo, exec_lo, s28
	s_delay_alu instid0(SALU_CYCLE_1)
	s_and_b32 vcc_lo, exec_lo, s7
	s_cbranch_vccz .LBB386_12
.LBB386_15:                             ;   in Loop: Header=BB386_5 Depth=1
	s_wait_xcnt 0x0
	s_mul_u64 s[28:29], s[24:25], s[34:35]
	s_mul_u64 s[40:41], s[16:17], s[34:35]
	v_dual_mov_b32 v28, 0 :: v_dual_mov_b32 v32, v17
	v_dual_mov_b32 v29, 0 :: v_dual_mov_b32 v30, 0
	v_mov_b32_e32 v31, 0
	s_lshl_b64 s[28:29], s[28:29], 1
	s_lshl_b64 s[40:41], s[40:41], 1
	s_add_nc_u64 s[28:29], s[12:13], s[28:29]
	s_add_nc_u64 s[40:41], s[14:15], s[40:41]
	s_and_saveexec_b32 s7, s0
	s_cbranch_execz .LBB386_27
; %bb.16:                               ;   in Loop: Header=BB386_5 Depth=1
	v_dual_mov_b32 v28, 0 :: v_dual_mov_b32 v33, v25
	v_dual_mov_b32 v34, v20 :: v_dual_mov_b32 v35, v19
	;; [unrolled: 1-line block ×4, first 2 shown]
	v_mov_b32_e32 v31, 0
	s_mov_b32 s49, 0
	s_mov_b32 s50, 0
	s_branch .LBB386_21
.LBB386_17:                             ;   in Loop: Header=BB386_21 Depth=2
	s_wait_xcnt 0x0
	s_or_b32 exec_lo, exec_lo, s54
	s_wait_loadcnt 0x3
	v_fma_mix_f32 v6, v47, v51, v30 op_sel_hi:[0,1,0]
	s_wait_loadcnt 0x2
	s_delay_alu instid0(VALU_DEP_1) | instskip(SKIP_1) | instid1(VALU_DEP_1)
	v_fma_mix_f32 v6, v48, v52, v6 op_sel_hi:[0,1,0]
	s_wait_loadcnt 0x1
	v_fma_mix_f32 v6, v49, v53, v6 op_sel_hi:[0,1,0]
	s_wait_loadcnt 0x0
	s_delay_alu instid0(VALU_DEP_1)
	v_fma_mix_f32 v30, v50, v54, v6 op_sel_hi:[0,1,0]
.LBB386_18:                             ;   in Loop: Header=BB386_21 Depth=2
	s_or_b32 exec_lo, exec_lo, s53
	s_wait_loadcnt 0x3
	v_fma_mix_f32 v6, v47, v12, v29 op_sel_hi:[0,1,0]
	s_wait_loadcnt 0x2
	s_delay_alu instid0(VALU_DEP_1) | instskip(SKIP_1) | instid1(VALU_DEP_1)
	v_fma_mix_f32 v6, v48, v13, v6 op_sel_hi:[0,1,0]
	s_wait_loadcnt 0x1
	v_fma_mix_f32 v6, v49, v45, v6 op_sel_hi:[0,1,0]
	s_wait_loadcnt 0x0
	s_delay_alu instid0(VALU_DEP_1)
	v_fma_mix_f32 v29, v50, v46, v6 op_sel_hi:[0,1,0]
.LBB386_19:                             ;   in Loop: Header=BB386_21 Depth=2
	s_or_b32 exec_lo, exec_lo, s52
	s_wait_loadcnt 0x3
	v_fma_mix_f32 v6, v37, v41, v28 op_sel_hi:[1,1,0]
	s_wait_loadcnt 0x2
	s_delay_alu instid0(VALU_DEP_1) | instskip(SKIP_1) | instid1(VALU_DEP_1)
	v_fma_mix_f32 v6, v38, v42, v6 op_sel_hi:[1,1,0]
	s_wait_loadcnt 0x1
	v_fma_mix_f32 v6, v39, v43, v6 op_sel_hi:[1,1,0]
	s_wait_loadcnt 0x0
	s_delay_alu instid0(VALU_DEP_1)
	v_fma_mix_f32 v28, v40, v44, v6 op_sel_hi:[1,1,0]
.LBB386_20:                             ;   in Loop: Header=BB386_21 Depth=2
	s_or_b32 exec_lo, exec_lo, s51
	v_dual_add_nc_u32 v32, 64, v32 :: v_dual_add_nc_u32 v35, s45, v35
	v_dual_add_nc_u32 v36, s45, v36 :: v_dual_add_nc_u32 v34, s45, v34
	v_add_nc_u32_e32 v33, s45, v33
	s_delay_alu instid0(VALU_DEP_3) | instskip(SKIP_2) | instid1(SALU_CYCLE_1)
	v_cmp_le_i32_e32 vcc_lo, s43, v32
	s_add_co_i32 s50, s50, s46
	s_or_b32 s49, vcc_lo, s49
	s_and_not1_b32 exec_lo, exec_lo, s49
	s_cbranch_execz .LBB386_26
.LBB386_21:                             ;   Parent Loop BB386_5 Depth=1
                                        ; =>  This Inner Loop Header: Depth=2
	s_and_saveexec_b32 s51, s1
	s_cbranch_execz .LBB386_20
; %bb.22:                               ;   in Loop: Header=BB386_21 Depth=2
	v_dual_add_nc_u32 v7, s50, v26 :: v_dual_add_nc_u32 v9, s50, v21
	v_dual_add_nc_u32 v11, s50, v22 :: v_dual_add_nc_u32 v13, s50, v23
	v_dual_add_nc_u32 v6, s42, v33 :: v_dual_add_nc_u32 v8, s42, v36
	v_dual_add_nc_u32 v12, s42, v35 :: v_dual_add_nc_u32 v10, s42, v34
	s_clause 0x3
	global_load_u16 v37, v7, s[40:41] scale_offset
	global_load_u16 v38, v9, s[40:41] scale_offset
	global_load_u16 v39, v11, s[40:41] scale_offset
	global_load_u16 v40, v13, s[40:41] scale_offset
	s_clause 0x3
	global_load_u16 v41, v6, s[28:29] scale_offset
	global_load_u16 v42, v8, s[28:29] scale_offset
	;; [unrolled: 1-line block ×4, first 2 shown]
	s_wait_xcnt 0x0
	s_and_saveexec_b32 s52, s2
	s_cbranch_execz .LBB386_19
; %bb.23:                               ;   in Loop: Header=BB386_21 Depth=2
	v_dual_ashrrev_i32 v7, 31, v6 :: v_dual_ashrrev_i32 v9, 31, v8
	v_dual_ashrrev_i32 v13, 31, v12 :: v_dual_ashrrev_i32 v11, 31, v10
	s_wait_loadcnt 0x7
	v_cvt_f32_f16_e32 v47, v37
	s_delay_alu instid0(VALU_DEP_3)
	v_lshl_add_u64 v[14:15], v[6:7], 1, s[28:29]
	v_lshl_add_u64 v[8:9], v[8:9], 1, s[28:29]
	;; [unrolled: 1-line block ×4, first 2 shown]
	s_wait_loadcnt 0x6
	v_cvt_f32_f16_e32 v48, v38
	s_clause 0x3
	global_load_u16 v12, v[14:15], off offset:64
	global_load_u16 v13, v[8:9], off offset:64
	;; [unrolled: 1-line block ×4, first 2 shown]
	s_wait_loadcnt 0x9
	v_cvt_f32_f16_e32 v49, v39
	s_wait_loadcnt 0x8
	v_cvt_f32_f16_e32 v50, v40
	s_wait_xcnt 0x0
	s_and_saveexec_b32 s53, s3
	s_cbranch_execz .LBB386_18
; %bb.24:                               ;   in Loop: Header=BB386_21 Depth=2
	s_clause 0x3
	global_load_u16 v51, v[14:15], off offset:128
	global_load_u16 v52, v[8:9], off offset:128
	;; [unrolled: 1-line block ×4, first 2 shown]
	s_wait_xcnt 0x0
	s_and_saveexec_b32 s54, s4
	s_cbranch_execz .LBB386_17
; %bb.25:                               ;   in Loop: Header=BB386_21 Depth=2
	s_clause 0x3
	global_load_u16 v14, v[14:15], off offset:192
	global_load_u16 v8, v[8:9], off offset:192
	;; [unrolled: 1-line block ×4, first 2 shown]
	s_wait_loadcnt 0x3
	v_fma_mix_f32 v9, v47, v14, v31 op_sel_hi:[0,1,0]
	s_wait_loadcnt 0x2
	s_delay_alu instid0(VALU_DEP_1) | instskip(SKIP_1) | instid1(VALU_DEP_1)
	v_fma_mix_f32 v8, v48, v8, v9 op_sel_hi:[0,1,0]
	s_wait_loadcnt 0x1
	v_fma_mix_f32 v6, v49, v6, v8 op_sel_hi:[0,1,0]
	s_wait_loadcnt 0x0
	s_delay_alu instid0(VALU_DEP_1)
	v_fma_mix_f32 v31, v50, v7, v6 op_sel_hi:[0,1,0]
	s_branch .LBB386_17
.LBB386_26:                             ;   in Loop: Header=BB386_5 Depth=1
	s_or_b32 exec_lo, exec_lo, s49
.LBB386_27:                             ;   in Loop: Header=BB386_5 Depth=1
	s_delay_alu instid0(SALU_CYCLE_1) | instskip(NEXT) | instid1(SALU_CYCLE_1)
	s_or_b32 exec_lo, exec_lo, s7
	s_and_not1_b32 vcc_lo, exec_lo, s36
	s_cbranch_vccnz .LBB386_45
; %bb.28:                               ;   in Loop: Header=BB386_5 Depth=1
	v_cmp_gt_i32_e32 vcc_lo, s37, v32
	v_dual_mov_b32 v14, 0 :: v_dual_bitop2_b32 v6, 1, v32 bitop3:0x54
	v_dual_mov_b32 v15, 0 :: v_dual_mov_b32 v33, 0
	v_mov_b32_e32 v34, 0
	s_and_saveexec_b32 s49, vcc_lo
	s_cbranch_execz .LBB386_36
; %bb.29:                               ;   in Loop: Header=BB386_5 Depth=1
	v_mul_lo_u32 v7, v32, s30
	v_dual_mov_b32 v33, 0 :: v_dual_mov_b32 v15, 0
	v_mov_b32_e32 v14, 0
	s_mov_b32 s50, exec_lo
	global_load_u16 v7, v7, s[40:41] scale_offset
	s_wait_xcnt 0x0
	v_cmpx_gt_i32_e64 s37, v6
	s_cbranch_execz .LBB386_35
; %bb.30:                               ;   in Loop: Header=BB386_5 Depth=1
	v_mul_lo_u32 v8, v6, s30
	v_dual_mov_b32 v15, 0 :: v_dual_bitop2_b32 v9, 2, v32 bitop3:0x54
	v_mov_b32_e32 v14, 0
	s_mov_b32 s51, exec_lo
	global_load_u16 v8, v8, s[40:41] scale_offset
	s_wait_xcnt 0x0
	v_cmpx_gt_i32_e64 s37, v9
	s_cbranch_execz .LBB386_34
; %bb.31:                               ;   in Loop: Header=BB386_5 Depth=1
	v_mul_lo_u32 v9, v9, s30
	v_dual_mov_b32 v14, 0 :: v_dual_bitop2_b32 v10, 3, v32 bitop3:0x54
	s_mov_b32 s52, exec_lo
	global_load_u16 v9, v9, s[40:41] scale_offset
	s_wait_xcnt 0x0
	v_cmpx_gt_i32_e64 s37, v10
	s_cbranch_execz .LBB386_33
; %bb.32:                               ;   in Loop: Header=BB386_5 Depth=1
	v_mul_lo_u32 v10, v10, s30
	global_load_u16 v10, v10, s[40:41] scale_offset
	s_wait_loadcnt 0x0
	v_cvt_f32_f16_e32 v14, v10
.LBB386_33:                             ;   in Loop: Header=BB386_5 Depth=1
	s_wait_xcnt 0x0
	s_or_b32 exec_lo, exec_lo, s52
	s_wait_loadcnt 0x0
	v_cvt_f32_f16_e32 v15, v9
.LBB386_34:                             ;   in Loop: Header=BB386_5 Depth=1
	s_or_b32 exec_lo, exec_lo, s51
	s_wait_loadcnt 0x0
	v_cvt_f32_f16_e32 v33, v8
.LBB386_35:                             ;   in Loop: Header=BB386_5 Depth=1
	s_or_b32 exec_lo, exec_lo, s50
	s_wait_loadcnt 0x0
	v_cvt_f32_f16_e32 v34, v7
.LBB386_36:                             ;   in Loop: Header=BB386_5 Depth=1
	s_or_b32 exec_lo, exec_lo, s49
	s_and_saveexec_b32 s7, s1
	s_cbranch_execz .LBB386_44
; %bb.37:                               ;   in Loop: Header=BB386_5 Depth=1
	v_mul_lo_u32 v8, v32, s33
	v_mul_lo_u32 v10, v6, s33
	s_delay_alu instid0(VALU_DEP_2) | instskip(SKIP_1) | instid1(VALU_DEP_3)
	v_cndmask_b32_e32 v8, 0, v8, vcc_lo
	v_cmp_gt_i32_e32 vcc_lo, s37, v6
	v_dual_cndmask_b32 v10, 0, v10, vcc_lo :: v_dual_bitop2_b32 v7, 2, v32 bitop3:0x54
	s_delay_alu instid0(VALU_DEP_1) | instskip(SKIP_2) | instid1(VALU_DEP_4)
	v_mul_lo_u32 v11, v7, s33
	v_cmp_gt_i32_e32 vcc_lo, s37, v7
	v_or_b32_e32 v9, 3, v32
	v_dual_add_nc_u32 v6, v8, v16 :: v_dual_add_nc_u32 v8, v10, v16
	s_delay_alu instid0(VALU_DEP_4) | instskip(NEXT) | instid1(VALU_DEP_3)
	v_cndmask_b32_e32 v7, 0, v11, vcc_lo
	v_mul_lo_u32 v12, v9, s33
	v_cmp_gt_i32_e32 vcc_lo, s37, v9
	s_delay_alu instid0(VALU_DEP_2) | instskip(NEXT) | instid1(VALU_DEP_1)
	v_cndmask_b32_e32 v9, 0, v12, vcc_lo
	v_dual_add_nc_u32 v10, v7, v16 :: v_dual_add_nc_u32 v12, v9, v16
	s_clause 0x3
	global_load_u16 v32, v6, s[28:29] scale_offset
	global_load_u16 v35, v8, s[28:29] scale_offset
	;; [unrolled: 1-line block ×4, first 2 shown]
	s_wait_xcnt 0x0
	s_and_saveexec_b32 s40, s2
	s_cbranch_execz .LBB386_43
; %bb.38:                               ;   in Loop: Header=BB386_5 Depth=1
	v_dual_ashrrev_i32 v7, 31, v6 :: v_dual_ashrrev_i32 v9, 31, v8
	v_dual_ashrrev_i32 v11, 31, v10 :: v_dual_ashrrev_i32 v13, 31, v12
	s_delay_alu instid0(VALU_DEP_2) | instskip(NEXT) | instid1(VALU_DEP_3)
	v_lshl_add_u64 v[6:7], v[6:7], 1, s[28:29]
	v_lshl_add_u64 v[8:9], v[8:9], 1, s[28:29]
	s_delay_alu instid0(VALU_DEP_3) | instskip(NEXT) | instid1(VALU_DEP_4)
	v_lshl_add_u64 v[10:11], v[10:11], 1, s[28:29]
	v_lshl_add_u64 v[12:13], v[12:13], 1, s[28:29]
	s_clause 0x3
	global_load_u16 v38, v[6:7], off offset:64
	global_load_u16 v39, v[8:9], off offset:64
	;; [unrolled: 1-line block ×4, first 2 shown]
	s_wait_xcnt 0x0
	s_and_saveexec_b32 s28, s3
	s_cbranch_execz .LBB386_42
; %bb.39:                               ;   in Loop: Header=BB386_5 Depth=1
	s_clause 0x3
	global_load_u16 v42, v[6:7], off offset:128
	global_load_u16 v43, v[8:9], off offset:128
	global_load_u16 v44, v[10:11], off offset:128
	global_load_u16 v45, v[12:13], off offset:128
	s_wait_xcnt 0x0
	s_and_saveexec_b32 s29, s4
	s_cbranch_execz .LBB386_41
; %bb.40:                               ;   in Loop: Header=BB386_5 Depth=1
	s_clause 0x3
	global_load_u16 v46, v[6:7], off offset:192
	global_load_u16 v47, v[8:9], off offset:192
	;; [unrolled: 1-line block ×4, first 2 shown]
	s_wait_loadcnt 0x3
	s_wait_xcnt 0x3
	v_fma_mix_f32 v6, v34, v46, v31 op_sel_hi:[0,1,0]
	s_wait_loadcnt 0x2
	s_delay_alu instid0(VALU_DEP_1) | instskip(SKIP_1) | instid1(VALU_DEP_1)
	v_fma_mix_f32 v6, v33, v47, v6 op_sel_hi:[0,1,0]
	s_wait_loadcnt 0x1
	v_fma_mix_f32 v6, v15, v48, v6 op_sel_hi:[0,1,0]
	s_wait_loadcnt 0x0
	s_delay_alu instid0(VALU_DEP_1)
	v_fma_mix_f32 v31, v14, v49, v6 op_sel_hi:[0,1,0]
.LBB386_41:                             ;   in Loop: Header=BB386_5 Depth=1
	s_wait_xcnt 0x0
	s_or_b32 exec_lo, exec_lo, s29
	s_wait_loadcnt 0x3
	v_fma_mix_f32 v6, v34, v42, v30 op_sel_hi:[0,1,0]
	s_wait_loadcnt 0x2
	s_delay_alu instid0(VALU_DEP_1) | instskip(SKIP_1) | instid1(VALU_DEP_1)
	v_fma_mix_f32 v6, v33, v43, v6 op_sel_hi:[0,1,0]
	s_wait_loadcnt 0x1
	v_fma_mix_f32 v6, v15, v44, v6 op_sel_hi:[0,1,0]
	s_wait_loadcnt 0x0
	s_delay_alu instid0(VALU_DEP_1)
	v_fma_mix_f32 v30, v14, v45, v6 op_sel_hi:[0,1,0]
.LBB386_42:                             ;   in Loop: Header=BB386_5 Depth=1
	s_or_b32 exec_lo, exec_lo, s28
	s_wait_loadcnt 0x3
	v_fma_mix_f32 v6, v34, v38, v29 op_sel_hi:[0,1,0]
	s_wait_loadcnt 0x2
	s_delay_alu instid0(VALU_DEP_1) | instskip(SKIP_1) | instid1(VALU_DEP_1)
	v_fma_mix_f32 v6, v33, v39, v6 op_sel_hi:[0,1,0]
	s_wait_loadcnt 0x1
	v_fma_mix_f32 v6, v15, v40, v6 op_sel_hi:[0,1,0]
	s_wait_loadcnt 0x0
	s_delay_alu instid0(VALU_DEP_1)
	v_fma_mix_f32 v29, v14, v41, v6 op_sel_hi:[0,1,0]
.LBB386_43:                             ;   in Loop: Header=BB386_5 Depth=1
	s_or_b32 exec_lo, exec_lo, s40
	s_wait_loadcnt 0x3
	v_fma_mix_f32 v6, v34, v32, v28 op_sel_hi:[0,1,0]
	s_wait_loadcnt 0x2
	s_delay_alu instid0(VALU_DEP_1) | instskip(SKIP_1) | instid1(VALU_DEP_1)
	v_fma_mix_f32 v6, v33, v35, v6 op_sel_hi:[0,1,0]
	s_wait_loadcnt 0x1
	v_fma_mix_f32 v6, v15, v36, v6 op_sel_hi:[0,1,0]
	s_wait_loadcnt 0x0
	s_delay_alu instid0(VALU_DEP_1)
	v_fma_mix_f32 v28, v14, v37, v6 op_sel_hi:[0,1,0]
.LBB386_44:                             ;   in Loop: Header=BB386_5 Depth=1
	s_or_b32 exec_lo, exec_lo, s7
.LBB386_45:                             ;   in Loop: Header=BB386_5 Depth=1
	ds_store_2addr_b32 v0, v28, v29 offset1:32
	ds_store_2addr_b32 v0, v30, v31 offset0:64 offset1:96
	s_wait_dscnt 0x0
	s_barrier_signal -1
	s_barrier_wait -1
                                        ; implicit-def: $vgpr8
	s_and_saveexec_b32 s7, s5
	s_cbranch_execz .LBB386_51
; %bb.46:                               ;   in Loop: Header=BB386_5 Depth=1
	ds_load_2addr_stride64_b32 v[6:7], v18 offset1:2
	ds_load_2addr_stride64_b32 v[8:9], v18 offset0:4 offset1:6
	ds_load_2addr_stride64_b32 v[10:11], v18 offset0:8 offset1:10
	s_mov_b32 s29, s47
	s_wait_dscnt 0x2
	v_add_f32_e32 v12, v6, v7
	ds_load_2addr_stride64_b32 v[6:7], v18 offset0:12 offset1:14
	s_wait_dscnt 0x2
	v_add_f32_e32 v8, v8, v12
	s_delay_alu instid0(VALU_DEP_1) | instskip(SKIP_3) | instid1(VALU_DEP_1)
	v_add_f32_e32 v12, v9, v8
	ds_load_2addr_stride64_b32 v[8:9], v18 offset0:16 offset1:18
	s_wait_dscnt 0x2
	v_add_f32_e32 v10, v10, v12
	v_add_f32_e32 v12, v11, v10
	ds_load_2addr_stride64_b32 v[10:11], v18 offset0:20 offset1:22
	s_wait_dscnt 0x2
	v_add_f32_e32 v6, v6, v12
	s_delay_alu instid0(VALU_DEP_1) | instskip(SKIP_1) | instid1(VALU_DEP_1)
	v_add_f32_e32 v6, v7, v6
	s_wait_dscnt 0x1
	v_add_f32_e32 v8, v8, v6
	ds_load_2addr_stride64_b32 v[6:7], v18 offset0:24 offset1:26
	v_add_f32_e32 v8, v9, v8
	s_wait_dscnt 0x1
	s_delay_alu instid0(VALU_DEP_1) | instskip(SKIP_3) | instid1(VALU_DEP_1)
	v_add_f32_e32 v10, v10, v8
	ds_load_2addr_stride64_b32 v[8:9], v18 offset0:28 offset1:30
	v_add_f32_e32 v10, v11, v10
	s_wait_dscnt 0x1
	v_add_f32_e32 v6, v6, v10
	s_delay_alu instid0(VALU_DEP_1) | instskip(SKIP_1) | instid1(VALU_DEP_1)
	v_add_f32_e32 v6, v7, v6
	s_wait_dscnt 0x0
	v_add_f32_e32 v6, v8, v6
                                        ; implicit-def: $vgpr8
	s_delay_alu instid0(VALU_DEP_1)
	v_add_f32_e32 v6, v9, v6
	ds_store_b32 v18, v6
	s_and_saveexec_b32 s28, s6
	s_cbranch_execz .LBB386_50
; %bb.47:                               ;   in Loop: Header=BB386_5 Depth=1
	v_mul_f32_e32 v6, v27, v6
	s_cmp_eq_f32 s48, 0
	s_cbranch_scc1 .LBB386_49
; %bb.48:                               ;   in Loop: Header=BB386_5 Depth=1
	v_lshl_add_u64 v[8:9], v[4:5], 1, s[26:27]
	global_load_u16 v7, v[8:9], off
	s_wait_loadcnt 0x0
	v_fma_mix_f32 v6, s48, v7, v6 op_sel_hi:[0,1,0]
.LBB386_49:                             ;   in Loop: Header=BB386_5 Depth=1
	s_wait_xcnt 0x0
	s_delay_alu instid0(VALU_DEP_1)
	v_cvt_f16_f32_e32 v8, v6
	s_or_b32 s29, s47, exec_lo
.LBB386_50:                             ;   in Loop: Header=BB386_5 Depth=1
	s_or_b32 exec_lo, exec_lo, s28
	s_delay_alu instid0(SALU_CYCLE_1) | instskip(SKIP_1) | instid1(SALU_CYCLE_1)
	s_and_not1_b32 s28, s47, exec_lo
	s_and_b32 s29, s29, exec_lo
	s_or_b32 s47, s28, s29
.LBB386_51:                             ;   in Loop: Header=BB386_5 Depth=1
	s_or_b32 exec_lo, exec_lo, s7
	v_mov_b64_e32 v[6:7], v[4:5]
	s_and_saveexec_b32 s7, s47
	s_cbranch_execz .LBB386_3
.LBB386_52:                             ;   in Loop: Header=BB386_5 Depth=1
	s_delay_alu instid0(VALU_DEP_1)
	v_lshl_add_u64 v[6:7], v[6:7], 1, s[26:27]
	global_store_b16 v[6:7], v8, off
	s_branch .LBB386_3
.LBB386_53:
	s_endpgm
	.section	.rodata,"a",@progbits
	.p2align	6, 0x0
	.amdhsa_kernel _ZL20rocblas_gemvn_kernelILi32ELi16EiDF16_PKfDF16_EviiT3_lPKT2_lT1_lS5_lS6_lS2_lPT4_lS6_li
		.amdhsa_group_segment_fixed_size 8192
		.amdhsa_private_segment_fixed_size 0
		.amdhsa_kernarg_size 400
		.amdhsa_user_sgpr_count 2
		.amdhsa_user_sgpr_dispatch_ptr 0
		.amdhsa_user_sgpr_queue_ptr 0
		.amdhsa_user_sgpr_kernarg_segment_ptr 1
		.amdhsa_user_sgpr_dispatch_id 0
		.amdhsa_user_sgpr_kernarg_preload_length 0
		.amdhsa_user_sgpr_kernarg_preload_offset 0
		.amdhsa_user_sgpr_private_segment_size 0
		.amdhsa_wavefront_size32 1
		.amdhsa_uses_dynamic_stack 0
		.amdhsa_enable_private_segment 0
		.amdhsa_system_sgpr_workgroup_id_x 1
		.amdhsa_system_sgpr_workgroup_id_y 0
		.amdhsa_system_sgpr_workgroup_id_z 1
		.amdhsa_system_sgpr_workgroup_info 0
		.amdhsa_system_vgpr_workitem_id 1
		.amdhsa_next_free_vgpr 55
		.amdhsa_next_free_sgpr 55
		.amdhsa_named_barrier_count 0
		.amdhsa_reserve_vcc 1
		.amdhsa_float_round_mode_32 0
		.amdhsa_float_round_mode_16_64 0
		.amdhsa_float_denorm_mode_32 3
		.amdhsa_float_denorm_mode_16_64 3
		.amdhsa_fp16_overflow 0
		.amdhsa_memory_ordered 1
		.amdhsa_forward_progress 1
		.amdhsa_inst_pref_size 24
		.amdhsa_round_robin_scheduling 0
		.amdhsa_exception_fp_ieee_invalid_op 0
		.amdhsa_exception_fp_denorm_src 0
		.amdhsa_exception_fp_ieee_div_zero 0
		.amdhsa_exception_fp_ieee_overflow 0
		.amdhsa_exception_fp_ieee_underflow 0
		.amdhsa_exception_fp_ieee_inexact 0
		.amdhsa_exception_int_div_zero 0
	.end_amdhsa_kernel
	.section	.text._ZL20rocblas_gemvn_kernelILi32ELi16EiDF16_PKfDF16_EviiT3_lPKT2_lT1_lS5_lS6_lS2_lPT4_lS6_li,"axG",@progbits,_ZL20rocblas_gemvn_kernelILi32ELi16EiDF16_PKfDF16_EviiT3_lPKT2_lT1_lS5_lS6_lS2_lPT4_lS6_li,comdat
.Lfunc_end386:
	.size	_ZL20rocblas_gemvn_kernelILi32ELi16EiDF16_PKfDF16_EviiT3_lPKT2_lT1_lS5_lS6_lS2_lPT4_lS6_li, .Lfunc_end386-_ZL20rocblas_gemvn_kernelILi32ELi16EiDF16_PKfDF16_EviiT3_lPKT2_lT1_lS5_lS6_lS2_lPT4_lS6_li
                                        ; -- End function
	.set _ZL20rocblas_gemvn_kernelILi32ELi16EiDF16_PKfDF16_EviiT3_lPKT2_lT1_lS5_lS6_lS2_lPT4_lS6_li.num_vgpr, 55
	.set _ZL20rocblas_gemvn_kernelILi32ELi16EiDF16_PKfDF16_EviiT3_lPKT2_lT1_lS5_lS6_lS2_lPT4_lS6_li.num_agpr, 0
	.set _ZL20rocblas_gemvn_kernelILi32ELi16EiDF16_PKfDF16_EviiT3_lPKT2_lT1_lS5_lS6_lS2_lPT4_lS6_li.numbered_sgpr, 55
	.set _ZL20rocblas_gemvn_kernelILi32ELi16EiDF16_PKfDF16_EviiT3_lPKT2_lT1_lS5_lS6_lS2_lPT4_lS6_li.num_named_barrier, 0
	.set _ZL20rocblas_gemvn_kernelILi32ELi16EiDF16_PKfDF16_EviiT3_lPKT2_lT1_lS5_lS6_lS2_lPT4_lS6_li.private_seg_size, 0
	.set _ZL20rocblas_gemvn_kernelILi32ELi16EiDF16_PKfDF16_EviiT3_lPKT2_lT1_lS5_lS6_lS2_lPT4_lS6_li.uses_vcc, 1
	.set _ZL20rocblas_gemvn_kernelILi32ELi16EiDF16_PKfDF16_EviiT3_lPKT2_lT1_lS5_lS6_lS2_lPT4_lS6_li.uses_flat_scratch, 0
	.set _ZL20rocblas_gemvn_kernelILi32ELi16EiDF16_PKfDF16_EviiT3_lPKT2_lT1_lS5_lS6_lS2_lPT4_lS6_li.has_dyn_sized_stack, 0
	.set _ZL20rocblas_gemvn_kernelILi32ELi16EiDF16_PKfDF16_EviiT3_lPKT2_lT1_lS5_lS6_lS2_lPT4_lS6_li.has_recursion, 0
	.set _ZL20rocblas_gemvn_kernelILi32ELi16EiDF16_PKfDF16_EviiT3_lPKT2_lT1_lS5_lS6_lS2_lPT4_lS6_li.has_indirect_call, 0
	.section	.AMDGPU.csdata,"",@progbits
; Kernel info:
; codeLenInByte = 3068
; TotalNumSgprs: 57
; NumVgprs: 55
; ScratchSize: 0
; MemoryBound: 0
; FloatMode: 240
; IeeeMode: 1
; LDSByteSize: 8192 bytes/workgroup (compile time only)
; SGPRBlocks: 0
; VGPRBlocks: 3
; NumSGPRsForWavesPerEU: 57
; NumVGPRsForWavesPerEU: 55
; NamedBarCnt: 0
; Occupancy: 16
; WaveLimiterHint : 1
; COMPUTE_PGM_RSRC2:SCRATCH_EN: 0
; COMPUTE_PGM_RSRC2:USER_SGPR: 2
; COMPUTE_PGM_RSRC2:TRAP_HANDLER: 0
; COMPUTE_PGM_RSRC2:TGID_X_EN: 1
; COMPUTE_PGM_RSRC2:TGID_Y_EN: 0
; COMPUTE_PGM_RSRC2:TGID_Z_EN: 1
; COMPUTE_PGM_RSRC2:TIDIG_COMP_CNT: 1
	.section	.text._ZL20rocblas_gemvn_kernelILi32ELi16ElDF16_PKfDF16_EviiT3_lPKT2_lT1_lS5_lS6_lS2_lPT4_lS6_li,"axG",@progbits,_ZL20rocblas_gemvn_kernelILi32ELi16ElDF16_PKfDF16_EviiT3_lPKT2_lT1_lS5_lS6_lS2_lPT4_lS6_li,comdat
	.globl	_ZL20rocblas_gemvn_kernelILi32ELi16ElDF16_PKfDF16_EviiT3_lPKT2_lT1_lS5_lS6_lS2_lPT4_lS6_li ; -- Begin function _ZL20rocblas_gemvn_kernelILi32ELi16ElDF16_PKfDF16_EviiT3_lPKT2_lT1_lS5_lS6_lS2_lPT4_lS6_li
	.p2align	8
	.type	_ZL20rocblas_gemvn_kernelILi32ELi16ElDF16_PKfDF16_EviiT3_lPKT2_lT1_lS5_lS6_lS2_lPT4_lS6_li,@function
_ZL20rocblas_gemvn_kernelILi32ELi16ElDF16_PKfDF16_EviiT3_lPKT2_lT1_lS5_lS6_lS2_lPT4_lS6_li: ; @_ZL20rocblas_gemvn_kernelILi32ELi16ElDF16_PKfDF16_EviiT3_lPKT2_lT1_lS5_lS6_lS2_lPT4_lS6_li
; %bb.0:
	s_load_b64 s[2:3], s[0:1], 0x9c
	s_wait_kmcnt 0x0
	s_lshr_b32 s4, s2, 16
	s_and_b32 s2, s2, 0xffff
	s_and_b32 s3, s3, 0xffff
	s_mul_i32 s2, s4, s2
	s_delay_alu instid0(SALU_CYCLE_1) | instskip(NEXT) | instid1(SALU_CYCLE_1)
	s_mul_i32 s2, s2, s3
	s_cmp_lg_u32 s2, 0x200
	s_cbranch_scc1 .LBB387_53
; %bb.1:
	s_load_b32 s33, s[0:1], 0x88
	s_bfe_u32 s2, ttmp6, 0x40014
	s_lshr_b32 s3, ttmp7, 16
	s_add_co_i32 s2, s2, 1
	s_bfe_u32 s5, ttmp6, 0x40008
	s_mul_i32 s4, s3, s2
	s_getreg_b32 s2, hwreg(HW_REG_IB_STS2, 6, 4)
	s_add_co_i32 s5, s5, s4
	s_cmp_eq_u32 s2, 0
	s_mov_b32 s11, 0
	s_cselect_b32 s10, s3, s5
	s_wait_kmcnt 0x0
	s_cmp_ge_u32 s10, s33
	s_cbranch_scc1 .LBB387_53
; %bb.2:
	s_clause 0x2
	s_load_b512 s[12:27], s[0:1], 0x8
	s_load_b512 s[36:51], s[0:1], 0x48
	s_load_b64 s[28:29], s[0:1], 0x0
	s_wait_xcnt 0x0
	s_bfe_u32 s0, ttmp6, 0x4000c
	v_and_b32_e32 v24, 0x3ff, v0
	s_add_co_i32 s0, s0, 1
	v_bfe_u32 v4, v0, 10, 10
	s_and_b32 s1, ttmp6, 15
	s_mul_i32 s0, ttmp9, s0
	v_dual_mov_b32 v1, 0 :: v_dual_lshlrev_b32 v2, 2, v24
	s_add_co_i32 s1, s1, s0
	v_lshl_add_u32 v6, v4, 5, v24
	s_delay_alu instid0(VALU_DEP_2) | instskip(NEXT) | instid1(VALU_DEP_3)
	v_dual_mov_b32 v5, v1 :: v_dual_lshlrev_b32 v48, 2, v4
	v_lshl_add_u32 v49, v4, 9, v2
	v_lshl_add_u32 v50, v4, 7, v2
	s_wait_kmcnt 0x0
	s_lshl_b64 s[4:5], s[18:19], 1
	s_lshl_b64 s[18:19], s[26:27], 1
	s_lshl_b64 s[6:7], s[46:47], 1
	s_cmp_eq_u32 s2, 0
	s_mov_b32 s2, s28
	s_cselect_b32 s0, ttmp9, s1
	s_ashr_i32 s3, s28, 31
	s_lshl_b32 s1, s0, 7
	v_cmp_gt_u32_e64 s0, 0x80, v6
	v_dual_add_nc_u32 v0, s1, v6 :: v_dual_bitop2_b32 v6, s1, v6 bitop3:0x54
	v_mul_u64_e32 v[10:11], s[36:37], v[4:5]
	v_mul_u64_e32 v[12:13], s[20:21], v[4:5]
	v_mad_nc_u64_u32 v[8:9], s36, v48, s[36:37]
	s_delay_alu instid0(VALU_DEP_4)
	v_cmp_gt_i64_e32 vcc_lo, s[2:3], v[0:1]
	v_mul_u64_e32 v[2:3], s[48:49], v[0:1]
	v_dual_ashrrev_i32 v7, 31, v6 :: v_dual_bitop2_b32 v0, 3, v48 bitop3:0x54
	v_mad_nc_u64_u32 v[22:23], s20, v48, s[20:21]
	s_ashr_i32 s2, s29, 31
	v_add_nc_u32_e32 v24, s1, v24
	s_delay_alu instid0(VALU_DEP_3)
	v_mul_u64_e32 v[14:15], s[20:21], v[0:1]
	v_mul_u64_e32 v[16:17], s[36:37], v[0:1]
	v_or_b32_e32 v0, 2, v48
	v_mul_u64_e32 v[4:5], s[48:49], v[6:7]
	v_mad_u32 v9, s37, v48, v9
	s_lshr_b32 s2, s2, 26
	v_ashrrev_i32_e32 v25, 31, v24
	v_mul_u64_e32 v[18:19], s[20:21], v[0:1]
	v_mul_u64_e32 v[20:21], s[36:37], v[0:1]
	v_mad_u32 v23, s21, v48, v23
	s_add_co_i32 s52, s29, s2
	v_add_nc_u32_e32 v7, 64, v24
	s_and_not1_b32 s52, s52, 63
	v_add_nc_u32_e32 v0, 32, v24
	v_add_nc_u32_e32 v26, 0x60, v24
	s_sub_co_i32 s3, s29, s52
	s_add_nc_u64 s[16:17], s[16:17], s[4:5]
	s_cmp_gt_i32 s3, 0
	v_cmp_gt_i32_e64 s3, s28, v6
	v_cmp_gt_i32_e64 s5, s28, v7
	v_lshlrev_b64_e32 v[6:7], 1, v[24:25]
	s_add_nc_u64 s[30:31], s[44:45], s[6:7]
	v_cmp_gt_i32_e64 s1, s52, v48
	v_cmp_gt_i32_e64 s2, s28, v24
	;; [unrolled: 1-line block ×4, first 2 shown]
	v_lshl_add_u64 v[8:9], v[8:9], 1, s[24:25]
	v_lshl_add_u64 v[10:11], v[10:11], 3, s[24:25]
	;; [unrolled: 1-line block ×4, first 2 shown]
	s_add_nc_u64 s[26:27], s[24:25], s[18:19]
	s_cselect_b32 s53, -1, 0
	v_lshl_add_u64 v[14:15], v[14:15], 1, s[16:17]
	v_lshl_add_u64 v[16:17], v[16:17], 1, s[24:25]
	s_lshl_b64 s[34:35], s[38:39], 1
	s_and_b32 s28, s0, vcc_lo
	s_lshl_b64 s[44:45], s[22:23], 1
	s_lshl_b64 s[46:47], s[20:21], 7
	v_lshl_add_u64 v[18:19], v[18:19], 1, s[16:17]
	v_lshl_add_u64 v[20:21], v[20:21], 1, s[24:25]
	s_lshl_b64 s[24:25], s[36:37], 7
	s_branch .LBB387_5
.LBB387_3:                              ;   in Loop: Header=BB387_5 Depth=1
	s_wait_xcnt 0x0
	s_or_b32 exec_lo, exec_lo, s7
.LBB387_4:                              ;   in Loop: Header=BB387_5 Depth=1
	s_add_co_i32 s10, s10, 0x10000
	s_delay_alu instid0(SALU_CYCLE_1)
	s_cmp_lt_u32 s10, s33
	s_cbranch_scc0 .LBB387_53
.LBB387_5:                              ; =>This Loop Header: Depth=1
                                        ;     Child Loop BB387_21 Depth 2
	s_wait_xcnt 0x1
	s_mul_u64 s[8:9], s[14:15], s[10:11]
	s_wait_xcnt 0x0
	s_mul_u64 s[48:49], s[42:43], s[10:11]
	s_lshl_b64 s[8:9], s[8:9], 2
	s_lshl_b64 s[48:49], s[48:49], 2
	s_add_nc_u64 s[8:9], s[12:13], s[8:9]
	s_add_nc_u64 s[48:49], s[40:41], s[48:49]
	s_clause 0x1
	global_load_b32 v51, v1, s[8:9]
	global_load_b32 v0, v1, s[48:49]
	s_wait_loadcnt 0x1
	v_cmp_eq_f32_e32 vcc_lo, 0, v51
	s_wait_loadcnt 0x0
	v_cmp_eq_f32_e64 s7, 1.0, v0
	v_readfirstlane_b32 s55, v0
	s_and_b32 s7, vcc_lo, s7
	s_delay_alu instid0(SALU_CYCLE_1)
	s_and_b32 vcc_lo, exec_lo, s7
	s_cbranch_vccnz .LBB387_4
; %bb.6:                                ;   in Loop: Header=BB387_5 Depth=1
	v_cmp_neq_f32_e32 vcc_lo, 0, v51
	s_wait_xcnt 0x1
	s_mul_u64 s[8:9], s[50:51], s[10:11]
	s_delay_alu instid0(SALU_CYCLE_1)
	s_lshl_b64 s[8:9], s[8:9], 1
	s_wait_xcnt 0x0
	s_add_nc_u64 s[48:49], s[30:31], s[8:9]
	s_cbranch_vccnz .LBB387_10
; %bb.7:                                ;   in Loop: Header=BB387_5 Depth=1
	s_mov_b32 s7, 0
	s_mov_b32 s54, 0
                                        ; implicit-def: $vgpr0
	s_and_saveexec_b32 s8, s28
	s_cbranch_execz .LBB387_11
; %bb.8:                                ;   in Loop: Header=BB387_5 Depth=1
	s_cmp_eq_f32 s55, 0
	s_cbranch_scc1 .LBB387_13
; %bb.9:                                ;   in Loop: Header=BB387_5 Depth=1
	v_lshl_add_u64 v[24:25], v[2:3], 1, s[48:49]
	global_load_u16 v0, v[24:25], off
	s_wait_loadcnt 0x0
	v_fma_mixlo_f16 v0, s55, v0, 0 op_sel_hi:[0,1,0]
	s_branch .LBB387_14
.LBB387_10:                             ;   in Loop: Header=BB387_5 Depth=1
	s_mov_b32 s54, 0
                                        ; implicit-def: $vgpr0
	s_cbranch_execz .LBB387_12
	s_branch .LBB387_15
.LBB387_11:                             ;   in Loop: Header=BB387_5 Depth=1
	s_or_b32 exec_lo, exec_lo, s8
	s_delay_alu instid0(SALU_CYCLE_1)
	s_and_b32 vcc_lo, exec_lo, s7
	s_cbranch_vccnz .LBB387_15
.LBB387_12:                             ;   in Loop: Header=BB387_5 Depth=1
	v_mov_b64_e32 v[24:25], v[2:3]
	s_and_saveexec_b32 s7, s54
	s_cbranch_execz .LBB387_3
	s_branch .LBB387_52
.LBB387_13:                             ;   in Loop: Header=BB387_5 Depth=1
	v_mov_b32_e32 v0, 0
.LBB387_14:                             ;   in Loop: Header=BB387_5 Depth=1
	s_mov_b32 s54, exec_lo
	s_wait_xcnt 0x0
	s_or_b32 exec_lo, exec_lo, s8
	s_delay_alu instid0(SALU_CYCLE_1)
	s_and_b32 vcc_lo, exec_lo, s7
	s_cbranch_vccz .LBB387_12
.LBB387_15:                             ;   in Loop: Header=BB387_5 Depth=1
	v_dual_mov_b32 v52, 0 :: v_dual_mov_b32 v0, v48
	v_dual_mov_b32 v53, 0 :: v_dual_mov_b32 v54, 0
	v_mov_b32_e32 v55, 0
	s_and_saveexec_b32 s7, s1
	s_cbranch_execz .LBB387_27
; %bb.16:                               ;   in Loop: Header=BB387_5 Depth=1
	s_mul_u64 s[8:9], s[34:35], s[10:11]
	s_mul_u64 s[56:57], s[44:45], s[10:11]
	v_add_nc_u64_e32 v[24:25], s[8:9], v[10:11]
	v_add_nc_u64_e32 v[26:27], s[56:57], v[14:15]
	;; [unrolled: 1-line block ×8, first 2 shown]
	v_dual_mov_b32 v52, 0 :: v_dual_mov_b32 v0, v48
	v_dual_mov_b32 v53, 0 :: v_dual_mov_b32 v54, 0
	v_mov_b32_e32 v55, 0
	s_mov_b32 s8, 0
	s_branch .LBB387_21
.LBB387_17:                             ;   in Loop: Header=BB387_21 Depth=2
	s_wait_xcnt 0x0
	s_or_b32 exec_lo, exec_lo, s58
	s_wait_loadcnt 0x3
	v_fma_mix_f32 v40, v68, v72, v54 op_sel_hi:[0,1,0]
	s_wait_loadcnt 0x2
	s_delay_alu instid0(VALU_DEP_1) | instskip(SKIP_1) | instid1(VALU_DEP_1)
	v_fma_mix_f32 v40, v69, v73, v40 op_sel_hi:[0,1,0]
	s_wait_loadcnt 0x1
	v_fma_mix_f32 v40, v70, v74, v40 op_sel_hi:[0,1,0]
	s_wait_loadcnt 0x0
	s_delay_alu instid0(VALU_DEP_1)
	v_fma_mix_f32 v54, v71, v75, v40 op_sel_hi:[0,1,0]
.LBB387_18:                             ;   in Loop: Header=BB387_21 Depth=2
	s_or_b32 exec_lo, exec_lo, s57
	s_wait_loadcnt 0x3
	v_fma_mix_f32 v40, v68, v64, v53 op_sel_hi:[0,1,0]
	s_wait_loadcnt 0x2
	s_delay_alu instid0(VALU_DEP_1) | instskip(SKIP_1) | instid1(VALU_DEP_1)
	v_fma_mix_f32 v40, v69, v65, v40 op_sel_hi:[0,1,0]
	s_wait_loadcnt 0x1
	v_fma_mix_f32 v40, v70, v66, v40 op_sel_hi:[0,1,0]
	s_wait_loadcnt 0x0
	s_delay_alu instid0(VALU_DEP_1)
	v_fma_mix_f32 v53, v71, v67, v40 op_sel_hi:[0,1,0]
.LBB387_19:                             ;   in Loop: Header=BB387_21 Depth=2
	s_or_b32 exec_lo, exec_lo, s56
	s_wait_loadcnt 0x3
	v_fma_mix_f32 v40, v56, v60, v52 op_sel_hi:[1,1,0]
	s_wait_loadcnt 0x2
	s_delay_alu instid0(VALU_DEP_1) | instskip(SKIP_1) | instid1(VALU_DEP_1)
	v_fma_mix_f32 v40, v57, v61, v40 op_sel_hi:[1,1,0]
	s_wait_loadcnt 0x1
	v_fma_mix_f32 v40, v58, v62, v40 op_sel_hi:[1,1,0]
	s_wait_loadcnt 0x0
	s_delay_alu instid0(VALU_DEP_1)
	v_fma_mix_f32 v52, v59, v63, v40 op_sel_hi:[1,1,0]
.LBB387_20:                             ;   in Loop: Header=BB387_21 Depth=2
	s_or_b32 exec_lo, exec_lo, s9
	v_add_nc_u32_e32 v0, 64, v0
	v_add_nc_u64_e32 v[24:25], s[24:25], v[24:25]
	v_add_nc_u64_e32 v[26:27], s[46:47], v[26:27]
	;; [unrolled: 1-line block ×7, first 2 shown]
	v_cmp_le_i32_e32 vcc_lo, s52, v0
	v_add_nc_u64_e32 v[38:39], s[46:47], v[38:39]
	s_or_b32 s8, vcc_lo, s8
	s_delay_alu instid0(SALU_CYCLE_1)
	s_and_not1_b32 exec_lo, exec_lo, s8
	s_cbranch_execz .LBB387_26
.LBB387_21:                             ;   Parent Loop BB387_5 Depth=1
                                        ; =>  This Inner Loop Header: Depth=2
	s_and_saveexec_b32 s9, s2
	s_cbranch_execz .LBB387_20
; %bb.22:                               ;   in Loop: Header=BB387_21 Depth=2
	v_add_nc_u64_e32 v[46:47], s[18:19], v[24:25]
	v_add_nc_u64_e32 v[58:59], s[18:19], v[36:37]
	;; [unrolled: 1-line block ×7, first 2 shown]
	global_load_u16 v56, v[46:47], off
	s_wait_xcnt 0x0
	v_add_nc_u64_e32 v[46:47], v[26:27], v[6:7]
	global_load_u16 v57, v[58:59], off
	global_load_u16 v58, v[60:61], off
	;; [unrolled: 1-line block ×7, first 2 shown]
	s_wait_xcnt 0x0
	s_and_saveexec_b32 s56, s4
	s_cbranch_execz .LBB387_19
; %bb.23:                               ;   in Loop: Header=BB387_21 Depth=2
	global_load_u16 v64, v[40:41], off offset:64
	global_load_u16 v65, v[42:43], off offset:64
	;; [unrolled: 1-line block ×4, first 2 shown]
	s_wait_loadcnt 0xb
	v_cvt_f32_f16_e32 v68, v56
	s_wait_loadcnt 0xa
	v_cvt_f32_f16_e32 v69, v57
	;; [unrolled: 2-line block ×4, first 2 shown]
	s_wait_xcnt 0x0
	s_and_saveexec_b32 s57, s5
	s_cbranch_execz .LBB387_18
; %bb.24:                               ;   in Loop: Header=BB387_21 Depth=2
	global_load_u16 v72, v[40:41], off offset:128
	global_load_u16 v73, v[42:43], off offset:128
	;; [unrolled: 1-line block ×4, first 2 shown]
	s_wait_xcnt 0x0
	s_and_saveexec_b32 s58, s6
	s_cbranch_execz .LBB387_17
; %bb.25:                               ;   in Loop: Header=BB387_21 Depth=2
	global_load_u16 v40, v[40:41], off offset:192
	global_load_u16 v41, v[42:43], off offset:192
	;; [unrolled: 1-line block ×4, first 2 shown]
	s_wait_loadcnt 0x3
	v_fma_mix_f32 v40, v68, v40, v55 op_sel_hi:[0,1,0]
	s_wait_loadcnt 0x2
	s_delay_alu instid0(VALU_DEP_1) | instskip(SKIP_1) | instid1(VALU_DEP_1)
	v_fma_mix_f32 v40, v69, v41, v40 op_sel_hi:[0,1,0]
	s_wait_loadcnt 0x1
	v_fma_mix_f32 v40, v70, v42, v40 op_sel_hi:[0,1,0]
	s_wait_loadcnt 0x0
	s_delay_alu instid0(VALU_DEP_1)
	v_fma_mix_f32 v55, v71, v43, v40 op_sel_hi:[0,1,0]
	s_branch .LBB387_17
.LBB387_26:                             ;   in Loop: Header=BB387_5 Depth=1
	s_or_b32 exec_lo, exec_lo, s8
.LBB387_27:                             ;   in Loop: Header=BB387_5 Depth=1
	s_delay_alu instid0(SALU_CYCLE_1) | instskip(NEXT) | instid1(SALU_CYCLE_1)
	s_or_b32 exec_lo, exec_lo, s7
	s_and_not1_b32 vcc_lo, exec_lo, s53
	s_cbranch_vccnz .LBB387_45
; %bb.28:                               ;   in Loop: Header=BB387_5 Depth=1
	v_cmp_gt_i32_e32 vcc_lo, s29, v0
	v_dual_mov_b32 v32, 0 :: v_dual_bitop2_b32 v24, 1, v0 bitop3:0x54
	v_dual_mov_b32 v33, 0 :: v_dual_mov_b32 v34, 0
	v_mov_b32_e32 v35, 0
	s_and_saveexec_b32 s56, vcc_lo
	s_cbranch_execz .LBB387_36
; %bb.29:                               ;   in Loop: Header=BB387_5 Depth=1
	v_mul_u64_e32 v[26:27], s[36:37], v[0:1]
	s_mul_u64 s[8:9], s[38:39], s[10:11]
	v_dual_mov_b32 v34, 0 :: v_dual_mov_b32 v33, 0
	s_lshl_b64 s[8:9], s[8:9], 1
	v_mov_b32_e32 v32, 0
	s_add_nc_u64 s[8:9], s[26:27], s[8:9]
	s_mov_b32 s57, exec_lo
	s_delay_alu instid0(VALU_DEP_3)
	v_lshl_add_u64 v[26:27], v[26:27], 1, s[8:9]
	global_load_u16 v28, v[26:27], off
	s_wait_xcnt 0x0
	v_cmpx_gt_i32_e64 s29, v24
	s_cbranch_execz .LBB387_35
; %bb.30:                               ;   in Loop: Header=BB387_5 Depth=1
	v_dual_mov_b32 v25, v1 :: v_dual_mov_b32 v33, 0
	v_mov_b32_e32 v32, 0
	s_mov_b32 s58, exec_lo
	s_delay_alu instid0(VALU_DEP_2) | instskip(NEXT) | instid1(VALU_DEP_1)
	v_mul_u64_e32 v[26:27], s[36:37], v[24:25]
	v_lshl_add_u64 v[26:27], v[26:27], 1, s[8:9]
	global_load_u16 v25, v[26:27], off
	s_wait_xcnt 0x0
	v_or_b32_e32 v26, 2, v0
	s_delay_alu instid0(VALU_DEP_1)
	v_cmpx_gt_i32_e64 s29, v26
	s_cbranch_execz .LBB387_34
; %bb.31:                               ;   in Loop: Header=BB387_5 Depth=1
	v_dual_mov_b32 v27, v1 :: v_dual_mov_b32 v32, 0
	s_mov_b32 s59, exec_lo
	s_delay_alu instid0(VALU_DEP_1) | instskip(NEXT) | instid1(VALU_DEP_1)
	v_mul_u64_e32 v[26:27], s[36:37], v[26:27]
	v_lshl_add_u64 v[26:27], v[26:27], 1, s[8:9]
	global_load_u16 v29, v[26:27], off
	s_wait_xcnt 0x0
	v_or_b32_e32 v26, 3, v0
	s_delay_alu instid0(VALU_DEP_1)
	v_cmpx_gt_i32_e64 s29, v26
	s_cbranch_execz .LBB387_33
; %bb.32:                               ;   in Loop: Header=BB387_5 Depth=1
	v_mov_b32_e32 v27, v1
	s_delay_alu instid0(VALU_DEP_1) | instskip(NEXT) | instid1(VALU_DEP_1)
	v_mul_u64_e32 v[26:27], s[36:37], v[26:27]
	v_lshl_add_u64 v[26:27], v[26:27], 1, s[8:9]
	global_load_u16 v26, v[26:27], off
	s_wait_loadcnt 0x0
	v_cvt_f32_f16_e32 v32, v26
.LBB387_33:                             ;   in Loop: Header=BB387_5 Depth=1
	s_wait_xcnt 0x0
	s_or_b32 exec_lo, exec_lo, s59
	s_wait_loadcnt 0x0
	v_cvt_f32_f16_e32 v33, v29
.LBB387_34:                             ;   in Loop: Header=BB387_5 Depth=1
	s_or_b32 exec_lo, exec_lo, s58
	s_wait_loadcnt 0x0
	v_cvt_f32_f16_e32 v34, v25
.LBB387_35:                             ;   in Loop: Header=BB387_5 Depth=1
	s_or_b32 exec_lo, exec_lo, s57
	s_wait_loadcnt 0x0
	v_cvt_f32_f16_e32 v35, v28
.LBB387_36:                             ;   in Loop: Header=BB387_5 Depth=1
	s_or_b32 exec_lo, exec_lo, s56
	s_and_saveexec_b32 s56, s2
	s_cbranch_execz .LBB387_44
; %bb.37:                               ;   in Loop: Header=BB387_5 Depth=1
	v_dual_mov_b32 v25, v1 :: v_dual_bitop2_b32 v26, 2, v0 bitop3:0x54
	v_mov_b32_e32 v27, v1
	v_mul_u64_e32 v[28:29], s[20:21], v[0:1]
	v_or_b32_e32 v0, 3, v0
	s_delay_alu instid0(VALU_DEP_4)
	v_mul_u64_e32 v[30:31], s[20:21], v[24:25]
	s_mul_u64 s[8:9], s[22:23], s[10:11]
	v_mul_u64_e32 v[36:37], s[20:21], v[26:27]
	v_cmp_gt_i32_e64 s7, s29, v24
	v_mul_u64_e32 v[38:39], s[20:21], v[0:1]
	s_lshl_b64 s[58:59], s[8:9], 1
	v_cmp_gt_i32_e64 s8, s29, v26
	v_cmp_gt_i32_e64 s9, s29, v0
	v_dual_cndmask_b32 v25, 0, v29 :: v_dual_cndmask_b32 v24, 0, v28
	v_dual_cndmask_b32 v27, 0, v31, s7 :: v_dual_cndmask_b32 v26, 0, v30, s7
	s_delay_alu instid0(VALU_DEP_4) | instskip(NEXT) | instid1(VALU_DEP_4)
	v_dual_cndmask_b32 v29, 0, v37, s8 :: v_dual_cndmask_b32 v28, 0, v36, s8
	v_dual_cndmask_b32 v31, 0, v39, s9 :: v_dual_cndmask_b32 v30, 0, v38, s9
	s_add_nc_u64 s[8:9], s[16:17], s[58:59]
	s_delay_alu instid0(SALU_CYCLE_1) | instskip(SKIP_3) | instid1(VALU_DEP_4)
	v_lshl_add_u64 v[24:25], v[24:25], 1, s[8:9]
	v_lshl_add_u64 v[26:27], v[26:27], 1, s[8:9]
	;; [unrolled: 1-line block ×4, first 2 shown]
	v_add_nc_u64_e32 v[30:31], v[24:25], v[6:7]
	s_delay_alu instid0(VALU_DEP_4) | instskip(NEXT) | instid1(VALU_DEP_4)
	v_add_nc_u64_e32 v[28:29], v[26:27], v[6:7]
	v_add_nc_u64_e32 v[26:27], v[36:37], v[6:7]
	s_delay_alu instid0(VALU_DEP_4)
	v_add_nc_u64_e32 v[24:25], v[38:39], v[6:7]
	s_clause 0x3
	global_load_u16 v0, v[30:31], off
	global_load_u16 v36, v[28:29], off
	;; [unrolled: 1-line block ×4, first 2 shown]
	s_wait_xcnt 0x0
	s_and_saveexec_b32 s7, s4
	s_cbranch_execz .LBB387_43
; %bb.38:                               ;   in Loop: Header=BB387_5 Depth=1
	s_clause 0x3
	global_load_u16 v39, v[30:31], off offset:64
	global_load_u16 v40, v[28:29], off offset:64
	global_load_u16 v41, v[26:27], off offset:64
	global_load_u16 v42, v[24:25], off offset:64
	s_wait_xcnt 0x0
	s_and_saveexec_b32 s8, s5
	s_cbranch_execz .LBB387_42
; %bb.39:                               ;   in Loop: Header=BB387_5 Depth=1
	s_clause 0x3
	global_load_u16 v43, v[30:31], off offset:128
	global_load_u16 v44, v[28:29], off offset:128
	global_load_u16 v45, v[26:27], off offset:128
	global_load_u16 v46, v[24:25], off offset:128
	s_wait_xcnt 0x0
	s_and_saveexec_b32 s9, s6
	s_cbranch_execz .LBB387_41
; %bb.40:                               ;   in Loop: Header=BB387_5 Depth=1
	s_clause 0x3
	global_load_u16 v30, v[30:31], off offset:192
	global_load_u16 v28, v[28:29], off offset:192
	global_load_u16 v26, v[26:27], off offset:192
	global_load_u16 v24, v[24:25], off offset:192
	s_wait_loadcnt 0x3
	s_wait_xcnt 0x0
	v_fma_mix_f32 v25, v35, v30, v55 op_sel_hi:[0,1,0]
	s_wait_loadcnt 0x2
	s_delay_alu instid0(VALU_DEP_1) | instskip(SKIP_1) | instid1(VALU_DEP_1)
	v_fma_mix_f32 v25, v34, v28, v25 op_sel_hi:[0,1,0]
	s_wait_loadcnt 0x1
	v_fma_mix_f32 v25, v33, v26, v25 op_sel_hi:[0,1,0]
	s_wait_loadcnt 0x0
	s_delay_alu instid0(VALU_DEP_1)
	v_fma_mix_f32 v55, v32, v24, v25 op_sel_hi:[0,1,0]
.LBB387_41:                             ;   in Loop: Header=BB387_5 Depth=1
	s_or_b32 exec_lo, exec_lo, s9
	s_wait_loadcnt 0x3
	v_fma_mix_f32 v24, v35, v43, v54 op_sel_hi:[0,1,0]
	s_wait_loadcnt 0x2
	s_delay_alu instid0(VALU_DEP_1) | instskip(SKIP_1) | instid1(VALU_DEP_1)
	v_fma_mix_f32 v24, v34, v44, v24 op_sel_hi:[0,1,0]
	s_wait_loadcnt 0x1
	v_fma_mix_f32 v24, v33, v45, v24 op_sel_hi:[0,1,0]
	s_wait_loadcnt 0x0
	s_delay_alu instid0(VALU_DEP_1)
	v_fma_mix_f32 v54, v32, v46, v24 op_sel_hi:[0,1,0]
.LBB387_42:                             ;   in Loop: Header=BB387_5 Depth=1
	s_or_b32 exec_lo, exec_lo, s8
	s_wait_loadcnt 0x3
	v_fma_mix_f32 v24, v35, v39, v53 op_sel_hi:[0,1,0]
	s_wait_loadcnt 0x2
	s_delay_alu instid0(VALU_DEP_1) | instskip(SKIP_1) | instid1(VALU_DEP_1)
	v_fma_mix_f32 v24, v34, v40, v24 op_sel_hi:[0,1,0]
	s_wait_loadcnt 0x1
	v_fma_mix_f32 v24, v33, v41, v24 op_sel_hi:[0,1,0]
	s_wait_loadcnt 0x0
	s_delay_alu instid0(VALU_DEP_1)
	v_fma_mix_f32 v53, v32, v42, v24 op_sel_hi:[0,1,0]
.LBB387_43:                             ;   in Loop: Header=BB387_5 Depth=1
	s_or_b32 exec_lo, exec_lo, s7
	s_wait_loadcnt 0x3
	v_fma_mix_f32 v0, v35, v0, v52 op_sel_hi:[0,1,0]
	s_wait_loadcnt 0x2
	s_delay_alu instid0(VALU_DEP_1) | instskip(SKIP_1) | instid1(VALU_DEP_1)
	v_fma_mix_f32 v0, v34, v36, v0 op_sel_hi:[0,1,0]
	s_wait_loadcnt 0x1
	v_fma_mix_f32 v0, v33, v37, v0 op_sel_hi:[0,1,0]
	s_wait_loadcnt 0x0
	s_delay_alu instid0(VALU_DEP_1)
	v_fma_mix_f32 v52, v32, v38, v0 op_sel_hi:[0,1,0]
.LBB387_44:                             ;   in Loop: Header=BB387_5 Depth=1
	s_or_b32 exec_lo, exec_lo, s56
.LBB387_45:                             ;   in Loop: Header=BB387_5 Depth=1
	ds_store_2addr_b32 v49, v52, v53 offset1:32
	ds_store_2addr_b32 v49, v54, v55 offset0:64 offset1:96
	s_wait_dscnt 0x0
	s_barrier_signal -1
	s_barrier_wait -1
                                        ; implicit-def: $vgpr0
	s_and_saveexec_b32 s7, s0
	s_cbranch_execz .LBB387_51
; %bb.46:                               ;   in Loop: Header=BB387_5 Depth=1
	ds_load_2addr_stride64_b32 v[24:25], v50 offset1:2
	ds_load_2addr_stride64_b32 v[26:27], v50 offset0:4 offset1:6
	ds_load_2addr_stride64_b32 v[28:29], v50 offset0:8 offset1:10
	s_mov_b32 s9, s54
	s_wait_dscnt 0x2
	v_add_f32_e32 v0, v24, v25
	ds_load_2addr_stride64_b32 v[24:25], v50 offset0:12 offset1:14
	s_wait_dscnt 0x2
	v_add_f32_e32 v0, v26, v0
	s_delay_alu instid0(VALU_DEP_1) | instskip(SKIP_3) | instid1(VALU_DEP_1)
	v_add_f32_e32 v0, v27, v0
	ds_load_2addr_stride64_b32 v[26:27], v50 offset0:16 offset1:18
	s_wait_dscnt 0x2
	v_add_f32_e32 v0, v28, v0
	v_add_f32_e32 v0, v29, v0
	ds_load_2addr_stride64_b32 v[28:29], v50 offset0:20 offset1:22
	s_wait_dscnt 0x2
	v_add_f32_e32 v0, v24, v0
	s_delay_alu instid0(VALU_DEP_1) | instskip(SKIP_3) | instid1(VALU_DEP_1)
	v_add_f32_e32 v0, v25, v0
	ds_load_2addr_stride64_b32 v[24:25], v50 offset0:24 offset1:26
	s_wait_dscnt 0x2
	v_add_f32_e32 v0, v26, v0
	v_add_f32_e32 v0, v27, v0
	ds_load_2addr_stride64_b32 v[26:27], v50 offset0:28 offset1:30
	s_wait_dscnt 0x2
	v_add_f32_e32 v0, v28, v0
	s_delay_alu instid0(VALU_DEP_1) | instskip(SKIP_1) | instid1(VALU_DEP_1)
	v_add_f32_e32 v0, v29, v0
	s_wait_dscnt 0x1
	v_add_f32_e32 v0, v24, v0
	s_delay_alu instid0(VALU_DEP_1) | instskip(SKIP_1) | instid1(VALU_DEP_1)
	v_add_f32_e32 v0, v25, v0
	s_wait_dscnt 0x0
	v_add_f32_e32 v0, v26, v0
	s_delay_alu instid0(VALU_DEP_1)
	v_add_f32_e32 v24, v27, v0
                                        ; implicit-def: $vgpr0
	ds_store_b32 v50, v24
	s_and_saveexec_b32 s8, s3
	s_cbranch_execz .LBB387_50
; %bb.47:                               ;   in Loop: Header=BB387_5 Depth=1
	v_mul_f32_e32 v0, v51, v24
	s_cmp_eq_f32 s55, 0
	s_cbranch_scc1 .LBB387_49
; %bb.48:                               ;   in Loop: Header=BB387_5 Depth=1
	v_lshl_add_u64 v[24:25], v[4:5], 1, s[48:49]
	global_load_u16 v24, v[24:25], off
	s_wait_loadcnt 0x0
	v_fma_mix_f32 v0, s55, v24, v0 op_sel_hi:[0,1,0]
.LBB387_49:                             ;   in Loop: Header=BB387_5 Depth=1
	s_delay_alu instid0(VALU_DEP_1)
	v_cvt_f16_f32_e32 v0, v0
	s_or_b32 s9, s54, exec_lo
.LBB387_50:                             ;   in Loop: Header=BB387_5 Depth=1
	s_wait_xcnt 0x0
	s_or_b32 exec_lo, exec_lo, s8
	s_delay_alu instid0(SALU_CYCLE_1) | instskip(SKIP_1) | instid1(SALU_CYCLE_1)
	s_and_not1_b32 s8, s54, exec_lo
	s_and_b32 s9, s9, exec_lo
	s_or_b32 s54, s8, s9
.LBB387_51:                             ;   in Loop: Header=BB387_5 Depth=1
	s_or_b32 exec_lo, exec_lo, s7
	v_mov_b64_e32 v[24:25], v[4:5]
	s_and_saveexec_b32 s7, s54
	s_cbranch_execz .LBB387_3
.LBB387_52:                             ;   in Loop: Header=BB387_5 Depth=1
	s_delay_alu instid0(VALU_DEP_1)
	v_lshl_add_u64 v[24:25], v[24:25], 1, s[48:49]
	global_store_b16 v[24:25], v0, off
	s_branch .LBB387_3
.LBB387_53:
	s_sendmsg sendmsg(MSG_DEALLOC_VGPRS)
	s_endpgm
	.section	.rodata,"a",@progbits
	.p2align	6, 0x0
	.amdhsa_kernel _ZL20rocblas_gemvn_kernelILi32ELi16ElDF16_PKfDF16_EviiT3_lPKT2_lT1_lS5_lS6_lS2_lPT4_lS6_li
		.amdhsa_group_segment_fixed_size 8192
		.amdhsa_private_segment_fixed_size 0
		.amdhsa_kernarg_size 400
		.amdhsa_user_sgpr_count 2
		.amdhsa_user_sgpr_dispatch_ptr 0
		.amdhsa_user_sgpr_queue_ptr 0
		.amdhsa_user_sgpr_kernarg_segment_ptr 1
		.amdhsa_user_sgpr_dispatch_id 0
		.amdhsa_user_sgpr_kernarg_preload_length 0
		.amdhsa_user_sgpr_kernarg_preload_offset 0
		.amdhsa_user_sgpr_private_segment_size 0
		.amdhsa_wavefront_size32 1
		.amdhsa_uses_dynamic_stack 0
		.amdhsa_enable_private_segment 0
		.amdhsa_system_sgpr_workgroup_id_x 1
		.amdhsa_system_sgpr_workgroup_id_y 0
		.amdhsa_system_sgpr_workgroup_id_z 1
		.amdhsa_system_sgpr_workgroup_info 0
		.amdhsa_system_vgpr_workitem_id 1
		.amdhsa_next_free_vgpr 76
		.amdhsa_next_free_sgpr 60
		.amdhsa_named_barrier_count 0
		.amdhsa_reserve_vcc 1
		.amdhsa_float_round_mode_32 0
		.amdhsa_float_round_mode_16_64 0
		.amdhsa_float_denorm_mode_32 3
		.amdhsa_float_denorm_mode_16_64 3
		.amdhsa_fp16_overflow 0
		.amdhsa_memory_ordered 1
		.amdhsa_forward_progress 1
		.amdhsa_inst_pref_size 24
		.amdhsa_round_robin_scheduling 0
		.amdhsa_exception_fp_ieee_invalid_op 0
		.amdhsa_exception_fp_denorm_src 0
		.amdhsa_exception_fp_ieee_div_zero 0
		.amdhsa_exception_fp_ieee_overflow 0
		.amdhsa_exception_fp_ieee_underflow 0
		.amdhsa_exception_fp_ieee_inexact 0
		.amdhsa_exception_int_div_zero 0
	.end_amdhsa_kernel
	.section	.text._ZL20rocblas_gemvn_kernelILi32ELi16ElDF16_PKfDF16_EviiT3_lPKT2_lT1_lS5_lS6_lS2_lPT4_lS6_li,"axG",@progbits,_ZL20rocblas_gemvn_kernelILi32ELi16ElDF16_PKfDF16_EviiT3_lPKT2_lT1_lS5_lS6_lS2_lPT4_lS6_li,comdat
.Lfunc_end387:
	.size	_ZL20rocblas_gemvn_kernelILi32ELi16ElDF16_PKfDF16_EviiT3_lPKT2_lT1_lS5_lS6_lS2_lPT4_lS6_li, .Lfunc_end387-_ZL20rocblas_gemvn_kernelILi32ELi16ElDF16_PKfDF16_EviiT3_lPKT2_lT1_lS5_lS6_lS2_lPT4_lS6_li
                                        ; -- End function
	.set _ZL20rocblas_gemvn_kernelILi32ELi16ElDF16_PKfDF16_EviiT3_lPKT2_lT1_lS5_lS6_lS2_lPT4_lS6_li.num_vgpr, 76
	.set _ZL20rocblas_gemvn_kernelILi32ELi16ElDF16_PKfDF16_EviiT3_lPKT2_lT1_lS5_lS6_lS2_lPT4_lS6_li.num_agpr, 0
	.set _ZL20rocblas_gemvn_kernelILi32ELi16ElDF16_PKfDF16_EviiT3_lPKT2_lT1_lS5_lS6_lS2_lPT4_lS6_li.numbered_sgpr, 60
	.set _ZL20rocblas_gemvn_kernelILi32ELi16ElDF16_PKfDF16_EviiT3_lPKT2_lT1_lS5_lS6_lS2_lPT4_lS6_li.num_named_barrier, 0
	.set _ZL20rocblas_gemvn_kernelILi32ELi16ElDF16_PKfDF16_EviiT3_lPKT2_lT1_lS5_lS6_lS2_lPT4_lS6_li.private_seg_size, 0
	.set _ZL20rocblas_gemvn_kernelILi32ELi16ElDF16_PKfDF16_EviiT3_lPKT2_lT1_lS5_lS6_lS2_lPT4_lS6_li.uses_vcc, 1
	.set _ZL20rocblas_gemvn_kernelILi32ELi16ElDF16_PKfDF16_EviiT3_lPKT2_lT1_lS5_lS6_lS2_lPT4_lS6_li.uses_flat_scratch, 0
	.set _ZL20rocblas_gemvn_kernelILi32ELi16ElDF16_PKfDF16_EviiT3_lPKT2_lT1_lS5_lS6_lS2_lPT4_lS6_li.has_dyn_sized_stack, 0
	.set _ZL20rocblas_gemvn_kernelILi32ELi16ElDF16_PKfDF16_EviiT3_lPKT2_lT1_lS5_lS6_lS2_lPT4_lS6_li.has_recursion, 0
	.set _ZL20rocblas_gemvn_kernelILi32ELi16ElDF16_PKfDF16_EviiT3_lPKT2_lT1_lS5_lS6_lS2_lPT4_lS6_li.has_indirect_call, 0
	.section	.AMDGPU.csdata,"",@progbits
; Kernel info:
; codeLenInByte = 3040
; TotalNumSgprs: 62
; NumVgprs: 76
; ScratchSize: 0
; MemoryBound: 0
; FloatMode: 240
; IeeeMode: 1
; LDSByteSize: 8192 bytes/workgroup (compile time only)
; SGPRBlocks: 0
; VGPRBlocks: 4
; NumSGPRsForWavesPerEU: 62
; NumVGPRsForWavesPerEU: 76
; NamedBarCnt: 0
; Occupancy: 12
; WaveLimiterHint : 1
; COMPUTE_PGM_RSRC2:SCRATCH_EN: 0
; COMPUTE_PGM_RSRC2:USER_SGPR: 2
; COMPUTE_PGM_RSRC2:TRAP_HANDLER: 0
; COMPUTE_PGM_RSRC2:TGID_X_EN: 1
; COMPUTE_PGM_RSRC2:TGID_Y_EN: 0
; COMPUTE_PGM_RSRC2:TGID_Z_EN: 1
; COMPUTE_PGM_RSRC2:TIDIG_COMP_CNT: 1
	.section	.text._ZL20rocblas_gemvn_kernelILi32ELi16EiDF16_fDF16_EviiT3_lPKT2_lT1_lS3_lS4_lS0_lPT4_lS4_li,"axG",@progbits,_ZL20rocblas_gemvn_kernelILi32ELi16EiDF16_fDF16_EviiT3_lPKT2_lT1_lS3_lS4_lS0_lPT4_lS4_li,comdat
	.globl	_ZL20rocblas_gemvn_kernelILi32ELi16EiDF16_fDF16_EviiT3_lPKT2_lT1_lS3_lS4_lS0_lPT4_lS4_li ; -- Begin function _ZL20rocblas_gemvn_kernelILi32ELi16EiDF16_fDF16_EviiT3_lPKT2_lT1_lS3_lS4_lS0_lPT4_lS4_li
	.p2align	8
	.type	_ZL20rocblas_gemvn_kernelILi32ELi16EiDF16_fDF16_EviiT3_lPKT2_lT1_lS3_lS4_lS0_lPT4_lS4_li,@function
_ZL20rocblas_gemvn_kernelILi32ELi16EiDF16_fDF16_EviiT3_lPKT2_lT1_lS3_lS4_lS0_lPT4_lS4_li: ; @_ZL20rocblas_gemvn_kernelILi32ELi16EiDF16_fDF16_EviiT3_lPKT2_lT1_lS3_lS4_lS0_lPT4_lS4_li
; %bb.0:
	s_load_b64 s[2:3], s[0:1], 0x9c
	s_wait_kmcnt 0x0
	s_lshr_b32 s4, s2, 16
	s_and_b32 s2, s2, 0xffff
	s_and_b32 s3, s3, 0xffff
	s_mul_i32 s2, s4, s2
	s_delay_alu instid0(SALU_CYCLE_1) | instskip(NEXT) | instid1(SALU_CYCLE_1)
	s_mul_i32 s2, s2, s3
	s_cmp_lg_u32 s2, 0x200
	s_cbranch_scc1 .LBB388_53
; %bb.1:
	s_load_b32 s19, s[0:1], 0x88
	s_bfe_u32 s2, ttmp6, 0x40014
	s_lshr_b32 s3, ttmp7, 16
	s_add_co_i32 s2, s2, 1
	s_bfe_u32 s5, ttmp6, 0x40008
	s_mul_i32 s4, s3, s2
	s_getreg_b32 s2, hwreg(HW_REG_IB_STS2, 6, 4)
	s_add_co_i32 s5, s5, s4
	s_cmp_eq_u32 s2, 0
	s_mov_b32 s29, 0
	s_cselect_b32 s28, s3, s5
	s_wait_kmcnt 0x0
	s_cmp_ge_u32 s28, s19
	s_cbranch_scc1 .LBB388_53
; %bb.2:
	s_clause 0x7
	s_load_b128 s[4:7], s[0:1], 0x18
	s_load_b96 s[16:18], s[0:1], 0x40
	s_load_b128 s[12:15], s[0:1], 0x68
	s_load_b32 s30, s[0:1], 0x78
	s_load_b96 s[20:22], s[0:1], 0x0
	s_load_b96 s[24:26], s[0:1], 0x50
	s_load_b32 s23, s[0:1], 0x28
	s_load_b128 s[8:11], s[0:1], 0x30
	v_and_b32_e32 v4, 0x3ff, v0
	v_bfe_u32 v3, v0, 10, 10
	s_delay_alu instid0(VALU_DEP_1) | instskip(NEXT) | instid1(VALU_DEP_3)
	v_dual_mov_b32 v1, 0 :: v_dual_lshlrev_b32 v14, 2, v3
	v_lshl_add_u32 v5, v3, 5, v4
	s_delay_alu instid0(VALU_DEP_2)
	v_or_b32_e32 v10, 3, v14
	s_wait_kmcnt 0x0
	s_lshl_b64 s[6:7], s[6:7], 1
	s_lshl_b64 s[34:35], s[16:17], 1
	;; [unrolled: 1-line block ×3, first 2 shown]
	s_ashr_i32 s31, s30, 31
	s_cmp_eq_f32 s22, 0
	s_load_b64 s[14:15], s[0:1], 0x80
	s_add_nc_u64 s[16:17], s[4:5], s[6:7]
	s_wait_xcnt 0x0
	s_mov_b32 s0, s20
	s_cselect_b32 s27, -1, 0
	s_cmp_neq_f32 s22, 0
	v_mad_u32 v20, s23, v10, v4
	v_mad_u32 v22, s18, v14, s18
	v_mul_lo_u32 v24, s18, v10
	s_cselect_b32 s1, -1, 0
	s_cmp_neq_f32 s26, 1.0
	s_add_nc_u64 s[10:11], s[10:11], s[34:35]
	s_add_nc_u64 s[12:13], s[12:13], s[36:37]
	s_cselect_b32 s3, -1, 0
	s_bfe_u32 s4, ttmp6, 0x4000c
	s_and_b32 s5, ttmp6, 15
	s_add_co_i32 s4, s4, 1
	s_or_b32 s33, s1, s3
	s_mul_i32 s4, ttmp9, s4
	s_delay_alu instid0(SALU_CYCLE_1) | instskip(SKIP_4) | instid1(SALU_CYCLE_1)
	s_add_co_i32 s5, s5, s4
	s_cmp_eq_u32 s2, 0
	s_cselect_b32 s2, ttmp9, s5
	s_ashr_i32 s1, s20, 31
	s_lshl_b32 s38, s2, 7
	v_dual_lshlrev_b32 v6, 2, v4 :: v_dual_add_nc_u32 v0, s38, v5
	s_cmp_neq_f32 s26, 0
	v_dual_add_nc_u32 v15, s38, v4 :: v_dual_bitop2_b32 v7, s38, v5 bitop3:0x54
	s_delay_alu instid0(VALU_DEP_2) | instskip(NEXT) | instid1(VALU_DEP_3)
	v_lshl_add_u32 v16, v3, 9, v6
	v_cmp_gt_i64_e32 vcc_lo, s[0:1], v[0:1]
	v_mul_u64_e32 v[0:1], s[30:31], v[0:1]
	s_cselect_b32 s39, -1, 0
	s_ashr_i32 s2, s21, 31
	v_dual_add_nc_u32 v2, 32, v15 :: v_dual_add_nc_u32 v8, 64, v15
	s_lshr_b32 s1, s2, 26
	v_add_nc_u32_e32 v9, 0x60, v15
	s_add_co_i32 s40, s21, s1
	s_delay_alu instid0(VALU_DEP_2)
	v_cmp_gt_i32_e64 s1, s20, v2
	s_and_not1_b32 s40, s40, 63
	v_cmp_gt_i32_e64 s2, s20, v8
	s_sub_co_i32 s5, s21, s40
	v_cmp_gt_i32_e64 s4, s20, v9
	v_mul_lo_u32 v2, s30, v7
	v_mul_lo_u32 v8, s23, v14
	s_cmp_gt_i32 s5, 0
	v_mul_lo_u32 v9, v3, s23
	v_cmp_gt_u32_e64 s5, 0x80, v5
	v_lshl_add_u32 v17, v3, 7, v6
	v_or_b32_e32 v5, 2, v14
	v_mul_lo_u32 v6, v3, s18
	v_cmp_gt_i32_e64 s0, s20, v15
	v_cmp_gt_i32_e64 s3, s40, v14
	;; [unrolled: 1-line block ×3, first 2 shown]
	v_mad_u32 v19, s23, v5, v4
	v_mul_lo_u32 v23, s18, v5
	v_ashrrev_i32_e32 v3, 31, v2
	v_add3_u32 v18, v8, s23, v4
	v_lshl_add_u32 v21, v9, 2, v4
	s_cselect_b32 s20, -1, 0
	s_and_b32 s41, s5, vcc_lo
	v_lshlrev_b32_e32 v25, 2, v6
	s_lshl_b32 s42, s23, 6
	s_lshl_b32 s43, s18, 6
	s_branch .LBB388_5
.LBB388_3:                              ;   in Loop: Header=BB388_5 Depth=1
	s_wait_xcnt 0x0
	s_or_b32 exec_lo, exec_lo, s7
.LBB388_4:                              ;   in Loop: Header=BB388_5 Depth=1
	s_add_co_i32 s28, s28, 0x10000
	s_delay_alu instid0(SALU_CYCLE_1)
	s_cmp_lt_u32 s28, s19
	s_cbranch_scc0 .LBB388_53
.LBB388_5:                              ; =>This Loop Header: Depth=1
                                        ;     Child Loop BB388_21 Depth 2
	s_and_not1_b32 vcc_lo, exec_lo, s33
	s_cbranch_vccnz .LBB388_4
; %bb.6:                                ;   in Loop: Header=BB388_5 Depth=1
	s_wait_kmcnt 0x0
	s_mul_u64 s[30:31], s[14:15], s[28:29]
	s_and_not1_b32 vcc_lo, exec_lo, s27
	s_lshl_b64 s[30:31], s[30:31], 1
	s_delay_alu instid0(SALU_CYCLE_1)
	s_add_nc_u64 s[30:31], s[12:13], s[30:31]
	s_cbranch_vccnz .LBB388_10
; %bb.7:                                ;   in Loop: Header=BB388_5 Depth=1
	s_mov_b32 s7, 0
	s_mov_b32 s44, 0
                                        ; implicit-def: $vgpr6
	s_and_saveexec_b32 s34, s41
	s_cbranch_execz .LBB388_11
; %bb.8:                                ;   in Loop: Header=BB388_5 Depth=1
	s_and_not1_b32 vcc_lo, exec_lo, s39
	s_cbranch_vccnz .LBB388_13
; %bb.9:                                ;   in Loop: Header=BB388_5 Depth=1
	v_lshl_add_u64 v[4:5], v[0:1], 1, s[30:31]
	global_load_u16 v4, v[4:5], off
	s_wait_loadcnt 0x0
	v_fma_mixlo_f16 v6, s26, v4, 0 op_sel_hi:[0,1,0]
	s_branch .LBB388_14
.LBB388_10:                             ;   in Loop: Header=BB388_5 Depth=1
	s_mov_b32 s44, 0
                                        ; implicit-def: $vgpr6
	s_cbranch_execz .LBB388_12
	s_branch .LBB388_15
.LBB388_11:                             ;   in Loop: Header=BB388_5 Depth=1
	s_or_b32 exec_lo, exec_lo, s34
	s_delay_alu instid0(SALU_CYCLE_1)
	s_and_b32 vcc_lo, exec_lo, s7
	s_cbranch_vccnz .LBB388_15
.LBB388_12:                             ;   in Loop: Header=BB388_5 Depth=1
	v_mov_b64_e32 v[4:5], v[0:1]
	s_and_saveexec_b32 s7, s44
	s_cbranch_execz .LBB388_3
	s_branch .LBB388_52
.LBB388_13:                             ;   in Loop: Header=BB388_5 Depth=1
	v_mov_b32_e32 v6, 0
.LBB388_14:                             ;   in Loop: Header=BB388_5 Depth=1
	s_mov_b32 s44, exec_lo
	s_wait_xcnt 0x0
	s_or_b32 exec_lo, exec_lo, s34
	s_delay_alu instid0(SALU_CYCLE_1)
	s_and_b32 vcc_lo, exec_lo, s7
	s_cbranch_vccz .LBB388_12
.LBB388_15:                             ;   in Loop: Header=BB388_5 Depth=1
	s_mul_u64 s[34:35], s[8:9], s[28:29]
	s_mul_u64 s[36:37], s[24:25], s[28:29]
	v_dual_mov_b32 v26, 0 :: v_dual_mov_b32 v12, v14
	v_dual_mov_b32 v27, 0 :: v_dual_mov_b32 v28, 0
	v_mov_b32_e32 v29, 0
	s_lshl_b64 s[34:35], s[34:35], 1
	s_lshl_b64 s[36:37], s[36:37], 1
	s_add_nc_u64 s[34:35], s[16:17], s[34:35]
	s_add_nc_u64 s[36:37], s[10:11], s[36:37]
	s_and_saveexec_b32 s7, s3
	s_cbranch_execz .LBB388_27
; %bb.16:                               ;   in Loop: Header=BB388_5 Depth=1
	v_dual_mov_b32 v26, 0 :: v_dual_mov_b32 v13, v21
	v_dual_mov_b32 v30, v20 :: v_dual_mov_b32 v31, v19
	;; [unrolled: 1-line block ×4, first 2 shown]
	v_mov_b32_e32 v29, 0
	s_mov_b32 s45, 0
	s_mov_b32 s46, 0
	s_branch .LBB388_21
.LBB388_17:                             ;   in Loop: Header=BB388_21 Depth=2
	s_wait_xcnt 0x0
	s_or_b32 exec_lo, exec_lo, s50
	s_wait_loadcnt 0x3
	v_fma_mix_f32 v4, v45, v49, v28 op_sel_hi:[0,1,0]
	s_wait_loadcnt 0x2
	s_delay_alu instid0(VALU_DEP_1) | instskip(SKIP_1) | instid1(VALU_DEP_1)
	v_fma_mix_f32 v4, v46, v50, v4 op_sel_hi:[0,1,0]
	s_wait_loadcnt 0x1
	v_fma_mix_f32 v4, v47, v51, v4 op_sel_hi:[0,1,0]
	s_wait_loadcnt 0x0
	s_delay_alu instid0(VALU_DEP_1)
	v_fma_mix_f32 v28, v48, v52, v4 op_sel_hi:[0,1,0]
.LBB388_18:                             ;   in Loop: Header=BB388_21 Depth=2
	s_or_b32 exec_lo, exec_lo, s49
	s_wait_loadcnt 0x3
	v_fma_mix_f32 v4, v45, v41, v27 op_sel_hi:[0,1,0]
	s_wait_loadcnt 0x2
	s_delay_alu instid0(VALU_DEP_1) | instskip(SKIP_1) | instid1(VALU_DEP_1)
	v_fma_mix_f32 v4, v46, v42, v4 op_sel_hi:[0,1,0]
	s_wait_loadcnt 0x1
	v_fma_mix_f32 v4, v47, v43, v4 op_sel_hi:[0,1,0]
	s_wait_loadcnt 0x0
	s_delay_alu instid0(VALU_DEP_1)
	v_fma_mix_f32 v27, v48, v44, v4 op_sel_hi:[0,1,0]
.LBB388_19:                             ;   in Loop: Header=BB388_21 Depth=2
	s_or_b32 exec_lo, exec_lo, s48
	s_wait_loadcnt 0x3
	v_fma_mix_f32 v4, v33, v37, v26 op_sel_hi:[1,1,0]
	s_wait_loadcnt 0x2
	s_delay_alu instid0(VALU_DEP_1) | instskip(SKIP_1) | instid1(VALU_DEP_1)
	v_fma_mix_f32 v4, v34, v38, v4 op_sel_hi:[1,1,0]
	s_wait_loadcnt 0x1
	v_fma_mix_f32 v4, v35, v39, v4 op_sel_hi:[1,1,0]
	s_wait_loadcnt 0x0
	s_delay_alu instid0(VALU_DEP_1)
	v_fma_mix_f32 v26, v36, v40, v4 op_sel_hi:[1,1,0]
.LBB388_20:                             ;   in Loop: Header=BB388_21 Depth=2
	s_or_b32 exec_lo, exec_lo, s47
	v_dual_add_nc_u32 v12, 64, v12 :: v_dual_add_nc_u32 v31, s42, v31
	v_dual_add_nc_u32 v32, s42, v32 :: v_dual_add_nc_u32 v30, s42, v30
	v_add_nc_u32_e32 v13, s42, v13
	s_delay_alu instid0(VALU_DEP_3) | instskip(SKIP_2) | instid1(SALU_CYCLE_1)
	v_cmp_le_i32_e32 vcc_lo, s40, v12
	s_add_co_i32 s46, s46, s43
	s_or_b32 s45, vcc_lo, s45
	s_and_not1_b32 exec_lo, exec_lo, s45
	s_cbranch_execz .LBB388_26
.LBB388_21:                             ;   Parent Loop BB388_5 Depth=1
                                        ; =>  This Inner Loop Header: Depth=2
	s_and_saveexec_b32 s47, s0
	s_cbranch_execz .LBB388_20
; %bb.22:                               ;   in Loop: Header=BB388_21 Depth=2
	v_dual_add_nc_u32 v5, s46, v25 :: v_dual_add_nc_u32 v7, s46, v22
	v_dual_add_nc_u32 v9, s46, v23 :: v_dual_add_nc_u32 v11, s46, v24
	;; [unrolled: 1-line block ×4, first 2 shown]
	s_clause 0x3
	global_load_u16 v33, v5, s[36:37] scale_offset
	global_load_u16 v34, v7, s[36:37] scale_offset
	;; [unrolled: 1-line block ×4, first 2 shown]
	s_clause 0x3
	global_load_u16 v37, v4, s[34:35] scale_offset
	global_load_u16 v38, v6, s[34:35] scale_offset
	global_load_u16 v39, v10, s[34:35] scale_offset
	global_load_u16 v40, v8, s[34:35] scale_offset
	s_wait_xcnt 0x0
	s_and_saveexec_b32 s48, s1
	s_cbranch_execz .LBB388_19
; %bb.23:                               ;   in Loop: Header=BB388_21 Depth=2
	v_dual_ashrrev_i32 v5, 31, v4 :: v_dual_ashrrev_i32 v7, 31, v6
	v_dual_ashrrev_i32 v11, 31, v10 :: v_dual_ashrrev_i32 v9, 31, v8
	s_wait_loadcnt 0x7
	v_cvt_f32_f16_e32 v45, v33
	s_delay_alu instid0(VALU_DEP_3)
	v_lshl_add_u64 v[4:5], v[4:5], 1, s[34:35]
	v_lshl_add_u64 v[6:7], v[6:7], 1, s[34:35]
	;; [unrolled: 1-line block ×4, first 2 shown]
	s_wait_loadcnt 0x6
	v_cvt_f32_f16_e32 v46, v34
	s_clause 0x3
	global_load_u16 v41, v[4:5], off offset:64
	global_load_u16 v42, v[6:7], off offset:64
	;; [unrolled: 1-line block ×4, first 2 shown]
	s_wait_loadcnt 0x9
	v_cvt_f32_f16_e32 v47, v35
	s_wait_loadcnt 0x8
	v_cvt_f32_f16_e32 v48, v36
	s_wait_xcnt 0x0
	s_and_saveexec_b32 s49, s2
	s_cbranch_execz .LBB388_18
; %bb.24:                               ;   in Loop: Header=BB388_21 Depth=2
	s_clause 0x3
	global_load_u16 v49, v[4:5], off offset:128
	global_load_u16 v50, v[6:7], off offset:128
	;; [unrolled: 1-line block ×4, first 2 shown]
	s_wait_xcnt 0x0
	s_and_saveexec_b32 s50, s4
	s_cbranch_execz .LBB388_17
; %bb.25:                               ;   in Loop: Header=BB388_21 Depth=2
	s_clause 0x3
	global_load_u16 v53, v[4:5], off offset:192
	global_load_u16 v54, v[6:7], off offset:192
	global_load_u16 v55, v[10:11], off offset:192
	global_load_u16 v56, v[8:9], off offset:192
	s_wait_loadcnt 0x3
	s_wait_xcnt 0x3
	v_fma_mix_f32 v4, v45, v53, v29 op_sel_hi:[0,1,0]
	s_wait_loadcnt 0x2
	s_delay_alu instid0(VALU_DEP_1) | instskip(SKIP_1) | instid1(VALU_DEP_1)
	v_fma_mix_f32 v4, v46, v54, v4 op_sel_hi:[0,1,0]
	s_wait_loadcnt 0x1
	v_fma_mix_f32 v4, v47, v55, v4 op_sel_hi:[0,1,0]
	s_wait_loadcnt 0x0
	s_delay_alu instid0(VALU_DEP_1)
	v_fma_mix_f32 v29, v48, v56, v4 op_sel_hi:[0,1,0]
	s_branch .LBB388_17
.LBB388_26:                             ;   in Loop: Header=BB388_5 Depth=1
	s_or_b32 exec_lo, exec_lo, s45
.LBB388_27:                             ;   in Loop: Header=BB388_5 Depth=1
	s_delay_alu instid0(SALU_CYCLE_1) | instskip(NEXT) | instid1(SALU_CYCLE_1)
	s_or_b32 exec_lo, exec_lo, s7
	s_and_not1_b32 vcc_lo, exec_lo, s20
	s_cbranch_vccnz .LBB388_45
; %bb.28:                               ;   in Loop: Header=BB388_5 Depth=1
	v_cmp_gt_i32_e32 vcc_lo, s21, v12
	v_dual_mov_b32 v30, 0 :: v_dual_bitop2_b32 v4, 1, v12 bitop3:0x54
	v_dual_mov_b32 v31, 0 :: v_dual_mov_b32 v32, 0
	v_mov_b32_e32 v33, 0
	s_and_saveexec_b32 s45, vcc_lo
	s_cbranch_execz .LBB388_36
; %bb.29:                               ;   in Loop: Header=BB388_5 Depth=1
	v_mul_lo_u32 v5, v12, s18
	v_dual_mov_b32 v32, 0 :: v_dual_mov_b32 v31, 0
	v_mov_b32_e32 v30, 0
	s_mov_b32 s46, exec_lo
	global_load_u16 v5, v5, s[36:37] scale_offset
	s_wait_xcnt 0x0
	v_cmpx_gt_i32_e64 s21, v4
	s_cbranch_execz .LBB388_35
; %bb.30:                               ;   in Loop: Header=BB388_5 Depth=1
	v_mul_lo_u32 v6, v4, s18
	v_dual_mov_b32 v31, 0 :: v_dual_bitop2_b32 v7, 2, v12 bitop3:0x54
	v_mov_b32_e32 v30, 0
	s_mov_b32 s47, exec_lo
	global_load_u16 v6, v6, s[36:37] scale_offset
	s_wait_xcnt 0x0
	v_cmpx_gt_i32_e64 s21, v7
	s_cbranch_execz .LBB388_34
; %bb.31:                               ;   in Loop: Header=BB388_5 Depth=1
	v_mul_lo_u32 v7, v7, s18
	v_dual_mov_b32 v30, 0 :: v_dual_bitop2_b32 v8, 3, v12 bitop3:0x54
	s_mov_b32 s48, exec_lo
	global_load_u16 v7, v7, s[36:37] scale_offset
	s_wait_xcnt 0x0
	v_cmpx_gt_i32_e64 s21, v8
	s_cbranch_execz .LBB388_33
; %bb.32:                               ;   in Loop: Header=BB388_5 Depth=1
	v_mul_lo_u32 v8, v8, s18
	global_load_u16 v8, v8, s[36:37] scale_offset
	s_wait_loadcnt 0x0
	v_cvt_f32_f16_e32 v30, v8
.LBB388_33:                             ;   in Loop: Header=BB388_5 Depth=1
	s_wait_xcnt 0x0
	s_or_b32 exec_lo, exec_lo, s48
	s_wait_loadcnt 0x0
	v_cvt_f32_f16_e32 v31, v7
.LBB388_34:                             ;   in Loop: Header=BB388_5 Depth=1
	s_or_b32 exec_lo, exec_lo, s47
	s_wait_loadcnt 0x0
	v_cvt_f32_f16_e32 v32, v6
.LBB388_35:                             ;   in Loop: Header=BB388_5 Depth=1
	s_or_b32 exec_lo, exec_lo, s46
	s_wait_loadcnt 0x0
	v_cvt_f32_f16_e32 v33, v5
.LBB388_36:                             ;   in Loop: Header=BB388_5 Depth=1
	s_or_b32 exec_lo, exec_lo, s45
	s_and_saveexec_b32 s7, s0
	s_cbranch_execz .LBB388_44
; %bb.37:                               ;   in Loop: Header=BB388_5 Depth=1
	v_mul_lo_u32 v6, v12, s23
	v_or_b32_e32 v5, 2, v12
	v_mul_lo_u32 v8, v4, s23
	s_delay_alu instid0(VALU_DEP_3) | instskip(NEXT) | instid1(VALU_DEP_3)
	v_cndmask_b32_e32 v6, 0, v6, vcc_lo
	v_mul_lo_u32 v9, v5, s23
	v_cmp_gt_i32_e32 vcc_lo, s21, v4
	s_delay_alu instid0(VALU_DEP_4) | instskip(SKIP_1) | instid1(VALU_DEP_4)
	v_cndmask_b32_e32 v8, 0, v8, vcc_lo
	v_cmp_gt_i32_e32 vcc_lo, s21, v5
	v_dual_cndmask_b32 v5, 0, v9, vcc_lo :: v_dual_bitop2_b32 v7, 3, v12 bitop3:0x54
	s_delay_alu instid0(VALU_DEP_1) | instskip(SKIP_1) | instid1(VALU_DEP_2)
	v_mul_lo_u32 v10, v7, s23
	v_cmp_gt_i32_e32 vcc_lo, s21, v7
	v_dual_cndmask_b32 v7, 0, v10 :: v_dual_add_nc_u32 v4, v6, v15
	s_delay_alu instid0(VALU_DEP_4) | instskip(NEXT) | instid1(VALU_DEP_2)
	v_dual_add_nc_u32 v8, v8, v15 :: v_dual_add_nc_u32 v12, v5, v15
	v_add_nc_u32_e32 v10, v7, v15
	s_clause 0x3
	global_load_u16 v34, v4, s[34:35] scale_offset
	global_load_u16 v35, v8, s[34:35] scale_offset
	;; [unrolled: 1-line block ×4, first 2 shown]
	s_wait_xcnt 0x0
	s_and_saveexec_b32 s36, s1
	s_cbranch_execz .LBB388_43
; %bb.38:                               ;   in Loop: Header=BB388_5 Depth=1
	v_dual_ashrrev_i32 v5, 31, v4 :: v_dual_ashrrev_i32 v11, 31, v10
	v_ashrrev_i32_e32 v9, 31, v8
	v_ashrrev_i32_e32 v13, 31, v12
	s_delay_alu instid0(VALU_DEP_3) | instskip(NEXT) | instid1(VALU_DEP_4)
	v_lshl_add_u64 v[6:7], v[4:5], 1, s[34:35]
	v_lshl_add_u64 v[10:11], v[10:11], 1, s[34:35]
	s_delay_alu instid0(VALU_DEP_4) | instskip(NEXT) | instid1(VALU_DEP_4)
	v_lshl_add_u64 v[4:5], v[8:9], 1, s[34:35]
	v_lshl_add_u64 v[8:9], v[12:13], 1, s[34:35]
	s_clause 0x3
	global_load_u16 v12, v[6:7], off offset:64
	global_load_u16 v13, v[4:5], off offset:64
	;; [unrolled: 1-line block ×4, first 2 shown]
	s_wait_xcnt 0x0
	s_and_saveexec_b32 s34, s2
	s_cbranch_execz .LBB388_42
; %bb.39:                               ;   in Loop: Header=BB388_5 Depth=1
	s_clause 0x3
	global_load_u16 v40, v[6:7], off offset:128
	global_load_u16 v41, v[4:5], off offset:128
	global_load_u16 v42, v[8:9], off offset:128
	global_load_u16 v43, v[10:11], off offset:128
	s_wait_xcnt 0x0
	s_and_saveexec_b32 s35, s4
	s_cbranch_execz .LBB388_41
; %bb.40:                               ;   in Loop: Header=BB388_5 Depth=1
	s_clause 0x3
	global_load_u16 v44, v[6:7], off offset:192
	global_load_u16 v45, v[4:5], off offset:192
	;; [unrolled: 1-line block ×4, first 2 shown]
	s_wait_loadcnt 0x3
	s_wait_xcnt 0x2
	v_fma_mix_f32 v4, v33, v44, v29 op_sel_hi:[0,1,0]
	s_wait_loadcnt 0x2
	s_delay_alu instid0(VALU_DEP_1) | instskip(SKIP_1) | instid1(VALU_DEP_1)
	v_fma_mix_f32 v4, v32, v45, v4 op_sel_hi:[0,1,0]
	s_wait_loadcnt 0x1
	v_fma_mix_f32 v4, v31, v46, v4 op_sel_hi:[0,1,0]
	s_wait_loadcnt 0x0
	s_delay_alu instid0(VALU_DEP_1)
	v_fma_mix_f32 v29, v30, v47, v4 op_sel_hi:[0,1,0]
.LBB388_41:                             ;   in Loop: Header=BB388_5 Depth=1
	s_wait_xcnt 0x0
	s_or_b32 exec_lo, exec_lo, s35
	s_wait_loadcnt 0x3
	v_fma_mix_f32 v4, v33, v40, v28 op_sel_hi:[0,1,0]
	s_wait_loadcnt 0x2
	s_delay_alu instid0(VALU_DEP_1) | instskip(SKIP_1) | instid1(VALU_DEP_1)
	v_fma_mix_f32 v4, v32, v41, v4 op_sel_hi:[0,1,0]
	s_wait_loadcnt 0x1
	v_fma_mix_f32 v4, v31, v42, v4 op_sel_hi:[0,1,0]
	s_wait_loadcnt 0x0
	s_delay_alu instid0(VALU_DEP_1)
	v_fma_mix_f32 v28, v30, v43, v4 op_sel_hi:[0,1,0]
.LBB388_42:                             ;   in Loop: Header=BB388_5 Depth=1
	s_or_b32 exec_lo, exec_lo, s34
	s_wait_loadcnt 0x3
	v_fma_mix_f32 v4, v33, v12, v27 op_sel_hi:[0,1,0]
	s_wait_loadcnt 0x2
	s_delay_alu instid0(VALU_DEP_1) | instskip(SKIP_1) | instid1(VALU_DEP_1)
	v_fma_mix_f32 v4, v32, v13, v4 op_sel_hi:[0,1,0]
	s_wait_loadcnt 0x1
	v_fma_mix_f32 v4, v31, v38, v4 op_sel_hi:[0,1,0]
	s_wait_loadcnt 0x0
	s_delay_alu instid0(VALU_DEP_1)
	v_fma_mix_f32 v27, v30, v39, v4 op_sel_hi:[0,1,0]
.LBB388_43:                             ;   in Loop: Header=BB388_5 Depth=1
	s_or_b32 exec_lo, exec_lo, s36
	s_wait_loadcnt 0x3
	v_fma_mix_f32 v4, v33, v34, v26 op_sel_hi:[0,1,0]
	s_wait_loadcnt 0x2
	s_delay_alu instid0(VALU_DEP_1) | instskip(SKIP_1) | instid1(VALU_DEP_1)
	v_fma_mix_f32 v4, v32, v35, v4 op_sel_hi:[0,1,0]
	s_wait_loadcnt 0x1
	v_fma_mix_f32 v4, v31, v36, v4 op_sel_hi:[0,1,0]
	s_wait_loadcnt 0x0
	s_delay_alu instid0(VALU_DEP_1)
	v_fma_mix_f32 v26, v30, v37, v4 op_sel_hi:[0,1,0]
.LBB388_44:                             ;   in Loop: Header=BB388_5 Depth=1
	s_or_b32 exec_lo, exec_lo, s7
.LBB388_45:                             ;   in Loop: Header=BB388_5 Depth=1
	ds_store_2addr_b32 v16, v26, v27 offset1:32
	ds_store_2addr_b32 v16, v28, v29 offset0:64 offset1:96
	s_wait_dscnt 0x0
	s_barrier_signal -1
	s_barrier_wait -1
                                        ; implicit-def: $vgpr6
	s_and_saveexec_b32 s7, s5
	s_cbranch_execz .LBB388_51
; %bb.46:                               ;   in Loop: Header=BB388_5 Depth=1
	ds_load_2addr_stride64_b32 v[4:5], v17 offset1:2
	ds_load_2addr_stride64_b32 v[6:7], v17 offset0:4 offset1:6
	ds_load_2addr_stride64_b32 v[8:9], v17 offset0:8 offset1:10
	s_mov_b32 s35, s44
	s_wait_dscnt 0x2
	v_add_f32_e32 v10, v4, v5
	ds_load_2addr_stride64_b32 v[4:5], v17 offset0:12 offset1:14
	s_wait_dscnt 0x2
	v_add_f32_e32 v6, v6, v10
	s_delay_alu instid0(VALU_DEP_1) | instskip(SKIP_3) | instid1(VALU_DEP_1)
	v_add_f32_e32 v10, v7, v6
	ds_load_2addr_stride64_b32 v[6:7], v17 offset0:16 offset1:18
	s_wait_dscnt 0x2
	v_add_f32_e32 v8, v8, v10
	v_add_f32_e32 v10, v9, v8
	ds_load_2addr_stride64_b32 v[8:9], v17 offset0:20 offset1:22
	s_wait_dscnt 0x2
	v_add_f32_e32 v4, v4, v10
	s_delay_alu instid0(VALU_DEP_1) | instskip(SKIP_1) | instid1(VALU_DEP_1)
	v_add_f32_e32 v4, v5, v4
	s_wait_dscnt 0x1
	v_add_f32_e32 v6, v6, v4
	ds_load_2addr_stride64_b32 v[4:5], v17 offset0:24 offset1:26
	v_add_f32_e32 v6, v7, v6
	s_wait_dscnt 0x1
	s_delay_alu instid0(VALU_DEP_1) | instskip(SKIP_3) | instid1(VALU_DEP_1)
	v_add_f32_e32 v8, v8, v6
	ds_load_2addr_stride64_b32 v[6:7], v17 offset0:28 offset1:30
	v_add_f32_e32 v8, v9, v8
	s_wait_dscnt 0x1
	v_add_f32_e32 v4, v4, v8
	s_delay_alu instid0(VALU_DEP_1) | instskip(SKIP_1) | instid1(VALU_DEP_1)
	v_add_f32_e32 v4, v5, v4
	s_wait_dscnt 0x0
	v_add_f32_e32 v4, v6, v4
                                        ; implicit-def: $vgpr6
	s_delay_alu instid0(VALU_DEP_1)
	v_add_f32_e32 v4, v7, v4
	ds_store_b32 v17, v4
	s_and_saveexec_b32 s34, s6
	s_cbranch_execz .LBB388_50
; %bb.47:                               ;   in Loop: Header=BB388_5 Depth=1
	v_mul_f32_e32 v4, s22, v4
	s_and_not1_b32 vcc_lo, exec_lo, s39
	s_cbranch_vccnz .LBB388_49
; %bb.48:                               ;   in Loop: Header=BB388_5 Depth=1
	v_lshl_add_u64 v[6:7], v[2:3], 1, s[30:31]
	global_load_u16 v5, v[6:7], off
	s_wait_loadcnt 0x0
	v_fma_mix_f32 v4, s26, v5, v4 op_sel_hi:[0,1,0]
.LBB388_49:                             ;   in Loop: Header=BB388_5 Depth=1
	s_wait_xcnt 0x0
	s_delay_alu instid0(VALU_DEP_1)
	v_cvt_f16_f32_e32 v6, v4
	s_or_b32 s35, s44, exec_lo
.LBB388_50:                             ;   in Loop: Header=BB388_5 Depth=1
	s_or_b32 exec_lo, exec_lo, s34
	s_delay_alu instid0(SALU_CYCLE_1) | instskip(SKIP_1) | instid1(SALU_CYCLE_1)
	s_and_not1_b32 s34, s44, exec_lo
	s_and_b32 s35, s35, exec_lo
	s_or_b32 s44, s34, s35
.LBB388_51:                             ;   in Loop: Header=BB388_5 Depth=1
	s_or_b32 exec_lo, exec_lo, s7
	v_mov_b64_e32 v[4:5], v[2:3]
	s_and_saveexec_b32 s7, s44
	s_cbranch_execz .LBB388_3
.LBB388_52:                             ;   in Loop: Header=BB388_5 Depth=1
	s_delay_alu instid0(VALU_DEP_1)
	v_lshl_add_u64 v[4:5], v[4:5], 1, s[30:31]
	global_store_b16 v[4:5], v6, off
	s_branch .LBB388_3
.LBB388_53:
	s_endpgm
	.section	.rodata,"a",@progbits
	.p2align	6, 0x0
	.amdhsa_kernel _ZL20rocblas_gemvn_kernelILi32ELi16EiDF16_fDF16_EviiT3_lPKT2_lT1_lS3_lS4_lS0_lPT4_lS4_li
		.amdhsa_group_segment_fixed_size 8192
		.amdhsa_private_segment_fixed_size 0
		.amdhsa_kernarg_size 400
		.amdhsa_user_sgpr_count 2
		.amdhsa_user_sgpr_dispatch_ptr 0
		.amdhsa_user_sgpr_queue_ptr 0
		.amdhsa_user_sgpr_kernarg_segment_ptr 1
		.amdhsa_user_sgpr_dispatch_id 0
		.amdhsa_user_sgpr_kernarg_preload_length 0
		.amdhsa_user_sgpr_kernarg_preload_offset 0
		.amdhsa_user_sgpr_private_segment_size 0
		.amdhsa_wavefront_size32 1
		.amdhsa_uses_dynamic_stack 0
		.amdhsa_enable_private_segment 0
		.amdhsa_system_sgpr_workgroup_id_x 1
		.amdhsa_system_sgpr_workgroup_id_y 0
		.amdhsa_system_sgpr_workgroup_id_z 1
		.amdhsa_system_sgpr_workgroup_info 0
		.amdhsa_system_vgpr_workitem_id 1
		.amdhsa_next_free_vgpr 57
		.amdhsa_next_free_sgpr 51
		.amdhsa_named_barrier_count 0
		.amdhsa_reserve_vcc 1
		.amdhsa_float_round_mode_32 0
		.amdhsa_float_round_mode_16_64 0
		.amdhsa_float_denorm_mode_32 3
		.amdhsa_float_denorm_mode_16_64 3
		.amdhsa_fp16_overflow 0
		.amdhsa_memory_ordered 1
		.amdhsa_forward_progress 1
		.amdhsa_inst_pref_size 24
		.amdhsa_round_robin_scheduling 0
		.amdhsa_exception_fp_ieee_invalid_op 0
		.amdhsa_exception_fp_denorm_src 0
		.amdhsa_exception_fp_ieee_div_zero 0
		.amdhsa_exception_fp_ieee_overflow 0
		.amdhsa_exception_fp_ieee_underflow 0
		.amdhsa_exception_fp_ieee_inexact 0
		.amdhsa_exception_int_div_zero 0
	.end_amdhsa_kernel
	.section	.text._ZL20rocblas_gemvn_kernelILi32ELi16EiDF16_fDF16_EviiT3_lPKT2_lT1_lS3_lS4_lS0_lPT4_lS4_li,"axG",@progbits,_ZL20rocblas_gemvn_kernelILi32ELi16EiDF16_fDF16_EviiT3_lPKT2_lT1_lS3_lS4_lS0_lPT4_lS4_li,comdat
.Lfunc_end388:
	.size	_ZL20rocblas_gemvn_kernelILi32ELi16EiDF16_fDF16_EviiT3_lPKT2_lT1_lS3_lS4_lS0_lPT4_lS4_li, .Lfunc_end388-_ZL20rocblas_gemvn_kernelILi32ELi16EiDF16_fDF16_EviiT3_lPKT2_lT1_lS3_lS4_lS0_lPT4_lS4_li
                                        ; -- End function
	.set _ZL20rocblas_gemvn_kernelILi32ELi16EiDF16_fDF16_EviiT3_lPKT2_lT1_lS3_lS4_lS0_lPT4_lS4_li.num_vgpr, 57
	.set _ZL20rocblas_gemvn_kernelILi32ELi16EiDF16_fDF16_EviiT3_lPKT2_lT1_lS3_lS4_lS0_lPT4_lS4_li.num_agpr, 0
	.set _ZL20rocblas_gemvn_kernelILi32ELi16EiDF16_fDF16_EviiT3_lPKT2_lT1_lS3_lS4_lS0_lPT4_lS4_li.numbered_sgpr, 51
	.set _ZL20rocblas_gemvn_kernelILi32ELi16EiDF16_fDF16_EviiT3_lPKT2_lT1_lS3_lS4_lS0_lPT4_lS4_li.num_named_barrier, 0
	.set _ZL20rocblas_gemvn_kernelILi32ELi16EiDF16_fDF16_EviiT3_lPKT2_lT1_lS3_lS4_lS0_lPT4_lS4_li.private_seg_size, 0
	.set _ZL20rocblas_gemvn_kernelILi32ELi16EiDF16_fDF16_EviiT3_lPKT2_lT1_lS3_lS4_lS0_lPT4_lS4_li.uses_vcc, 1
	.set _ZL20rocblas_gemvn_kernelILi32ELi16EiDF16_fDF16_EviiT3_lPKT2_lT1_lS3_lS4_lS0_lPT4_lS4_li.uses_flat_scratch, 0
	.set _ZL20rocblas_gemvn_kernelILi32ELi16EiDF16_fDF16_EviiT3_lPKT2_lT1_lS3_lS4_lS0_lPT4_lS4_li.has_dyn_sized_stack, 0
	.set _ZL20rocblas_gemvn_kernelILi32ELi16EiDF16_fDF16_EviiT3_lPKT2_lT1_lS3_lS4_lS0_lPT4_lS4_li.has_recursion, 0
	.set _ZL20rocblas_gemvn_kernelILi32ELi16EiDF16_fDF16_EviiT3_lPKT2_lT1_lS3_lS4_lS0_lPT4_lS4_li.has_indirect_call, 0
	.section	.AMDGPU.csdata,"",@progbits
; Kernel info:
; codeLenInByte = 3012
; TotalNumSgprs: 53
; NumVgprs: 57
; ScratchSize: 0
; MemoryBound: 0
; FloatMode: 240
; IeeeMode: 1
; LDSByteSize: 8192 bytes/workgroup (compile time only)
; SGPRBlocks: 0
; VGPRBlocks: 3
; NumSGPRsForWavesPerEU: 53
; NumVGPRsForWavesPerEU: 57
; NamedBarCnt: 0
; Occupancy: 16
; WaveLimiterHint : 1
; COMPUTE_PGM_RSRC2:SCRATCH_EN: 0
; COMPUTE_PGM_RSRC2:USER_SGPR: 2
; COMPUTE_PGM_RSRC2:TRAP_HANDLER: 0
; COMPUTE_PGM_RSRC2:TGID_X_EN: 1
; COMPUTE_PGM_RSRC2:TGID_Y_EN: 0
; COMPUTE_PGM_RSRC2:TGID_Z_EN: 1
; COMPUTE_PGM_RSRC2:TIDIG_COMP_CNT: 1
	.section	.text._ZL20rocblas_gemvn_kernelILi32ELi16ElDF16_fDF16_EviiT3_lPKT2_lT1_lS3_lS4_lS0_lPT4_lS4_li,"axG",@progbits,_ZL20rocblas_gemvn_kernelILi32ELi16ElDF16_fDF16_EviiT3_lPKT2_lT1_lS3_lS4_lS0_lPT4_lS4_li,comdat
	.globl	_ZL20rocblas_gemvn_kernelILi32ELi16ElDF16_fDF16_EviiT3_lPKT2_lT1_lS3_lS4_lS0_lPT4_lS4_li ; -- Begin function _ZL20rocblas_gemvn_kernelILi32ELi16ElDF16_fDF16_EviiT3_lPKT2_lT1_lS3_lS4_lS0_lPT4_lS4_li
	.p2align	8
	.type	_ZL20rocblas_gemvn_kernelILi32ELi16ElDF16_fDF16_EviiT3_lPKT2_lT1_lS3_lS4_lS0_lPT4_lS4_li,@function
_ZL20rocblas_gemvn_kernelILi32ELi16ElDF16_fDF16_EviiT3_lPKT2_lT1_lS3_lS4_lS0_lPT4_lS4_li: ; @_ZL20rocblas_gemvn_kernelILi32ELi16ElDF16_fDF16_EviiT3_lPKT2_lT1_lS3_lS4_lS0_lPT4_lS4_li
; %bb.0:
	s_load_b64 s[2:3], s[0:1], 0x9c
	s_wait_kmcnt 0x0
	s_lshr_b32 s4, s2, 16
	s_and_b32 s2, s2, 0xffff
	s_and_b32 s3, s3, 0xffff
	s_mul_i32 s2, s4, s2
	s_delay_alu instid0(SALU_CYCLE_1) | instskip(NEXT) | instid1(SALU_CYCLE_1)
	s_mul_i32 s2, s2, s3
	s_cmp_lg_u32 s2, 0x200
	s_cbranch_scc1 .LBB389_53
; %bb.1:
	s_load_b32 s33, s[0:1], 0x88
	s_bfe_u32 s2, ttmp6, 0x40014
	s_lshr_b32 s3, ttmp7, 16
	s_add_co_i32 s2, s2, 1
	s_bfe_u32 s4, ttmp6, 0x40008
	s_mul_i32 s2, s3, s2
	s_getreg_b32 s6, hwreg(HW_REG_IB_STS2, 6, 4)
	s_add_co_i32 s4, s4, s2
	s_cmp_eq_u32 s6, 0
	s_mov_b32 s35, 0
	s_cselect_b32 s34, s3, s4
	s_wait_kmcnt 0x0
	s_cmp_ge_u32 s34, s33
	s_cbranch_scc1 .LBB389_53
; %bb.2:
	s_clause 0x3
	s_load_b512 s[8:23], s[0:1], 0x18
	s_load_b256 s[24:31], s[0:1], 0x68
	s_load_b96 s[36:38], s[0:1], 0x0
	s_load_b32 s39, s[0:1], 0x58
	v_and_b32_e32 v6, 0x3ff, v0
	v_bfe_u32 v2, v0, 10, 10
	s_delay_alu instid0(VALU_DEP_2) | instskip(NEXT) | instid1(VALU_DEP_2)
	v_dual_mov_b32 v1, 0 :: v_dual_lshlrev_b32 v0, 2, v6
	v_lshl_add_u32 v7, v2, 5, v6
	s_delay_alu instid0(VALU_DEP_2) | instskip(NEXT) | instid1(VALU_DEP_3)
	v_dual_mov_b32 v3, v1 :: v_dual_lshlrev_b32 v48, 2, v2
	v_lshl_add_u32 v49, v2, 9, v0
	v_lshl_add_u32 v50, v2, 7, v0
	s_wait_xcnt 0x0
	v_cmp_gt_u32_e64 s0, 0x80, v7
	s_wait_kmcnt 0x0
	s_lshl_b64 s[4:5], s[10:11], 1
	s_lshl_b64 s[10:11], s[18:19], 1
	;; [unrolled: 1-line block ×3, first 2 shown]
	s_cmp_eq_f32 s38, 0
	v_mul_u64_e32 v[10:11], s[20:21], v[2:3]
	v_mul_u64_e32 v[12:13], s[12:13], v[2:3]
	v_mad_nc_u64_u32 v[4:5], s20, v48, s[20:21]
	s_cselect_b32 s46, -1, 0
	s_cmp_neq_f32 s38, 0
	v_mad_nc_u64_u32 v[8:9], s12, v48, s[12:13]
	s_add_nc_u64 s[24:25], s[24:25], s[2:3]
	s_add_nc_u64 s[26:27], s[16:17], s[10:11]
	s_cselect_b32 s1, -1, 0
	s_cmp_neq_f32 s39, 1.0
	s_cselect_b32 s7, -1, 0
	s_bfe_u32 s18, ttmp6, 0x4000c
	s_and_b32 s19, ttmp6, 15
	s_add_co_i32 s18, s18, 1
	s_or_b32 s47, s1, s7
	s_mul_i32 s18, ttmp9, s18
	v_mad_u32 v5, s21, v48, v5
	s_add_co_i32 s19, s19, s18
	s_cmp_eq_u32 s6, 0
	s_mov_b32 s6, s36
	s_cselect_b32 s1, ttmp9, s19
	s_ashr_i32 s7, s36, 31
	s_lshl_b32 s1, s1, 7
	s_cmp_neq_f32 s39, 0
	v_dual_add_nc_u32 v0, s1, v7 :: v_dual_bitop2_b32 v14, s1, v7 bitop3:0x54
	v_mad_u32 v9, s13, v48, v9
	s_cselect_b32 s48, -1, 0
	s_add_nc_u64 s[18:19], s[8:9], s[4:5]
	s_delay_alu instid0(VALU_DEP_2)
	v_cmp_gt_i64_e32 vcc_lo, s[6:7], v[0:1]
	v_mul_u64_e32 v[2:3], s[28:29], v[0:1]
	v_dual_ashrrev_i32 v15, 31, v14 :: v_dual_bitop2_b32 v0, 3, v48 bitop3:0x54
	v_add_nc_u32_e32 v24, s1, v6
	s_ashr_i32 s1, s37, 31
	v_cmp_gt_i32_e64 s2, s36, v14
	s_delay_alu instid0(VALU_DEP_3)
	v_mul_u64_e32 v[16:17], s[12:13], v[0:1]
	v_mul_u64_e32 v[18:19], s[20:21], v[0:1]
	v_or_b32_e32 v0, 2, v48
	v_mul_u64_e32 v[6:7], s[28:29], v[14:15]
	s_lshr_b32 s3, s1, 26
	v_dual_ashrrev_i32 v25, 31, v24 :: v_dual_add_nc_u32 v15, 64, v24
	s_delay_alu instid0(VALU_DEP_3)
	v_mul_u64_e32 v[20:21], s[12:13], v[0:1]
	v_mul_u64_e32 v[22:23], s[20:21], v[0:1]
	s_add_co_i32 s49, s37, s3
	v_add_nc_u32_e32 v0, 32, v24
	v_add_nc_u32_e32 v26, 0x60, v24
	s_and_not1_b32 s49, s49, 63
	v_cmp_gt_i32_e64 s4, s36, v15
	s_sub_co_i32 s6, s37, s49
	v_lshlrev_b64_e32 v[14:15], 1, v[24:25]
	v_lshl_add_u64 v[4:5], v[4:5], 1, s[16:17]
	v_lshl_add_u64 v[8:9], v[8:9], 1, s[18:19]
	v_cmp_gt_i32_e64 s1, s36, v24
	v_lshl_add_u64 v[10:11], v[10:11], 3, s[16:17]
	v_lshl_add_u64 v[12:13], v[12:13], 3, s[18:19]
	v_cmp_gt_i32_e64 s3, s36, v0
	v_cmp_gt_i32_e64 s5, s36, v26
	s_cmp_gt_i32 s6, 0
	v_cmp_gt_i32_e64 s6, s49, v48
	s_cselect_b32 s36, -1, 0
	s_and_b32 s50, s0, vcc_lo
	s_lshl_b64 s[28:29], s[22:23], 1
	s_lshl_b64 s[40:41], s[14:15], 1
	;; [unrolled: 1-line block ×3, first 2 shown]
	v_lshl_add_u64 v[16:17], v[16:17], 1, s[18:19]
	v_lshl_add_u64 v[18:19], v[18:19], 1, s[16:17]
	;; [unrolled: 1-line block ×4, first 2 shown]
	s_lshl_b64 s[16:17], s[20:21], 7
	s_branch .LBB389_5
.LBB389_3:                              ;   in Loop: Header=BB389_5 Depth=1
	s_wait_xcnt 0x0
	s_or_b32 exec_lo, exec_lo, s7
.LBB389_4:                              ;   in Loop: Header=BB389_5 Depth=1
	s_add_co_i32 s34, s34, 0x10000
	s_delay_alu instid0(SALU_CYCLE_1)
	s_cmp_lt_u32 s34, s33
	s_cbranch_scc0 .LBB389_53
.LBB389_5:                              ; =>This Loop Header: Depth=1
                                        ;     Child Loop BB389_21 Depth 2
	s_and_not1_b32 vcc_lo, exec_lo, s47
	s_cbranch_vccnz .LBB389_4
; %bb.6:                                ;   in Loop: Header=BB389_5 Depth=1
	s_mul_u64 s[8:9], s[30:31], s[34:35]
	s_and_not1_b32 vcc_lo, exec_lo, s46
	s_lshl_b64 s[8:9], s[8:9], 1
	s_delay_alu instid0(SALU_CYCLE_1)
	s_add_nc_u64 s[44:45], s[24:25], s[8:9]
	s_cbranch_vccnz .LBB389_10
; %bb.7:                                ;   in Loop: Header=BB389_5 Depth=1
	s_mov_b32 s7, 0
	s_mov_b32 s51, 0
                                        ; implicit-def: $vgpr0
	s_and_saveexec_b32 s8, s50
	s_cbranch_execz .LBB389_11
; %bb.8:                                ;   in Loop: Header=BB389_5 Depth=1
	s_and_not1_b32 vcc_lo, exec_lo, s48
	s_cbranch_vccnz .LBB389_13
; %bb.9:                                ;   in Loop: Header=BB389_5 Depth=1
	v_lshl_add_u64 v[24:25], v[2:3], 1, s[44:45]
	global_load_u16 v0, v[24:25], off
	s_wait_loadcnt 0x0
	v_fma_mixlo_f16 v0, s39, v0, 0 op_sel_hi:[0,1,0]
	s_branch .LBB389_14
.LBB389_10:                             ;   in Loop: Header=BB389_5 Depth=1
	s_mov_b32 s51, 0
                                        ; implicit-def: $vgpr0
	s_cbranch_execz .LBB389_12
	s_branch .LBB389_15
.LBB389_11:                             ;   in Loop: Header=BB389_5 Depth=1
	s_or_b32 exec_lo, exec_lo, s8
	s_delay_alu instid0(SALU_CYCLE_1)
	s_and_b32 vcc_lo, exec_lo, s7
	s_cbranch_vccnz .LBB389_15
.LBB389_12:                             ;   in Loop: Header=BB389_5 Depth=1
	v_mov_b64_e32 v[24:25], v[2:3]
	s_and_saveexec_b32 s7, s51
	s_cbranch_execz .LBB389_3
	s_branch .LBB389_52
.LBB389_13:                             ;   in Loop: Header=BB389_5 Depth=1
	v_mov_b32_e32 v0, 0
.LBB389_14:                             ;   in Loop: Header=BB389_5 Depth=1
	s_mov_b32 s51, exec_lo
	s_wait_xcnt 0x0
	s_or_b32 exec_lo, exec_lo, s8
	s_delay_alu instid0(SALU_CYCLE_1)
	s_and_b32 vcc_lo, exec_lo, s7
	s_cbranch_vccz .LBB389_12
.LBB389_15:                             ;   in Loop: Header=BB389_5 Depth=1
	v_dual_mov_b32 v51, 0 :: v_dual_mov_b32 v0, v48
	v_dual_mov_b32 v52, 0 :: v_dual_mov_b32 v53, 0
	v_mov_b32_e32 v54, 0
	s_and_saveexec_b32 s7, s6
	s_cbranch_execz .LBB389_27
; %bb.16:                               ;   in Loop: Header=BB389_5 Depth=1
	s_mul_u64 s[8:9], s[28:29], s[34:35]
	s_mul_u64 s[52:53], s[40:41], s[34:35]
	v_add_nc_u64_e32 v[24:25], s[8:9], v[10:11]
	v_add_nc_u64_e32 v[26:27], s[52:53], v[16:17]
	;; [unrolled: 1-line block ×8, first 2 shown]
	v_dual_mov_b32 v51, 0 :: v_dual_mov_b32 v0, v48
	v_dual_mov_b32 v52, 0 :: v_dual_mov_b32 v53, 0
	v_mov_b32_e32 v54, 0
	s_mov_b32 s8, 0
	s_branch .LBB389_21
.LBB389_17:                             ;   in Loop: Header=BB389_21 Depth=2
	s_wait_xcnt 0x0
	s_or_b32 exec_lo, exec_lo, s54
	s_wait_loadcnt 0x3
	v_fma_mix_f32 v40, v67, v71, v53 op_sel_hi:[0,1,0]
	s_wait_loadcnt 0x2
	s_delay_alu instid0(VALU_DEP_1) | instskip(SKIP_1) | instid1(VALU_DEP_1)
	v_fma_mix_f32 v40, v68, v72, v40 op_sel_hi:[0,1,0]
	s_wait_loadcnt 0x1
	v_fma_mix_f32 v40, v69, v73, v40 op_sel_hi:[0,1,0]
	s_wait_loadcnt 0x0
	s_delay_alu instid0(VALU_DEP_1)
	v_fma_mix_f32 v53, v70, v74, v40 op_sel_hi:[0,1,0]
.LBB389_18:                             ;   in Loop: Header=BB389_21 Depth=2
	s_or_b32 exec_lo, exec_lo, s53
	s_wait_loadcnt 0x3
	v_fma_mix_f32 v40, v67, v63, v52 op_sel_hi:[0,1,0]
	s_wait_loadcnt 0x2
	s_delay_alu instid0(VALU_DEP_1) | instskip(SKIP_1) | instid1(VALU_DEP_1)
	v_fma_mix_f32 v40, v68, v64, v40 op_sel_hi:[0,1,0]
	s_wait_loadcnt 0x1
	v_fma_mix_f32 v40, v69, v65, v40 op_sel_hi:[0,1,0]
	s_wait_loadcnt 0x0
	s_delay_alu instid0(VALU_DEP_1)
	v_fma_mix_f32 v52, v70, v66, v40 op_sel_hi:[0,1,0]
.LBB389_19:                             ;   in Loop: Header=BB389_21 Depth=2
	s_or_b32 exec_lo, exec_lo, s52
	s_wait_loadcnt 0x3
	v_fma_mix_f32 v40, v55, v59, v51 op_sel_hi:[1,1,0]
	s_wait_loadcnt 0x2
	s_delay_alu instid0(VALU_DEP_1) | instskip(SKIP_1) | instid1(VALU_DEP_1)
	v_fma_mix_f32 v40, v56, v60, v40 op_sel_hi:[1,1,0]
	s_wait_loadcnt 0x1
	v_fma_mix_f32 v40, v57, v61, v40 op_sel_hi:[1,1,0]
	s_wait_loadcnt 0x0
	s_delay_alu instid0(VALU_DEP_1)
	v_fma_mix_f32 v51, v58, v62, v40 op_sel_hi:[1,1,0]
.LBB389_20:                             ;   in Loop: Header=BB389_21 Depth=2
	s_or_b32 exec_lo, exec_lo, s9
	v_add_nc_u32_e32 v0, 64, v0
	v_add_nc_u64_e32 v[24:25], s[16:17], v[24:25]
	v_add_nc_u64_e32 v[26:27], s[42:43], v[26:27]
	;; [unrolled: 1-line block ×7, first 2 shown]
	v_cmp_le_i32_e32 vcc_lo, s49, v0
	v_add_nc_u64_e32 v[38:39], s[42:43], v[38:39]
	s_or_b32 s8, vcc_lo, s8
	s_delay_alu instid0(SALU_CYCLE_1)
	s_and_not1_b32 exec_lo, exec_lo, s8
	s_cbranch_execz .LBB389_26
.LBB389_21:                             ;   Parent Loop BB389_5 Depth=1
                                        ; =>  This Inner Loop Header: Depth=2
	s_and_saveexec_b32 s9, s1
	s_cbranch_execz .LBB389_20
; %bb.22:                               ;   in Loop: Header=BB389_21 Depth=2
	v_add_nc_u64_e32 v[46:47], s[10:11], v[24:25]
	v_add_nc_u64_e32 v[64:65], s[10:11], v[36:37]
	;; [unrolled: 1-line block ×7, first 2 shown]
	global_load_u16 v55, v[46:47], off
	s_wait_xcnt 0x0
	v_add_nc_u64_e32 v[46:47], v[26:27], v[14:15]
	global_load_u16 v56, v[64:65], off
	global_load_u16 v57, v[66:67], off
	;; [unrolled: 1-line block ×7, first 2 shown]
	s_wait_xcnt 0x0
	s_and_saveexec_b32 s52, s3
	s_cbranch_execz .LBB389_19
; %bb.23:                               ;   in Loop: Header=BB389_21 Depth=2
	global_load_u16 v63, v[40:41], off offset:64
	global_load_u16 v64, v[42:43], off offset:64
	global_load_u16 v65, v[44:45], off offset:64
	global_load_u16 v66, v[46:47], off offset:64
	s_wait_loadcnt 0xb
	v_cvt_f32_f16_e32 v67, v55
	s_wait_loadcnt 0xa
	v_cvt_f32_f16_e32 v68, v56
	;; [unrolled: 2-line block ×4, first 2 shown]
	s_wait_xcnt 0x0
	s_and_saveexec_b32 s53, s4
	s_cbranch_execz .LBB389_18
; %bb.24:                               ;   in Loop: Header=BB389_21 Depth=2
	global_load_u16 v71, v[40:41], off offset:128
	global_load_u16 v72, v[42:43], off offset:128
	global_load_u16 v73, v[44:45], off offset:128
	global_load_u16 v74, v[46:47], off offset:128
	s_wait_xcnt 0x0
	s_and_saveexec_b32 s54, s5
	s_cbranch_execz .LBB389_17
; %bb.25:                               ;   in Loop: Header=BB389_21 Depth=2
	global_load_u16 v40, v[40:41], off offset:192
	global_load_u16 v41, v[42:43], off offset:192
	;; [unrolled: 1-line block ×4, first 2 shown]
	s_wait_loadcnt 0x3
	v_fma_mix_f32 v40, v67, v40, v54 op_sel_hi:[0,1,0]
	s_wait_loadcnt 0x2
	s_delay_alu instid0(VALU_DEP_1) | instskip(SKIP_1) | instid1(VALU_DEP_1)
	v_fma_mix_f32 v40, v68, v41, v40 op_sel_hi:[0,1,0]
	s_wait_loadcnt 0x1
	v_fma_mix_f32 v40, v69, v42, v40 op_sel_hi:[0,1,0]
	s_wait_loadcnt 0x0
	s_delay_alu instid0(VALU_DEP_1)
	v_fma_mix_f32 v54, v70, v43, v40 op_sel_hi:[0,1,0]
	s_branch .LBB389_17
.LBB389_26:                             ;   in Loop: Header=BB389_5 Depth=1
	s_or_b32 exec_lo, exec_lo, s8
.LBB389_27:                             ;   in Loop: Header=BB389_5 Depth=1
	s_delay_alu instid0(SALU_CYCLE_1) | instskip(NEXT) | instid1(SALU_CYCLE_1)
	s_or_b32 exec_lo, exec_lo, s7
	s_and_not1_b32 vcc_lo, exec_lo, s36
	s_cbranch_vccnz .LBB389_45
; %bb.28:                               ;   in Loop: Header=BB389_5 Depth=1
	v_cmp_gt_i32_e32 vcc_lo, s37, v0
	v_dual_mov_b32 v32, 0 :: v_dual_bitop2_b32 v24, 1, v0 bitop3:0x54
	v_dual_mov_b32 v33, 0 :: v_dual_mov_b32 v34, 0
	v_mov_b32_e32 v35, 0
	s_and_saveexec_b32 s52, vcc_lo
	s_cbranch_execz .LBB389_36
; %bb.29:                               ;   in Loop: Header=BB389_5 Depth=1
	v_mul_u64_e32 v[26:27], s[20:21], v[0:1]
	s_mul_u64 s[8:9], s[22:23], s[34:35]
	v_dual_mov_b32 v34, 0 :: v_dual_mov_b32 v33, 0
	s_lshl_b64 s[8:9], s[8:9], 1
	v_mov_b32_e32 v32, 0
	s_add_nc_u64 s[8:9], s[26:27], s[8:9]
	s_mov_b32 s53, exec_lo
	s_delay_alu instid0(VALU_DEP_3)
	v_lshl_add_u64 v[26:27], v[26:27], 1, s[8:9]
	global_load_u16 v28, v[26:27], off
	s_wait_xcnt 0x0
	v_cmpx_gt_i32_e64 s37, v24
	s_cbranch_execz .LBB389_35
; %bb.30:                               ;   in Loop: Header=BB389_5 Depth=1
	v_dual_mov_b32 v25, v1 :: v_dual_mov_b32 v33, 0
	v_mov_b32_e32 v32, 0
	s_mov_b32 s54, exec_lo
	s_delay_alu instid0(VALU_DEP_2) | instskip(NEXT) | instid1(VALU_DEP_1)
	v_mul_u64_e32 v[26:27], s[20:21], v[24:25]
	v_lshl_add_u64 v[26:27], v[26:27], 1, s[8:9]
	global_load_u16 v25, v[26:27], off
	s_wait_xcnt 0x0
	v_or_b32_e32 v26, 2, v0
	s_delay_alu instid0(VALU_DEP_1)
	v_cmpx_gt_i32_e64 s37, v26
	s_cbranch_execz .LBB389_34
; %bb.31:                               ;   in Loop: Header=BB389_5 Depth=1
	v_dual_mov_b32 v27, v1 :: v_dual_mov_b32 v32, 0
	s_mov_b32 s55, exec_lo
	s_delay_alu instid0(VALU_DEP_1) | instskip(NEXT) | instid1(VALU_DEP_1)
	v_mul_u64_e32 v[26:27], s[20:21], v[26:27]
	v_lshl_add_u64 v[26:27], v[26:27], 1, s[8:9]
	global_load_u16 v29, v[26:27], off
	s_wait_xcnt 0x0
	v_or_b32_e32 v26, 3, v0
	s_delay_alu instid0(VALU_DEP_1)
	v_cmpx_gt_i32_e64 s37, v26
	s_cbranch_execz .LBB389_33
; %bb.32:                               ;   in Loop: Header=BB389_5 Depth=1
	v_mov_b32_e32 v27, v1
	s_delay_alu instid0(VALU_DEP_1) | instskip(NEXT) | instid1(VALU_DEP_1)
	v_mul_u64_e32 v[26:27], s[20:21], v[26:27]
	v_lshl_add_u64 v[26:27], v[26:27], 1, s[8:9]
	global_load_u16 v26, v[26:27], off
	s_wait_loadcnt 0x0
	v_cvt_f32_f16_e32 v32, v26
.LBB389_33:                             ;   in Loop: Header=BB389_5 Depth=1
	s_wait_xcnt 0x0
	s_or_b32 exec_lo, exec_lo, s55
	s_wait_loadcnt 0x0
	v_cvt_f32_f16_e32 v33, v29
.LBB389_34:                             ;   in Loop: Header=BB389_5 Depth=1
	s_or_b32 exec_lo, exec_lo, s54
	s_wait_loadcnt 0x0
	v_cvt_f32_f16_e32 v34, v25
.LBB389_35:                             ;   in Loop: Header=BB389_5 Depth=1
	s_or_b32 exec_lo, exec_lo, s53
	s_wait_loadcnt 0x0
	v_cvt_f32_f16_e32 v35, v28
.LBB389_36:                             ;   in Loop: Header=BB389_5 Depth=1
	s_or_b32 exec_lo, exec_lo, s52
	s_and_saveexec_b32 s52, s1
	s_cbranch_execz .LBB389_44
; %bb.37:                               ;   in Loop: Header=BB389_5 Depth=1
	v_dual_mov_b32 v25, v1 :: v_dual_bitop2_b32 v26, 2, v0 bitop3:0x54
	v_mov_b32_e32 v27, v1
	v_mul_u64_e32 v[28:29], s[12:13], v[0:1]
	v_or_b32_e32 v0, 3, v0
	s_delay_alu instid0(VALU_DEP_4)
	v_mul_u64_e32 v[30:31], s[12:13], v[24:25]
	s_mul_u64 s[8:9], s[14:15], s[34:35]
	v_mul_u64_e32 v[36:37], s[12:13], v[26:27]
	v_cmp_gt_i32_e64 s7, s37, v24
	v_mul_u64_e32 v[38:39], s[12:13], v[0:1]
	s_lshl_b64 s[54:55], s[8:9], 1
	v_cmp_gt_i32_e64 s8, s37, v26
	v_cmp_gt_i32_e64 s9, s37, v0
	v_dual_cndmask_b32 v25, 0, v29 :: v_dual_cndmask_b32 v24, 0, v28
	v_dual_cndmask_b32 v27, 0, v31, s7 :: v_dual_cndmask_b32 v26, 0, v30, s7
	s_delay_alu instid0(VALU_DEP_4) | instskip(NEXT) | instid1(VALU_DEP_4)
	v_dual_cndmask_b32 v29, 0, v37, s8 :: v_dual_cndmask_b32 v28, 0, v36, s8
	v_dual_cndmask_b32 v31, 0, v39, s9 :: v_dual_cndmask_b32 v30, 0, v38, s9
	s_add_nc_u64 s[8:9], s[18:19], s[54:55]
	s_delay_alu instid0(SALU_CYCLE_1) | instskip(SKIP_3) | instid1(VALU_DEP_4)
	v_lshl_add_u64 v[24:25], v[24:25], 1, s[8:9]
	v_lshl_add_u64 v[26:27], v[26:27], 1, s[8:9]
	;; [unrolled: 1-line block ×4, first 2 shown]
	v_add_nc_u64_e32 v[28:29], v[24:25], v[14:15]
	s_delay_alu instid0(VALU_DEP_4) | instskip(NEXT) | instid1(VALU_DEP_4)
	v_add_nc_u64_e32 v[24:25], v[26:27], v[14:15]
	v_add_nc_u64_e32 v[26:27], v[36:37], v[14:15]
	s_delay_alu instid0(VALU_DEP_4)
	v_add_nc_u64_e32 v[30:31], v[30:31], v[14:15]
	s_clause 0x3
	global_load_u16 v0, v[28:29], off
	global_load_u16 v36, v[24:25], off
	;; [unrolled: 1-line block ×4, first 2 shown]
	s_wait_xcnt 0x0
	s_and_saveexec_b32 s7, s3
	s_cbranch_execz .LBB389_43
; %bb.38:                               ;   in Loop: Header=BB389_5 Depth=1
	s_clause 0x3
	global_load_u16 v39, v[28:29], off offset:64
	global_load_u16 v40, v[24:25], off offset:64
	global_load_u16 v41, v[26:27], off offset:64
	global_load_u16 v42, v[30:31], off offset:64
	s_wait_xcnt 0x0
	s_and_saveexec_b32 s8, s4
	s_cbranch_execz .LBB389_42
; %bb.39:                               ;   in Loop: Header=BB389_5 Depth=1
	s_clause 0x3
	global_load_u16 v43, v[28:29], off offset:128
	global_load_u16 v44, v[24:25], off offset:128
	global_load_u16 v45, v[26:27], off offset:128
	global_load_u16 v46, v[30:31], off offset:128
	;; [unrolled: 9-line block ×3, first 2 shown]
	s_wait_loadcnt 0x3
	s_wait_xcnt 0x2
	v_fma_mix_f32 v24, v35, v47, v54 op_sel_hi:[0,1,0]
	s_wait_loadcnt 0x2
	s_delay_alu instid0(VALU_DEP_1) | instskip(SKIP_1) | instid1(VALU_DEP_1)
	v_fma_mix_f32 v24, v34, v55, v24 op_sel_hi:[0,1,0]
	s_wait_loadcnt 0x1
	v_fma_mix_f32 v24, v33, v56, v24 op_sel_hi:[0,1,0]
	s_wait_loadcnt 0x0
	s_delay_alu instid0(VALU_DEP_1)
	v_fma_mix_f32 v54, v32, v57, v24 op_sel_hi:[0,1,0]
.LBB389_41:                             ;   in Loop: Header=BB389_5 Depth=1
	s_wait_xcnt 0x0
	s_or_b32 exec_lo, exec_lo, s9
	s_wait_loadcnt 0x3
	v_fma_mix_f32 v24, v35, v43, v53 op_sel_hi:[0,1,0]
	s_wait_loadcnt 0x2
	s_delay_alu instid0(VALU_DEP_1) | instskip(SKIP_1) | instid1(VALU_DEP_1)
	v_fma_mix_f32 v24, v34, v44, v24 op_sel_hi:[0,1,0]
	s_wait_loadcnt 0x1
	v_fma_mix_f32 v24, v33, v45, v24 op_sel_hi:[0,1,0]
	s_wait_loadcnt 0x0
	s_delay_alu instid0(VALU_DEP_1)
	v_fma_mix_f32 v53, v32, v46, v24 op_sel_hi:[0,1,0]
.LBB389_42:                             ;   in Loop: Header=BB389_5 Depth=1
	s_or_b32 exec_lo, exec_lo, s8
	s_wait_loadcnt 0x3
	v_fma_mix_f32 v24, v35, v39, v52 op_sel_hi:[0,1,0]
	s_wait_loadcnt 0x2
	s_delay_alu instid0(VALU_DEP_1) | instskip(SKIP_1) | instid1(VALU_DEP_1)
	v_fma_mix_f32 v24, v34, v40, v24 op_sel_hi:[0,1,0]
	s_wait_loadcnt 0x1
	v_fma_mix_f32 v24, v33, v41, v24 op_sel_hi:[0,1,0]
	s_wait_loadcnt 0x0
	s_delay_alu instid0(VALU_DEP_1)
	v_fma_mix_f32 v52, v32, v42, v24 op_sel_hi:[0,1,0]
.LBB389_43:                             ;   in Loop: Header=BB389_5 Depth=1
	s_or_b32 exec_lo, exec_lo, s7
	s_wait_loadcnt 0x3
	v_fma_mix_f32 v0, v35, v0, v51 op_sel_hi:[0,1,0]
	s_wait_loadcnt 0x2
	s_delay_alu instid0(VALU_DEP_1) | instskip(SKIP_1) | instid1(VALU_DEP_1)
	v_fma_mix_f32 v0, v34, v36, v0 op_sel_hi:[0,1,0]
	s_wait_loadcnt 0x1
	v_fma_mix_f32 v0, v33, v37, v0 op_sel_hi:[0,1,0]
	s_wait_loadcnt 0x0
	s_delay_alu instid0(VALU_DEP_1)
	v_fma_mix_f32 v51, v32, v38, v0 op_sel_hi:[0,1,0]
.LBB389_44:                             ;   in Loop: Header=BB389_5 Depth=1
	s_or_b32 exec_lo, exec_lo, s52
.LBB389_45:                             ;   in Loop: Header=BB389_5 Depth=1
	ds_store_2addr_b32 v49, v51, v52 offset1:32
	ds_store_2addr_b32 v49, v53, v54 offset0:64 offset1:96
	s_wait_dscnt 0x0
	s_barrier_signal -1
	s_barrier_wait -1
                                        ; implicit-def: $vgpr0
	s_and_saveexec_b32 s7, s0
	s_cbranch_execz .LBB389_51
; %bb.46:                               ;   in Loop: Header=BB389_5 Depth=1
	ds_load_2addr_stride64_b32 v[24:25], v50 offset1:2
	ds_load_2addr_stride64_b32 v[26:27], v50 offset0:4 offset1:6
	ds_load_2addr_stride64_b32 v[28:29], v50 offset0:8 offset1:10
	s_mov_b32 s9, s51
	s_wait_dscnt 0x2
	v_add_f32_e32 v0, v24, v25
	ds_load_2addr_stride64_b32 v[24:25], v50 offset0:12 offset1:14
	s_wait_dscnt 0x2
	v_add_f32_e32 v0, v26, v0
	s_delay_alu instid0(VALU_DEP_1) | instskip(SKIP_3) | instid1(VALU_DEP_1)
	v_add_f32_e32 v0, v27, v0
	ds_load_2addr_stride64_b32 v[26:27], v50 offset0:16 offset1:18
	s_wait_dscnt 0x2
	v_add_f32_e32 v0, v28, v0
	v_add_f32_e32 v0, v29, v0
	ds_load_2addr_stride64_b32 v[28:29], v50 offset0:20 offset1:22
	s_wait_dscnt 0x2
	v_add_f32_e32 v0, v24, v0
	s_delay_alu instid0(VALU_DEP_1) | instskip(SKIP_3) | instid1(VALU_DEP_1)
	v_add_f32_e32 v0, v25, v0
	ds_load_2addr_stride64_b32 v[24:25], v50 offset0:24 offset1:26
	s_wait_dscnt 0x2
	v_add_f32_e32 v0, v26, v0
	v_add_f32_e32 v0, v27, v0
	ds_load_2addr_stride64_b32 v[26:27], v50 offset0:28 offset1:30
	s_wait_dscnt 0x2
	v_add_f32_e32 v0, v28, v0
	s_delay_alu instid0(VALU_DEP_1) | instskip(SKIP_1) | instid1(VALU_DEP_1)
	v_add_f32_e32 v0, v29, v0
	s_wait_dscnt 0x1
	v_add_f32_e32 v0, v24, v0
	s_delay_alu instid0(VALU_DEP_1) | instskip(SKIP_1) | instid1(VALU_DEP_1)
	v_add_f32_e32 v0, v25, v0
	s_wait_dscnt 0x0
	v_add_f32_e32 v0, v26, v0
	s_delay_alu instid0(VALU_DEP_1)
	v_add_f32_e32 v24, v27, v0
                                        ; implicit-def: $vgpr0
	ds_store_b32 v50, v24
	s_and_saveexec_b32 s8, s2
	s_cbranch_execz .LBB389_50
; %bb.47:                               ;   in Loop: Header=BB389_5 Depth=1
	v_mul_f32_e32 v0, s38, v24
	s_and_not1_b32 vcc_lo, exec_lo, s48
	s_cbranch_vccnz .LBB389_49
; %bb.48:                               ;   in Loop: Header=BB389_5 Depth=1
	v_lshl_add_u64 v[24:25], v[6:7], 1, s[44:45]
	global_load_u16 v24, v[24:25], off
	s_wait_loadcnt 0x0
	v_fma_mix_f32 v0, s39, v24, v0 op_sel_hi:[0,1,0]
.LBB389_49:                             ;   in Loop: Header=BB389_5 Depth=1
	s_delay_alu instid0(VALU_DEP_1)
	v_cvt_f16_f32_e32 v0, v0
	s_or_b32 s9, s51, exec_lo
.LBB389_50:                             ;   in Loop: Header=BB389_5 Depth=1
	s_wait_xcnt 0x0
	s_or_b32 exec_lo, exec_lo, s8
	s_delay_alu instid0(SALU_CYCLE_1) | instskip(SKIP_1) | instid1(SALU_CYCLE_1)
	s_and_not1_b32 s8, s51, exec_lo
	s_and_b32 s9, s9, exec_lo
	s_or_b32 s51, s8, s9
.LBB389_51:                             ;   in Loop: Header=BB389_5 Depth=1
	s_or_b32 exec_lo, exec_lo, s7
	v_mov_b64_e32 v[24:25], v[6:7]
	s_and_saveexec_b32 s7, s51
	s_cbranch_execz .LBB389_3
.LBB389_52:                             ;   in Loop: Header=BB389_5 Depth=1
	s_delay_alu instid0(VALU_DEP_1)
	v_lshl_add_u64 v[24:25], v[24:25], 1, s[44:45]
	global_store_b16 v[24:25], v0, off
	s_branch .LBB389_3
.LBB389_53:
	s_sendmsg sendmsg(MSG_DEALLOC_VGPRS)
	s_endpgm
	.section	.rodata,"a",@progbits
	.p2align	6, 0x0
	.amdhsa_kernel _ZL20rocblas_gemvn_kernelILi32ELi16ElDF16_fDF16_EviiT3_lPKT2_lT1_lS3_lS4_lS0_lPT4_lS4_li
		.amdhsa_group_segment_fixed_size 8192
		.amdhsa_private_segment_fixed_size 0
		.amdhsa_kernarg_size 400
		.amdhsa_user_sgpr_count 2
		.amdhsa_user_sgpr_dispatch_ptr 0
		.amdhsa_user_sgpr_queue_ptr 0
		.amdhsa_user_sgpr_kernarg_segment_ptr 1
		.amdhsa_user_sgpr_dispatch_id 0
		.amdhsa_user_sgpr_kernarg_preload_length 0
		.amdhsa_user_sgpr_kernarg_preload_offset 0
		.amdhsa_user_sgpr_private_segment_size 0
		.amdhsa_wavefront_size32 1
		.amdhsa_uses_dynamic_stack 0
		.amdhsa_enable_private_segment 0
		.amdhsa_system_sgpr_workgroup_id_x 1
		.amdhsa_system_sgpr_workgroup_id_y 0
		.amdhsa_system_sgpr_workgroup_id_z 1
		.amdhsa_system_sgpr_workgroup_info 0
		.amdhsa_system_vgpr_workitem_id 1
		.amdhsa_next_free_vgpr 75
		.amdhsa_next_free_sgpr 56
		.amdhsa_named_barrier_count 0
		.amdhsa_reserve_vcc 1
		.amdhsa_float_round_mode_32 0
		.amdhsa_float_round_mode_16_64 0
		.amdhsa_float_denorm_mode_32 3
		.amdhsa_float_denorm_mode_16_64 3
		.amdhsa_fp16_overflow 0
		.amdhsa_memory_ordered 1
		.amdhsa_forward_progress 1
		.amdhsa_inst_pref_size 24
		.amdhsa_round_robin_scheduling 0
		.amdhsa_exception_fp_ieee_invalid_op 0
		.amdhsa_exception_fp_denorm_src 0
		.amdhsa_exception_fp_ieee_div_zero 0
		.amdhsa_exception_fp_ieee_overflow 0
		.amdhsa_exception_fp_ieee_underflow 0
		.amdhsa_exception_fp_ieee_inexact 0
		.amdhsa_exception_int_div_zero 0
	.end_amdhsa_kernel
	.section	.text._ZL20rocblas_gemvn_kernelILi32ELi16ElDF16_fDF16_EviiT3_lPKT2_lT1_lS3_lS4_lS0_lPT4_lS4_li,"axG",@progbits,_ZL20rocblas_gemvn_kernelILi32ELi16ElDF16_fDF16_EviiT3_lPKT2_lT1_lS3_lS4_lS0_lPT4_lS4_li,comdat
.Lfunc_end389:
	.size	_ZL20rocblas_gemvn_kernelILi32ELi16ElDF16_fDF16_EviiT3_lPKT2_lT1_lS3_lS4_lS0_lPT4_lS4_li, .Lfunc_end389-_ZL20rocblas_gemvn_kernelILi32ELi16ElDF16_fDF16_EviiT3_lPKT2_lT1_lS3_lS4_lS0_lPT4_lS4_li
                                        ; -- End function
	.set _ZL20rocblas_gemvn_kernelILi32ELi16ElDF16_fDF16_EviiT3_lPKT2_lT1_lS3_lS4_lS0_lPT4_lS4_li.num_vgpr, 75
	.set _ZL20rocblas_gemvn_kernelILi32ELi16ElDF16_fDF16_EviiT3_lPKT2_lT1_lS3_lS4_lS0_lPT4_lS4_li.num_agpr, 0
	.set _ZL20rocblas_gemvn_kernelILi32ELi16ElDF16_fDF16_EviiT3_lPKT2_lT1_lS3_lS4_lS0_lPT4_lS4_li.numbered_sgpr, 56
	.set _ZL20rocblas_gemvn_kernelILi32ELi16ElDF16_fDF16_EviiT3_lPKT2_lT1_lS3_lS4_lS0_lPT4_lS4_li.num_named_barrier, 0
	.set _ZL20rocblas_gemvn_kernelILi32ELi16ElDF16_fDF16_EviiT3_lPKT2_lT1_lS3_lS4_lS0_lPT4_lS4_li.private_seg_size, 0
	.set _ZL20rocblas_gemvn_kernelILi32ELi16ElDF16_fDF16_EviiT3_lPKT2_lT1_lS3_lS4_lS0_lPT4_lS4_li.uses_vcc, 1
	.set _ZL20rocblas_gemvn_kernelILi32ELi16ElDF16_fDF16_EviiT3_lPKT2_lT1_lS3_lS4_lS0_lPT4_lS4_li.uses_flat_scratch, 0
	.set _ZL20rocblas_gemvn_kernelILi32ELi16ElDF16_fDF16_EviiT3_lPKT2_lT1_lS3_lS4_lS0_lPT4_lS4_li.has_dyn_sized_stack, 0
	.set _ZL20rocblas_gemvn_kernelILi32ELi16ElDF16_fDF16_EviiT3_lPKT2_lT1_lS3_lS4_lS0_lPT4_lS4_li.has_recursion, 0
	.set _ZL20rocblas_gemvn_kernelILi32ELi16ElDF16_fDF16_EviiT3_lPKT2_lT1_lS3_lS4_lS0_lPT4_lS4_li.has_indirect_call, 0
	.section	.AMDGPU.csdata,"",@progbits
; Kernel info:
; codeLenInByte = 2992
; TotalNumSgprs: 58
; NumVgprs: 75
; ScratchSize: 0
; MemoryBound: 0
; FloatMode: 240
; IeeeMode: 1
; LDSByteSize: 8192 bytes/workgroup (compile time only)
; SGPRBlocks: 0
; VGPRBlocks: 4
; NumSGPRsForWavesPerEU: 58
; NumVGPRsForWavesPerEU: 75
; NamedBarCnt: 0
; Occupancy: 12
; WaveLimiterHint : 1
; COMPUTE_PGM_RSRC2:SCRATCH_EN: 0
; COMPUTE_PGM_RSRC2:USER_SGPR: 2
; COMPUTE_PGM_RSRC2:TRAP_HANDLER: 0
; COMPUTE_PGM_RSRC2:TGID_X_EN: 1
; COMPUTE_PGM_RSRC2:TGID_Y_EN: 0
; COMPUTE_PGM_RSRC2:TGID_Z_EN: 1
; COMPUTE_PGM_RSRC2:TIDIG_COMP_CNT: 1
	.section	.text._ZL20rocblas_gemvn_kernelILi64ELi16EiDF16_PKfDF16_EviiT3_lPKT2_lT1_lS5_lS6_lS2_lPT4_lS6_li,"axG",@progbits,_ZL20rocblas_gemvn_kernelILi64ELi16EiDF16_PKfDF16_EviiT3_lPKT2_lT1_lS5_lS6_lS2_lPT4_lS6_li,comdat
	.globl	_ZL20rocblas_gemvn_kernelILi64ELi16EiDF16_PKfDF16_EviiT3_lPKT2_lT1_lS5_lS6_lS2_lPT4_lS6_li ; -- Begin function _ZL20rocblas_gemvn_kernelILi64ELi16EiDF16_PKfDF16_EviiT3_lPKT2_lT1_lS5_lS6_lS2_lPT4_lS6_li
	.p2align	8
	.type	_ZL20rocblas_gemvn_kernelILi64ELi16EiDF16_PKfDF16_EviiT3_lPKT2_lT1_lS5_lS6_lS2_lPT4_lS6_li,@function
_ZL20rocblas_gemvn_kernelILi64ELi16EiDF16_PKfDF16_EviiT3_lPKT2_lT1_lS5_lS6_lS2_lPT4_lS6_li: ; @_ZL20rocblas_gemvn_kernelILi64ELi16EiDF16_PKfDF16_EviiT3_lPKT2_lT1_lS5_lS6_lS2_lPT4_lS6_li
; %bb.0:
	s_load_b64 s[2:3], s[0:1], 0x9c
	s_wait_kmcnt 0x0
	s_lshr_b32 s4, s2, 16
	s_and_b32 s2, s2, 0xffff
	s_and_b32 s3, s3, 0xffff
	s_mul_i32 s2, s4, s2
	s_delay_alu instid0(SALU_CYCLE_1) | instskip(NEXT) | instid1(SALU_CYCLE_1)
	s_mul_i32 s2, s2, s3
	s_cmp_lg_u32 s2, 0x400
	s_cbranch_scc1 .LBB390_53
; %bb.1:
	s_load_b32 s31, s[0:1], 0x88
	s_bfe_u32 s2, ttmp6, 0x40014
	s_lshr_b32 s3, ttmp7, 16
	s_add_co_i32 s2, s2, 1
	s_bfe_u32 s5, ttmp6, 0x40008
	s_mul_i32 s4, s3, s2
	s_getreg_b32 s2, hwreg(HW_REG_IB_STS2, 6, 4)
	s_add_co_i32 s5, s5, s4
	s_cmp_eq_u32 s2, 0
	s_mov_b32 s35, 0
	s_cselect_b32 s34, s3, s5
	s_wait_kmcnt 0x0
	s_cmp_ge_u32 s34, s31
	s_cbranch_scc1 .LBB390_53
; %bb.2:
	s_clause 0x7
	s_load_b256 s[8:15], s[0:1], 0x8
	s_load_b96 s[28:30], s[0:1], 0x40
	s_load_b96 s[4:6], s[0:1], 0x70
	s_load_b64 s[36:37], s[0:1], 0x0
	s_load_b32 s33, s[0:1], 0x28
	s_load_b128 s[24:27], s[0:1], 0x30
	s_load_b256 s[16:23], s[0:1], 0x50
	s_load_b64 s[38:39], s[0:1], 0x80
	s_wait_xcnt 0x0
	s_bfe_u32 s0, ttmp6, 0x4000c
	v_and_b32_e32 v6, 0x3ff, v0
	s_add_co_i32 s0, s0, 1
	v_bfe_u32 v5, v0, 10, 10
	s_and_b32 s1, ttmp6, 15
	s_mul_i32 s0, ttmp9, s0
	v_lshlrev_b32_e32 v9, 2, v6
	s_add_co_i32 s7, s1, s0
	v_lshl_add_u32 v4, v5, 6, v6
	v_lshlrev_b32_e32 v17, 2, v5
	s_delay_alu instid0(VALU_DEP_3)
	v_lshl_add_u32 v18, v5, 8, v9
	s_wait_kmcnt 0x0
	s_lshl_b64 s[0:1], s[14:15], 1
	s_lshl_b64 s[14:15], s[28:29], 1
	;; [unrolled: 1-line block ×3, first 2 shown]
	s_ashr_i32 s3, s6, 31
	s_cmp_eq_u32 s2, 0
	s_mov_b32 s2, s6
	s_cselect_b32 s7, ttmp9, s7
	s_add_nc_u64 s[12:13], s[12:13], s[0:1]
	s_lshl_b32 s42, s7, 8
	s_delay_alu instid0(SALU_CYCLE_1)
	v_dual_mov_b32 v1, 0 :: v_dual_add_nc_u32 v0, s42, v4
	v_add_nc_u32_e32 v16, s42, v6
	s_ashr_i32 s0, s37, 31
	s_add_nc_u64 s[22:23], s[22:23], s[4:5]
	s_lshr_b32 s0, s0, 26
	v_mul_u64_e32 v[2:3], s[2:3], v[0:1]
	v_add_nc_u32_e32 v7, 0x80, v16
	s_add_co_i32 s43, s37, s0
	v_add_nc_u32_e32 v8, 0xc0, v16
	s_and_not1_b32 s43, s43, 63
	s_ashr_i32 s29, s36, 31
	v_cmp_gt_i32_e64 s3, s36, v7
	v_or_b32_e32 v7, s42, v4
	s_sub_co_i32 s5, s37, s43
	v_cmp_gt_i32_e64 s4, s36, v8
	s_cmp_gt_i32 s5, 0
	v_cmp_gt_u32_e64 s5, 0x100, v4
	v_mul_lo_u32 v4, s6, v7
	v_mul_lo_u32 v8, s33, v17
	v_or_b32_e32 v10, 2, v17
	v_or_b32_e32 v11, 3, v17
	v_mul_lo_u32 v12, v5, s33
	v_mul_lo_u32 v13, v5, s30
	s_mov_b32 s28, s36
	v_mad_u32 v19, s33, v10, v6
	v_mad_u32 v20, s33, v11, v6
	;; [unrolled: 1-line block ×3, first 2 shown]
	v_mul_lo_u32 v22, s30, v10
	v_mul_lo_u32 v23, s30, v11
	v_cmp_gt_i64_e32 vcc_lo, s[28:29], v[0:1]
	v_add_nc_u32_e32 v0, 64, v16
	v_cmp_gt_i32_e64 s0, s43, v17
	v_cmp_gt_i32_e64 s1, s36, v16
	v_add3_u32 v24, v8, s33, v6
	v_lshl_add_u32 v25, v12, 2, v6
	v_cmp_gt_i32_e64 s2, s36, v0
	v_lshl_add_u32 v0, v5, 10, v9
	v_ashrrev_i32_e32 v5, 31, v4
	v_cmp_gt_i32_e64 s6, s36, v7
	v_lshlrev_b32_e32 v26, 2, v13
	s_add_nc_u64 s[14:15], s[26:27], s[14:15]
	s_cselect_b32 s36, -1, 0
	s_and_b32 s44, s5, vcc_lo
	s_lshl_b32 s45, s33, 6
	s_lshl_b32 s46, s30, 6
	s_branch .LBB390_5
.LBB390_3:                              ;   in Loop: Header=BB390_5 Depth=1
	s_wait_xcnt 0x0
	s_or_b32 exec_lo, exec_lo, s7
.LBB390_4:                              ;   in Loop: Header=BB390_5 Depth=1
	s_add_co_i32 s34, s34, 0x10000
	s_delay_alu instid0(SALU_CYCLE_1)
	s_cmp_lt_u32 s34, s31
	s_cbranch_scc0 .LBB390_53
.LBB390_5:                              ; =>This Loop Header: Depth=1
                                        ;     Child Loop BB390_21 Depth 2
	s_wait_xcnt 0x1
	s_mul_u64 s[26:27], s[10:11], s[34:35]
	s_wait_xcnt 0x0
	s_mul_u64 s[28:29], s[20:21], s[34:35]
	s_lshl_b64 s[26:27], s[26:27], 2
	s_lshl_b64 s[28:29], s[28:29], 2
	s_add_nc_u64 s[26:27], s[8:9], s[26:27]
	s_add_nc_u64 s[28:29], s[18:19], s[28:29]
	s_clause 0x1
	global_load_b32 v27, v1, s[26:27]
	global_load_b32 v6, v1, s[28:29]
	s_wait_loadcnt 0x1
	v_cmp_eq_f32_e32 vcc_lo, 0, v27
	s_wait_loadcnt 0x0
	v_cmp_eq_f32_e64 s7, 1.0, v6
	v_readfirstlane_b32 s48, v6
	s_and_b32 s7, vcc_lo, s7
	s_delay_alu instid0(SALU_CYCLE_1)
	s_and_b32 vcc_lo, exec_lo, s7
	s_cbranch_vccnz .LBB390_4
; %bb.6:                                ;   in Loop: Header=BB390_5 Depth=1
	v_cmp_neq_f32_e32 vcc_lo, 0, v27
	s_wait_xcnt 0x1
	s_mul_u64 s[26:27], s[38:39], s[34:35]
	s_delay_alu instid0(SALU_CYCLE_1) | instskip(NEXT) | instid1(SALU_CYCLE_1)
	s_lshl_b64 s[26:27], s[26:27], 1
	s_add_nc_u64 s[26:27], s[22:23], s[26:27]
	s_cbranch_vccnz .LBB390_10
; %bb.7:                                ;   in Loop: Header=BB390_5 Depth=1
	s_mov_b32 s7, 0
	s_mov_b32 s47, 0
                                        ; implicit-def: $vgpr8
	s_wait_xcnt 0x0
	s_and_saveexec_b32 s28, s44
	s_cbranch_execz .LBB390_11
; %bb.8:                                ;   in Loop: Header=BB390_5 Depth=1
	s_cmp_eq_f32 s48, 0
	s_cbranch_scc1 .LBB390_13
; %bb.9:                                ;   in Loop: Header=BB390_5 Depth=1
	v_lshl_add_u64 v[6:7], v[2:3], 1, s[26:27]
	global_load_u16 v6, v[6:7], off
	s_wait_loadcnt 0x0
	v_fma_mixlo_f16 v8, s48, v6, 0 op_sel_hi:[0,1,0]
	s_branch .LBB390_14
.LBB390_10:                             ;   in Loop: Header=BB390_5 Depth=1
	s_mov_b32 s47, 0
                                        ; implicit-def: $vgpr8
	s_cbranch_execz .LBB390_12
	s_branch .LBB390_15
.LBB390_11:                             ;   in Loop: Header=BB390_5 Depth=1
	s_or_b32 exec_lo, exec_lo, s28
	s_delay_alu instid0(SALU_CYCLE_1)
	s_and_b32 vcc_lo, exec_lo, s7
	s_cbranch_vccnz .LBB390_15
.LBB390_12:                             ;   in Loop: Header=BB390_5 Depth=1
	v_mov_b64_e32 v[6:7], v[2:3]
	s_wait_xcnt 0x0
	s_and_saveexec_b32 s7, s47
	s_cbranch_execz .LBB390_3
	s_branch .LBB390_52
.LBB390_13:                             ;   in Loop: Header=BB390_5 Depth=1
	v_mov_b32_e32 v8, 0
.LBB390_14:                             ;   in Loop: Header=BB390_5 Depth=1
	s_mov_b32 s47, exec_lo
	s_wait_xcnt 0x0
	s_or_b32 exec_lo, exec_lo, s28
	s_delay_alu instid0(SALU_CYCLE_1)
	s_and_b32 vcc_lo, exec_lo, s7
	s_cbranch_vccz .LBB390_12
.LBB390_15:                             ;   in Loop: Header=BB390_5 Depth=1
	s_wait_xcnt 0x0
	s_mul_u64 s[28:29], s[24:25], s[34:35]
	s_mul_u64 s[40:41], s[16:17], s[34:35]
	v_dual_mov_b32 v28, 0 :: v_dual_mov_b32 v32, v17
	v_dual_mov_b32 v29, 0 :: v_dual_mov_b32 v30, 0
	v_mov_b32_e32 v31, 0
	s_lshl_b64 s[28:29], s[28:29], 1
	s_lshl_b64 s[40:41], s[40:41], 1
	s_add_nc_u64 s[28:29], s[12:13], s[28:29]
	s_add_nc_u64 s[40:41], s[14:15], s[40:41]
	s_and_saveexec_b32 s7, s0
	s_cbranch_execz .LBB390_27
; %bb.16:                               ;   in Loop: Header=BB390_5 Depth=1
	v_dual_mov_b32 v28, 0 :: v_dual_mov_b32 v33, v25
	v_dual_mov_b32 v34, v20 :: v_dual_mov_b32 v35, v19
	;; [unrolled: 1-line block ×4, first 2 shown]
	v_mov_b32_e32 v31, 0
	s_mov_b32 s49, 0
	s_mov_b32 s50, 0
	s_branch .LBB390_21
.LBB390_17:                             ;   in Loop: Header=BB390_21 Depth=2
	s_wait_xcnt 0x0
	s_or_b32 exec_lo, exec_lo, s54
	s_wait_loadcnt 0x3
	v_fma_mix_f32 v6, v47, v51, v30 op_sel_hi:[0,1,0]
	s_wait_loadcnt 0x2
	s_delay_alu instid0(VALU_DEP_1) | instskip(SKIP_1) | instid1(VALU_DEP_1)
	v_fma_mix_f32 v6, v48, v52, v6 op_sel_hi:[0,1,0]
	s_wait_loadcnt 0x1
	v_fma_mix_f32 v6, v49, v53, v6 op_sel_hi:[0,1,0]
	s_wait_loadcnt 0x0
	s_delay_alu instid0(VALU_DEP_1)
	v_fma_mix_f32 v30, v50, v54, v6 op_sel_hi:[0,1,0]
.LBB390_18:                             ;   in Loop: Header=BB390_21 Depth=2
	s_or_b32 exec_lo, exec_lo, s53
	s_wait_loadcnt 0x3
	v_fma_mix_f32 v6, v47, v12, v29 op_sel_hi:[0,1,0]
	s_wait_loadcnt 0x2
	s_delay_alu instid0(VALU_DEP_1) | instskip(SKIP_1) | instid1(VALU_DEP_1)
	v_fma_mix_f32 v6, v48, v13, v6 op_sel_hi:[0,1,0]
	s_wait_loadcnt 0x1
	v_fma_mix_f32 v6, v49, v45, v6 op_sel_hi:[0,1,0]
	s_wait_loadcnt 0x0
	s_delay_alu instid0(VALU_DEP_1)
	v_fma_mix_f32 v29, v50, v46, v6 op_sel_hi:[0,1,0]
.LBB390_19:                             ;   in Loop: Header=BB390_21 Depth=2
	s_or_b32 exec_lo, exec_lo, s52
	s_wait_loadcnt 0x3
	v_fma_mix_f32 v6, v37, v41, v28 op_sel_hi:[1,1,0]
	s_wait_loadcnt 0x2
	s_delay_alu instid0(VALU_DEP_1) | instskip(SKIP_1) | instid1(VALU_DEP_1)
	v_fma_mix_f32 v6, v38, v42, v6 op_sel_hi:[1,1,0]
	s_wait_loadcnt 0x1
	v_fma_mix_f32 v6, v39, v43, v6 op_sel_hi:[1,1,0]
	s_wait_loadcnt 0x0
	s_delay_alu instid0(VALU_DEP_1)
	v_fma_mix_f32 v28, v40, v44, v6 op_sel_hi:[1,1,0]
.LBB390_20:                             ;   in Loop: Header=BB390_21 Depth=2
	s_or_b32 exec_lo, exec_lo, s51
	v_dual_add_nc_u32 v32, 64, v32 :: v_dual_add_nc_u32 v35, s45, v35
	v_dual_add_nc_u32 v36, s45, v36 :: v_dual_add_nc_u32 v34, s45, v34
	v_add_nc_u32_e32 v33, s45, v33
	s_delay_alu instid0(VALU_DEP_3) | instskip(SKIP_2) | instid1(SALU_CYCLE_1)
	v_cmp_le_i32_e32 vcc_lo, s43, v32
	s_add_co_i32 s50, s50, s46
	s_or_b32 s49, vcc_lo, s49
	s_and_not1_b32 exec_lo, exec_lo, s49
	s_cbranch_execz .LBB390_26
.LBB390_21:                             ;   Parent Loop BB390_5 Depth=1
                                        ; =>  This Inner Loop Header: Depth=2
	s_and_saveexec_b32 s51, s1
	s_cbranch_execz .LBB390_20
; %bb.22:                               ;   in Loop: Header=BB390_21 Depth=2
	v_dual_add_nc_u32 v7, s50, v26 :: v_dual_add_nc_u32 v9, s50, v21
	v_dual_add_nc_u32 v11, s50, v22 :: v_dual_add_nc_u32 v13, s50, v23
	v_dual_add_nc_u32 v6, s42, v33 :: v_dual_add_nc_u32 v8, s42, v36
	v_dual_add_nc_u32 v12, s42, v35 :: v_dual_add_nc_u32 v10, s42, v34
	s_clause 0x3
	global_load_u16 v37, v7, s[40:41] scale_offset
	global_load_u16 v38, v9, s[40:41] scale_offset
	;; [unrolled: 1-line block ×4, first 2 shown]
	s_clause 0x3
	global_load_u16 v41, v6, s[28:29] scale_offset
	global_load_u16 v42, v8, s[28:29] scale_offset
	;; [unrolled: 1-line block ×4, first 2 shown]
	s_wait_xcnt 0x0
	s_and_saveexec_b32 s52, s2
	s_cbranch_execz .LBB390_19
; %bb.23:                               ;   in Loop: Header=BB390_21 Depth=2
	v_dual_ashrrev_i32 v7, 31, v6 :: v_dual_ashrrev_i32 v9, 31, v8
	v_dual_ashrrev_i32 v13, 31, v12 :: v_dual_ashrrev_i32 v11, 31, v10
	s_wait_loadcnt 0x7
	v_cvt_f32_f16_e32 v47, v37
	s_delay_alu instid0(VALU_DEP_3)
	v_lshl_add_u64 v[14:15], v[6:7], 1, s[28:29]
	v_lshl_add_u64 v[8:9], v[8:9], 1, s[28:29]
	;; [unrolled: 1-line block ×4, first 2 shown]
	s_wait_loadcnt 0x6
	v_cvt_f32_f16_e32 v48, v38
	s_clause 0x3
	global_load_u16 v12, v[14:15], off offset:128
	global_load_u16 v13, v[8:9], off offset:128
	;; [unrolled: 1-line block ×4, first 2 shown]
	s_wait_loadcnt 0x9
	v_cvt_f32_f16_e32 v49, v39
	s_wait_loadcnt 0x8
	v_cvt_f32_f16_e32 v50, v40
	s_wait_xcnt 0x0
	s_and_saveexec_b32 s53, s3
	s_cbranch_execz .LBB390_18
; %bb.24:                               ;   in Loop: Header=BB390_21 Depth=2
	s_clause 0x3
	global_load_u16 v51, v[14:15], off offset:256
	global_load_u16 v52, v[8:9], off offset:256
	;; [unrolled: 1-line block ×4, first 2 shown]
	s_wait_xcnt 0x0
	s_and_saveexec_b32 s54, s4
	s_cbranch_execz .LBB390_17
; %bb.25:                               ;   in Loop: Header=BB390_21 Depth=2
	s_clause 0x3
	global_load_u16 v14, v[14:15], off offset:384
	global_load_u16 v8, v[8:9], off offset:384
	;; [unrolled: 1-line block ×4, first 2 shown]
	s_wait_loadcnt 0x3
	v_fma_mix_f32 v9, v47, v14, v31 op_sel_hi:[0,1,0]
	s_wait_loadcnt 0x2
	s_delay_alu instid0(VALU_DEP_1) | instskip(SKIP_1) | instid1(VALU_DEP_1)
	v_fma_mix_f32 v8, v48, v8, v9 op_sel_hi:[0,1,0]
	s_wait_loadcnt 0x1
	v_fma_mix_f32 v6, v49, v6, v8 op_sel_hi:[0,1,0]
	s_wait_loadcnt 0x0
	s_delay_alu instid0(VALU_DEP_1)
	v_fma_mix_f32 v31, v50, v7, v6 op_sel_hi:[0,1,0]
	s_branch .LBB390_17
.LBB390_26:                             ;   in Loop: Header=BB390_5 Depth=1
	s_or_b32 exec_lo, exec_lo, s49
.LBB390_27:                             ;   in Loop: Header=BB390_5 Depth=1
	s_delay_alu instid0(SALU_CYCLE_1) | instskip(NEXT) | instid1(SALU_CYCLE_1)
	s_or_b32 exec_lo, exec_lo, s7
	s_and_not1_b32 vcc_lo, exec_lo, s36
	s_cbranch_vccnz .LBB390_45
; %bb.28:                               ;   in Loop: Header=BB390_5 Depth=1
	v_cmp_gt_i32_e32 vcc_lo, s37, v32
	v_dual_mov_b32 v14, 0 :: v_dual_bitop2_b32 v6, 1, v32 bitop3:0x54
	v_dual_mov_b32 v15, 0 :: v_dual_mov_b32 v33, 0
	v_mov_b32_e32 v34, 0
	s_and_saveexec_b32 s49, vcc_lo
	s_cbranch_execz .LBB390_36
; %bb.29:                               ;   in Loop: Header=BB390_5 Depth=1
	v_mul_lo_u32 v7, v32, s30
	v_dual_mov_b32 v33, 0 :: v_dual_mov_b32 v15, 0
	v_mov_b32_e32 v14, 0
	s_mov_b32 s50, exec_lo
	global_load_u16 v7, v7, s[40:41] scale_offset
	s_wait_xcnt 0x0
	v_cmpx_gt_i32_e64 s37, v6
	s_cbranch_execz .LBB390_35
; %bb.30:                               ;   in Loop: Header=BB390_5 Depth=1
	v_mul_lo_u32 v8, v6, s30
	v_dual_mov_b32 v15, 0 :: v_dual_bitop2_b32 v9, 2, v32 bitop3:0x54
	v_mov_b32_e32 v14, 0
	s_mov_b32 s51, exec_lo
	global_load_u16 v8, v8, s[40:41] scale_offset
	s_wait_xcnt 0x0
	v_cmpx_gt_i32_e64 s37, v9
	s_cbranch_execz .LBB390_34
; %bb.31:                               ;   in Loop: Header=BB390_5 Depth=1
	v_mul_lo_u32 v9, v9, s30
	v_dual_mov_b32 v14, 0 :: v_dual_bitop2_b32 v10, 3, v32 bitop3:0x54
	s_mov_b32 s52, exec_lo
	global_load_u16 v9, v9, s[40:41] scale_offset
	s_wait_xcnt 0x0
	v_cmpx_gt_i32_e64 s37, v10
	s_cbranch_execz .LBB390_33
; %bb.32:                               ;   in Loop: Header=BB390_5 Depth=1
	v_mul_lo_u32 v10, v10, s30
	global_load_u16 v10, v10, s[40:41] scale_offset
	s_wait_loadcnt 0x0
	v_cvt_f32_f16_e32 v14, v10
.LBB390_33:                             ;   in Loop: Header=BB390_5 Depth=1
	s_wait_xcnt 0x0
	s_or_b32 exec_lo, exec_lo, s52
	s_wait_loadcnt 0x0
	v_cvt_f32_f16_e32 v15, v9
.LBB390_34:                             ;   in Loop: Header=BB390_5 Depth=1
	s_or_b32 exec_lo, exec_lo, s51
	s_wait_loadcnt 0x0
	v_cvt_f32_f16_e32 v33, v8
.LBB390_35:                             ;   in Loop: Header=BB390_5 Depth=1
	s_or_b32 exec_lo, exec_lo, s50
	s_wait_loadcnt 0x0
	v_cvt_f32_f16_e32 v34, v7
.LBB390_36:                             ;   in Loop: Header=BB390_5 Depth=1
	s_or_b32 exec_lo, exec_lo, s49
	s_and_saveexec_b32 s7, s1
	s_cbranch_execz .LBB390_44
; %bb.37:                               ;   in Loop: Header=BB390_5 Depth=1
	v_mul_lo_u32 v8, v32, s33
	v_mul_lo_u32 v10, v6, s33
	s_delay_alu instid0(VALU_DEP_2) | instskip(SKIP_1) | instid1(VALU_DEP_3)
	v_cndmask_b32_e32 v8, 0, v8, vcc_lo
	v_cmp_gt_i32_e32 vcc_lo, s37, v6
	v_dual_cndmask_b32 v10, 0, v10, vcc_lo :: v_dual_bitop2_b32 v7, 2, v32 bitop3:0x54
	s_delay_alu instid0(VALU_DEP_1) | instskip(SKIP_2) | instid1(VALU_DEP_4)
	v_mul_lo_u32 v11, v7, s33
	v_cmp_gt_i32_e32 vcc_lo, s37, v7
	v_or_b32_e32 v9, 3, v32
	v_dual_add_nc_u32 v6, v8, v16 :: v_dual_add_nc_u32 v8, v10, v16
	s_delay_alu instid0(VALU_DEP_4) | instskip(NEXT) | instid1(VALU_DEP_3)
	v_cndmask_b32_e32 v7, 0, v11, vcc_lo
	v_mul_lo_u32 v12, v9, s33
	v_cmp_gt_i32_e32 vcc_lo, s37, v9
	s_delay_alu instid0(VALU_DEP_2) | instskip(NEXT) | instid1(VALU_DEP_1)
	v_cndmask_b32_e32 v9, 0, v12, vcc_lo
	v_dual_add_nc_u32 v10, v7, v16 :: v_dual_add_nc_u32 v12, v9, v16
	s_clause 0x3
	global_load_u16 v32, v6, s[28:29] scale_offset
	global_load_u16 v35, v8, s[28:29] scale_offset
	;; [unrolled: 1-line block ×4, first 2 shown]
	s_wait_xcnt 0x0
	s_and_saveexec_b32 s40, s2
	s_cbranch_execz .LBB390_43
; %bb.38:                               ;   in Loop: Header=BB390_5 Depth=1
	v_dual_ashrrev_i32 v7, 31, v6 :: v_dual_ashrrev_i32 v9, 31, v8
	v_dual_ashrrev_i32 v11, 31, v10 :: v_dual_ashrrev_i32 v13, 31, v12
	s_delay_alu instid0(VALU_DEP_2) | instskip(NEXT) | instid1(VALU_DEP_3)
	v_lshl_add_u64 v[6:7], v[6:7], 1, s[28:29]
	v_lshl_add_u64 v[8:9], v[8:9], 1, s[28:29]
	s_delay_alu instid0(VALU_DEP_3) | instskip(NEXT) | instid1(VALU_DEP_4)
	v_lshl_add_u64 v[10:11], v[10:11], 1, s[28:29]
	v_lshl_add_u64 v[12:13], v[12:13], 1, s[28:29]
	s_clause 0x3
	global_load_u16 v38, v[6:7], off offset:128
	global_load_u16 v39, v[8:9], off offset:128
	;; [unrolled: 1-line block ×4, first 2 shown]
	s_wait_xcnt 0x0
	s_and_saveexec_b32 s28, s3
	s_cbranch_execz .LBB390_42
; %bb.39:                               ;   in Loop: Header=BB390_5 Depth=1
	s_clause 0x3
	global_load_u16 v42, v[6:7], off offset:256
	global_load_u16 v43, v[8:9], off offset:256
	;; [unrolled: 1-line block ×4, first 2 shown]
	s_wait_xcnt 0x0
	s_and_saveexec_b32 s29, s4
	s_cbranch_execz .LBB390_41
; %bb.40:                               ;   in Loop: Header=BB390_5 Depth=1
	s_clause 0x3
	global_load_u16 v46, v[6:7], off offset:384
	global_load_u16 v47, v[8:9], off offset:384
	;; [unrolled: 1-line block ×4, first 2 shown]
	s_wait_loadcnt 0x3
	s_wait_xcnt 0x3
	v_fma_mix_f32 v6, v34, v46, v31 op_sel_hi:[0,1,0]
	s_wait_loadcnt 0x2
	s_delay_alu instid0(VALU_DEP_1) | instskip(SKIP_1) | instid1(VALU_DEP_1)
	v_fma_mix_f32 v6, v33, v47, v6 op_sel_hi:[0,1,0]
	s_wait_loadcnt 0x1
	v_fma_mix_f32 v6, v15, v48, v6 op_sel_hi:[0,1,0]
	s_wait_loadcnt 0x0
	s_delay_alu instid0(VALU_DEP_1)
	v_fma_mix_f32 v31, v14, v49, v6 op_sel_hi:[0,1,0]
.LBB390_41:                             ;   in Loop: Header=BB390_5 Depth=1
	s_wait_xcnt 0x0
	s_or_b32 exec_lo, exec_lo, s29
	s_wait_loadcnt 0x3
	v_fma_mix_f32 v6, v34, v42, v30 op_sel_hi:[0,1,0]
	s_wait_loadcnt 0x2
	s_delay_alu instid0(VALU_DEP_1) | instskip(SKIP_1) | instid1(VALU_DEP_1)
	v_fma_mix_f32 v6, v33, v43, v6 op_sel_hi:[0,1,0]
	s_wait_loadcnt 0x1
	v_fma_mix_f32 v6, v15, v44, v6 op_sel_hi:[0,1,0]
	s_wait_loadcnt 0x0
	s_delay_alu instid0(VALU_DEP_1)
	v_fma_mix_f32 v30, v14, v45, v6 op_sel_hi:[0,1,0]
.LBB390_42:                             ;   in Loop: Header=BB390_5 Depth=1
	s_or_b32 exec_lo, exec_lo, s28
	s_wait_loadcnt 0x3
	v_fma_mix_f32 v6, v34, v38, v29 op_sel_hi:[0,1,0]
	s_wait_loadcnt 0x2
	s_delay_alu instid0(VALU_DEP_1) | instskip(SKIP_1) | instid1(VALU_DEP_1)
	v_fma_mix_f32 v6, v33, v39, v6 op_sel_hi:[0,1,0]
	s_wait_loadcnt 0x1
	v_fma_mix_f32 v6, v15, v40, v6 op_sel_hi:[0,1,0]
	s_wait_loadcnt 0x0
	s_delay_alu instid0(VALU_DEP_1)
	v_fma_mix_f32 v29, v14, v41, v6 op_sel_hi:[0,1,0]
.LBB390_43:                             ;   in Loop: Header=BB390_5 Depth=1
	s_or_b32 exec_lo, exec_lo, s40
	s_wait_loadcnt 0x3
	v_fma_mix_f32 v6, v34, v32, v28 op_sel_hi:[0,1,0]
	s_wait_loadcnt 0x2
	s_delay_alu instid0(VALU_DEP_1) | instskip(SKIP_1) | instid1(VALU_DEP_1)
	v_fma_mix_f32 v6, v33, v35, v6 op_sel_hi:[0,1,0]
	s_wait_loadcnt 0x1
	v_fma_mix_f32 v6, v15, v36, v6 op_sel_hi:[0,1,0]
	s_wait_loadcnt 0x0
	s_delay_alu instid0(VALU_DEP_1)
	v_fma_mix_f32 v28, v14, v37, v6 op_sel_hi:[0,1,0]
.LBB390_44:                             ;   in Loop: Header=BB390_5 Depth=1
	s_or_b32 exec_lo, exec_lo, s7
.LBB390_45:                             ;   in Loop: Header=BB390_5 Depth=1
	ds_store_2addr_stride64_b32 v0, v28, v29 offset1:1
	ds_store_2addr_stride64_b32 v0, v30, v31 offset0:2 offset1:3
	s_wait_dscnt 0x0
	s_barrier_signal -1
	s_barrier_wait -1
                                        ; implicit-def: $vgpr8
	s_and_saveexec_b32 s7, s5
	s_cbranch_execz .LBB390_51
; %bb.46:                               ;   in Loop: Header=BB390_5 Depth=1
	ds_load_2addr_stride64_b32 v[6:7], v18 offset1:4
	ds_load_2addr_stride64_b32 v[8:9], v18 offset0:8 offset1:12
	ds_load_2addr_stride64_b32 v[10:11], v18 offset0:16 offset1:20
	s_mov_b32 s29, s47
	s_wait_dscnt 0x2
	v_add_f32_e32 v12, v6, v7
	ds_load_2addr_stride64_b32 v[6:7], v18 offset0:24 offset1:28
	s_wait_dscnt 0x2
	v_add_f32_e32 v8, v8, v12
	s_delay_alu instid0(VALU_DEP_1) | instskip(SKIP_3) | instid1(VALU_DEP_1)
	v_add_f32_e32 v12, v9, v8
	ds_load_2addr_stride64_b32 v[8:9], v18 offset0:32 offset1:36
	s_wait_dscnt 0x2
	v_add_f32_e32 v10, v10, v12
	v_add_f32_e32 v12, v11, v10
	ds_load_2addr_stride64_b32 v[10:11], v18 offset0:40 offset1:44
	s_wait_dscnt 0x2
	v_add_f32_e32 v6, v6, v12
	s_delay_alu instid0(VALU_DEP_1) | instskip(SKIP_1) | instid1(VALU_DEP_1)
	v_add_f32_e32 v6, v7, v6
	s_wait_dscnt 0x1
	v_add_f32_e32 v8, v8, v6
	ds_load_2addr_stride64_b32 v[6:7], v18 offset0:48 offset1:52
	v_add_f32_e32 v8, v9, v8
	s_wait_dscnt 0x1
	s_delay_alu instid0(VALU_DEP_1) | instskip(SKIP_3) | instid1(VALU_DEP_1)
	v_add_f32_e32 v10, v10, v8
	ds_load_2addr_stride64_b32 v[8:9], v18 offset0:56 offset1:60
	v_add_f32_e32 v10, v11, v10
	s_wait_dscnt 0x1
	v_add_f32_e32 v6, v6, v10
	s_delay_alu instid0(VALU_DEP_1) | instskip(SKIP_1) | instid1(VALU_DEP_1)
	v_add_f32_e32 v6, v7, v6
	s_wait_dscnt 0x0
	v_add_f32_e32 v6, v8, v6
                                        ; implicit-def: $vgpr8
	s_delay_alu instid0(VALU_DEP_1)
	v_add_f32_e32 v6, v9, v6
	ds_store_b32 v18, v6
	s_and_saveexec_b32 s28, s6
	s_cbranch_execz .LBB390_50
; %bb.47:                               ;   in Loop: Header=BB390_5 Depth=1
	v_mul_f32_e32 v6, v27, v6
	s_cmp_eq_f32 s48, 0
	s_cbranch_scc1 .LBB390_49
; %bb.48:                               ;   in Loop: Header=BB390_5 Depth=1
	v_lshl_add_u64 v[8:9], v[4:5], 1, s[26:27]
	global_load_u16 v7, v[8:9], off
	s_wait_loadcnt 0x0
	v_fma_mix_f32 v6, s48, v7, v6 op_sel_hi:[0,1,0]
.LBB390_49:                             ;   in Loop: Header=BB390_5 Depth=1
	s_wait_xcnt 0x0
	s_delay_alu instid0(VALU_DEP_1)
	v_cvt_f16_f32_e32 v8, v6
	s_or_b32 s29, s47, exec_lo
.LBB390_50:                             ;   in Loop: Header=BB390_5 Depth=1
	s_or_b32 exec_lo, exec_lo, s28
	s_delay_alu instid0(SALU_CYCLE_1) | instskip(SKIP_1) | instid1(SALU_CYCLE_1)
	s_and_not1_b32 s28, s47, exec_lo
	s_and_b32 s29, s29, exec_lo
	s_or_b32 s47, s28, s29
.LBB390_51:                             ;   in Loop: Header=BB390_5 Depth=1
	s_or_b32 exec_lo, exec_lo, s7
	v_mov_b64_e32 v[6:7], v[4:5]
	s_and_saveexec_b32 s7, s47
	s_cbranch_execz .LBB390_3
.LBB390_52:                             ;   in Loop: Header=BB390_5 Depth=1
	s_delay_alu instid0(VALU_DEP_1)
	v_lshl_add_u64 v[6:7], v[6:7], 1, s[26:27]
	global_store_b16 v[6:7], v8, off
	s_branch .LBB390_3
.LBB390_53:
	s_endpgm
	.section	.rodata,"a",@progbits
	.p2align	6, 0x0
	.amdhsa_kernel _ZL20rocblas_gemvn_kernelILi64ELi16EiDF16_PKfDF16_EviiT3_lPKT2_lT1_lS5_lS6_lS2_lPT4_lS6_li
		.amdhsa_group_segment_fixed_size 16384
		.amdhsa_private_segment_fixed_size 0
		.amdhsa_kernarg_size 400
		.amdhsa_user_sgpr_count 2
		.amdhsa_user_sgpr_dispatch_ptr 0
		.amdhsa_user_sgpr_queue_ptr 0
		.amdhsa_user_sgpr_kernarg_segment_ptr 1
		.amdhsa_user_sgpr_dispatch_id 0
		.amdhsa_user_sgpr_kernarg_preload_length 0
		.amdhsa_user_sgpr_kernarg_preload_offset 0
		.amdhsa_user_sgpr_private_segment_size 0
		.amdhsa_wavefront_size32 1
		.amdhsa_uses_dynamic_stack 0
		.amdhsa_enable_private_segment 0
		.amdhsa_system_sgpr_workgroup_id_x 1
		.amdhsa_system_sgpr_workgroup_id_y 0
		.amdhsa_system_sgpr_workgroup_id_z 1
		.amdhsa_system_sgpr_workgroup_info 0
		.amdhsa_system_vgpr_workitem_id 1
		.amdhsa_next_free_vgpr 55
		.amdhsa_next_free_sgpr 55
		.amdhsa_named_barrier_count 0
		.amdhsa_reserve_vcc 1
		.amdhsa_float_round_mode_32 0
		.amdhsa_float_round_mode_16_64 0
		.amdhsa_float_denorm_mode_32 3
		.amdhsa_float_denorm_mode_16_64 3
		.amdhsa_fp16_overflow 0
		.amdhsa_memory_ordered 1
		.amdhsa_forward_progress 1
		.amdhsa_inst_pref_size 24
		.amdhsa_round_robin_scheduling 0
		.amdhsa_exception_fp_ieee_invalid_op 0
		.amdhsa_exception_fp_denorm_src 0
		.amdhsa_exception_fp_ieee_div_zero 0
		.amdhsa_exception_fp_ieee_overflow 0
		.amdhsa_exception_fp_ieee_underflow 0
		.amdhsa_exception_fp_ieee_inexact 0
		.amdhsa_exception_int_div_zero 0
	.end_amdhsa_kernel
	.section	.text._ZL20rocblas_gemvn_kernelILi64ELi16EiDF16_PKfDF16_EviiT3_lPKT2_lT1_lS5_lS6_lS2_lPT4_lS6_li,"axG",@progbits,_ZL20rocblas_gemvn_kernelILi64ELi16EiDF16_PKfDF16_EviiT3_lPKT2_lT1_lS5_lS6_lS2_lPT4_lS6_li,comdat
.Lfunc_end390:
	.size	_ZL20rocblas_gemvn_kernelILi64ELi16EiDF16_PKfDF16_EviiT3_lPKT2_lT1_lS5_lS6_lS2_lPT4_lS6_li, .Lfunc_end390-_ZL20rocblas_gemvn_kernelILi64ELi16EiDF16_PKfDF16_EviiT3_lPKT2_lT1_lS5_lS6_lS2_lPT4_lS6_li
                                        ; -- End function
	.set _ZL20rocblas_gemvn_kernelILi64ELi16EiDF16_PKfDF16_EviiT3_lPKT2_lT1_lS5_lS6_lS2_lPT4_lS6_li.num_vgpr, 55
	.set _ZL20rocblas_gemvn_kernelILi64ELi16EiDF16_PKfDF16_EviiT3_lPKT2_lT1_lS5_lS6_lS2_lPT4_lS6_li.num_agpr, 0
	.set _ZL20rocblas_gemvn_kernelILi64ELi16EiDF16_PKfDF16_EviiT3_lPKT2_lT1_lS5_lS6_lS2_lPT4_lS6_li.numbered_sgpr, 55
	.set _ZL20rocblas_gemvn_kernelILi64ELi16EiDF16_PKfDF16_EviiT3_lPKT2_lT1_lS5_lS6_lS2_lPT4_lS6_li.num_named_barrier, 0
	.set _ZL20rocblas_gemvn_kernelILi64ELi16EiDF16_PKfDF16_EviiT3_lPKT2_lT1_lS5_lS6_lS2_lPT4_lS6_li.private_seg_size, 0
	.set _ZL20rocblas_gemvn_kernelILi64ELi16EiDF16_PKfDF16_EviiT3_lPKT2_lT1_lS5_lS6_lS2_lPT4_lS6_li.uses_vcc, 1
	.set _ZL20rocblas_gemvn_kernelILi64ELi16EiDF16_PKfDF16_EviiT3_lPKT2_lT1_lS5_lS6_lS2_lPT4_lS6_li.uses_flat_scratch, 0
	.set _ZL20rocblas_gemvn_kernelILi64ELi16EiDF16_PKfDF16_EviiT3_lPKT2_lT1_lS5_lS6_lS2_lPT4_lS6_li.has_dyn_sized_stack, 0
	.set _ZL20rocblas_gemvn_kernelILi64ELi16EiDF16_PKfDF16_EviiT3_lPKT2_lT1_lS5_lS6_lS2_lPT4_lS6_li.has_recursion, 0
	.set _ZL20rocblas_gemvn_kernelILi64ELi16EiDF16_PKfDF16_EviiT3_lPKT2_lT1_lS5_lS6_lS2_lPT4_lS6_li.has_indirect_call, 0
	.section	.AMDGPU.csdata,"",@progbits
; Kernel info:
; codeLenInByte = 3068
; TotalNumSgprs: 57
; NumVgprs: 55
; ScratchSize: 0
; MemoryBound: 0
; FloatMode: 240
; IeeeMode: 1
; LDSByteSize: 16384 bytes/workgroup (compile time only)
; SGPRBlocks: 0
; VGPRBlocks: 3
; NumSGPRsForWavesPerEU: 57
; NumVGPRsForWavesPerEU: 55
; NamedBarCnt: 0
; Occupancy: 16
; WaveLimiterHint : 1
; COMPUTE_PGM_RSRC2:SCRATCH_EN: 0
; COMPUTE_PGM_RSRC2:USER_SGPR: 2
; COMPUTE_PGM_RSRC2:TRAP_HANDLER: 0
; COMPUTE_PGM_RSRC2:TGID_X_EN: 1
; COMPUTE_PGM_RSRC2:TGID_Y_EN: 0
; COMPUTE_PGM_RSRC2:TGID_Z_EN: 1
; COMPUTE_PGM_RSRC2:TIDIG_COMP_CNT: 1
	.section	.text._ZL20rocblas_gemvn_kernelILi64ELi16ElDF16_PKfDF16_EviiT3_lPKT2_lT1_lS5_lS6_lS2_lPT4_lS6_li,"axG",@progbits,_ZL20rocblas_gemvn_kernelILi64ELi16ElDF16_PKfDF16_EviiT3_lPKT2_lT1_lS5_lS6_lS2_lPT4_lS6_li,comdat
	.globl	_ZL20rocblas_gemvn_kernelILi64ELi16ElDF16_PKfDF16_EviiT3_lPKT2_lT1_lS5_lS6_lS2_lPT4_lS6_li ; -- Begin function _ZL20rocblas_gemvn_kernelILi64ELi16ElDF16_PKfDF16_EviiT3_lPKT2_lT1_lS5_lS6_lS2_lPT4_lS6_li
	.p2align	8
	.type	_ZL20rocblas_gemvn_kernelILi64ELi16ElDF16_PKfDF16_EviiT3_lPKT2_lT1_lS5_lS6_lS2_lPT4_lS6_li,@function
_ZL20rocblas_gemvn_kernelILi64ELi16ElDF16_PKfDF16_EviiT3_lPKT2_lT1_lS5_lS6_lS2_lPT4_lS6_li: ; @_ZL20rocblas_gemvn_kernelILi64ELi16ElDF16_PKfDF16_EviiT3_lPKT2_lT1_lS5_lS6_lS2_lPT4_lS6_li
; %bb.0:
	s_load_b64 s[2:3], s[0:1], 0x9c
	s_wait_kmcnt 0x0
	s_lshr_b32 s4, s2, 16
	s_and_b32 s2, s2, 0xffff
	s_and_b32 s3, s3, 0xffff
	s_mul_i32 s2, s4, s2
	s_delay_alu instid0(SALU_CYCLE_1) | instskip(NEXT) | instid1(SALU_CYCLE_1)
	s_mul_i32 s2, s2, s3
	s_cmp_lg_u32 s2, 0x400
	s_cbranch_scc1 .LBB391_53
; %bb.1:
	s_load_b32 s33, s[0:1], 0x88
	s_bfe_u32 s2, ttmp6, 0x40014
	s_lshr_b32 s3, ttmp7, 16
	s_add_co_i32 s2, s2, 1
	s_bfe_u32 s5, ttmp6, 0x40008
	s_mul_i32 s4, s3, s2
	s_getreg_b32 s2, hwreg(HW_REG_IB_STS2, 6, 4)
	s_add_co_i32 s5, s5, s4
	s_cmp_eq_u32 s2, 0
	s_mov_b32 s11, 0
	s_cselect_b32 s10, s3, s5
	s_wait_kmcnt 0x0
	s_cmp_ge_u32 s10, s33
	s_cbranch_scc1 .LBB391_53
; %bb.2:
	s_clause 0x2
	s_load_b512 s[12:27], s[0:1], 0x8
	s_load_b512 s[36:51], s[0:1], 0x48
	s_load_b64 s[28:29], s[0:1], 0x0
	s_wait_xcnt 0x0
	s_bfe_u32 s0, ttmp6, 0x4000c
	v_and_b32_e32 v24, 0x3ff, v0
	s_add_co_i32 s0, s0, 1
	v_bfe_u32 v4, v0, 10, 10
	s_and_b32 s1, ttmp6, 15
	s_mul_i32 s0, ttmp9, s0
	v_dual_mov_b32 v1, 0 :: v_dual_lshlrev_b32 v2, 2, v24
	s_add_co_i32 s1, s1, s0
	v_lshl_add_u32 v6, v4, 6, v24
	s_delay_alu instid0(VALU_DEP_2) | instskip(NEXT) | instid1(VALU_DEP_3)
	v_dual_mov_b32 v5, v1 :: v_dual_lshlrev_b32 v48, 2, v4
	v_lshl_add_u32 v49, v4, 10, v2
	v_lshl_add_u32 v50, v4, 8, v2
	s_wait_kmcnt 0x0
	s_lshl_b64 s[4:5], s[18:19], 1
	s_lshl_b64 s[18:19], s[26:27], 1
	s_lshl_b64 s[6:7], s[46:47], 1
	s_cmp_eq_u32 s2, 0
	s_mov_b32 s2, s28
	s_cselect_b32 s0, ttmp9, s1
	s_ashr_i32 s3, s28, 31
	s_lshl_b32 s1, s0, 8
	v_cmp_gt_u32_e64 s0, 0x100, v6
	v_dual_add_nc_u32 v0, s1, v6 :: v_dual_bitop2_b32 v6, s1, v6 bitop3:0x54
	v_mul_u64_e32 v[10:11], s[36:37], v[4:5]
	v_mul_u64_e32 v[12:13], s[20:21], v[4:5]
	v_mad_nc_u64_u32 v[8:9], s36, v48, s[36:37]
	s_delay_alu instid0(VALU_DEP_4)
	v_cmp_gt_i64_e32 vcc_lo, s[2:3], v[0:1]
	v_mul_u64_e32 v[2:3], s[48:49], v[0:1]
	v_dual_ashrrev_i32 v7, 31, v6 :: v_dual_bitop2_b32 v0, 3, v48 bitop3:0x54
	v_mad_nc_u64_u32 v[22:23], s20, v48, s[20:21]
	s_ashr_i32 s2, s29, 31
	v_add_nc_u32_e32 v24, s1, v24
	s_delay_alu instid0(VALU_DEP_3)
	v_mul_u64_e32 v[14:15], s[20:21], v[0:1]
	v_mul_u64_e32 v[16:17], s[36:37], v[0:1]
	v_or_b32_e32 v0, 2, v48
	v_mul_u64_e32 v[4:5], s[48:49], v[6:7]
	v_mad_u32 v9, s37, v48, v9
	s_lshr_b32 s2, s2, 26
	v_ashrrev_i32_e32 v25, 31, v24
	v_mul_u64_e32 v[18:19], s[20:21], v[0:1]
	v_mul_u64_e32 v[20:21], s[36:37], v[0:1]
	v_mad_u32 v23, s21, v48, v23
	s_add_co_i32 s52, s29, s2
	v_add_nc_u32_e32 v7, 0x80, v24
	s_and_not1_b32 s52, s52, 63
	v_add_nc_u32_e32 v0, 64, v24
	v_add_nc_u32_e32 v26, 0xc0, v24
	s_sub_co_i32 s3, s29, s52
	s_add_nc_u64 s[16:17], s[16:17], s[4:5]
	s_cmp_gt_i32 s3, 0
	v_cmp_gt_i32_e64 s3, s28, v6
	v_cmp_gt_i32_e64 s5, s28, v7
	v_lshlrev_b64_e32 v[6:7], 1, v[24:25]
	s_add_nc_u64 s[30:31], s[44:45], s[6:7]
	v_cmp_gt_i32_e64 s1, s52, v48
	v_cmp_gt_i32_e64 s2, s28, v24
	;; [unrolled: 1-line block ×4, first 2 shown]
	v_lshl_add_u64 v[8:9], v[8:9], 1, s[24:25]
	v_lshl_add_u64 v[10:11], v[10:11], 3, s[24:25]
	;; [unrolled: 1-line block ×4, first 2 shown]
	s_add_nc_u64 s[26:27], s[24:25], s[18:19]
	s_cselect_b32 s53, -1, 0
	v_lshl_add_u64 v[14:15], v[14:15], 1, s[16:17]
	v_lshl_add_u64 v[16:17], v[16:17], 1, s[24:25]
	s_lshl_b64 s[34:35], s[38:39], 1
	s_and_b32 s28, s0, vcc_lo
	s_lshl_b64 s[44:45], s[22:23], 1
	s_lshl_b64 s[46:47], s[20:21], 7
	v_lshl_add_u64 v[18:19], v[18:19], 1, s[16:17]
	v_lshl_add_u64 v[20:21], v[20:21], 1, s[24:25]
	s_lshl_b64 s[24:25], s[36:37], 7
	s_branch .LBB391_5
.LBB391_3:                              ;   in Loop: Header=BB391_5 Depth=1
	s_wait_xcnt 0x0
	s_or_b32 exec_lo, exec_lo, s7
.LBB391_4:                              ;   in Loop: Header=BB391_5 Depth=1
	s_add_co_i32 s10, s10, 0x10000
	s_delay_alu instid0(SALU_CYCLE_1)
	s_cmp_lt_u32 s10, s33
	s_cbranch_scc0 .LBB391_53
.LBB391_5:                              ; =>This Loop Header: Depth=1
                                        ;     Child Loop BB391_21 Depth 2
	s_wait_xcnt 0x1
	s_mul_u64 s[8:9], s[14:15], s[10:11]
	s_wait_xcnt 0x0
	s_mul_u64 s[48:49], s[42:43], s[10:11]
	s_lshl_b64 s[8:9], s[8:9], 2
	s_lshl_b64 s[48:49], s[48:49], 2
	s_add_nc_u64 s[8:9], s[12:13], s[8:9]
	s_add_nc_u64 s[48:49], s[40:41], s[48:49]
	s_clause 0x1
	global_load_b32 v51, v1, s[8:9]
	global_load_b32 v0, v1, s[48:49]
	s_wait_loadcnt 0x1
	v_cmp_eq_f32_e32 vcc_lo, 0, v51
	s_wait_loadcnt 0x0
	v_cmp_eq_f32_e64 s7, 1.0, v0
	v_readfirstlane_b32 s55, v0
	s_and_b32 s7, vcc_lo, s7
	s_delay_alu instid0(SALU_CYCLE_1)
	s_and_b32 vcc_lo, exec_lo, s7
	s_cbranch_vccnz .LBB391_4
; %bb.6:                                ;   in Loop: Header=BB391_5 Depth=1
	v_cmp_neq_f32_e32 vcc_lo, 0, v51
	s_wait_xcnt 0x1
	s_mul_u64 s[8:9], s[50:51], s[10:11]
	s_delay_alu instid0(SALU_CYCLE_1)
	s_lshl_b64 s[8:9], s[8:9], 1
	s_wait_xcnt 0x0
	s_add_nc_u64 s[48:49], s[30:31], s[8:9]
	s_cbranch_vccnz .LBB391_10
; %bb.7:                                ;   in Loop: Header=BB391_5 Depth=1
	s_mov_b32 s7, 0
	s_mov_b32 s54, 0
                                        ; implicit-def: $vgpr0
	s_and_saveexec_b32 s8, s28
	s_cbranch_execz .LBB391_11
; %bb.8:                                ;   in Loop: Header=BB391_5 Depth=1
	s_cmp_eq_f32 s55, 0
	s_cbranch_scc1 .LBB391_13
; %bb.9:                                ;   in Loop: Header=BB391_5 Depth=1
	v_lshl_add_u64 v[24:25], v[2:3], 1, s[48:49]
	global_load_u16 v0, v[24:25], off
	s_wait_loadcnt 0x0
	v_fma_mixlo_f16 v0, s55, v0, 0 op_sel_hi:[0,1,0]
	s_branch .LBB391_14
.LBB391_10:                             ;   in Loop: Header=BB391_5 Depth=1
	s_mov_b32 s54, 0
                                        ; implicit-def: $vgpr0
	s_cbranch_execz .LBB391_12
	s_branch .LBB391_15
.LBB391_11:                             ;   in Loop: Header=BB391_5 Depth=1
	s_or_b32 exec_lo, exec_lo, s8
	s_delay_alu instid0(SALU_CYCLE_1)
	s_and_b32 vcc_lo, exec_lo, s7
	s_cbranch_vccnz .LBB391_15
.LBB391_12:                             ;   in Loop: Header=BB391_5 Depth=1
	v_mov_b64_e32 v[24:25], v[2:3]
	s_and_saveexec_b32 s7, s54
	s_cbranch_execz .LBB391_3
	s_branch .LBB391_52
.LBB391_13:                             ;   in Loop: Header=BB391_5 Depth=1
	v_mov_b32_e32 v0, 0
.LBB391_14:                             ;   in Loop: Header=BB391_5 Depth=1
	s_mov_b32 s54, exec_lo
	s_wait_xcnt 0x0
	s_or_b32 exec_lo, exec_lo, s8
	s_delay_alu instid0(SALU_CYCLE_1)
	s_and_b32 vcc_lo, exec_lo, s7
	s_cbranch_vccz .LBB391_12
.LBB391_15:                             ;   in Loop: Header=BB391_5 Depth=1
	v_dual_mov_b32 v52, 0 :: v_dual_mov_b32 v0, v48
	v_dual_mov_b32 v53, 0 :: v_dual_mov_b32 v54, 0
	v_mov_b32_e32 v55, 0
	s_and_saveexec_b32 s7, s1
	s_cbranch_execz .LBB391_27
; %bb.16:                               ;   in Loop: Header=BB391_5 Depth=1
	s_mul_u64 s[8:9], s[34:35], s[10:11]
	s_mul_u64 s[56:57], s[44:45], s[10:11]
	v_add_nc_u64_e32 v[24:25], s[8:9], v[10:11]
	v_add_nc_u64_e32 v[26:27], s[56:57], v[14:15]
	;; [unrolled: 1-line block ×8, first 2 shown]
	v_dual_mov_b32 v52, 0 :: v_dual_mov_b32 v0, v48
	v_dual_mov_b32 v53, 0 :: v_dual_mov_b32 v54, 0
	v_mov_b32_e32 v55, 0
	s_mov_b32 s8, 0
	s_branch .LBB391_21
.LBB391_17:                             ;   in Loop: Header=BB391_21 Depth=2
	s_wait_xcnt 0x0
	s_or_b32 exec_lo, exec_lo, s58
	s_wait_loadcnt 0x3
	v_fma_mix_f32 v40, v68, v72, v54 op_sel_hi:[0,1,0]
	s_wait_loadcnt 0x2
	s_delay_alu instid0(VALU_DEP_1) | instskip(SKIP_1) | instid1(VALU_DEP_1)
	v_fma_mix_f32 v40, v69, v73, v40 op_sel_hi:[0,1,0]
	s_wait_loadcnt 0x1
	v_fma_mix_f32 v40, v70, v74, v40 op_sel_hi:[0,1,0]
	s_wait_loadcnt 0x0
	s_delay_alu instid0(VALU_DEP_1)
	v_fma_mix_f32 v54, v71, v75, v40 op_sel_hi:[0,1,0]
.LBB391_18:                             ;   in Loop: Header=BB391_21 Depth=2
	s_or_b32 exec_lo, exec_lo, s57
	s_wait_loadcnt 0x3
	v_fma_mix_f32 v40, v68, v64, v53 op_sel_hi:[0,1,0]
	s_wait_loadcnt 0x2
	s_delay_alu instid0(VALU_DEP_1) | instskip(SKIP_1) | instid1(VALU_DEP_1)
	v_fma_mix_f32 v40, v69, v65, v40 op_sel_hi:[0,1,0]
	s_wait_loadcnt 0x1
	v_fma_mix_f32 v40, v70, v66, v40 op_sel_hi:[0,1,0]
	s_wait_loadcnt 0x0
	s_delay_alu instid0(VALU_DEP_1)
	v_fma_mix_f32 v53, v71, v67, v40 op_sel_hi:[0,1,0]
.LBB391_19:                             ;   in Loop: Header=BB391_21 Depth=2
	s_or_b32 exec_lo, exec_lo, s56
	s_wait_loadcnt 0x3
	v_fma_mix_f32 v40, v56, v60, v52 op_sel_hi:[1,1,0]
	s_wait_loadcnt 0x2
	s_delay_alu instid0(VALU_DEP_1) | instskip(SKIP_1) | instid1(VALU_DEP_1)
	v_fma_mix_f32 v40, v57, v61, v40 op_sel_hi:[1,1,0]
	s_wait_loadcnt 0x1
	v_fma_mix_f32 v40, v58, v62, v40 op_sel_hi:[1,1,0]
	s_wait_loadcnt 0x0
	s_delay_alu instid0(VALU_DEP_1)
	v_fma_mix_f32 v52, v59, v63, v40 op_sel_hi:[1,1,0]
.LBB391_20:                             ;   in Loop: Header=BB391_21 Depth=2
	s_or_b32 exec_lo, exec_lo, s9
	v_add_nc_u32_e32 v0, 64, v0
	v_add_nc_u64_e32 v[24:25], s[24:25], v[24:25]
	v_add_nc_u64_e32 v[26:27], s[46:47], v[26:27]
	;; [unrolled: 1-line block ×7, first 2 shown]
	v_cmp_le_i32_e32 vcc_lo, s52, v0
	v_add_nc_u64_e32 v[38:39], s[46:47], v[38:39]
	s_or_b32 s8, vcc_lo, s8
	s_delay_alu instid0(SALU_CYCLE_1)
	s_and_not1_b32 exec_lo, exec_lo, s8
	s_cbranch_execz .LBB391_26
.LBB391_21:                             ;   Parent Loop BB391_5 Depth=1
                                        ; =>  This Inner Loop Header: Depth=2
	s_and_saveexec_b32 s9, s2
	s_cbranch_execz .LBB391_20
; %bb.22:                               ;   in Loop: Header=BB391_21 Depth=2
	v_add_nc_u64_e32 v[46:47], s[18:19], v[24:25]
	v_add_nc_u64_e32 v[58:59], s[18:19], v[36:37]
	;; [unrolled: 1-line block ×7, first 2 shown]
	global_load_u16 v56, v[46:47], off
	s_wait_xcnt 0x0
	v_add_nc_u64_e32 v[46:47], v[26:27], v[6:7]
	global_load_u16 v57, v[58:59], off
	global_load_u16 v58, v[60:61], off
	;; [unrolled: 1-line block ×7, first 2 shown]
	s_wait_xcnt 0x0
	s_and_saveexec_b32 s56, s4
	s_cbranch_execz .LBB391_19
; %bb.23:                               ;   in Loop: Header=BB391_21 Depth=2
	global_load_u16 v64, v[40:41], off offset:128
	global_load_u16 v65, v[42:43], off offset:128
	;; [unrolled: 1-line block ×4, first 2 shown]
	s_wait_loadcnt 0xb
	v_cvt_f32_f16_e32 v68, v56
	s_wait_loadcnt 0xa
	v_cvt_f32_f16_e32 v69, v57
	s_wait_loadcnt 0x9
	v_cvt_f32_f16_e32 v70, v58
	s_wait_loadcnt 0x8
	v_cvt_f32_f16_e32 v71, v59
	s_wait_xcnt 0x0
	s_and_saveexec_b32 s57, s5
	s_cbranch_execz .LBB391_18
; %bb.24:                               ;   in Loop: Header=BB391_21 Depth=2
	global_load_u16 v72, v[40:41], off offset:256
	global_load_u16 v73, v[42:43], off offset:256
	;; [unrolled: 1-line block ×4, first 2 shown]
	s_wait_xcnt 0x0
	s_and_saveexec_b32 s58, s6
	s_cbranch_execz .LBB391_17
; %bb.25:                               ;   in Loop: Header=BB391_21 Depth=2
	global_load_u16 v40, v[40:41], off offset:384
	global_load_u16 v41, v[42:43], off offset:384
	;; [unrolled: 1-line block ×4, first 2 shown]
	s_wait_loadcnt 0x3
	v_fma_mix_f32 v40, v68, v40, v55 op_sel_hi:[0,1,0]
	s_wait_loadcnt 0x2
	s_delay_alu instid0(VALU_DEP_1) | instskip(SKIP_1) | instid1(VALU_DEP_1)
	v_fma_mix_f32 v40, v69, v41, v40 op_sel_hi:[0,1,0]
	s_wait_loadcnt 0x1
	v_fma_mix_f32 v40, v70, v42, v40 op_sel_hi:[0,1,0]
	s_wait_loadcnt 0x0
	s_delay_alu instid0(VALU_DEP_1)
	v_fma_mix_f32 v55, v71, v43, v40 op_sel_hi:[0,1,0]
	s_branch .LBB391_17
.LBB391_26:                             ;   in Loop: Header=BB391_5 Depth=1
	s_or_b32 exec_lo, exec_lo, s8
.LBB391_27:                             ;   in Loop: Header=BB391_5 Depth=1
	s_delay_alu instid0(SALU_CYCLE_1) | instskip(NEXT) | instid1(SALU_CYCLE_1)
	s_or_b32 exec_lo, exec_lo, s7
	s_and_not1_b32 vcc_lo, exec_lo, s53
	s_cbranch_vccnz .LBB391_45
; %bb.28:                               ;   in Loop: Header=BB391_5 Depth=1
	v_cmp_gt_i32_e32 vcc_lo, s29, v0
	v_dual_mov_b32 v32, 0 :: v_dual_bitop2_b32 v24, 1, v0 bitop3:0x54
	v_dual_mov_b32 v33, 0 :: v_dual_mov_b32 v34, 0
	v_mov_b32_e32 v35, 0
	s_and_saveexec_b32 s56, vcc_lo
	s_cbranch_execz .LBB391_36
; %bb.29:                               ;   in Loop: Header=BB391_5 Depth=1
	v_mul_u64_e32 v[26:27], s[36:37], v[0:1]
	s_mul_u64 s[8:9], s[38:39], s[10:11]
	v_dual_mov_b32 v34, 0 :: v_dual_mov_b32 v33, 0
	s_lshl_b64 s[8:9], s[8:9], 1
	v_mov_b32_e32 v32, 0
	s_add_nc_u64 s[8:9], s[26:27], s[8:9]
	s_mov_b32 s57, exec_lo
	s_delay_alu instid0(VALU_DEP_3)
	v_lshl_add_u64 v[26:27], v[26:27], 1, s[8:9]
	global_load_u16 v28, v[26:27], off
	s_wait_xcnt 0x0
	v_cmpx_gt_i32_e64 s29, v24
	s_cbranch_execz .LBB391_35
; %bb.30:                               ;   in Loop: Header=BB391_5 Depth=1
	v_dual_mov_b32 v25, v1 :: v_dual_mov_b32 v33, 0
	v_mov_b32_e32 v32, 0
	s_mov_b32 s58, exec_lo
	s_delay_alu instid0(VALU_DEP_2) | instskip(NEXT) | instid1(VALU_DEP_1)
	v_mul_u64_e32 v[26:27], s[36:37], v[24:25]
	v_lshl_add_u64 v[26:27], v[26:27], 1, s[8:9]
	global_load_u16 v25, v[26:27], off
	s_wait_xcnt 0x0
	v_or_b32_e32 v26, 2, v0
	s_delay_alu instid0(VALU_DEP_1)
	v_cmpx_gt_i32_e64 s29, v26
	s_cbranch_execz .LBB391_34
; %bb.31:                               ;   in Loop: Header=BB391_5 Depth=1
	v_dual_mov_b32 v27, v1 :: v_dual_mov_b32 v32, 0
	s_mov_b32 s59, exec_lo
	s_delay_alu instid0(VALU_DEP_1) | instskip(NEXT) | instid1(VALU_DEP_1)
	v_mul_u64_e32 v[26:27], s[36:37], v[26:27]
	v_lshl_add_u64 v[26:27], v[26:27], 1, s[8:9]
	global_load_u16 v29, v[26:27], off
	s_wait_xcnt 0x0
	v_or_b32_e32 v26, 3, v0
	s_delay_alu instid0(VALU_DEP_1)
	v_cmpx_gt_i32_e64 s29, v26
	s_cbranch_execz .LBB391_33
; %bb.32:                               ;   in Loop: Header=BB391_5 Depth=1
	v_mov_b32_e32 v27, v1
	s_delay_alu instid0(VALU_DEP_1) | instskip(NEXT) | instid1(VALU_DEP_1)
	v_mul_u64_e32 v[26:27], s[36:37], v[26:27]
	v_lshl_add_u64 v[26:27], v[26:27], 1, s[8:9]
	global_load_u16 v26, v[26:27], off
	s_wait_loadcnt 0x0
	v_cvt_f32_f16_e32 v32, v26
.LBB391_33:                             ;   in Loop: Header=BB391_5 Depth=1
	s_wait_xcnt 0x0
	s_or_b32 exec_lo, exec_lo, s59
	s_wait_loadcnt 0x0
	v_cvt_f32_f16_e32 v33, v29
.LBB391_34:                             ;   in Loop: Header=BB391_5 Depth=1
	s_or_b32 exec_lo, exec_lo, s58
	s_wait_loadcnt 0x0
	v_cvt_f32_f16_e32 v34, v25
.LBB391_35:                             ;   in Loop: Header=BB391_5 Depth=1
	s_or_b32 exec_lo, exec_lo, s57
	s_wait_loadcnt 0x0
	v_cvt_f32_f16_e32 v35, v28
.LBB391_36:                             ;   in Loop: Header=BB391_5 Depth=1
	s_or_b32 exec_lo, exec_lo, s56
	s_and_saveexec_b32 s56, s2
	s_cbranch_execz .LBB391_44
; %bb.37:                               ;   in Loop: Header=BB391_5 Depth=1
	v_dual_mov_b32 v25, v1 :: v_dual_bitop2_b32 v26, 2, v0 bitop3:0x54
	v_mov_b32_e32 v27, v1
	v_mul_u64_e32 v[28:29], s[20:21], v[0:1]
	v_or_b32_e32 v0, 3, v0
	s_delay_alu instid0(VALU_DEP_4)
	v_mul_u64_e32 v[30:31], s[20:21], v[24:25]
	s_mul_u64 s[8:9], s[22:23], s[10:11]
	v_mul_u64_e32 v[36:37], s[20:21], v[26:27]
	v_cmp_gt_i32_e64 s7, s29, v24
	v_mul_u64_e32 v[38:39], s[20:21], v[0:1]
	s_lshl_b64 s[58:59], s[8:9], 1
	v_cmp_gt_i32_e64 s8, s29, v26
	v_cmp_gt_i32_e64 s9, s29, v0
	v_dual_cndmask_b32 v25, 0, v29 :: v_dual_cndmask_b32 v24, 0, v28
	v_dual_cndmask_b32 v27, 0, v31, s7 :: v_dual_cndmask_b32 v26, 0, v30, s7
	s_delay_alu instid0(VALU_DEP_4) | instskip(NEXT) | instid1(VALU_DEP_4)
	v_dual_cndmask_b32 v29, 0, v37, s8 :: v_dual_cndmask_b32 v28, 0, v36, s8
	v_dual_cndmask_b32 v31, 0, v39, s9 :: v_dual_cndmask_b32 v30, 0, v38, s9
	s_add_nc_u64 s[8:9], s[16:17], s[58:59]
	s_delay_alu instid0(SALU_CYCLE_1) | instskip(SKIP_3) | instid1(VALU_DEP_4)
	v_lshl_add_u64 v[24:25], v[24:25], 1, s[8:9]
	v_lshl_add_u64 v[26:27], v[26:27], 1, s[8:9]
	;; [unrolled: 1-line block ×4, first 2 shown]
	v_add_nc_u64_e32 v[30:31], v[24:25], v[6:7]
	s_delay_alu instid0(VALU_DEP_4) | instskip(NEXT) | instid1(VALU_DEP_4)
	v_add_nc_u64_e32 v[28:29], v[26:27], v[6:7]
	v_add_nc_u64_e32 v[26:27], v[36:37], v[6:7]
	s_delay_alu instid0(VALU_DEP_4)
	v_add_nc_u64_e32 v[24:25], v[38:39], v[6:7]
	s_clause 0x3
	global_load_u16 v0, v[30:31], off
	global_load_u16 v36, v[28:29], off
	;; [unrolled: 1-line block ×4, first 2 shown]
	s_wait_xcnt 0x0
	s_and_saveexec_b32 s7, s4
	s_cbranch_execz .LBB391_43
; %bb.38:                               ;   in Loop: Header=BB391_5 Depth=1
	s_clause 0x3
	global_load_u16 v39, v[30:31], off offset:128
	global_load_u16 v40, v[28:29], off offset:128
	global_load_u16 v41, v[26:27], off offset:128
	global_load_u16 v42, v[24:25], off offset:128
	s_wait_xcnt 0x0
	s_and_saveexec_b32 s8, s5
	s_cbranch_execz .LBB391_42
; %bb.39:                               ;   in Loop: Header=BB391_5 Depth=1
	s_clause 0x3
	global_load_u16 v43, v[30:31], off offset:256
	global_load_u16 v44, v[28:29], off offset:256
	global_load_u16 v45, v[26:27], off offset:256
	global_load_u16 v46, v[24:25], off offset:256
	;; [unrolled: 9-line block ×3, first 2 shown]
	s_wait_loadcnt 0x3
	s_wait_xcnt 0x0
	v_fma_mix_f32 v25, v35, v30, v55 op_sel_hi:[0,1,0]
	s_wait_loadcnt 0x2
	s_delay_alu instid0(VALU_DEP_1) | instskip(SKIP_1) | instid1(VALU_DEP_1)
	v_fma_mix_f32 v25, v34, v28, v25 op_sel_hi:[0,1,0]
	s_wait_loadcnt 0x1
	v_fma_mix_f32 v25, v33, v26, v25 op_sel_hi:[0,1,0]
	s_wait_loadcnt 0x0
	s_delay_alu instid0(VALU_DEP_1)
	v_fma_mix_f32 v55, v32, v24, v25 op_sel_hi:[0,1,0]
.LBB391_41:                             ;   in Loop: Header=BB391_5 Depth=1
	s_or_b32 exec_lo, exec_lo, s9
	s_wait_loadcnt 0x3
	v_fma_mix_f32 v24, v35, v43, v54 op_sel_hi:[0,1,0]
	s_wait_loadcnt 0x2
	s_delay_alu instid0(VALU_DEP_1) | instskip(SKIP_1) | instid1(VALU_DEP_1)
	v_fma_mix_f32 v24, v34, v44, v24 op_sel_hi:[0,1,0]
	s_wait_loadcnt 0x1
	v_fma_mix_f32 v24, v33, v45, v24 op_sel_hi:[0,1,0]
	s_wait_loadcnt 0x0
	s_delay_alu instid0(VALU_DEP_1)
	v_fma_mix_f32 v54, v32, v46, v24 op_sel_hi:[0,1,0]
.LBB391_42:                             ;   in Loop: Header=BB391_5 Depth=1
	s_or_b32 exec_lo, exec_lo, s8
	s_wait_loadcnt 0x3
	v_fma_mix_f32 v24, v35, v39, v53 op_sel_hi:[0,1,0]
	s_wait_loadcnt 0x2
	s_delay_alu instid0(VALU_DEP_1) | instskip(SKIP_1) | instid1(VALU_DEP_1)
	v_fma_mix_f32 v24, v34, v40, v24 op_sel_hi:[0,1,0]
	s_wait_loadcnt 0x1
	v_fma_mix_f32 v24, v33, v41, v24 op_sel_hi:[0,1,0]
	s_wait_loadcnt 0x0
	s_delay_alu instid0(VALU_DEP_1)
	v_fma_mix_f32 v53, v32, v42, v24 op_sel_hi:[0,1,0]
.LBB391_43:                             ;   in Loop: Header=BB391_5 Depth=1
	s_or_b32 exec_lo, exec_lo, s7
	s_wait_loadcnt 0x3
	v_fma_mix_f32 v0, v35, v0, v52 op_sel_hi:[0,1,0]
	s_wait_loadcnt 0x2
	s_delay_alu instid0(VALU_DEP_1) | instskip(SKIP_1) | instid1(VALU_DEP_1)
	v_fma_mix_f32 v0, v34, v36, v0 op_sel_hi:[0,1,0]
	s_wait_loadcnt 0x1
	v_fma_mix_f32 v0, v33, v37, v0 op_sel_hi:[0,1,0]
	s_wait_loadcnt 0x0
	s_delay_alu instid0(VALU_DEP_1)
	v_fma_mix_f32 v52, v32, v38, v0 op_sel_hi:[0,1,0]
.LBB391_44:                             ;   in Loop: Header=BB391_5 Depth=1
	s_or_b32 exec_lo, exec_lo, s56
.LBB391_45:                             ;   in Loop: Header=BB391_5 Depth=1
	ds_store_2addr_stride64_b32 v49, v52, v53 offset1:1
	ds_store_2addr_stride64_b32 v49, v54, v55 offset0:2 offset1:3
	s_wait_dscnt 0x0
	s_barrier_signal -1
	s_barrier_wait -1
                                        ; implicit-def: $vgpr0
	s_and_saveexec_b32 s7, s0
	s_cbranch_execz .LBB391_51
; %bb.46:                               ;   in Loop: Header=BB391_5 Depth=1
	ds_load_2addr_stride64_b32 v[24:25], v50 offset1:4
	ds_load_2addr_stride64_b32 v[26:27], v50 offset0:8 offset1:12
	ds_load_2addr_stride64_b32 v[28:29], v50 offset0:16 offset1:20
	s_mov_b32 s9, s54
	s_wait_dscnt 0x2
	v_add_f32_e32 v0, v24, v25
	ds_load_2addr_stride64_b32 v[24:25], v50 offset0:24 offset1:28
	s_wait_dscnt 0x2
	v_add_f32_e32 v0, v26, v0
	s_delay_alu instid0(VALU_DEP_1) | instskip(SKIP_3) | instid1(VALU_DEP_1)
	v_add_f32_e32 v0, v27, v0
	ds_load_2addr_stride64_b32 v[26:27], v50 offset0:32 offset1:36
	s_wait_dscnt 0x2
	v_add_f32_e32 v0, v28, v0
	v_add_f32_e32 v0, v29, v0
	ds_load_2addr_stride64_b32 v[28:29], v50 offset0:40 offset1:44
	s_wait_dscnt 0x2
	v_add_f32_e32 v0, v24, v0
	s_delay_alu instid0(VALU_DEP_1) | instskip(SKIP_3) | instid1(VALU_DEP_1)
	v_add_f32_e32 v0, v25, v0
	ds_load_2addr_stride64_b32 v[24:25], v50 offset0:48 offset1:52
	s_wait_dscnt 0x2
	v_add_f32_e32 v0, v26, v0
	v_add_f32_e32 v0, v27, v0
	ds_load_2addr_stride64_b32 v[26:27], v50 offset0:56 offset1:60
	s_wait_dscnt 0x2
	v_add_f32_e32 v0, v28, v0
	s_delay_alu instid0(VALU_DEP_1) | instskip(SKIP_1) | instid1(VALU_DEP_1)
	v_add_f32_e32 v0, v29, v0
	s_wait_dscnt 0x1
	v_add_f32_e32 v0, v24, v0
	s_delay_alu instid0(VALU_DEP_1) | instskip(SKIP_1) | instid1(VALU_DEP_1)
	v_add_f32_e32 v0, v25, v0
	s_wait_dscnt 0x0
	v_add_f32_e32 v0, v26, v0
	s_delay_alu instid0(VALU_DEP_1)
	v_add_f32_e32 v24, v27, v0
                                        ; implicit-def: $vgpr0
	ds_store_b32 v50, v24
	s_and_saveexec_b32 s8, s3
	s_cbranch_execz .LBB391_50
; %bb.47:                               ;   in Loop: Header=BB391_5 Depth=1
	v_mul_f32_e32 v0, v51, v24
	s_cmp_eq_f32 s55, 0
	s_cbranch_scc1 .LBB391_49
; %bb.48:                               ;   in Loop: Header=BB391_5 Depth=1
	v_lshl_add_u64 v[24:25], v[4:5], 1, s[48:49]
	global_load_u16 v24, v[24:25], off
	s_wait_loadcnt 0x0
	v_fma_mix_f32 v0, s55, v24, v0 op_sel_hi:[0,1,0]
.LBB391_49:                             ;   in Loop: Header=BB391_5 Depth=1
	s_delay_alu instid0(VALU_DEP_1)
	v_cvt_f16_f32_e32 v0, v0
	s_or_b32 s9, s54, exec_lo
.LBB391_50:                             ;   in Loop: Header=BB391_5 Depth=1
	s_wait_xcnt 0x0
	s_or_b32 exec_lo, exec_lo, s8
	s_delay_alu instid0(SALU_CYCLE_1) | instskip(SKIP_1) | instid1(SALU_CYCLE_1)
	s_and_not1_b32 s8, s54, exec_lo
	s_and_b32 s9, s9, exec_lo
	s_or_b32 s54, s8, s9
.LBB391_51:                             ;   in Loop: Header=BB391_5 Depth=1
	s_or_b32 exec_lo, exec_lo, s7
	v_mov_b64_e32 v[24:25], v[4:5]
	s_and_saveexec_b32 s7, s54
	s_cbranch_execz .LBB391_3
.LBB391_52:                             ;   in Loop: Header=BB391_5 Depth=1
	s_delay_alu instid0(VALU_DEP_1)
	v_lshl_add_u64 v[24:25], v[24:25], 1, s[48:49]
	global_store_b16 v[24:25], v0, off
	s_branch .LBB391_3
.LBB391_53:
	s_sendmsg sendmsg(MSG_DEALLOC_VGPRS)
	s_endpgm
	.section	.rodata,"a",@progbits
	.p2align	6, 0x0
	.amdhsa_kernel _ZL20rocblas_gemvn_kernelILi64ELi16ElDF16_PKfDF16_EviiT3_lPKT2_lT1_lS5_lS6_lS2_lPT4_lS6_li
		.amdhsa_group_segment_fixed_size 16384
		.amdhsa_private_segment_fixed_size 0
		.amdhsa_kernarg_size 400
		.amdhsa_user_sgpr_count 2
		.amdhsa_user_sgpr_dispatch_ptr 0
		.amdhsa_user_sgpr_queue_ptr 0
		.amdhsa_user_sgpr_kernarg_segment_ptr 1
		.amdhsa_user_sgpr_dispatch_id 0
		.amdhsa_user_sgpr_kernarg_preload_length 0
		.amdhsa_user_sgpr_kernarg_preload_offset 0
		.amdhsa_user_sgpr_private_segment_size 0
		.amdhsa_wavefront_size32 1
		.amdhsa_uses_dynamic_stack 0
		.amdhsa_enable_private_segment 0
		.amdhsa_system_sgpr_workgroup_id_x 1
		.amdhsa_system_sgpr_workgroup_id_y 0
		.amdhsa_system_sgpr_workgroup_id_z 1
		.amdhsa_system_sgpr_workgroup_info 0
		.amdhsa_system_vgpr_workitem_id 1
		.amdhsa_next_free_vgpr 76
		.amdhsa_next_free_sgpr 60
		.amdhsa_named_barrier_count 0
		.amdhsa_reserve_vcc 1
		.amdhsa_float_round_mode_32 0
		.amdhsa_float_round_mode_16_64 0
		.amdhsa_float_denorm_mode_32 3
		.amdhsa_float_denorm_mode_16_64 3
		.amdhsa_fp16_overflow 0
		.amdhsa_memory_ordered 1
		.amdhsa_forward_progress 1
		.amdhsa_inst_pref_size 24
		.amdhsa_round_robin_scheduling 0
		.amdhsa_exception_fp_ieee_invalid_op 0
		.amdhsa_exception_fp_denorm_src 0
		.amdhsa_exception_fp_ieee_div_zero 0
		.amdhsa_exception_fp_ieee_overflow 0
		.amdhsa_exception_fp_ieee_underflow 0
		.amdhsa_exception_fp_ieee_inexact 0
		.amdhsa_exception_int_div_zero 0
	.end_amdhsa_kernel
	.section	.text._ZL20rocblas_gemvn_kernelILi64ELi16ElDF16_PKfDF16_EviiT3_lPKT2_lT1_lS5_lS6_lS2_lPT4_lS6_li,"axG",@progbits,_ZL20rocblas_gemvn_kernelILi64ELi16ElDF16_PKfDF16_EviiT3_lPKT2_lT1_lS5_lS6_lS2_lPT4_lS6_li,comdat
.Lfunc_end391:
	.size	_ZL20rocblas_gemvn_kernelILi64ELi16ElDF16_PKfDF16_EviiT3_lPKT2_lT1_lS5_lS6_lS2_lPT4_lS6_li, .Lfunc_end391-_ZL20rocblas_gemvn_kernelILi64ELi16ElDF16_PKfDF16_EviiT3_lPKT2_lT1_lS5_lS6_lS2_lPT4_lS6_li
                                        ; -- End function
	.set _ZL20rocblas_gemvn_kernelILi64ELi16ElDF16_PKfDF16_EviiT3_lPKT2_lT1_lS5_lS6_lS2_lPT4_lS6_li.num_vgpr, 76
	.set _ZL20rocblas_gemvn_kernelILi64ELi16ElDF16_PKfDF16_EviiT3_lPKT2_lT1_lS5_lS6_lS2_lPT4_lS6_li.num_agpr, 0
	.set _ZL20rocblas_gemvn_kernelILi64ELi16ElDF16_PKfDF16_EviiT3_lPKT2_lT1_lS5_lS6_lS2_lPT4_lS6_li.numbered_sgpr, 60
	.set _ZL20rocblas_gemvn_kernelILi64ELi16ElDF16_PKfDF16_EviiT3_lPKT2_lT1_lS5_lS6_lS2_lPT4_lS6_li.num_named_barrier, 0
	.set _ZL20rocblas_gemvn_kernelILi64ELi16ElDF16_PKfDF16_EviiT3_lPKT2_lT1_lS5_lS6_lS2_lPT4_lS6_li.private_seg_size, 0
	.set _ZL20rocblas_gemvn_kernelILi64ELi16ElDF16_PKfDF16_EviiT3_lPKT2_lT1_lS5_lS6_lS2_lPT4_lS6_li.uses_vcc, 1
	.set _ZL20rocblas_gemvn_kernelILi64ELi16ElDF16_PKfDF16_EviiT3_lPKT2_lT1_lS5_lS6_lS2_lPT4_lS6_li.uses_flat_scratch, 0
	.set _ZL20rocblas_gemvn_kernelILi64ELi16ElDF16_PKfDF16_EviiT3_lPKT2_lT1_lS5_lS6_lS2_lPT4_lS6_li.has_dyn_sized_stack, 0
	.set _ZL20rocblas_gemvn_kernelILi64ELi16ElDF16_PKfDF16_EviiT3_lPKT2_lT1_lS5_lS6_lS2_lPT4_lS6_li.has_recursion, 0
	.set _ZL20rocblas_gemvn_kernelILi64ELi16ElDF16_PKfDF16_EviiT3_lPKT2_lT1_lS5_lS6_lS2_lPT4_lS6_li.has_indirect_call, 0
	.section	.AMDGPU.csdata,"",@progbits
; Kernel info:
; codeLenInByte = 3044
; TotalNumSgprs: 62
; NumVgprs: 76
; ScratchSize: 0
; MemoryBound: 0
; FloatMode: 240
; IeeeMode: 1
; LDSByteSize: 16384 bytes/workgroup (compile time only)
; SGPRBlocks: 0
; VGPRBlocks: 4
; NumSGPRsForWavesPerEU: 62
; NumVGPRsForWavesPerEU: 76
; NamedBarCnt: 0
; Occupancy: 12
; WaveLimiterHint : 1
; COMPUTE_PGM_RSRC2:SCRATCH_EN: 0
; COMPUTE_PGM_RSRC2:USER_SGPR: 2
; COMPUTE_PGM_RSRC2:TRAP_HANDLER: 0
; COMPUTE_PGM_RSRC2:TGID_X_EN: 1
; COMPUTE_PGM_RSRC2:TGID_Y_EN: 0
; COMPUTE_PGM_RSRC2:TGID_Z_EN: 1
; COMPUTE_PGM_RSRC2:TIDIG_COMP_CNT: 1
	.section	.text._ZL20rocblas_gemvn_kernelILi64ELi16EiDF16_fDF16_EviiT3_lPKT2_lT1_lS3_lS4_lS0_lPT4_lS4_li,"axG",@progbits,_ZL20rocblas_gemvn_kernelILi64ELi16EiDF16_fDF16_EviiT3_lPKT2_lT1_lS3_lS4_lS0_lPT4_lS4_li,comdat
	.globl	_ZL20rocblas_gemvn_kernelILi64ELi16EiDF16_fDF16_EviiT3_lPKT2_lT1_lS3_lS4_lS0_lPT4_lS4_li ; -- Begin function _ZL20rocblas_gemvn_kernelILi64ELi16EiDF16_fDF16_EviiT3_lPKT2_lT1_lS3_lS4_lS0_lPT4_lS4_li
	.p2align	8
	.type	_ZL20rocblas_gemvn_kernelILi64ELi16EiDF16_fDF16_EviiT3_lPKT2_lT1_lS3_lS4_lS0_lPT4_lS4_li,@function
_ZL20rocblas_gemvn_kernelILi64ELi16EiDF16_fDF16_EviiT3_lPKT2_lT1_lS3_lS4_lS0_lPT4_lS4_li: ; @_ZL20rocblas_gemvn_kernelILi64ELi16EiDF16_fDF16_EviiT3_lPKT2_lT1_lS3_lS4_lS0_lPT4_lS4_li
; %bb.0:
	s_load_b64 s[2:3], s[0:1], 0x9c
	s_wait_kmcnt 0x0
	s_lshr_b32 s4, s2, 16
	s_and_b32 s2, s2, 0xffff
	s_and_b32 s3, s3, 0xffff
	s_mul_i32 s2, s4, s2
	s_delay_alu instid0(SALU_CYCLE_1) | instskip(NEXT) | instid1(SALU_CYCLE_1)
	s_mul_i32 s2, s2, s3
	s_cmp_lg_u32 s2, 0x400
	s_cbranch_scc1 .LBB392_53
; %bb.1:
	s_load_b32 s19, s[0:1], 0x88
	s_bfe_u32 s2, ttmp6, 0x40014
	s_lshr_b32 s3, ttmp7, 16
	s_add_co_i32 s2, s2, 1
	s_bfe_u32 s5, ttmp6, 0x40008
	s_mul_i32 s4, s3, s2
	s_getreg_b32 s2, hwreg(HW_REG_IB_STS2, 6, 4)
	s_add_co_i32 s5, s5, s4
	s_cmp_eq_u32 s2, 0
	s_mov_b32 s29, 0
	s_cselect_b32 s28, s3, s5
	s_wait_kmcnt 0x0
	s_cmp_ge_u32 s28, s19
	s_cbranch_scc1 .LBB392_53
; %bb.2:
	s_clause 0x7
	s_load_b128 s[4:7], s[0:1], 0x18
	s_load_b96 s[16:18], s[0:1], 0x40
	s_load_b128 s[12:15], s[0:1], 0x68
	s_load_b32 s30, s[0:1], 0x78
	s_load_b96 s[20:22], s[0:1], 0x0
	s_load_b96 s[24:26], s[0:1], 0x50
	s_load_b32 s23, s[0:1], 0x28
	s_load_b128 s[8:11], s[0:1], 0x30
	v_and_b32_e32 v4, 0x3ff, v0
	v_bfe_u32 v3, v0, 10, 10
	s_delay_alu instid0(VALU_DEP_1) | instskip(NEXT) | instid1(VALU_DEP_3)
	v_dual_mov_b32 v1, 0 :: v_dual_lshlrev_b32 v14, 2, v3
	v_lshl_add_u32 v5, v3, 6, v4
	s_delay_alu instid0(VALU_DEP_2)
	v_or_b32_e32 v10, 3, v14
	s_wait_kmcnt 0x0
	s_lshl_b64 s[6:7], s[6:7], 1
	s_lshl_b64 s[34:35], s[16:17], 1
	;; [unrolled: 1-line block ×3, first 2 shown]
	s_ashr_i32 s31, s30, 31
	s_cmp_eq_f32 s22, 0
	s_load_b64 s[14:15], s[0:1], 0x80
	s_add_nc_u64 s[16:17], s[4:5], s[6:7]
	s_wait_xcnt 0x0
	s_mov_b32 s0, s20
	s_cselect_b32 s27, -1, 0
	s_cmp_neq_f32 s22, 0
	v_mad_u32 v20, s23, v10, v4
	v_mad_u32 v22, s18, v14, s18
	v_mul_lo_u32 v24, s18, v10
	s_cselect_b32 s1, -1, 0
	s_cmp_neq_f32 s26, 1.0
	s_add_nc_u64 s[10:11], s[10:11], s[34:35]
	s_add_nc_u64 s[12:13], s[12:13], s[36:37]
	s_cselect_b32 s3, -1, 0
	s_bfe_u32 s4, ttmp6, 0x4000c
	s_and_b32 s5, ttmp6, 15
	s_add_co_i32 s4, s4, 1
	s_or_b32 s33, s1, s3
	s_mul_i32 s4, ttmp9, s4
	s_delay_alu instid0(SALU_CYCLE_1) | instskip(SKIP_4) | instid1(SALU_CYCLE_1)
	s_add_co_i32 s5, s5, s4
	s_cmp_eq_u32 s2, 0
	s_cselect_b32 s2, ttmp9, s5
	s_ashr_i32 s1, s20, 31
	s_lshl_b32 s38, s2, 8
	v_dual_lshlrev_b32 v6, 2, v4 :: v_dual_add_nc_u32 v0, s38, v5
	s_cmp_neq_f32 s26, 0
	v_dual_add_nc_u32 v15, s38, v4 :: v_dual_bitop2_b32 v7, s38, v5 bitop3:0x54
	s_delay_alu instid0(VALU_DEP_2) | instskip(NEXT) | instid1(VALU_DEP_3)
	v_lshl_add_u32 v16, v3, 10, v6
	v_cmp_gt_i64_e32 vcc_lo, s[0:1], v[0:1]
	v_mul_u64_e32 v[0:1], s[30:31], v[0:1]
	s_cselect_b32 s39, -1, 0
	s_ashr_i32 s2, s21, 31
	v_add_nc_u32_e32 v2, 64, v15
	s_lshr_b32 s1, s2, 26
	v_add_nc_u32_e32 v8, 0x80, v15
	s_add_co_i32 s40, s21, s1
	v_add_nc_u32_e32 v9, 0xc0, v15
	s_and_not1_b32 s40, s40, 63
	v_lshl_add_u32 v17, v3, 8, v6
	s_sub_co_i32 s5, s21, s40
	v_cmp_gt_i32_e64 s2, s20, v8
	v_cmp_gt_i32_e64 s4, s20, v9
	v_mul_lo_u32 v8, s23, v14
	s_cmp_gt_i32 s5, 0
	v_mul_lo_u32 v9, v3, s23
	v_cmp_gt_u32_e64 s5, 0x100, v5
	v_or_b32_e32 v5, 2, v14
	v_cmp_gt_i32_e64 s1, s20, v2
	v_mul_lo_u32 v2, s30, v7
	v_mul_lo_u32 v6, v3, s18
	v_cmp_gt_i32_e64 s0, s20, v15
	v_mad_u32 v19, s23, v5, v4
	v_mul_lo_u32 v23, s18, v5
	v_cmp_gt_i32_e64 s3, s40, v14
	v_cmp_gt_i32_e64 s6, s20, v7
	v_add3_u32 v18, v8, s23, v4
	v_lshl_add_u32 v21, v9, 2, v4
	s_cselect_b32 s20, -1, 0
	s_and_b32 s41, s5, vcc_lo
	v_ashrrev_i32_e32 v3, 31, v2
	v_lshlrev_b32_e32 v25, 2, v6
	s_lshl_b32 s42, s23, 6
	s_lshl_b32 s43, s18, 6
	s_branch .LBB392_5
.LBB392_3:                              ;   in Loop: Header=BB392_5 Depth=1
	s_wait_xcnt 0x0
	s_or_b32 exec_lo, exec_lo, s7
.LBB392_4:                              ;   in Loop: Header=BB392_5 Depth=1
	s_add_co_i32 s28, s28, 0x10000
	s_delay_alu instid0(SALU_CYCLE_1)
	s_cmp_lt_u32 s28, s19
	s_cbranch_scc0 .LBB392_53
.LBB392_5:                              ; =>This Loop Header: Depth=1
                                        ;     Child Loop BB392_21 Depth 2
	s_and_not1_b32 vcc_lo, exec_lo, s33
	s_cbranch_vccnz .LBB392_4
; %bb.6:                                ;   in Loop: Header=BB392_5 Depth=1
	s_wait_kmcnt 0x0
	s_mul_u64 s[30:31], s[14:15], s[28:29]
	s_and_not1_b32 vcc_lo, exec_lo, s27
	s_lshl_b64 s[30:31], s[30:31], 1
	s_delay_alu instid0(SALU_CYCLE_1)
	s_add_nc_u64 s[30:31], s[12:13], s[30:31]
	s_cbranch_vccnz .LBB392_10
; %bb.7:                                ;   in Loop: Header=BB392_5 Depth=1
	s_mov_b32 s7, 0
	s_mov_b32 s44, 0
                                        ; implicit-def: $vgpr6
	s_and_saveexec_b32 s34, s41
	s_cbranch_execz .LBB392_11
; %bb.8:                                ;   in Loop: Header=BB392_5 Depth=1
	s_and_not1_b32 vcc_lo, exec_lo, s39
	s_cbranch_vccnz .LBB392_13
; %bb.9:                                ;   in Loop: Header=BB392_5 Depth=1
	v_lshl_add_u64 v[4:5], v[0:1], 1, s[30:31]
	global_load_u16 v4, v[4:5], off
	s_wait_loadcnt 0x0
	v_fma_mixlo_f16 v6, s26, v4, 0 op_sel_hi:[0,1,0]
	s_branch .LBB392_14
.LBB392_10:                             ;   in Loop: Header=BB392_5 Depth=1
	s_mov_b32 s44, 0
                                        ; implicit-def: $vgpr6
	s_cbranch_execz .LBB392_12
	s_branch .LBB392_15
.LBB392_11:                             ;   in Loop: Header=BB392_5 Depth=1
	s_or_b32 exec_lo, exec_lo, s34
	s_delay_alu instid0(SALU_CYCLE_1)
	s_and_b32 vcc_lo, exec_lo, s7
	s_cbranch_vccnz .LBB392_15
.LBB392_12:                             ;   in Loop: Header=BB392_5 Depth=1
	v_mov_b64_e32 v[4:5], v[0:1]
	s_and_saveexec_b32 s7, s44
	s_cbranch_execz .LBB392_3
	s_branch .LBB392_52
.LBB392_13:                             ;   in Loop: Header=BB392_5 Depth=1
	v_mov_b32_e32 v6, 0
.LBB392_14:                             ;   in Loop: Header=BB392_5 Depth=1
	s_mov_b32 s44, exec_lo
	s_wait_xcnt 0x0
	s_or_b32 exec_lo, exec_lo, s34
	s_delay_alu instid0(SALU_CYCLE_1)
	s_and_b32 vcc_lo, exec_lo, s7
	s_cbranch_vccz .LBB392_12
.LBB392_15:                             ;   in Loop: Header=BB392_5 Depth=1
	s_mul_u64 s[34:35], s[8:9], s[28:29]
	s_mul_u64 s[36:37], s[24:25], s[28:29]
	v_dual_mov_b32 v26, 0 :: v_dual_mov_b32 v12, v14
	v_dual_mov_b32 v27, 0 :: v_dual_mov_b32 v28, 0
	v_mov_b32_e32 v29, 0
	s_lshl_b64 s[34:35], s[34:35], 1
	s_lshl_b64 s[36:37], s[36:37], 1
	s_add_nc_u64 s[34:35], s[16:17], s[34:35]
	s_add_nc_u64 s[36:37], s[10:11], s[36:37]
	s_and_saveexec_b32 s7, s3
	s_cbranch_execz .LBB392_27
; %bb.16:                               ;   in Loop: Header=BB392_5 Depth=1
	v_dual_mov_b32 v26, 0 :: v_dual_mov_b32 v13, v21
	v_dual_mov_b32 v30, v20 :: v_dual_mov_b32 v31, v19
	;; [unrolled: 1-line block ×4, first 2 shown]
	v_mov_b32_e32 v29, 0
	s_mov_b32 s45, 0
	s_mov_b32 s46, 0
	s_branch .LBB392_21
.LBB392_17:                             ;   in Loop: Header=BB392_21 Depth=2
	s_wait_xcnt 0x0
	s_or_b32 exec_lo, exec_lo, s50
	s_wait_loadcnt 0x3
	v_fma_mix_f32 v4, v45, v49, v28 op_sel_hi:[0,1,0]
	s_wait_loadcnt 0x2
	s_delay_alu instid0(VALU_DEP_1) | instskip(SKIP_1) | instid1(VALU_DEP_1)
	v_fma_mix_f32 v4, v46, v50, v4 op_sel_hi:[0,1,0]
	s_wait_loadcnt 0x1
	v_fma_mix_f32 v4, v47, v51, v4 op_sel_hi:[0,1,0]
	s_wait_loadcnt 0x0
	s_delay_alu instid0(VALU_DEP_1)
	v_fma_mix_f32 v28, v48, v52, v4 op_sel_hi:[0,1,0]
.LBB392_18:                             ;   in Loop: Header=BB392_21 Depth=2
	s_or_b32 exec_lo, exec_lo, s49
	s_wait_loadcnt 0x3
	v_fma_mix_f32 v4, v45, v41, v27 op_sel_hi:[0,1,0]
	s_wait_loadcnt 0x2
	s_delay_alu instid0(VALU_DEP_1) | instskip(SKIP_1) | instid1(VALU_DEP_1)
	v_fma_mix_f32 v4, v46, v42, v4 op_sel_hi:[0,1,0]
	s_wait_loadcnt 0x1
	v_fma_mix_f32 v4, v47, v43, v4 op_sel_hi:[0,1,0]
	s_wait_loadcnt 0x0
	s_delay_alu instid0(VALU_DEP_1)
	v_fma_mix_f32 v27, v48, v44, v4 op_sel_hi:[0,1,0]
.LBB392_19:                             ;   in Loop: Header=BB392_21 Depth=2
	s_or_b32 exec_lo, exec_lo, s48
	s_wait_loadcnt 0x3
	v_fma_mix_f32 v4, v33, v37, v26 op_sel_hi:[1,1,0]
	s_wait_loadcnt 0x2
	s_delay_alu instid0(VALU_DEP_1) | instskip(SKIP_1) | instid1(VALU_DEP_1)
	v_fma_mix_f32 v4, v34, v38, v4 op_sel_hi:[1,1,0]
	s_wait_loadcnt 0x1
	v_fma_mix_f32 v4, v35, v39, v4 op_sel_hi:[1,1,0]
	s_wait_loadcnt 0x0
	s_delay_alu instid0(VALU_DEP_1)
	v_fma_mix_f32 v26, v36, v40, v4 op_sel_hi:[1,1,0]
.LBB392_20:                             ;   in Loop: Header=BB392_21 Depth=2
	s_or_b32 exec_lo, exec_lo, s47
	v_dual_add_nc_u32 v12, 64, v12 :: v_dual_add_nc_u32 v31, s42, v31
	v_dual_add_nc_u32 v32, s42, v32 :: v_dual_add_nc_u32 v30, s42, v30
	v_add_nc_u32_e32 v13, s42, v13
	s_delay_alu instid0(VALU_DEP_3) | instskip(SKIP_2) | instid1(SALU_CYCLE_1)
	v_cmp_le_i32_e32 vcc_lo, s40, v12
	s_add_co_i32 s46, s46, s43
	s_or_b32 s45, vcc_lo, s45
	s_and_not1_b32 exec_lo, exec_lo, s45
	s_cbranch_execz .LBB392_26
.LBB392_21:                             ;   Parent Loop BB392_5 Depth=1
                                        ; =>  This Inner Loop Header: Depth=2
	s_and_saveexec_b32 s47, s0
	s_cbranch_execz .LBB392_20
; %bb.22:                               ;   in Loop: Header=BB392_21 Depth=2
	v_dual_add_nc_u32 v5, s46, v25 :: v_dual_add_nc_u32 v7, s46, v22
	v_dual_add_nc_u32 v9, s46, v23 :: v_dual_add_nc_u32 v11, s46, v24
	;; [unrolled: 1-line block ×4, first 2 shown]
	s_clause 0x3
	global_load_u16 v33, v5, s[36:37] scale_offset
	global_load_u16 v34, v7, s[36:37] scale_offset
	;; [unrolled: 1-line block ×4, first 2 shown]
	s_clause 0x3
	global_load_u16 v37, v4, s[34:35] scale_offset
	global_load_u16 v38, v6, s[34:35] scale_offset
	;; [unrolled: 1-line block ×4, first 2 shown]
	s_wait_xcnt 0x0
	s_and_saveexec_b32 s48, s1
	s_cbranch_execz .LBB392_19
; %bb.23:                               ;   in Loop: Header=BB392_21 Depth=2
	v_dual_ashrrev_i32 v5, 31, v4 :: v_dual_ashrrev_i32 v7, 31, v6
	v_dual_ashrrev_i32 v11, 31, v10 :: v_dual_ashrrev_i32 v9, 31, v8
	s_wait_loadcnt 0x7
	v_cvt_f32_f16_e32 v45, v33
	s_delay_alu instid0(VALU_DEP_3)
	v_lshl_add_u64 v[4:5], v[4:5], 1, s[34:35]
	v_lshl_add_u64 v[6:7], v[6:7], 1, s[34:35]
	;; [unrolled: 1-line block ×4, first 2 shown]
	s_wait_loadcnt 0x6
	v_cvt_f32_f16_e32 v46, v34
	s_clause 0x3
	global_load_u16 v41, v[4:5], off offset:128
	global_load_u16 v42, v[6:7], off offset:128
	;; [unrolled: 1-line block ×4, first 2 shown]
	s_wait_loadcnt 0x9
	v_cvt_f32_f16_e32 v47, v35
	s_wait_loadcnt 0x8
	v_cvt_f32_f16_e32 v48, v36
	s_wait_xcnt 0x0
	s_and_saveexec_b32 s49, s2
	s_cbranch_execz .LBB392_18
; %bb.24:                               ;   in Loop: Header=BB392_21 Depth=2
	s_clause 0x3
	global_load_u16 v49, v[4:5], off offset:256
	global_load_u16 v50, v[6:7], off offset:256
	global_load_u16 v51, v[10:11], off offset:256
	global_load_u16 v52, v[8:9], off offset:256
	s_wait_xcnt 0x0
	s_and_saveexec_b32 s50, s4
	s_cbranch_execz .LBB392_17
; %bb.25:                               ;   in Loop: Header=BB392_21 Depth=2
	s_clause 0x3
	global_load_u16 v53, v[4:5], off offset:384
	global_load_u16 v54, v[6:7], off offset:384
	;; [unrolled: 1-line block ×4, first 2 shown]
	s_wait_loadcnt 0x3
	s_wait_xcnt 0x3
	v_fma_mix_f32 v4, v45, v53, v29 op_sel_hi:[0,1,0]
	s_wait_loadcnt 0x2
	s_delay_alu instid0(VALU_DEP_1) | instskip(SKIP_1) | instid1(VALU_DEP_1)
	v_fma_mix_f32 v4, v46, v54, v4 op_sel_hi:[0,1,0]
	s_wait_loadcnt 0x1
	v_fma_mix_f32 v4, v47, v55, v4 op_sel_hi:[0,1,0]
	s_wait_loadcnt 0x0
	s_delay_alu instid0(VALU_DEP_1)
	v_fma_mix_f32 v29, v48, v56, v4 op_sel_hi:[0,1,0]
	s_branch .LBB392_17
.LBB392_26:                             ;   in Loop: Header=BB392_5 Depth=1
	s_or_b32 exec_lo, exec_lo, s45
.LBB392_27:                             ;   in Loop: Header=BB392_5 Depth=1
	s_delay_alu instid0(SALU_CYCLE_1) | instskip(NEXT) | instid1(SALU_CYCLE_1)
	s_or_b32 exec_lo, exec_lo, s7
	s_and_not1_b32 vcc_lo, exec_lo, s20
	s_cbranch_vccnz .LBB392_45
; %bb.28:                               ;   in Loop: Header=BB392_5 Depth=1
	v_cmp_gt_i32_e32 vcc_lo, s21, v12
	v_dual_mov_b32 v30, 0 :: v_dual_bitop2_b32 v4, 1, v12 bitop3:0x54
	v_dual_mov_b32 v31, 0 :: v_dual_mov_b32 v32, 0
	v_mov_b32_e32 v33, 0
	s_and_saveexec_b32 s45, vcc_lo
	s_cbranch_execz .LBB392_36
; %bb.29:                               ;   in Loop: Header=BB392_5 Depth=1
	v_mul_lo_u32 v5, v12, s18
	v_dual_mov_b32 v32, 0 :: v_dual_mov_b32 v31, 0
	v_mov_b32_e32 v30, 0
	s_mov_b32 s46, exec_lo
	global_load_u16 v5, v5, s[36:37] scale_offset
	s_wait_xcnt 0x0
	v_cmpx_gt_i32_e64 s21, v4
	s_cbranch_execz .LBB392_35
; %bb.30:                               ;   in Loop: Header=BB392_5 Depth=1
	v_mul_lo_u32 v6, v4, s18
	v_dual_mov_b32 v31, 0 :: v_dual_bitop2_b32 v7, 2, v12 bitop3:0x54
	v_mov_b32_e32 v30, 0
	s_mov_b32 s47, exec_lo
	global_load_u16 v6, v6, s[36:37] scale_offset
	s_wait_xcnt 0x0
	v_cmpx_gt_i32_e64 s21, v7
	s_cbranch_execz .LBB392_34
; %bb.31:                               ;   in Loop: Header=BB392_5 Depth=1
	v_mul_lo_u32 v7, v7, s18
	v_dual_mov_b32 v30, 0 :: v_dual_bitop2_b32 v8, 3, v12 bitop3:0x54
	s_mov_b32 s48, exec_lo
	global_load_u16 v7, v7, s[36:37] scale_offset
	s_wait_xcnt 0x0
	v_cmpx_gt_i32_e64 s21, v8
	s_cbranch_execz .LBB392_33
; %bb.32:                               ;   in Loop: Header=BB392_5 Depth=1
	v_mul_lo_u32 v8, v8, s18
	global_load_u16 v8, v8, s[36:37] scale_offset
	s_wait_loadcnt 0x0
	v_cvt_f32_f16_e32 v30, v8
.LBB392_33:                             ;   in Loop: Header=BB392_5 Depth=1
	s_wait_xcnt 0x0
	s_or_b32 exec_lo, exec_lo, s48
	s_wait_loadcnt 0x0
	v_cvt_f32_f16_e32 v31, v7
.LBB392_34:                             ;   in Loop: Header=BB392_5 Depth=1
	s_or_b32 exec_lo, exec_lo, s47
	s_wait_loadcnt 0x0
	v_cvt_f32_f16_e32 v32, v6
.LBB392_35:                             ;   in Loop: Header=BB392_5 Depth=1
	s_or_b32 exec_lo, exec_lo, s46
	s_wait_loadcnt 0x0
	v_cvt_f32_f16_e32 v33, v5
.LBB392_36:                             ;   in Loop: Header=BB392_5 Depth=1
	s_or_b32 exec_lo, exec_lo, s45
	s_and_saveexec_b32 s7, s0
	s_cbranch_execz .LBB392_44
; %bb.37:                               ;   in Loop: Header=BB392_5 Depth=1
	v_mul_lo_u32 v6, v12, s23
	v_or_b32_e32 v5, 2, v12
	v_mul_lo_u32 v8, v4, s23
	s_delay_alu instid0(VALU_DEP_3) | instskip(NEXT) | instid1(VALU_DEP_3)
	v_cndmask_b32_e32 v6, 0, v6, vcc_lo
	v_mul_lo_u32 v9, v5, s23
	v_cmp_gt_i32_e32 vcc_lo, s21, v4
	s_delay_alu instid0(VALU_DEP_4) | instskip(SKIP_1) | instid1(VALU_DEP_4)
	v_cndmask_b32_e32 v8, 0, v8, vcc_lo
	v_cmp_gt_i32_e32 vcc_lo, s21, v5
	v_dual_cndmask_b32 v5, 0, v9, vcc_lo :: v_dual_bitop2_b32 v7, 3, v12 bitop3:0x54
	s_delay_alu instid0(VALU_DEP_1) | instskip(SKIP_1) | instid1(VALU_DEP_2)
	v_mul_lo_u32 v10, v7, s23
	v_cmp_gt_i32_e32 vcc_lo, s21, v7
	v_dual_cndmask_b32 v7, 0, v10 :: v_dual_add_nc_u32 v4, v6, v15
	s_delay_alu instid0(VALU_DEP_4) | instskip(NEXT) | instid1(VALU_DEP_2)
	v_dual_add_nc_u32 v8, v8, v15 :: v_dual_add_nc_u32 v12, v5, v15
	v_add_nc_u32_e32 v10, v7, v15
	s_clause 0x3
	global_load_u16 v34, v4, s[34:35] scale_offset
	global_load_u16 v35, v8, s[34:35] scale_offset
	;; [unrolled: 1-line block ×4, first 2 shown]
	s_wait_xcnt 0x0
	s_and_saveexec_b32 s36, s1
	s_cbranch_execz .LBB392_43
; %bb.38:                               ;   in Loop: Header=BB392_5 Depth=1
	v_dual_ashrrev_i32 v5, 31, v4 :: v_dual_ashrrev_i32 v11, 31, v10
	v_ashrrev_i32_e32 v9, 31, v8
	v_ashrrev_i32_e32 v13, 31, v12
	s_delay_alu instid0(VALU_DEP_3) | instskip(NEXT) | instid1(VALU_DEP_4)
	v_lshl_add_u64 v[6:7], v[4:5], 1, s[34:35]
	v_lshl_add_u64 v[10:11], v[10:11], 1, s[34:35]
	s_delay_alu instid0(VALU_DEP_4) | instskip(NEXT) | instid1(VALU_DEP_4)
	v_lshl_add_u64 v[4:5], v[8:9], 1, s[34:35]
	v_lshl_add_u64 v[8:9], v[12:13], 1, s[34:35]
	s_clause 0x3
	global_load_u16 v12, v[6:7], off offset:128
	global_load_u16 v13, v[4:5], off offset:128
	;; [unrolled: 1-line block ×4, first 2 shown]
	s_wait_xcnt 0x0
	s_and_saveexec_b32 s34, s2
	s_cbranch_execz .LBB392_42
; %bb.39:                               ;   in Loop: Header=BB392_5 Depth=1
	s_clause 0x3
	global_load_u16 v40, v[6:7], off offset:256
	global_load_u16 v41, v[4:5], off offset:256
	;; [unrolled: 1-line block ×4, first 2 shown]
	s_wait_xcnt 0x0
	s_and_saveexec_b32 s35, s4
	s_cbranch_execz .LBB392_41
; %bb.40:                               ;   in Loop: Header=BB392_5 Depth=1
	s_clause 0x3
	global_load_u16 v44, v[6:7], off offset:384
	global_load_u16 v45, v[4:5], off offset:384
	;; [unrolled: 1-line block ×4, first 2 shown]
	s_wait_loadcnt 0x3
	s_wait_xcnt 0x2
	v_fma_mix_f32 v4, v33, v44, v29 op_sel_hi:[0,1,0]
	s_wait_loadcnt 0x2
	s_delay_alu instid0(VALU_DEP_1) | instskip(SKIP_1) | instid1(VALU_DEP_1)
	v_fma_mix_f32 v4, v32, v45, v4 op_sel_hi:[0,1,0]
	s_wait_loadcnt 0x1
	v_fma_mix_f32 v4, v31, v46, v4 op_sel_hi:[0,1,0]
	s_wait_loadcnt 0x0
	s_delay_alu instid0(VALU_DEP_1)
	v_fma_mix_f32 v29, v30, v47, v4 op_sel_hi:[0,1,0]
.LBB392_41:                             ;   in Loop: Header=BB392_5 Depth=1
	s_wait_xcnt 0x0
	s_or_b32 exec_lo, exec_lo, s35
	s_wait_loadcnt 0x3
	v_fma_mix_f32 v4, v33, v40, v28 op_sel_hi:[0,1,0]
	s_wait_loadcnt 0x2
	s_delay_alu instid0(VALU_DEP_1) | instskip(SKIP_1) | instid1(VALU_DEP_1)
	v_fma_mix_f32 v4, v32, v41, v4 op_sel_hi:[0,1,0]
	s_wait_loadcnt 0x1
	v_fma_mix_f32 v4, v31, v42, v4 op_sel_hi:[0,1,0]
	s_wait_loadcnt 0x0
	s_delay_alu instid0(VALU_DEP_1)
	v_fma_mix_f32 v28, v30, v43, v4 op_sel_hi:[0,1,0]
.LBB392_42:                             ;   in Loop: Header=BB392_5 Depth=1
	s_or_b32 exec_lo, exec_lo, s34
	s_wait_loadcnt 0x3
	v_fma_mix_f32 v4, v33, v12, v27 op_sel_hi:[0,1,0]
	s_wait_loadcnt 0x2
	s_delay_alu instid0(VALU_DEP_1) | instskip(SKIP_1) | instid1(VALU_DEP_1)
	v_fma_mix_f32 v4, v32, v13, v4 op_sel_hi:[0,1,0]
	s_wait_loadcnt 0x1
	v_fma_mix_f32 v4, v31, v38, v4 op_sel_hi:[0,1,0]
	s_wait_loadcnt 0x0
	s_delay_alu instid0(VALU_DEP_1)
	v_fma_mix_f32 v27, v30, v39, v4 op_sel_hi:[0,1,0]
.LBB392_43:                             ;   in Loop: Header=BB392_5 Depth=1
	s_or_b32 exec_lo, exec_lo, s36
	s_wait_loadcnt 0x3
	v_fma_mix_f32 v4, v33, v34, v26 op_sel_hi:[0,1,0]
	s_wait_loadcnt 0x2
	s_delay_alu instid0(VALU_DEP_1) | instskip(SKIP_1) | instid1(VALU_DEP_1)
	v_fma_mix_f32 v4, v32, v35, v4 op_sel_hi:[0,1,0]
	s_wait_loadcnt 0x1
	v_fma_mix_f32 v4, v31, v36, v4 op_sel_hi:[0,1,0]
	s_wait_loadcnt 0x0
	s_delay_alu instid0(VALU_DEP_1)
	v_fma_mix_f32 v26, v30, v37, v4 op_sel_hi:[0,1,0]
.LBB392_44:                             ;   in Loop: Header=BB392_5 Depth=1
	s_or_b32 exec_lo, exec_lo, s7
.LBB392_45:                             ;   in Loop: Header=BB392_5 Depth=1
	ds_store_2addr_stride64_b32 v16, v26, v27 offset1:1
	ds_store_2addr_stride64_b32 v16, v28, v29 offset0:2 offset1:3
	s_wait_dscnt 0x0
	s_barrier_signal -1
	s_barrier_wait -1
                                        ; implicit-def: $vgpr6
	s_and_saveexec_b32 s7, s5
	s_cbranch_execz .LBB392_51
; %bb.46:                               ;   in Loop: Header=BB392_5 Depth=1
	ds_load_2addr_stride64_b32 v[4:5], v17 offset1:4
	ds_load_2addr_stride64_b32 v[6:7], v17 offset0:8 offset1:12
	ds_load_2addr_stride64_b32 v[8:9], v17 offset0:16 offset1:20
	s_mov_b32 s35, s44
	s_wait_dscnt 0x2
	v_add_f32_e32 v10, v4, v5
	ds_load_2addr_stride64_b32 v[4:5], v17 offset0:24 offset1:28
	s_wait_dscnt 0x2
	v_add_f32_e32 v6, v6, v10
	s_delay_alu instid0(VALU_DEP_1) | instskip(SKIP_3) | instid1(VALU_DEP_1)
	v_add_f32_e32 v10, v7, v6
	ds_load_2addr_stride64_b32 v[6:7], v17 offset0:32 offset1:36
	s_wait_dscnt 0x2
	v_add_f32_e32 v8, v8, v10
	v_add_f32_e32 v10, v9, v8
	ds_load_2addr_stride64_b32 v[8:9], v17 offset0:40 offset1:44
	s_wait_dscnt 0x2
	v_add_f32_e32 v4, v4, v10
	s_delay_alu instid0(VALU_DEP_1) | instskip(SKIP_1) | instid1(VALU_DEP_1)
	v_add_f32_e32 v4, v5, v4
	s_wait_dscnt 0x1
	v_add_f32_e32 v6, v6, v4
	ds_load_2addr_stride64_b32 v[4:5], v17 offset0:48 offset1:52
	v_add_f32_e32 v6, v7, v6
	s_wait_dscnt 0x1
	s_delay_alu instid0(VALU_DEP_1) | instskip(SKIP_3) | instid1(VALU_DEP_1)
	v_add_f32_e32 v8, v8, v6
	ds_load_2addr_stride64_b32 v[6:7], v17 offset0:56 offset1:60
	v_add_f32_e32 v8, v9, v8
	s_wait_dscnt 0x1
	v_add_f32_e32 v4, v4, v8
	s_delay_alu instid0(VALU_DEP_1) | instskip(SKIP_1) | instid1(VALU_DEP_1)
	v_add_f32_e32 v4, v5, v4
	s_wait_dscnt 0x0
	v_add_f32_e32 v4, v6, v4
                                        ; implicit-def: $vgpr6
	s_delay_alu instid0(VALU_DEP_1)
	v_add_f32_e32 v4, v7, v4
	ds_store_b32 v17, v4
	s_and_saveexec_b32 s34, s6
	s_cbranch_execz .LBB392_50
; %bb.47:                               ;   in Loop: Header=BB392_5 Depth=1
	v_mul_f32_e32 v4, s22, v4
	s_and_not1_b32 vcc_lo, exec_lo, s39
	s_cbranch_vccnz .LBB392_49
; %bb.48:                               ;   in Loop: Header=BB392_5 Depth=1
	v_lshl_add_u64 v[6:7], v[2:3], 1, s[30:31]
	global_load_u16 v5, v[6:7], off
	s_wait_loadcnt 0x0
	v_fma_mix_f32 v4, s26, v5, v4 op_sel_hi:[0,1,0]
.LBB392_49:                             ;   in Loop: Header=BB392_5 Depth=1
	s_wait_xcnt 0x0
	s_delay_alu instid0(VALU_DEP_1)
	v_cvt_f16_f32_e32 v6, v4
	s_or_b32 s35, s44, exec_lo
.LBB392_50:                             ;   in Loop: Header=BB392_5 Depth=1
	s_or_b32 exec_lo, exec_lo, s34
	s_delay_alu instid0(SALU_CYCLE_1) | instskip(SKIP_1) | instid1(SALU_CYCLE_1)
	s_and_not1_b32 s34, s44, exec_lo
	s_and_b32 s35, s35, exec_lo
	s_or_b32 s44, s34, s35
.LBB392_51:                             ;   in Loop: Header=BB392_5 Depth=1
	s_or_b32 exec_lo, exec_lo, s7
	v_mov_b64_e32 v[4:5], v[2:3]
	s_and_saveexec_b32 s7, s44
	s_cbranch_execz .LBB392_3
.LBB392_52:                             ;   in Loop: Header=BB392_5 Depth=1
	s_delay_alu instid0(VALU_DEP_1)
	v_lshl_add_u64 v[4:5], v[4:5], 1, s[30:31]
	global_store_b16 v[4:5], v6, off
	s_branch .LBB392_3
.LBB392_53:
	s_endpgm
	.section	.rodata,"a",@progbits
	.p2align	6, 0x0
	.amdhsa_kernel _ZL20rocblas_gemvn_kernelILi64ELi16EiDF16_fDF16_EviiT3_lPKT2_lT1_lS3_lS4_lS0_lPT4_lS4_li
		.amdhsa_group_segment_fixed_size 16384
		.amdhsa_private_segment_fixed_size 0
		.amdhsa_kernarg_size 400
		.amdhsa_user_sgpr_count 2
		.amdhsa_user_sgpr_dispatch_ptr 0
		.amdhsa_user_sgpr_queue_ptr 0
		.amdhsa_user_sgpr_kernarg_segment_ptr 1
		.amdhsa_user_sgpr_dispatch_id 0
		.amdhsa_user_sgpr_kernarg_preload_length 0
		.amdhsa_user_sgpr_kernarg_preload_offset 0
		.amdhsa_user_sgpr_private_segment_size 0
		.amdhsa_wavefront_size32 1
		.amdhsa_uses_dynamic_stack 0
		.amdhsa_enable_private_segment 0
		.amdhsa_system_sgpr_workgroup_id_x 1
		.amdhsa_system_sgpr_workgroup_id_y 0
		.amdhsa_system_sgpr_workgroup_id_z 1
		.amdhsa_system_sgpr_workgroup_info 0
		.amdhsa_system_vgpr_workitem_id 1
		.amdhsa_next_free_vgpr 57
		.amdhsa_next_free_sgpr 51
		.amdhsa_named_barrier_count 0
		.amdhsa_reserve_vcc 1
		.amdhsa_float_round_mode_32 0
		.amdhsa_float_round_mode_16_64 0
		.amdhsa_float_denorm_mode_32 3
		.amdhsa_float_denorm_mode_16_64 3
		.amdhsa_fp16_overflow 0
		.amdhsa_memory_ordered 1
		.amdhsa_forward_progress 1
		.amdhsa_inst_pref_size 24
		.amdhsa_round_robin_scheduling 0
		.amdhsa_exception_fp_ieee_invalid_op 0
		.amdhsa_exception_fp_denorm_src 0
		.amdhsa_exception_fp_ieee_div_zero 0
		.amdhsa_exception_fp_ieee_overflow 0
		.amdhsa_exception_fp_ieee_underflow 0
		.amdhsa_exception_fp_ieee_inexact 0
		.amdhsa_exception_int_div_zero 0
	.end_amdhsa_kernel
	.section	.text._ZL20rocblas_gemvn_kernelILi64ELi16EiDF16_fDF16_EviiT3_lPKT2_lT1_lS3_lS4_lS0_lPT4_lS4_li,"axG",@progbits,_ZL20rocblas_gemvn_kernelILi64ELi16EiDF16_fDF16_EviiT3_lPKT2_lT1_lS3_lS4_lS0_lPT4_lS4_li,comdat
.Lfunc_end392:
	.size	_ZL20rocblas_gemvn_kernelILi64ELi16EiDF16_fDF16_EviiT3_lPKT2_lT1_lS3_lS4_lS0_lPT4_lS4_li, .Lfunc_end392-_ZL20rocblas_gemvn_kernelILi64ELi16EiDF16_fDF16_EviiT3_lPKT2_lT1_lS3_lS4_lS0_lPT4_lS4_li
                                        ; -- End function
	.set _ZL20rocblas_gemvn_kernelILi64ELi16EiDF16_fDF16_EviiT3_lPKT2_lT1_lS3_lS4_lS0_lPT4_lS4_li.num_vgpr, 57
	.set _ZL20rocblas_gemvn_kernelILi64ELi16EiDF16_fDF16_EviiT3_lPKT2_lT1_lS3_lS4_lS0_lPT4_lS4_li.num_agpr, 0
	.set _ZL20rocblas_gemvn_kernelILi64ELi16EiDF16_fDF16_EviiT3_lPKT2_lT1_lS3_lS4_lS0_lPT4_lS4_li.numbered_sgpr, 51
	.set _ZL20rocblas_gemvn_kernelILi64ELi16EiDF16_fDF16_EviiT3_lPKT2_lT1_lS3_lS4_lS0_lPT4_lS4_li.num_named_barrier, 0
	.set _ZL20rocblas_gemvn_kernelILi64ELi16EiDF16_fDF16_EviiT3_lPKT2_lT1_lS3_lS4_lS0_lPT4_lS4_li.private_seg_size, 0
	.set _ZL20rocblas_gemvn_kernelILi64ELi16EiDF16_fDF16_EviiT3_lPKT2_lT1_lS3_lS4_lS0_lPT4_lS4_li.uses_vcc, 1
	.set _ZL20rocblas_gemvn_kernelILi64ELi16EiDF16_fDF16_EviiT3_lPKT2_lT1_lS3_lS4_lS0_lPT4_lS4_li.uses_flat_scratch, 0
	.set _ZL20rocblas_gemvn_kernelILi64ELi16EiDF16_fDF16_EviiT3_lPKT2_lT1_lS3_lS4_lS0_lPT4_lS4_li.has_dyn_sized_stack, 0
	.set _ZL20rocblas_gemvn_kernelILi64ELi16EiDF16_fDF16_EviiT3_lPKT2_lT1_lS3_lS4_lS0_lPT4_lS4_li.has_recursion, 0
	.set _ZL20rocblas_gemvn_kernelILi64ELi16EiDF16_fDF16_EviiT3_lPKT2_lT1_lS3_lS4_lS0_lPT4_lS4_li.has_indirect_call, 0
	.section	.AMDGPU.csdata,"",@progbits
; Kernel info:
; codeLenInByte = 3008
; TotalNumSgprs: 53
; NumVgprs: 57
; ScratchSize: 0
; MemoryBound: 0
; FloatMode: 240
; IeeeMode: 1
; LDSByteSize: 16384 bytes/workgroup (compile time only)
; SGPRBlocks: 0
; VGPRBlocks: 3
; NumSGPRsForWavesPerEU: 53
; NumVGPRsForWavesPerEU: 57
; NamedBarCnt: 0
; Occupancy: 16
; WaveLimiterHint : 1
; COMPUTE_PGM_RSRC2:SCRATCH_EN: 0
; COMPUTE_PGM_RSRC2:USER_SGPR: 2
; COMPUTE_PGM_RSRC2:TRAP_HANDLER: 0
; COMPUTE_PGM_RSRC2:TGID_X_EN: 1
; COMPUTE_PGM_RSRC2:TGID_Y_EN: 0
; COMPUTE_PGM_RSRC2:TGID_Z_EN: 1
; COMPUTE_PGM_RSRC2:TIDIG_COMP_CNT: 1
	.section	.text._ZL20rocblas_gemvn_kernelILi64ELi16ElDF16_fDF16_EviiT3_lPKT2_lT1_lS3_lS4_lS0_lPT4_lS4_li,"axG",@progbits,_ZL20rocblas_gemvn_kernelILi64ELi16ElDF16_fDF16_EviiT3_lPKT2_lT1_lS3_lS4_lS0_lPT4_lS4_li,comdat
	.globl	_ZL20rocblas_gemvn_kernelILi64ELi16ElDF16_fDF16_EviiT3_lPKT2_lT1_lS3_lS4_lS0_lPT4_lS4_li ; -- Begin function _ZL20rocblas_gemvn_kernelILi64ELi16ElDF16_fDF16_EviiT3_lPKT2_lT1_lS3_lS4_lS0_lPT4_lS4_li
	.p2align	8
	.type	_ZL20rocblas_gemvn_kernelILi64ELi16ElDF16_fDF16_EviiT3_lPKT2_lT1_lS3_lS4_lS0_lPT4_lS4_li,@function
_ZL20rocblas_gemvn_kernelILi64ELi16ElDF16_fDF16_EviiT3_lPKT2_lT1_lS3_lS4_lS0_lPT4_lS4_li: ; @_ZL20rocblas_gemvn_kernelILi64ELi16ElDF16_fDF16_EviiT3_lPKT2_lT1_lS3_lS4_lS0_lPT4_lS4_li
; %bb.0:
	s_load_b64 s[2:3], s[0:1], 0x9c
	s_wait_kmcnt 0x0
	s_lshr_b32 s4, s2, 16
	s_and_b32 s2, s2, 0xffff
	s_and_b32 s3, s3, 0xffff
	s_mul_i32 s2, s4, s2
	s_delay_alu instid0(SALU_CYCLE_1) | instskip(NEXT) | instid1(SALU_CYCLE_1)
	s_mul_i32 s2, s2, s3
	s_cmp_lg_u32 s2, 0x400
	s_cbranch_scc1 .LBB393_53
; %bb.1:
	s_load_b32 s33, s[0:1], 0x88
	s_bfe_u32 s2, ttmp6, 0x40014
	s_lshr_b32 s3, ttmp7, 16
	s_add_co_i32 s2, s2, 1
	s_bfe_u32 s4, ttmp6, 0x40008
	s_mul_i32 s2, s3, s2
	s_getreg_b32 s6, hwreg(HW_REG_IB_STS2, 6, 4)
	s_add_co_i32 s4, s4, s2
	s_cmp_eq_u32 s6, 0
	s_mov_b32 s35, 0
	s_cselect_b32 s34, s3, s4
	s_wait_kmcnt 0x0
	s_cmp_ge_u32 s34, s33
	s_cbranch_scc1 .LBB393_53
; %bb.2:
	s_clause 0x3
	s_load_b512 s[8:23], s[0:1], 0x18
	s_load_b256 s[24:31], s[0:1], 0x68
	s_load_b96 s[36:38], s[0:1], 0x0
	s_load_b32 s39, s[0:1], 0x58
	v_and_b32_e32 v6, 0x3ff, v0
	v_bfe_u32 v2, v0, 10, 10
	s_delay_alu instid0(VALU_DEP_2) | instskip(NEXT) | instid1(VALU_DEP_2)
	v_dual_mov_b32 v1, 0 :: v_dual_lshlrev_b32 v0, 2, v6
	v_lshl_add_u32 v7, v2, 6, v6
	s_delay_alu instid0(VALU_DEP_2) | instskip(NEXT) | instid1(VALU_DEP_3)
	v_dual_mov_b32 v3, v1 :: v_dual_lshlrev_b32 v48, 2, v2
	v_lshl_add_u32 v49, v2, 10, v0
	v_lshl_add_u32 v50, v2, 8, v0
	s_wait_xcnt 0x0
	v_cmp_gt_u32_e64 s0, 0x100, v7
	s_wait_kmcnt 0x0
	s_lshl_b64 s[4:5], s[10:11], 1
	s_lshl_b64 s[10:11], s[18:19], 1
	;; [unrolled: 1-line block ×3, first 2 shown]
	s_cmp_eq_f32 s38, 0
	v_mul_u64_e32 v[10:11], s[20:21], v[2:3]
	v_mul_u64_e32 v[12:13], s[12:13], v[2:3]
	v_mad_nc_u64_u32 v[4:5], s20, v48, s[20:21]
	s_cselect_b32 s46, -1, 0
	s_cmp_neq_f32 s38, 0
	v_mad_nc_u64_u32 v[8:9], s12, v48, s[12:13]
	s_add_nc_u64 s[24:25], s[24:25], s[2:3]
	s_add_nc_u64 s[26:27], s[16:17], s[10:11]
	s_cselect_b32 s1, -1, 0
	s_cmp_neq_f32 s39, 1.0
	s_cselect_b32 s7, -1, 0
	s_bfe_u32 s18, ttmp6, 0x4000c
	s_and_b32 s19, ttmp6, 15
	s_add_co_i32 s18, s18, 1
	s_or_b32 s47, s1, s7
	s_mul_i32 s18, ttmp9, s18
	v_mad_u32 v5, s21, v48, v5
	s_add_co_i32 s19, s19, s18
	s_cmp_eq_u32 s6, 0
	s_mov_b32 s6, s36
	s_cselect_b32 s1, ttmp9, s19
	s_ashr_i32 s7, s36, 31
	s_lshl_b32 s1, s1, 8
	s_cmp_neq_f32 s39, 0
	v_dual_add_nc_u32 v0, s1, v7 :: v_dual_bitop2_b32 v14, s1, v7 bitop3:0x54
	v_mad_u32 v9, s13, v48, v9
	s_cselect_b32 s48, -1, 0
	s_add_nc_u64 s[18:19], s[8:9], s[4:5]
	s_delay_alu instid0(VALU_DEP_2)
	v_cmp_gt_i64_e32 vcc_lo, s[6:7], v[0:1]
	v_mul_u64_e32 v[2:3], s[28:29], v[0:1]
	v_dual_ashrrev_i32 v15, 31, v14 :: v_dual_bitop2_b32 v0, 3, v48 bitop3:0x54
	v_add_nc_u32_e32 v24, s1, v6
	s_ashr_i32 s1, s37, 31
	v_cmp_gt_i32_e64 s2, s36, v14
	s_delay_alu instid0(VALU_DEP_3)
	v_mul_u64_e32 v[16:17], s[12:13], v[0:1]
	v_mul_u64_e32 v[18:19], s[20:21], v[0:1]
	v_or_b32_e32 v0, 2, v48
	v_mul_u64_e32 v[6:7], s[28:29], v[14:15]
	s_lshr_b32 s3, s1, 26
	v_ashrrev_i32_e32 v25, 31, v24
	v_add_nc_u32_e32 v15, 0x80, v24
	v_mul_u64_e32 v[20:21], s[12:13], v[0:1]
	v_mul_u64_e32 v[22:23], s[20:21], v[0:1]
	s_add_co_i32 s49, s37, s3
	v_add_nc_u32_e32 v0, 64, v24
	v_add_nc_u32_e32 v26, 0xc0, v24
	s_and_not1_b32 s49, s49, 63
	v_cmp_gt_i32_e64 s4, s36, v15
	s_sub_co_i32 s6, s37, s49
	v_lshlrev_b64_e32 v[14:15], 1, v[24:25]
	v_lshl_add_u64 v[4:5], v[4:5], 1, s[16:17]
	v_lshl_add_u64 v[8:9], v[8:9], 1, s[18:19]
	v_cmp_gt_i32_e64 s1, s36, v24
	v_lshl_add_u64 v[10:11], v[10:11], 3, s[16:17]
	v_lshl_add_u64 v[12:13], v[12:13], 3, s[18:19]
	v_cmp_gt_i32_e64 s3, s36, v0
	v_cmp_gt_i32_e64 s5, s36, v26
	s_cmp_gt_i32 s6, 0
	v_cmp_gt_i32_e64 s6, s49, v48
	s_cselect_b32 s36, -1, 0
	s_and_b32 s50, s0, vcc_lo
	s_lshl_b64 s[28:29], s[22:23], 1
	s_lshl_b64 s[40:41], s[14:15], 1
	;; [unrolled: 1-line block ×3, first 2 shown]
	v_lshl_add_u64 v[16:17], v[16:17], 1, s[18:19]
	v_lshl_add_u64 v[18:19], v[18:19], 1, s[16:17]
	;; [unrolled: 1-line block ×4, first 2 shown]
	s_lshl_b64 s[16:17], s[20:21], 7
	s_branch .LBB393_5
.LBB393_3:                              ;   in Loop: Header=BB393_5 Depth=1
	s_wait_xcnt 0x0
	s_or_b32 exec_lo, exec_lo, s7
.LBB393_4:                              ;   in Loop: Header=BB393_5 Depth=1
	s_add_co_i32 s34, s34, 0x10000
	s_delay_alu instid0(SALU_CYCLE_1)
	s_cmp_lt_u32 s34, s33
	s_cbranch_scc0 .LBB393_53
.LBB393_5:                              ; =>This Loop Header: Depth=1
                                        ;     Child Loop BB393_21 Depth 2
	s_and_not1_b32 vcc_lo, exec_lo, s47
	s_cbranch_vccnz .LBB393_4
; %bb.6:                                ;   in Loop: Header=BB393_5 Depth=1
	s_mul_u64 s[8:9], s[30:31], s[34:35]
	s_and_not1_b32 vcc_lo, exec_lo, s46
	s_lshl_b64 s[8:9], s[8:9], 1
	s_delay_alu instid0(SALU_CYCLE_1)
	s_add_nc_u64 s[44:45], s[24:25], s[8:9]
	s_cbranch_vccnz .LBB393_10
; %bb.7:                                ;   in Loop: Header=BB393_5 Depth=1
	s_mov_b32 s7, 0
	s_mov_b32 s51, 0
                                        ; implicit-def: $vgpr0
	s_and_saveexec_b32 s8, s50
	s_cbranch_execz .LBB393_11
; %bb.8:                                ;   in Loop: Header=BB393_5 Depth=1
	s_and_not1_b32 vcc_lo, exec_lo, s48
	s_cbranch_vccnz .LBB393_13
; %bb.9:                                ;   in Loop: Header=BB393_5 Depth=1
	v_lshl_add_u64 v[24:25], v[2:3], 1, s[44:45]
	global_load_u16 v0, v[24:25], off
	s_wait_loadcnt 0x0
	v_fma_mixlo_f16 v0, s39, v0, 0 op_sel_hi:[0,1,0]
	s_branch .LBB393_14
.LBB393_10:                             ;   in Loop: Header=BB393_5 Depth=1
	s_mov_b32 s51, 0
                                        ; implicit-def: $vgpr0
	s_cbranch_execz .LBB393_12
	s_branch .LBB393_15
.LBB393_11:                             ;   in Loop: Header=BB393_5 Depth=1
	s_or_b32 exec_lo, exec_lo, s8
	s_delay_alu instid0(SALU_CYCLE_1)
	s_and_b32 vcc_lo, exec_lo, s7
	s_cbranch_vccnz .LBB393_15
.LBB393_12:                             ;   in Loop: Header=BB393_5 Depth=1
	v_mov_b64_e32 v[24:25], v[2:3]
	s_and_saveexec_b32 s7, s51
	s_cbranch_execz .LBB393_3
	s_branch .LBB393_52
.LBB393_13:                             ;   in Loop: Header=BB393_5 Depth=1
	v_mov_b32_e32 v0, 0
.LBB393_14:                             ;   in Loop: Header=BB393_5 Depth=1
	s_mov_b32 s51, exec_lo
	s_wait_xcnt 0x0
	s_or_b32 exec_lo, exec_lo, s8
	s_delay_alu instid0(SALU_CYCLE_1)
	s_and_b32 vcc_lo, exec_lo, s7
	s_cbranch_vccz .LBB393_12
.LBB393_15:                             ;   in Loop: Header=BB393_5 Depth=1
	v_dual_mov_b32 v51, 0 :: v_dual_mov_b32 v0, v48
	v_dual_mov_b32 v52, 0 :: v_dual_mov_b32 v53, 0
	v_mov_b32_e32 v54, 0
	s_and_saveexec_b32 s7, s6
	s_cbranch_execz .LBB393_27
; %bb.16:                               ;   in Loop: Header=BB393_5 Depth=1
	s_mul_u64 s[8:9], s[28:29], s[34:35]
	s_mul_u64 s[52:53], s[40:41], s[34:35]
	v_add_nc_u64_e32 v[24:25], s[8:9], v[10:11]
	v_add_nc_u64_e32 v[26:27], s[52:53], v[16:17]
	v_add_nc_u64_e32 v[28:29], s[8:9], v[18:19]
	v_add_nc_u64_e32 v[30:31], s[52:53], v[12:13]
	v_add_nc_u64_e32 v[32:33], s[52:53], v[20:21]
	v_add_nc_u64_e32 v[34:35], s[8:9], v[22:23]
	v_add_nc_u64_e32 v[36:37], s[8:9], v[4:5]
	v_add_nc_u64_e32 v[38:39], s[52:53], v[8:9]
	v_dual_mov_b32 v51, 0 :: v_dual_mov_b32 v0, v48
	v_dual_mov_b32 v52, 0 :: v_dual_mov_b32 v53, 0
	v_mov_b32_e32 v54, 0
	s_mov_b32 s8, 0
	s_branch .LBB393_21
.LBB393_17:                             ;   in Loop: Header=BB393_21 Depth=2
	s_wait_xcnt 0x0
	s_or_b32 exec_lo, exec_lo, s54
	s_wait_loadcnt 0x3
	v_fma_mix_f32 v40, v67, v71, v53 op_sel_hi:[0,1,0]
	s_wait_loadcnt 0x2
	s_delay_alu instid0(VALU_DEP_1) | instskip(SKIP_1) | instid1(VALU_DEP_1)
	v_fma_mix_f32 v40, v68, v72, v40 op_sel_hi:[0,1,0]
	s_wait_loadcnt 0x1
	v_fma_mix_f32 v40, v69, v73, v40 op_sel_hi:[0,1,0]
	s_wait_loadcnt 0x0
	s_delay_alu instid0(VALU_DEP_1)
	v_fma_mix_f32 v53, v70, v74, v40 op_sel_hi:[0,1,0]
.LBB393_18:                             ;   in Loop: Header=BB393_21 Depth=2
	s_or_b32 exec_lo, exec_lo, s53
	s_wait_loadcnt 0x3
	v_fma_mix_f32 v40, v67, v63, v52 op_sel_hi:[0,1,0]
	s_wait_loadcnt 0x2
	s_delay_alu instid0(VALU_DEP_1) | instskip(SKIP_1) | instid1(VALU_DEP_1)
	v_fma_mix_f32 v40, v68, v64, v40 op_sel_hi:[0,1,0]
	s_wait_loadcnt 0x1
	v_fma_mix_f32 v40, v69, v65, v40 op_sel_hi:[0,1,0]
	s_wait_loadcnt 0x0
	s_delay_alu instid0(VALU_DEP_1)
	v_fma_mix_f32 v52, v70, v66, v40 op_sel_hi:[0,1,0]
.LBB393_19:                             ;   in Loop: Header=BB393_21 Depth=2
	s_or_b32 exec_lo, exec_lo, s52
	s_wait_loadcnt 0x3
	v_fma_mix_f32 v40, v55, v59, v51 op_sel_hi:[1,1,0]
	s_wait_loadcnt 0x2
	s_delay_alu instid0(VALU_DEP_1) | instskip(SKIP_1) | instid1(VALU_DEP_1)
	v_fma_mix_f32 v40, v56, v60, v40 op_sel_hi:[1,1,0]
	s_wait_loadcnt 0x1
	v_fma_mix_f32 v40, v57, v61, v40 op_sel_hi:[1,1,0]
	s_wait_loadcnt 0x0
	s_delay_alu instid0(VALU_DEP_1)
	v_fma_mix_f32 v51, v58, v62, v40 op_sel_hi:[1,1,0]
.LBB393_20:                             ;   in Loop: Header=BB393_21 Depth=2
	s_or_b32 exec_lo, exec_lo, s9
	v_add_nc_u32_e32 v0, 64, v0
	v_add_nc_u64_e32 v[24:25], s[16:17], v[24:25]
	v_add_nc_u64_e32 v[26:27], s[42:43], v[26:27]
	;; [unrolled: 1-line block ×7, first 2 shown]
	v_cmp_le_i32_e32 vcc_lo, s49, v0
	v_add_nc_u64_e32 v[38:39], s[42:43], v[38:39]
	s_or_b32 s8, vcc_lo, s8
	s_delay_alu instid0(SALU_CYCLE_1)
	s_and_not1_b32 exec_lo, exec_lo, s8
	s_cbranch_execz .LBB393_26
.LBB393_21:                             ;   Parent Loop BB393_5 Depth=1
                                        ; =>  This Inner Loop Header: Depth=2
	s_and_saveexec_b32 s9, s1
	s_cbranch_execz .LBB393_20
; %bb.22:                               ;   in Loop: Header=BB393_21 Depth=2
	v_add_nc_u64_e32 v[46:47], s[10:11], v[24:25]
	v_add_nc_u64_e32 v[58:59], s[10:11], v[36:37]
	;; [unrolled: 1-line block ×7, first 2 shown]
	global_load_u16 v55, v[46:47], off
	s_wait_xcnt 0x0
	v_add_nc_u64_e32 v[46:47], v[26:27], v[14:15]
	global_load_u16 v56, v[58:59], off
	global_load_u16 v57, v[60:61], off
                                        ; kill: killed $vgpr60_vgpr61
                                        ; kill: killed $vgpr58_vgpr59
	global_load_u16 v58, v[62:63], off
	global_load_u16 v59, v[40:41], off
	;; [unrolled: 1-line block ×4, first 2 shown]
                                        ; kill: killed $vgpr62_vgpr63
	global_load_u16 v62, v[46:47], off
	s_wait_xcnt 0x0
	s_and_saveexec_b32 s52, s3
	s_cbranch_execz .LBB393_19
; %bb.23:                               ;   in Loop: Header=BB393_21 Depth=2
	global_load_u16 v63, v[40:41], off offset:128
	global_load_u16 v64, v[42:43], off offset:128
	;; [unrolled: 1-line block ×4, first 2 shown]
	s_wait_loadcnt 0xb
	v_cvt_f32_f16_e32 v67, v55
	s_wait_loadcnt 0xa
	v_cvt_f32_f16_e32 v68, v56
	;; [unrolled: 2-line block ×4, first 2 shown]
	s_wait_xcnt 0x0
	s_and_saveexec_b32 s53, s4
	s_cbranch_execz .LBB393_18
; %bb.24:                               ;   in Loop: Header=BB393_21 Depth=2
	global_load_u16 v71, v[40:41], off offset:256
	global_load_u16 v72, v[42:43], off offset:256
	;; [unrolled: 1-line block ×4, first 2 shown]
	s_wait_xcnt 0x0
	s_and_saveexec_b32 s54, s5
	s_cbranch_execz .LBB393_17
; %bb.25:                               ;   in Loop: Header=BB393_21 Depth=2
	global_load_u16 v40, v[40:41], off offset:384
	global_load_u16 v41, v[42:43], off offset:384
	;; [unrolled: 1-line block ×4, first 2 shown]
	s_wait_loadcnt 0x3
	v_fma_mix_f32 v40, v67, v40, v54 op_sel_hi:[0,1,0]
	s_wait_loadcnt 0x2
	s_delay_alu instid0(VALU_DEP_1) | instskip(SKIP_1) | instid1(VALU_DEP_1)
	v_fma_mix_f32 v40, v68, v41, v40 op_sel_hi:[0,1,0]
	s_wait_loadcnt 0x1
	v_fma_mix_f32 v40, v69, v42, v40 op_sel_hi:[0,1,0]
	s_wait_loadcnt 0x0
	s_delay_alu instid0(VALU_DEP_1)
	v_fma_mix_f32 v54, v70, v43, v40 op_sel_hi:[0,1,0]
	s_branch .LBB393_17
.LBB393_26:                             ;   in Loop: Header=BB393_5 Depth=1
	s_or_b32 exec_lo, exec_lo, s8
.LBB393_27:                             ;   in Loop: Header=BB393_5 Depth=1
	s_delay_alu instid0(SALU_CYCLE_1) | instskip(NEXT) | instid1(SALU_CYCLE_1)
	s_or_b32 exec_lo, exec_lo, s7
	s_and_not1_b32 vcc_lo, exec_lo, s36
	s_cbranch_vccnz .LBB393_45
; %bb.28:                               ;   in Loop: Header=BB393_5 Depth=1
	v_cmp_gt_i32_e32 vcc_lo, s37, v0
	v_dual_mov_b32 v32, 0 :: v_dual_bitop2_b32 v24, 1, v0 bitop3:0x54
	v_dual_mov_b32 v33, 0 :: v_dual_mov_b32 v34, 0
	v_mov_b32_e32 v35, 0
	s_and_saveexec_b32 s52, vcc_lo
	s_cbranch_execz .LBB393_36
; %bb.29:                               ;   in Loop: Header=BB393_5 Depth=1
	v_mul_u64_e32 v[26:27], s[20:21], v[0:1]
	s_mul_u64 s[8:9], s[22:23], s[34:35]
	v_dual_mov_b32 v34, 0 :: v_dual_mov_b32 v33, 0
	s_lshl_b64 s[8:9], s[8:9], 1
	v_mov_b32_e32 v32, 0
	s_add_nc_u64 s[8:9], s[26:27], s[8:9]
	s_mov_b32 s53, exec_lo
	s_delay_alu instid0(VALU_DEP_3)
	v_lshl_add_u64 v[26:27], v[26:27], 1, s[8:9]
	global_load_u16 v28, v[26:27], off
	s_wait_xcnt 0x0
	v_cmpx_gt_i32_e64 s37, v24
	s_cbranch_execz .LBB393_35
; %bb.30:                               ;   in Loop: Header=BB393_5 Depth=1
	v_dual_mov_b32 v25, v1 :: v_dual_mov_b32 v33, 0
	v_mov_b32_e32 v32, 0
	s_mov_b32 s54, exec_lo
	s_delay_alu instid0(VALU_DEP_2) | instskip(NEXT) | instid1(VALU_DEP_1)
	v_mul_u64_e32 v[26:27], s[20:21], v[24:25]
	v_lshl_add_u64 v[26:27], v[26:27], 1, s[8:9]
	global_load_u16 v25, v[26:27], off
	s_wait_xcnt 0x0
	v_or_b32_e32 v26, 2, v0
	s_delay_alu instid0(VALU_DEP_1)
	v_cmpx_gt_i32_e64 s37, v26
	s_cbranch_execz .LBB393_34
; %bb.31:                               ;   in Loop: Header=BB393_5 Depth=1
	v_dual_mov_b32 v27, v1 :: v_dual_mov_b32 v32, 0
	s_mov_b32 s55, exec_lo
	s_delay_alu instid0(VALU_DEP_1) | instskip(NEXT) | instid1(VALU_DEP_1)
	v_mul_u64_e32 v[26:27], s[20:21], v[26:27]
	v_lshl_add_u64 v[26:27], v[26:27], 1, s[8:9]
	global_load_u16 v29, v[26:27], off
	s_wait_xcnt 0x0
	v_or_b32_e32 v26, 3, v0
	s_delay_alu instid0(VALU_DEP_1)
	v_cmpx_gt_i32_e64 s37, v26
	s_cbranch_execz .LBB393_33
; %bb.32:                               ;   in Loop: Header=BB393_5 Depth=1
	v_mov_b32_e32 v27, v1
	s_delay_alu instid0(VALU_DEP_1) | instskip(NEXT) | instid1(VALU_DEP_1)
	v_mul_u64_e32 v[26:27], s[20:21], v[26:27]
	v_lshl_add_u64 v[26:27], v[26:27], 1, s[8:9]
	global_load_u16 v26, v[26:27], off
	s_wait_loadcnt 0x0
	v_cvt_f32_f16_e32 v32, v26
.LBB393_33:                             ;   in Loop: Header=BB393_5 Depth=1
	s_wait_xcnt 0x0
	s_or_b32 exec_lo, exec_lo, s55
	s_wait_loadcnt 0x0
	v_cvt_f32_f16_e32 v33, v29
.LBB393_34:                             ;   in Loop: Header=BB393_5 Depth=1
	s_or_b32 exec_lo, exec_lo, s54
	s_wait_loadcnt 0x0
	v_cvt_f32_f16_e32 v34, v25
.LBB393_35:                             ;   in Loop: Header=BB393_5 Depth=1
	s_or_b32 exec_lo, exec_lo, s53
	s_wait_loadcnt 0x0
	v_cvt_f32_f16_e32 v35, v28
.LBB393_36:                             ;   in Loop: Header=BB393_5 Depth=1
	s_or_b32 exec_lo, exec_lo, s52
	s_and_saveexec_b32 s52, s1
	s_cbranch_execz .LBB393_44
; %bb.37:                               ;   in Loop: Header=BB393_5 Depth=1
	v_dual_mov_b32 v25, v1 :: v_dual_bitop2_b32 v26, 2, v0 bitop3:0x54
	v_mov_b32_e32 v27, v1
	v_mul_u64_e32 v[28:29], s[12:13], v[0:1]
	v_or_b32_e32 v0, 3, v0
	s_delay_alu instid0(VALU_DEP_4)
	v_mul_u64_e32 v[30:31], s[12:13], v[24:25]
	s_mul_u64 s[8:9], s[14:15], s[34:35]
	v_mul_u64_e32 v[36:37], s[12:13], v[26:27]
	v_cmp_gt_i32_e64 s7, s37, v24
	v_mul_u64_e32 v[38:39], s[12:13], v[0:1]
	s_lshl_b64 s[54:55], s[8:9], 1
	v_cmp_gt_i32_e64 s8, s37, v26
	v_cmp_gt_i32_e64 s9, s37, v0
	v_dual_cndmask_b32 v25, 0, v29 :: v_dual_cndmask_b32 v24, 0, v28
	v_dual_cndmask_b32 v27, 0, v31, s7 :: v_dual_cndmask_b32 v26, 0, v30, s7
	s_delay_alu instid0(VALU_DEP_4) | instskip(NEXT) | instid1(VALU_DEP_4)
	v_dual_cndmask_b32 v29, 0, v37, s8 :: v_dual_cndmask_b32 v28, 0, v36, s8
	v_dual_cndmask_b32 v31, 0, v39, s9 :: v_dual_cndmask_b32 v30, 0, v38, s9
	s_add_nc_u64 s[8:9], s[18:19], s[54:55]
	s_delay_alu instid0(SALU_CYCLE_1) | instskip(SKIP_3) | instid1(VALU_DEP_4)
	v_lshl_add_u64 v[24:25], v[24:25], 1, s[8:9]
	v_lshl_add_u64 v[26:27], v[26:27], 1, s[8:9]
	;; [unrolled: 1-line block ×4, first 2 shown]
	v_add_nc_u64_e32 v[28:29], v[24:25], v[14:15]
	s_delay_alu instid0(VALU_DEP_4) | instskip(NEXT) | instid1(VALU_DEP_4)
	v_add_nc_u64_e32 v[24:25], v[26:27], v[14:15]
	v_add_nc_u64_e32 v[26:27], v[36:37], v[14:15]
	s_delay_alu instid0(VALU_DEP_4)
	v_add_nc_u64_e32 v[30:31], v[30:31], v[14:15]
	s_clause 0x3
	global_load_u16 v0, v[28:29], off
	global_load_u16 v36, v[24:25], off
	;; [unrolled: 1-line block ×4, first 2 shown]
	s_wait_xcnt 0x0
	s_and_saveexec_b32 s7, s3
	s_cbranch_execz .LBB393_43
; %bb.38:                               ;   in Loop: Header=BB393_5 Depth=1
	s_clause 0x3
	global_load_u16 v39, v[28:29], off offset:128
	global_load_u16 v40, v[24:25], off offset:128
	global_load_u16 v41, v[26:27], off offset:128
	global_load_u16 v42, v[30:31], off offset:128
	s_wait_xcnt 0x0
	s_and_saveexec_b32 s8, s4
	s_cbranch_execz .LBB393_42
; %bb.39:                               ;   in Loop: Header=BB393_5 Depth=1
	s_clause 0x3
	global_load_u16 v43, v[28:29], off offset:256
	global_load_u16 v44, v[24:25], off offset:256
	global_load_u16 v45, v[26:27], off offset:256
	global_load_u16 v46, v[30:31], off offset:256
	;; [unrolled: 9-line block ×3, first 2 shown]
	s_wait_loadcnt 0x3
	s_wait_xcnt 0x2
	v_fma_mix_f32 v24, v35, v47, v54 op_sel_hi:[0,1,0]
	s_wait_loadcnt 0x2
	s_delay_alu instid0(VALU_DEP_1) | instskip(SKIP_1) | instid1(VALU_DEP_1)
	v_fma_mix_f32 v24, v34, v55, v24 op_sel_hi:[0,1,0]
	s_wait_loadcnt 0x1
	v_fma_mix_f32 v24, v33, v56, v24 op_sel_hi:[0,1,0]
	s_wait_loadcnt 0x0
	s_delay_alu instid0(VALU_DEP_1)
	v_fma_mix_f32 v54, v32, v57, v24 op_sel_hi:[0,1,0]
.LBB393_41:                             ;   in Loop: Header=BB393_5 Depth=1
	s_wait_xcnt 0x0
	s_or_b32 exec_lo, exec_lo, s9
	s_wait_loadcnt 0x3
	v_fma_mix_f32 v24, v35, v43, v53 op_sel_hi:[0,1,0]
	s_wait_loadcnt 0x2
	s_delay_alu instid0(VALU_DEP_1) | instskip(SKIP_1) | instid1(VALU_DEP_1)
	v_fma_mix_f32 v24, v34, v44, v24 op_sel_hi:[0,1,0]
	s_wait_loadcnt 0x1
	v_fma_mix_f32 v24, v33, v45, v24 op_sel_hi:[0,1,0]
	s_wait_loadcnt 0x0
	s_delay_alu instid0(VALU_DEP_1)
	v_fma_mix_f32 v53, v32, v46, v24 op_sel_hi:[0,1,0]
.LBB393_42:                             ;   in Loop: Header=BB393_5 Depth=1
	s_or_b32 exec_lo, exec_lo, s8
	s_wait_loadcnt 0x3
	v_fma_mix_f32 v24, v35, v39, v52 op_sel_hi:[0,1,0]
	s_wait_loadcnt 0x2
	s_delay_alu instid0(VALU_DEP_1) | instskip(SKIP_1) | instid1(VALU_DEP_1)
	v_fma_mix_f32 v24, v34, v40, v24 op_sel_hi:[0,1,0]
	s_wait_loadcnt 0x1
	v_fma_mix_f32 v24, v33, v41, v24 op_sel_hi:[0,1,0]
	s_wait_loadcnt 0x0
	s_delay_alu instid0(VALU_DEP_1)
	v_fma_mix_f32 v52, v32, v42, v24 op_sel_hi:[0,1,0]
.LBB393_43:                             ;   in Loop: Header=BB393_5 Depth=1
	s_or_b32 exec_lo, exec_lo, s7
	s_wait_loadcnt 0x3
	v_fma_mix_f32 v0, v35, v0, v51 op_sel_hi:[0,1,0]
	s_wait_loadcnt 0x2
	s_delay_alu instid0(VALU_DEP_1) | instskip(SKIP_1) | instid1(VALU_DEP_1)
	v_fma_mix_f32 v0, v34, v36, v0 op_sel_hi:[0,1,0]
	s_wait_loadcnt 0x1
	v_fma_mix_f32 v0, v33, v37, v0 op_sel_hi:[0,1,0]
	s_wait_loadcnt 0x0
	s_delay_alu instid0(VALU_DEP_1)
	v_fma_mix_f32 v51, v32, v38, v0 op_sel_hi:[0,1,0]
.LBB393_44:                             ;   in Loop: Header=BB393_5 Depth=1
	s_or_b32 exec_lo, exec_lo, s52
.LBB393_45:                             ;   in Loop: Header=BB393_5 Depth=1
	ds_store_2addr_stride64_b32 v49, v51, v52 offset1:1
	ds_store_2addr_stride64_b32 v49, v53, v54 offset0:2 offset1:3
	s_wait_dscnt 0x0
	s_barrier_signal -1
	s_barrier_wait -1
                                        ; implicit-def: $vgpr0
	s_and_saveexec_b32 s7, s0
	s_cbranch_execz .LBB393_51
; %bb.46:                               ;   in Loop: Header=BB393_5 Depth=1
	ds_load_2addr_stride64_b32 v[24:25], v50 offset1:4
	ds_load_2addr_stride64_b32 v[26:27], v50 offset0:8 offset1:12
	ds_load_2addr_stride64_b32 v[28:29], v50 offset0:16 offset1:20
	s_mov_b32 s9, s51
	s_wait_dscnt 0x2
	v_add_f32_e32 v0, v24, v25
	ds_load_2addr_stride64_b32 v[24:25], v50 offset0:24 offset1:28
	s_wait_dscnt 0x2
	v_add_f32_e32 v0, v26, v0
	s_delay_alu instid0(VALU_DEP_1) | instskip(SKIP_3) | instid1(VALU_DEP_1)
	v_add_f32_e32 v0, v27, v0
	ds_load_2addr_stride64_b32 v[26:27], v50 offset0:32 offset1:36
	s_wait_dscnt 0x2
	v_add_f32_e32 v0, v28, v0
	v_add_f32_e32 v0, v29, v0
	ds_load_2addr_stride64_b32 v[28:29], v50 offset0:40 offset1:44
	s_wait_dscnt 0x2
	v_add_f32_e32 v0, v24, v0
	s_delay_alu instid0(VALU_DEP_1) | instskip(SKIP_3) | instid1(VALU_DEP_1)
	v_add_f32_e32 v0, v25, v0
	ds_load_2addr_stride64_b32 v[24:25], v50 offset0:48 offset1:52
	s_wait_dscnt 0x2
	v_add_f32_e32 v0, v26, v0
	v_add_f32_e32 v0, v27, v0
	ds_load_2addr_stride64_b32 v[26:27], v50 offset0:56 offset1:60
	s_wait_dscnt 0x2
	v_add_f32_e32 v0, v28, v0
	s_delay_alu instid0(VALU_DEP_1) | instskip(SKIP_1) | instid1(VALU_DEP_1)
	v_add_f32_e32 v0, v29, v0
	s_wait_dscnt 0x1
	v_add_f32_e32 v0, v24, v0
	s_delay_alu instid0(VALU_DEP_1) | instskip(SKIP_1) | instid1(VALU_DEP_1)
	v_add_f32_e32 v0, v25, v0
	s_wait_dscnt 0x0
	v_add_f32_e32 v0, v26, v0
	s_delay_alu instid0(VALU_DEP_1)
	v_add_f32_e32 v24, v27, v0
                                        ; implicit-def: $vgpr0
	ds_store_b32 v50, v24
	s_and_saveexec_b32 s8, s2
	s_cbranch_execz .LBB393_50
; %bb.47:                               ;   in Loop: Header=BB393_5 Depth=1
	v_mul_f32_e32 v0, s38, v24
	s_and_not1_b32 vcc_lo, exec_lo, s48
	s_cbranch_vccnz .LBB393_49
; %bb.48:                               ;   in Loop: Header=BB393_5 Depth=1
	v_lshl_add_u64 v[24:25], v[6:7], 1, s[44:45]
	global_load_u16 v24, v[24:25], off
	s_wait_loadcnt 0x0
	v_fma_mix_f32 v0, s39, v24, v0 op_sel_hi:[0,1,0]
.LBB393_49:                             ;   in Loop: Header=BB393_5 Depth=1
	s_delay_alu instid0(VALU_DEP_1)
	v_cvt_f16_f32_e32 v0, v0
	s_or_b32 s9, s51, exec_lo
.LBB393_50:                             ;   in Loop: Header=BB393_5 Depth=1
	s_wait_xcnt 0x0
	s_or_b32 exec_lo, exec_lo, s8
	s_delay_alu instid0(SALU_CYCLE_1) | instskip(SKIP_1) | instid1(SALU_CYCLE_1)
	s_and_not1_b32 s8, s51, exec_lo
	s_and_b32 s9, s9, exec_lo
	s_or_b32 s51, s8, s9
.LBB393_51:                             ;   in Loop: Header=BB393_5 Depth=1
	s_or_b32 exec_lo, exec_lo, s7
	v_mov_b64_e32 v[24:25], v[6:7]
	s_and_saveexec_b32 s7, s51
	s_cbranch_execz .LBB393_3
.LBB393_52:                             ;   in Loop: Header=BB393_5 Depth=1
	s_delay_alu instid0(VALU_DEP_1)
	v_lshl_add_u64 v[24:25], v[24:25], 1, s[44:45]
	global_store_b16 v[24:25], v0, off
	s_branch .LBB393_3
.LBB393_53:
	s_sendmsg sendmsg(MSG_DEALLOC_VGPRS)
	s_endpgm
	.section	.rodata,"a",@progbits
	.p2align	6, 0x0
	.amdhsa_kernel _ZL20rocblas_gemvn_kernelILi64ELi16ElDF16_fDF16_EviiT3_lPKT2_lT1_lS3_lS4_lS0_lPT4_lS4_li
		.amdhsa_group_segment_fixed_size 16384
		.amdhsa_private_segment_fixed_size 0
		.amdhsa_kernarg_size 400
		.amdhsa_user_sgpr_count 2
		.amdhsa_user_sgpr_dispatch_ptr 0
		.amdhsa_user_sgpr_queue_ptr 0
		.amdhsa_user_sgpr_kernarg_segment_ptr 1
		.amdhsa_user_sgpr_dispatch_id 0
		.amdhsa_user_sgpr_kernarg_preload_length 0
		.amdhsa_user_sgpr_kernarg_preload_offset 0
		.amdhsa_user_sgpr_private_segment_size 0
		.amdhsa_wavefront_size32 1
		.amdhsa_uses_dynamic_stack 0
		.amdhsa_enable_private_segment 0
		.amdhsa_system_sgpr_workgroup_id_x 1
		.amdhsa_system_sgpr_workgroup_id_y 0
		.amdhsa_system_sgpr_workgroup_id_z 1
		.amdhsa_system_sgpr_workgroup_info 0
		.amdhsa_system_vgpr_workitem_id 1
		.amdhsa_next_free_vgpr 75
		.amdhsa_next_free_sgpr 56
		.amdhsa_named_barrier_count 0
		.amdhsa_reserve_vcc 1
		.amdhsa_float_round_mode_32 0
		.amdhsa_float_round_mode_16_64 0
		.amdhsa_float_denorm_mode_32 3
		.amdhsa_float_denorm_mode_16_64 3
		.amdhsa_fp16_overflow 0
		.amdhsa_memory_ordered 1
		.amdhsa_forward_progress 1
		.amdhsa_inst_pref_size 24
		.amdhsa_round_robin_scheduling 0
		.amdhsa_exception_fp_ieee_invalid_op 0
		.amdhsa_exception_fp_denorm_src 0
		.amdhsa_exception_fp_ieee_div_zero 0
		.amdhsa_exception_fp_ieee_overflow 0
		.amdhsa_exception_fp_ieee_underflow 0
		.amdhsa_exception_fp_ieee_inexact 0
		.amdhsa_exception_int_div_zero 0
	.end_amdhsa_kernel
	.section	.text._ZL20rocblas_gemvn_kernelILi64ELi16ElDF16_fDF16_EviiT3_lPKT2_lT1_lS3_lS4_lS0_lPT4_lS4_li,"axG",@progbits,_ZL20rocblas_gemvn_kernelILi64ELi16ElDF16_fDF16_EviiT3_lPKT2_lT1_lS3_lS4_lS0_lPT4_lS4_li,comdat
.Lfunc_end393:
	.size	_ZL20rocblas_gemvn_kernelILi64ELi16ElDF16_fDF16_EviiT3_lPKT2_lT1_lS3_lS4_lS0_lPT4_lS4_li, .Lfunc_end393-_ZL20rocblas_gemvn_kernelILi64ELi16ElDF16_fDF16_EviiT3_lPKT2_lT1_lS3_lS4_lS0_lPT4_lS4_li
                                        ; -- End function
	.set _ZL20rocblas_gemvn_kernelILi64ELi16ElDF16_fDF16_EviiT3_lPKT2_lT1_lS3_lS4_lS0_lPT4_lS4_li.num_vgpr, 75
	.set _ZL20rocblas_gemvn_kernelILi64ELi16ElDF16_fDF16_EviiT3_lPKT2_lT1_lS3_lS4_lS0_lPT4_lS4_li.num_agpr, 0
	.set _ZL20rocblas_gemvn_kernelILi64ELi16ElDF16_fDF16_EviiT3_lPKT2_lT1_lS3_lS4_lS0_lPT4_lS4_li.numbered_sgpr, 56
	.set _ZL20rocblas_gemvn_kernelILi64ELi16ElDF16_fDF16_EviiT3_lPKT2_lT1_lS3_lS4_lS0_lPT4_lS4_li.num_named_barrier, 0
	.set _ZL20rocblas_gemvn_kernelILi64ELi16ElDF16_fDF16_EviiT3_lPKT2_lT1_lS3_lS4_lS0_lPT4_lS4_li.private_seg_size, 0
	.set _ZL20rocblas_gemvn_kernelILi64ELi16ElDF16_fDF16_EviiT3_lPKT2_lT1_lS3_lS4_lS0_lPT4_lS4_li.uses_vcc, 1
	.set _ZL20rocblas_gemvn_kernelILi64ELi16ElDF16_fDF16_EviiT3_lPKT2_lT1_lS3_lS4_lS0_lPT4_lS4_li.uses_flat_scratch, 0
	.set _ZL20rocblas_gemvn_kernelILi64ELi16ElDF16_fDF16_EviiT3_lPKT2_lT1_lS3_lS4_lS0_lPT4_lS4_li.has_dyn_sized_stack, 0
	.set _ZL20rocblas_gemvn_kernelILi64ELi16ElDF16_fDF16_EviiT3_lPKT2_lT1_lS3_lS4_lS0_lPT4_lS4_li.has_recursion, 0
	.set _ZL20rocblas_gemvn_kernelILi64ELi16ElDF16_fDF16_EviiT3_lPKT2_lT1_lS3_lS4_lS0_lPT4_lS4_li.has_indirect_call, 0
	.section	.AMDGPU.csdata,"",@progbits
; Kernel info:
; codeLenInByte = 2988
; TotalNumSgprs: 58
; NumVgprs: 75
; ScratchSize: 0
; MemoryBound: 0
; FloatMode: 240
; IeeeMode: 1
; LDSByteSize: 16384 bytes/workgroup (compile time only)
; SGPRBlocks: 0
; VGPRBlocks: 4
; NumSGPRsForWavesPerEU: 58
; NumVGPRsForWavesPerEU: 75
; NamedBarCnt: 0
; Occupancy: 12
; WaveLimiterHint : 1
; COMPUTE_PGM_RSRC2:SCRATCH_EN: 0
; COMPUTE_PGM_RSRC2:USER_SGPR: 2
; COMPUTE_PGM_RSRC2:TRAP_HANDLER: 0
; COMPUTE_PGM_RSRC2:TGID_X_EN: 1
; COMPUTE_PGM_RSRC2:TGID_Y_EN: 0
; COMPUTE_PGM_RSRC2:TGID_Z_EN: 1
; COMPUTE_PGM_RSRC2:TIDIG_COMP_CNT: 1
	.section	.text._ZL22rocblas_gemvtsm_kernelILb0ELi256EDF16_PKfDF16_EviiT2_lPKT1_lilS5_lilS2_lPT3_lil,"axG",@progbits,_ZL22rocblas_gemvtsm_kernelILb0ELi256EDF16_PKfDF16_EviiT2_lPKT1_lilS5_lilS2_lPT3_lil,comdat
	.globl	_ZL22rocblas_gemvtsm_kernelILb0ELi256EDF16_PKfDF16_EviiT2_lPKT1_lilS5_lilS2_lPT3_lil ; -- Begin function _ZL22rocblas_gemvtsm_kernelILb0ELi256EDF16_PKfDF16_EviiT2_lPKT1_lilS5_lilS2_lPT3_lil
	.p2align	8
	.type	_ZL22rocblas_gemvtsm_kernelILb0ELi256EDF16_PKfDF16_EviiT2_lPKT1_lilS5_lilS2_lPT3_lil,@function
_ZL22rocblas_gemvtsm_kernelILb0ELi256EDF16_PKfDF16_EviiT2_lPKT1_lilS5_lilS2_lPT3_lil: ; @_ZL22rocblas_gemvtsm_kernelILb0ELi256EDF16_PKfDF16_EviiT2_lPKT1_lilS5_lilS2_lPT3_lil
; %bb.0:
	s_clause 0x1
	s_load_b256 s[4:11], s[0:1], 0x8
	s_load_b256 s[12:19], s[0:1], 0x50
	s_bfe_u32 s2, ttmp6, 0x4000c
	s_and_b32 s3, ttmp6, 15
	s_add_co_i32 s2, s2, 1
	s_getreg_b32 s20, hwreg(HW_REG_IB_STS2, 6, 4)
	s_mul_i32 s2, ttmp9, s2
	s_mov_b32 s25, 0
	s_add_co_i32 s3, s3, s2
	s_cmp_eq_u32 s20, 0
	s_cselect_b32 s24, ttmp9, s3
	s_wait_kmcnt 0x0
	s_mul_u64 s[2:3], s[6:7], s[24:25]
	s_delay_alu instid0(SALU_CYCLE_1) | instskip(NEXT) | instid1(SALU_CYCLE_1)
	s_lshl_b64 s[2:3], s[2:3], 2
	s_add_nc_u64 s[2:3], s[4:5], s[2:3]
	s_mul_u64 s[4:5], s[16:17], s[24:25]
	s_load_b32 s26, s[2:3], 0x0
	s_wait_xcnt 0x0
	s_lshl_b64 s[2:3], s[4:5], 2
	s_delay_alu instid0(SALU_CYCLE_1)
	s_add_nc_u64 s[2:3], s[14:15], s[2:3]
	s_load_b32 s23, s[2:3], 0x0
	s_wait_kmcnt 0x0
	s_cmp_eq_f32 s26, 0
	s_cselect_b32 s2, -1, 0
	s_cmp_eq_f32 s23, 1.0
	s_cselect_b32 s3, -1, 0
	s_delay_alu instid0(SALU_CYCLE_1) | instskip(NEXT) | instid1(SALU_CYCLE_1)
	s_and_b32 s2, s2, s3
	s_and_b32 vcc_lo, exec_lo, s2
	s_cbranch_vccnz .LBB394_34
; %bb.1:
	s_clause 0x2
	s_load_b64 s[4:5], s[0:1], 0x80
	s_load_b96 s[20:22], s[0:1], 0x70
	s_load_b64 s[2:3], s[0:1], 0x0
	s_cmp_neq_f32 s26, 0
	s_wait_kmcnt 0x0
	s_mul_u64 s[14:15], s[4:5], s[24:25]
	s_cbranch_scc1 .LBB394_9
; %bb.2:
	s_cmp_gt_i32 s3, 0
	s_cselect_b32 s6, -1, 0
	s_cmp_neq_f32 s23, 0
	v_cndmask_b32_e64 v1, 0, 1, s6
	s_delay_alu instid0(VALU_DEP_1)
	v_cmp_ne_u32_e32 vcc_lo, 1, v1
	s_cbranch_scc1 .LBB394_10
; %bb.3:
	s_and_b32 vcc_lo, exec_lo, vcc_lo
	s_cbranch_vccnz .LBB394_8
; %bb.4:
	v_mov_b32_e32 v1, 0
	s_ashr_i32 s5, s22, 31
	s_mov_b32 s4, s22
	s_lshl_b64 s[16:17], s[20:21], 1
	s_lshl_b64 s[28:29], s[14:15], 1
	v_mul_u64_e32 v[2:3], s[4:5], v[0:1]
	s_add_nc_u64 s[16:17], s[18:19], s[16:17]
	s_lshl_b64 s[4:5], s[4:5], 9
	s_add_nc_u64 s[16:17], s[16:17], s[28:29]
	s_mov_b32 s7, 0
	s_delay_alu instid0(VALU_DEP_1)
	v_lshl_add_u64 v[2:3], v[2:3], 1, s[16:17]
	s_branch .LBB394_6
.LBB394_5:                              ;   in Loop: Header=BB394_6 Depth=1
	s_wait_xcnt 0x0
	s_or_b32 exec_lo, exec_lo, s16
	v_add_nc_u64_e32 v[2:3], s[4:5], v[2:3]
	s_addk_co_i32 s7, 0x100
	s_delay_alu instid0(SALU_CYCLE_1)
	s_cmp_ge_i32 s7, s3
	s_cbranch_scc1 .LBB394_8
.LBB394_6:                              ; =>This Inner Loop Header: Depth=1
	v_add_nc_u32_e32 v4, s7, v0
	s_mov_b32 s16, exec_lo
	s_delay_alu instid0(VALU_DEP_1)
	v_cmpx_gt_i32_e64 s3, v4
	s_cbranch_execz .LBB394_5
; %bb.7:                                ;   in Loop: Header=BB394_6 Depth=1
	global_store_b16 v[2:3], v1, off
	s_branch .LBB394_5
.LBB394_8:
	s_cbranch_execz .LBB394_11
	s_branch .LBB394_16
.LBB394_9:
	s_branch .LBB394_17
.LBB394_10:
.LBB394_11:
	s_and_not1_b32 vcc_lo, exec_lo, s6
	s_cbranch_vccnz .LBB394_16
; %bb.12:
	v_mov_b32_e32 v1, 0
	s_ashr_i32 s5, s22, 31
	s_mov_b32 s4, s22
	s_lshl_b64 s[6:7], s[20:21], 1
	s_lshl_b64 s[16:17], s[14:15], 1
	v_mul_u64_e32 v[2:3], s[4:5], v[0:1]
	s_add_nc_u64 s[6:7], s[18:19], s[6:7]
	s_lshl_b64 s[4:5], s[4:5], 9
	s_add_nc_u64 s[6:7], s[6:7], s[16:17]
	s_delay_alu instid0(VALU_DEP_1) | instid1(SALU_CYCLE_1)
	v_lshl_add_u64 v[2:3], v[2:3], 1, s[6:7]
	s_mov_b32 s6, 0
	s_branch .LBB394_14
.LBB394_13:                             ;   in Loop: Header=BB394_14 Depth=1
	s_wait_xcnt 0x0
	s_or_b32 exec_lo, exec_lo, s7
	v_add_nc_u64_e32 v[2:3], s[4:5], v[2:3]
	s_addk_co_i32 s6, 0x100
	s_delay_alu instid0(SALU_CYCLE_1)
	s_cmp_ge_i32 s6, s3
	s_cbranch_scc1 .LBB394_16
.LBB394_14:                             ; =>This Inner Loop Header: Depth=1
	v_add_nc_u32_e32 v1, s6, v0
	s_mov_b32 s7, exec_lo
	s_delay_alu instid0(VALU_DEP_1)
	v_cmpx_gt_i32_e64 s3, v1
	s_cbranch_execz .LBB394_13
; %bb.15:                               ;   in Loop: Header=BB394_14 Depth=1
	global_load_u16 v1, v[2:3], off
	s_wait_loadcnt 0x0
	v_fma_mixlo_f16 v1, s23, v1, 0 op_sel_hi:[0,1,0]
	global_store_b16 v[2:3], v1, off
	s_branch .LBB394_13
.LBB394_16:
	s_cbranch_execnz .LBB394_34
.LBB394_17:
	s_clause 0x1
	s_load_b128 s[4:7], s[0:1], 0x30
	s_load_b64 s[16:17], s[0:1], 0x40
	s_mov_b32 s27, exec_lo
	v_cmpx_gt_i32_e64 s2, v0
	s_cbranch_execz .LBB394_19
; %bb.18:
	s_load_b32 s28, s[0:1], 0x48
	v_mov_b32_e32 v1, 0
	s_mul_u64 s[12:13], s[12:13], s[24:25]
	s_wait_kmcnt 0x0
	s_lshl_b64 s[16:17], s[16:17], 1
	s_lshl_b64 s[12:13], s[12:13], 1
	s_delay_alu instid0(SALU_CYCLE_1) | instskip(NEXT) | instid1(SALU_CYCLE_1)
	s_add_nc_u64 s[6:7], s[6:7], s[12:13]
	s_add_nc_u64 s[6:7], s[6:7], s[16:17]
	s_ashr_i32 s29, s28, 31
	s_delay_alu instid0(SALU_CYCLE_1) | instskip(NEXT) | instid1(VALU_DEP_1)
	v_mul_u64_e32 v[2:3], s[28:29], v[0:1]
	v_lshl_add_u64 v[2:3], v[2:3], 1, s[6:7]
	global_load_u16 v1, v[2:3], off
	s_wait_xcnt 0x0
	v_lshlrev_b32_e32 v2, 2, v0
	s_wait_loadcnt 0x0
	v_cvt_f32_f16_e32 v1, v1
	s_delay_alu instid0(VALU_DEP_1)
	v_mul_f32_e32 v1, s26, v1
	ds_store_b32 v2, v1
.LBB394_19:
	s_or_b32 exec_lo, exec_lo, s27
	s_cmp_lt_i32 s3, 1
	s_wait_storecnt_dscnt 0x0
	s_barrier_signal -1
	s_barrier_wait -1
	s_cbranch_scc1 .LBB394_34
; %bb.20:
	s_load_b32 s26, s[0:1], 0x28
	v_mov_b32_e32 v3, 0
	s_wait_kmcnt 0x0
	s_lshl_b64 s[6:7], s[14:15], 1
	s_lshl_b64 s[20:21], s[20:21], 1
	s_ashr_i32 s1, s22, 31
	s_mul_u64 s[4:5], s[4:5], s[24:25]
	v_mov_b32_e32 v1, v3
	s_mov_b32 s0, s22
	s_ashr_i32 s27, s26, 31
	s_cmp_neq_f32 s23, 0
	s_delay_alu instid0(VALU_DEP_1)
	v_mul_u64_e32 v[4:5], s[26:27], v[0:1]
	s_cselect_b32 s12, -1, 0
	s_cmp_gt_i32 s2, 0
	s_cselect_b32 s13, -1, 0
	s_and_b32 s14, s2, 7
	s_cmp_gt_u32 s2, 7
	s_cselect_b32 s15, -1, 0
	s_and_b32 s2, s2, 0x7ffffff8
	s_cmp_lg_u32 s14, 0
	s_cselect_b32 s16, -1, 0
	s_lshl_b64 s[10:11], s[10:11], 1
	s_lshl_b64 s[4:5], s[4:5], 1
	s_add_nc_u64 s[8:9], s[8:9], s[10:11]
	s_mov_b32 s10, 0
	s_add_nc_u64 s[4:5], s[8:9], s[4:5]
	s_lshl_b64 s[8:9], s[26:27], 9
	s_delay_alu instid0(VALU_DEP_1) | instskip(SKIP_3) | instid1(VALU_DEP_1)
	v_lshl_add_u64 v[4:5], v[4:5], 1, s[4:5]
	s_add_nc_u64 s[4:5], s[18:19], s[6:7]
	s_mov_b32 s7, 0
	s_add_nc_u64 s[4:5], s[4:5], s[20:21]
	v_add_nc_u64_e32 v[6:7], 14, v[4:5]
	s_branch .LBB394_23
.LBB394_21:                             ;   in Loop: Header=BB394_23 Depth=1
	s_delay_alu instid0(VALU_DEP_1)
	v_cvt_f16_f32_e32 v1, v1
	global_store_b16 v[8:9], v1, off
.LBB394_22:                             ;   in Loop: Header=BB394_23 Depth=1
	s_wait_xcnt 0x0
	s_or_b32 exec_lo, exec_lo, s11
	v_add_nc_u64_e32 v[6:7], s[8:9], v[6:7]
	v_add_nc_u64_e32 v[4:5], s[8:9], v[4:5]
	s_addk_co_i32 s10, 0x100
	s_delay_alu instid0(SALU_CYCLE_1)
	s_cmp_ge_i32 s10, s3
	s_cbranch_scc1 .LBB394_34
.LBB394_23:                             ; =>This Loop Header: Depth=1
                                        ;     Child Loop BB394_29 Depth 2
                                        ;     Child Loop BB394_33 Depth 2
	v_add_nc_u32_e32 v2, s10, v0
	s_mov_b32 s11, exec_lo
	s_delay_alu instid0(VALU_DEP_1)
	v_cmpx_gt_i32_e64 s3, v2
	s_cbranch_execz .LBB394_22
; %bb.24:                               ;   in Loop: Header=BB394_23 Depth=1
	v_mul_u64_e32 v[8:9], s[0:1], v[2:3]
	s_and_not1_b32 vcc_lo, exec_lo, s12
	s_delay_alu instid0(VALU_DEP_1)
	v_lshl_add_u64 v[8:9], v[8:9], 1, s[4:5]
	s_cbranch_vccnz .LBB394_26
; %bb.25:                               ;   in Loop: Header=BB394_23 Depth=1
	global_load_u16 v1, v[8:9], off
	s_wait_loadcnt 0x0
	v_cvt_f32_f16_e32 v1, v1
	s_delay_alu instid0(VALU_DEP_1)
	v_mul_f32_e32 v1, s23, v1
	s_and_not1_b32 vcc_lo, exec_lo, s13
	s_cbranch_vccz .LBB394_27
	s_branch .LBB394_21
.LBB394_26:                             ;   in Loop: Header=BB394_23 Depth=1
	v_mov_b32_e32 v1, 0
	s_and_not1_b32 vcc_lo, exec_lo, s13
	s_cbranch_vccnz .LBB394_21
.LBB394_27:                             ;   in Loop: Header=BB394_23 Depth=1
	s_and_not1_b32 vcc_lo, exec_lo, s15
	s_mov_b32 s17, 0
	s_cbranch_vccnz .LBB394_31
; %bb.28:                               ;   in Loop: Header=BB394_23 Depth=1
	v_mov_b64_e32 v[10:11], v[6:7]
	s_mov_b32 s6, 0
.LBB394_29:                             ;   Parent Loop BB394_23 Depth=1
                                        ; =>  This Inner Loop Header: Depth=2
	global_load_b128 v[12:15], v[10:11], off offset:-14
	v_mov_b32_e32 v2, s6
	s_wait_xcnt 0x0
	v_add_nc_u64_e32 v[10:11], 16, v[10:11]
	s_add_co_i32 s17, s17, 8
	s_add_co_i32 s6, s6, 32
	ds_load_b128 v[16:19], v2
	ds_load_b128 v[20:23], v2 offset:16
	s_cmp_eq_u32 s2, s17
	s_wait_loadcnt_dscnt 0x1
	v_fma_mix_f32 v1, v16, v12, v1 op_sel_hi:[0,1,0]
	s_delay_alu instid0(VALU_DEP_1) | instskip(NEXT) | instid1(VALU_DEP_1)
	v_fma_mix_f32 v1, v17, v12, v1 op_sel:[0,1,0] op_sel_hi:[0,1,0]
	v_fma_mix_f32 v1, v18, v13, v1 op_sel_hi:[0,1,0]
	s_delay_alu instid0(VALU_DEP_1) | instskip(SKIP_1) | instid1(VALU_DEP_1)
	v_fma_mix_f32 v1, v19, v13, v1 op_sel:[0,1,0] op_sel_hi:[0,1,0]
	s_wait_dscnt 0x0
	v_fma_mix_f32 v1, v20, v14, v1 op_sel_hi:[0,1,0]
	s_delay_alu instid0(VALU_DEP_1) | instskip(NEXT) | instid1(VALU_DEP_1)
	v_fma_mix_f32 v1, v21, v14, v1 op_sel:[0,1,0] op_sel_hi:[0,1,0]
	v_fma_mix_f32 v1, v22, v15, v1 op_sel_hi:[0,1,0]
	s_delay_alu instid0(VALU_DEP_1)
	v_fma_mix_f32 v1, v23, v15, v1 op_sel:[0,1,0] op_sel_hi:[0,1,0]
	s_cbranch_scc0 .LBB394_29
; %bb.30:                               ;   in Loop: Header=BB394_23 Depth=1
	s_mov_b32 s17, s2
.LBB394_31:                             ;   in Loop: Header=BB394_23 Depth=1
	s_and_not1_b32 vcc_lo, exec_lo, s16
	s_cbranch_vccnz .LBB394_21
; %bb.32:                               ;   in Loop: Header=BB394_23 Depth=1
	s_lshl_b32 s6, s17, 1
	s_delay_alu instid0(SALU_CYCLE_1)
	v_add_nc_u64_e32 v[10:11], s[6:7], v[4:5]
	s_lshl_b32 s6, s17, 2
	s_mov_b32 s17, s14
.LBB394_33:                             ;   Parent Loop BB394_23 Depth=1
                                        ; =>  This Inner Loop Header: Depth=2
	global_load_u16 v2, v[10:11], off
	v_mov_b32_e32 v12, s6
	s_wait_xcnt 0x0
	v_add_nc_u64_e32 v[10:11], 2, v[10:11]
	s_add_co_i32 s17, s17, -1
	s_add_co_i32 s6, s6, 4
	s_cmp_lg_u32 s17, 0
	ds_load_b32 v12, v12
	s_wait_loadcnt_dscnt 0x0
	v_fma_mix_f32 v1, v12, v2, v1 op_sel_hi:[0,1,0]
	s_cbranch_scc1 .LBB394_33
	s_branch .LBB394_21
.LBB394_34:
	s_endpgm
	.section	.rodata,"a",@progbits
	.p2align	6, 0x0
	.amdhsa_kernel _ZL22rocblas_gemvtsm_kernelILb0ELi256EDF16_PKfDF16_EviiT2_lPKT1_lilS5_lilS2_lPT3_lil
		.amdhsa_group_segment_fixed_size 256
		.amdhsa_private_segment_fixed_size 0
		.amdhsa_kernarg_size 136
		.amdhsa_user_sgpr_count 2
		.amdhsa_user_sgpr_dispatch_ptr 0
		.amdhsa_user_sgpr_queue_ptr 0
		.amdhsa_user_sgpr_kernarg_segment_ptr 1
		.amdhsa_user_sgpr_dispatch_id 0
		.amdhsa_user_sgpr_kernarg_preload_length 0
		.amdhsa_user_sgpr_kernarg_preload_offset 0
		.amdhsa_user_sgpr_private_segment_size 0
		.amdhsa_wavefront_size32 1
		.amdhsa_uses_dynamic_stack 0
		.amdhsa_enable_private_segment 0
		.amdhsa_system_sgpr_workgroup_id_x 1
		.amdhsa_system_sgpr_workgroup_id_y 0
		.amdhsa_system_sgpr_workgroup_id_z 0
		.amdhsa_system_sgpr_workgroup_info 0
		.amdhsa_system_vgpr_workitem_id 0
		.amdhsa_next_free_vgpr 24
		.amdhsa_next_free_sgpr 30
		.amdhsa_named_barrier_count 0
		.amdhsa_reserve_vcc 1
		.amdhsa_float_round_mode_32 0
		.amdhsa_float_round_mode_16_64 0
		.amdhsa_float_denorm_mode_32 3
		.amdhsa_float_denorm_mode_16_64 3
		.amdhsa_fp16_overflow 0
		.amdhsa_memory_ordered 1
		.amdhsa_forward_progress 1
		.amdhsa_inst_pref_size 10
		.amdhsa_round_robin_scheduling 0
		.amdhsa_exception_fp_ieee_invalid_op 0
		.amdhsa_exception_fp_denorm_src 0
		.amdhsa_exception_fp_ieee_div_zero 0
		.amdhsa_exception_fp_ieee_overflow 0
		.amdhsa_exception_fp_ieee_underflow 0
		.amdhsa_exception_fp_ieee_inexact 0
		.amdhsa_exception_int_div_zero 0
	.end_amdhsa_kernel
	.section	.text._ZL22rocblas_gemvtsm_kernelILb0ELi256EDF16_PKfDF16_EviiT2_lPKT1_lilS5_lilS2_lPT3_lil,"axG",@progbits,_ZL22rocblas_gemvtsm_kernelILb0ELi256EDF16_PKfDF16_EviiT2_lPKT1_lilS5_lilS2_lPT3_lil,comdat
.Lfunc_end394:
	.size	_ZL22rocblas_gemvtsm_kernelILb0ELi256EDF16_PKfDF16_EviiT2_lPKT1_lilS5_lilS2_lPT3_lil, .Lfunc_end394-_ZL22rocblas_gemvtsm_kernelILb0ELi256EDF16_PKfDF16_EviiT2_lPKT1_lilS5_lilS2_lPT3_lil
                                        ; -- End function
	.set _ZL22rocblas_gemvtsm_kernelILb0ELi256EDF16_PKfDF16_EviiT2_lPKT1_lilS5_lilS2_lPT3_lil.num_vgpr, 24
	.set _ZL22rocblas_gemvtsm_kernelILb0ELi256EDF16_PKfDF16_EviiT2_lPKT1_lilS5_lilS2_lPT3_lil.num_agpr, 0
	.set _ZL22rocblas_gemvtsm_kernelILb0ELi256EDF16_PKfDF16_EviiT2_lPKT1_lilS5_lilS2_lPT3_lil.numbered_sgpr, 30
	.set _ZL22rocblas_gemvtsm_kernelILb0ELi256EDF16_PKfDF16_EviiT2_lPKT1_lilS5_lilS2_lPT3_lil.num_named_barrier, 0
	.set _ZL22rocblas_gemvtsm_kernelILb0ELi256EDF16_PKfDF16_EviiT2_lPKT1_lilS5_lilS2_lPT3_lil.private_seg_size, 0
	.set _ZL22rocblas_gemvtsm_kernelILb0ELi256EDF16_PKfDF16_EviiT2_lPKT1_lilS5_lilS2_lPT3_lil.uses_vcc, 1
	.set _ZL22rocblas_gemvtsm_kernelILb0ELi256EDF16_PKfDF16_EviiT2_lPKT1_lilS5_lilS2_lPT3_lil.uses_flat_scratch, 0
	.set _ZL22rocblas_gemvtsm_kernelILb0ELi256EDF16_PKfDF16_EviiT2_lPKT1_lilS5_lilS2_lPT3_lil.has_dyn_sized_stack, 0
	.set _ZL22rocblas_gemvtsm_kernelILb0ELi256EDF16_PKfDF16_EviiT2_lPKT1_lilS5_lilS2_lPT3_lil.has_recursion, 0
	.set _ZL22rocblas_gemvtsm_kernelILb0ELi256EDF16_PKfDF16_EviiT2_lPKT1_lilS5_lilS2_lPT3_lil.has_indirect_call, 0
	.section	.AMDGPU.csdata,"",@progbits
; Kernel info:
; codeLenInByte = 1264
; TotalNumSgprs: 32
; NumVgprs: 24
; ScratchSize: 0
; MemoryBound: 0
; FloatMode: 240
; IeeeMode: 1
; LDSByteSize: 256 bytes/workgroup (compile time only)
; SGPRBlocks: 0
; VGPRBlocks: 1
; NumSGPRsForWavesPerEU: 32
; NumVGPRsForWavesPerEU: 24
; NamedBarCnt: 0
; Occupancy: 16
; WaveLimiterHint : 1
; COMPUTE_PGM_RSRC2:SCRATCH_EN: 0
; COMPUTE_PGM_RSRC2:USER_SGPR: 2
; COMPUTE_PGM_RSRC2:TRAP_HANDLER: 0
; COMPUTE_PGM_RSRC2:TGID_X_EN: 1
; COMPUTE_PGM_RSRC2:TGID_Y_EN: 0
; COMPUTE_PGM_RSRC2:TGID_Z_EN: 0
; COMPUTE_PGM_RSRC2:TIDIG_COMP_CNT: 0
	.section	.text._ZL22rocblas_gemvtsm_kernelILb0ELi256EDF16_fDF16_EviiT2_lPKT1_lilS3_lilS0_lPT3_lil,"axG",@progbits,_ZL22rocblas_gemvtsm_kernelILb0ELi256EDF16_fDF16_EviiT2_lPKT1_lilS3_lilS0_lPT3_lil,comdat
	.globl	_ZL22rocblas_gemvtsm_kernelILb0ELi256EDF16_fDF16_EviiT2_lPKT1_lilS3_lilS0_lPT3_lil ; -- Begin function _ZL22rocblas_gemvtsm_kernelILb0ELi256EDF16_fDF16_EviiT2_lPKT1_lilS3_lilS0_lPT3_lil
	.p2align	8
	.type	_ZL22rocblas_gemvtsm_kernelILb0ELi256EDF16_fDF16_EviiT2_lPKT1_lilS3_lilS0_lPT3_lil,@function
_ZL22rocblas_gemvtsm_kernelILb0ELi256EDF16_fDF16_EviiT2_lPKT1_lilS3_lilS0_lPT3_lil: ; @_ZL22rocblas_gemvtsm_kernelILb0ELi256EDF16_fDF16_EviiT2_lPKT1_lilS3_lilS0_lPT3_lil
; %bb.0:
	s_clause 0x1
	s_load_b96 s[12:14], s[0:1], 0x0
	s_load_b32 s15, s[0:1], 0x58
	s_mov_b32 s17, 0
	s_wait_kmcnt 0x0
	s_cmp_eq_f32 s14, 0
	s_cselect_b32 s2, -1, 0
	s_cmp_eq_f32 s15, 1.0
	s_cselect_b32 s3, -1, 0
	s_delay_alu instid0(SALU_CYCLE_1) | instskip(NEXT) | instid1(SALU_CYCLE_1)
	s_and_b32 s2, s2, s3
	s_and_b32 vcc_lo, exec_lo, s2
	s_cbranch_vccnz .LBB395_34
; %bb.1:
	s_clause 0x2
	s_load_b64 s[8:9], s[0:1], 0x80
	s_load_b128 s[4:7], s[0:1], 0x68
	s_load_b32 s2, s[0:1], 0x78
	s_bfe_u32 s3, ttmp6, 0x4000c
	s_and_b32 s10, ttmp6, 15
	s_add_co_i32 s3, s3, 1
	s_getreg_b32 s11, hwreg(HW_REG_IB_STS2, 6, 4)
	s_mul_i32 s3, ttmp9, s3
	s_delay_alu instid0(SALU_CYCLE_1)
	s_add_co_i32 s10, s10, s3
	s_cmp_eq_u32 s11, 0
	s_cselect_b32 s16, ttmp9, s10
	s_cmp_neq_f32 s14, 0
	s_wait_kmcnt 0x0
	s_mul_u64 s[18:19], s[8:9], s[16:17]
	s_cbranch_scc1 .LBB395_9
; %bb.2:
	s_cmp_gt_i32 s13, 0
	s_cselect_b32 s10, -1, 0
	s_cmp_neq_f32 s15, 0
	v_cndmask_b32_e64 v1, 0, 1, s10
	s_delay_alu instid0(VALU_DEP_1)
	v_cmp_ne_u32_e32 vcc_lo, 1, v1
	s_cbranch_scc1 .LBB395_10
; %bb.3:
	s_and_b32 vcc_lo, exec_lo, vcc_lo
	s_cbranch_vccnz .LBB395_8
; %bb.4:
	v_mov_b32_e32 v1, 0
	s_ashr_i32 s3, s2, 31
	s_lshl_b64 s[8:9], s[6:7], 1
	s_lshl_b64 s[20:21], s[18:19], 1
	s_add_nc_u64 s[8:9], s[4:5], s[8:9]
	v_mul_u64_e32 v[2:3], s[2:3], v[0:1]
	s_add_nc_u64 s[8:9], s[8:9], s[20:21]
	s_delay_alu instid0(VALU_DEP_1) | instid1(SALU_CYCLE_1)
	v_lshl_add_u64 v[2:3], v[2:3], 1, s[8:9]
	s_lshl_b64 s[8:9], s[2:3], 9
	s_mov_b32 s3, 0
	s_branch .LBB395_6
.LBB395_5:                              ;   in Loop: Header=BB395_6 Depth=1
	s_wait_xcnt 0x0
	s_or_b32 exec_lo, exec_lo, s11
	v_add_nc_u64_e32 v[2:3], s[8:9], v[2:3]
	s_addk_co_i32 s3, 0x100
	s_delay_alu instid0(SALU_CYCLE_1)
	s_cmp_ge_i32 s3, s13
	s_cbranch_scc1 .LBB395_8
.LBB395_6:                              ; =>This Inner Loop Header: Depth=1
	v_add_nc_u32_e32 v4, s3, v0
	s_mov_b32 s11, exec_lo
	s_delay_alu instid0(VALU_DEP_1)
	v_cmpx_gt_i32_e64 s13, v4
	s_cbranch_execz .LBB395_5
; %bb.7:                                ;   in Loop: Header=BB395_6 Depth=1
	global_store_b16 v[2:3], v1, off
	s_branch .LBB395_5
.LBB395_8:
	s_cbranch_execz .LBB395_11
	s_branch .LBB395_16
.LBB395_9:
	s_branch .LBB395_17
.LBB395_10:
.LBB395_11:
	s_and_not1_b32 vcc_lo, exec_lo, s10
	s_cbranch_vccnz .LBB395_16
; %bb.12:
	v_mov_b32_e32 v1, 0
	s_ashr_i32 s3, s2, 31
	s_lshl_b64 s[8:9], s[6:7], 1
	s_lshl_b64 s[10:11], s[18:19], 1
	s_add_nc_u64 s[8:9], s[4:5], s[8:9]
	v_mul_u64_e32 v[2:3], s[2:3], v[0:1]
	s_add_nc_u64 s[8:9], s[8:9], s[10:11]
	s_delay_alu instid0(VALU_DEP_1) | instid1(SALU_CYCLE_1)
	v_lshl_add_u64 v[2:3], v[2:3], 1, s[8:9]
	s_lshl_b64 s[8:9], s[2:3], 9
	s_mov_b32 s3, 0
	s_branch .LBB395_14
.LBB395_13:                             ;   in Loop: Header=BB395_14 Depth=1
	s_wait_xcnt 0x0
	s_or_b32 exec_lo, exec_lo, s10
	v_add_nc_u64_e32 v[2:3], s[8:9], v[2:3]
	s_addk_co_i32 s3, 0x100
	s_delay_alu instid0(SALU_CYCLE_1)
	s_cmp_ge_i32 s3, s13
	s_cbranch_scc1 .LBB395_16
.LBB395_14:                             ; =>This Inner Loop Header: Depth=1
	v_add_nc_u32_e32 v1, s3, v0
	s_mov_b32 s10, exec_lo
	s_delay_alu instid0(VALU_DEP_1)
	v_cmpx_gt_i32_e64 s13, v1
	s_cbranch_execz .LBB395_13
; %bb.15:                               ;   in Loop: Header=BB395_14 Depth=1
	global_load_u16 v1, v[2:3], off
	s_wait_loadcnt 0x0
	v_fma_mixlo_f16 v1, s15, v1, 0 op_sel_hi:[0,1,0]
	global_store_b16 v[2:3], v1, off
	s_branch .LBB395_13
.LBB395_16:
	s_cbranch_execnz .LBB395_34
.LBB395_17:
	s_clause 0x1
	s_load_b128 s[8:11], s[0:1], 0x30
	s_load_b64 s[20:21], s[0:1], 0x40
	s_mov_b32 s3, exec_lo
	v_cmpx_gt_i32_e64 s12, v0
	s_cbranch_execz .LBB395_19
; %bb.18:
	s_clause 0x1
	s_load_b32 s22, s[0:1], 0x48
	s_load_b64 s[24:25], s[0:1], 0x50
	v_mov_b32_e32 v1, 0
	s_wait_kmcnt 0x0
	s_lshl_b64 s[20:21], s[20:21], 1
	s_ashr_i32 s23, s22, 31
	s_delay_alu instid0(VALU_DEP_1) | instid1(SALU_CYCLE_1)
	v_mul_u64_e32 v[2:3], s[22:23], v[0:1]
	s_mul_u64 s[22:23], s[24:25], s[16:17]
	s_delay_alu instid0(SALU_CYCLE_1) | instskip(NEXT) | instid1(SALU_CYCLE_1)
	s_lshl_b64 s[22:23], s[22:23], 1
	s_add_nc_u64 s[10:11], s[10:11], s[22:23]
	s_delay_alu instid0(SALU_CYCLE_1)
	s_add_nc_u64 s[10:11], s[10:11], s[20:21]
	s_delay_alu instid0(VALU_DEP_1) | instid1(SALU_CYCLE_1)
	v_lshl_add_u64 v[2:3], v[2:3], 1, s[10:11]
	global_load_u16 v1, v[2:3], off
	s_wait_xcnt 0x0
	v_lshlrev_b32_e32 v2, 2, v0
	s_wait_loadcnt 0x0
	v_cvt_f32_f16_e32 v1, v1
	s_delay_alu instid0(VALU_DEP_1)
	v_mul_f32_e32 v1, s14, v1
	ds_store_b32 v2, v1
.LBB395_19:
	s_or_b32 exec_lo, exec_lo, s3
	s_cmp_lt_i32 s13, 1
	s_wait_storecnt_dscnt 0x0
	s_barrier_signal -1
	s_barrier_wait -1
	s_cbranch_scc1 .LBB395_34
; %bb.20:
	s_load_b32 s24, s[0:1], 0x28
	s_wait_kmcnt 0x0
	s_load_b128 s[20:23], s[0:1], 0x18
	v_mov_b32_e32 v3, 0
	s_wait_xcnt 0x0
	s_lshl_b64 s[0:1], s[18:19], 1
	s_lshl_b64 s[6:7], s[6:7], 1
	s_ashr_i32 s3, s2, 31
	s_mul_u64 s[16:17], s[8:9], s[16:17]
	v_mov_b32_e32 v1, v3
	s_add_nc_u64 s[0:1], s[4:5], s[0:1]
	s_mov_b32 s5, 0
	s_add_nc_u64 s[0:1], s[0:1], s[6:7]
	s_mov_b32 s9, 0
	s_ashr_i32 s25, s24, 31
	s_cmp_neq_f32 s15, 0
	v_mul_u64_e32 v[4:5], s[24:25], v[0:1]
	s_cselect_b32 s10, -1, 0
	s_cmp_gt_i32 s12, 0
	s_cselect_b32 s11, -1, 0
	s_and_b32 s14, s12, 7
	s_cmp_gt_u32 s12, 7
	s_cselect_b32 s18, -1, 0
	s_and_b32 s12, s12, 0x7ffffff8
	s_cmp_lg_u32 s14, 0
	s_cselect_b32 s8, -1, 0
	s_wait_kmcnt 0x0
	s_lshl_b64 s[22:23], s[22:23], 1
	s_lshl_b64 s[16:17], s[16:17], 1
	s_add_nc_u64 s[20:21], s[20:21], s[22:23]
	s_lshl_b64 s[6:7], s[24:25], 9
	s_add_nc_u64 s[16:17], s[20:21], s[16:17]
	s_delay_alu instid0(VALU_DEP_1) | instid1(SALU_CYCLE_1)
	v_lshl_add_u64 v[4:5], v[4:5], 1, s[16:17]
	s_delay_alu instid0(VALU_DEP_1)
	v_add_nc_u64_e32 v[6:7], 14, v[4:5]
	s_branch .LBB395_23
.LBB395_21:                             ;   in Loop: Header=BB395_23 Depth=1
	s_delay_alu instid0(VALU_DEP_1)
	v_cvt_f16_f32_e32 v1, v1
	global_store_b16 v[8:9], v1, off
.LBB395_22:                             ;   in Loop: Header=BB395_23 Depth=1
	s_wait_xcnt 0x0
	s_or_b32 exec_lo, exec_lo, s16
	v_add_nc_u64_e32 v[6:7], s[6:7], v[6:7]
	v_add_nc_u64_e32 v[4:5], s[6:7], v[4:5]
	s_addk_co_i32 s9, 0x100
	s_delay_alu instid0(SALU_CYCLE_1)
	s_cmp_ge_i32 s9, s13
	s_cbranch_scc1 .LBB395_34
.LBB395_23:                             ; =>This Loop Header: Depth=1
                                        ;     Child Loop BB395_29 Depth 2
                                        ;     Child Loop BB395_33 Depth 2
	v_add_nc_u32_e32 v2, s9, v0
	s_mov_b32 s16, exec_lo
	s_delay_alu instid0(VALU_DEP_1)
	v_cmpx_gt_i32_e64 s13, v2
	s_cbranch_execz .LBB395_22
; %bb.24:                               ;   in Loop: Header=BB395_23 Depth=1
	v_mul_u64_e32 v[8:9], s[2:3], v[2:3]
	s_and_not1_b32 vcc_lo, exec_lo, s10
	s_delay_alu instid0(VALU_DEP_1)
	v_lshl_add_u64 v[8:9], v[8:9], 1, s[0:1]
	s_cbranch_vccnz .LBB395_26
; %bb.25:                               ;   in Loop: Header=BB395_23 Depth=1
	global_load_u16 v1, v[8:9], off
	s_wait_loadcnt 0x0
	v_cvt_f32_f16_e32 v1, v1
	s_delay_alu instid0(VALU_DEP_1)
	v_mul_f32_e32 v1, s15, v1
	s_and_not1_b32 vcc_lo, exec_lo, s11
	s_cbranch_vccz .LBB395_27
	s_branch .LBB395_21
.LBB395_26:                             ;   in Loop: Header=BB395_23 Depth=1
	v_mov_b32_e32 v1, 0
	s_and_not1_b32 vcc_lo, exec_lo, s11
	s_cbranch_vccnz .LBB395_21
.LBB395_27:                             ;   in Loop: Header=BB395_23 Depth=1
	s_and_not1_b32 vcc_lo, exec_lo, s18
	s_mov_b32 s17, 0
	s_cbranch_vccnz .LBB395_31
; %bb.28:                               ;   in Loop: Header=BB395_23 Depth=1
	v_mov_b64_e32 v[10:11], v[6:7]
	s_mov_b32 s4, 0
.LBB395_29:                             ;   Parent Loop BB395_23 Depth=1
                                        ; =>  This Inner Loop Header: Depth=2
	global_load_b128 v[12:15], v[10:11], off offset:-14
	v_mov_b32_e32 v2, s4
	s_wait_xcnt 0x0
	v_add_nc_u64_e32 v[10:11], 16, v[10:11]
	s_add_co_i32 s17, s17, 8
	s_add_co_i32 s4, s4, 32
	ds_load_b128 v[16:19], v2
	ds_load_b128 v[20:23], v2 offset:16
	s_cmp_eq_u32 s12, s17
	s_wait_loadcnt_dscnt 0x1
	v_fma_mix_f32 v1, v16, v12, v1 op_sel_hi:[0,1,0]
	s_delay_alu instid0(VALU_DEP_1) | instskip(NEXT) | instid1(VALU_DEP_1)
	v_fma_mix_f32 v1, v17, v12, v1 op_sel:[0,1,0] op_sel_hi:[0,1,0]
	v_fma_mix_f32 v1, v18, v13, v1 op_sel_hi:[0,1,0]
	s_delay_alu instid0(VALU_DEP_1) | instskip(SKIP_1) | instid1(VALU_DEP_1)
	v_fma_mix_f32 v1, v19, v13, v1 op_sel:[0,1,0] op_sel_hi:[0,1,0]
	s_wait_dscnt 0x0
	v_fma_mix_f32 v1, v20, v14, v1 op_sel_hi:[0,1,0]
	s_delay_alu instid0(VALU_DEP_1) | instskip(NEXT) | instid1(VALU_DEP_1)
	v_fma_mix_f32 v1, v21, v14, v1 op_sel:[0,1,0] op_sel_hi:[0,1,0]
	v_fma_mix_f32 v1, v22, v15, v1 op_sel_hi:[0,1,0]
	s_delay_alu instid0(VALU_DEP_1)
	v_fma_mix_f32 v1, v23, v15, v1 op_sel:[0,1,0] op_sel_hi:[0,1,0]
	s_cbranch_scc0 .LBB395_29
; %bb.30:                               ;   in Loop: Header=BB395_23 Depth=1
	s_mov_b32 s17, s12
.LBB395_31:                             ;   in Loop: Header=BB395_23 Depth=1
	s_and_not1_b32 vcc_lo, exec_lo, s8
	s_cbranch_vccnz .LBB395_21
; %bb.32:                               ;   in Loop: Header=BB395_23 Depth=1
	s_lshl_b32 s4, s17, 1
	s_delay_alu instid0(SALU_CYCLE_1)
	v_add_nc_u64_e32 v[10:11], s[4:5], v[4:5]
	s_lshl_b32 s4, s17, 2
	s_mov_b32 s17, s14
.LBB395_33:                             ;   Parent Loop BB395_23 Depth=1
                                        ; =>  This Inner Loop Header: Depth=2
	global_load_u16 v2, v[10:11], off
	v_mov_b32_e32 v12, s4
	s_wait_xcnt 0x0
	v_add_nc_u64_e32 v[10:11], 2, v[10:11]
	s_add_co_i32 s17, s17, -1
	s_add_co_i32 s4, s4, 4
	s_cmp_lg_u32 s17, 0
	ds_load_b32 v12, v12
	s_wait_loadcnt_dscnt 0x0
	v_fma_mix_f32 v1, v12, v2, v1 op_sel_hi:[0,1,0]
	s_cbranch_scc1 .LBB395_33
	s_branch .LBB395_21
.LBB395_34:
	s_endpgm
	.section	.rodata,"a",@progbits
	.p2align	6, 0x0
	.amdhsa_kernel _ZL22rocblas_gemvtsm_kernelILb0ELi256EDF16_fDF16_EviiT2_lPKT1_lilS3_lilS0_lPT3_lil
		.amdhsa_group_segment_fixed_size 256
		.amdhsa_private_segment_fixed_size 0
		.amdhsa_kernarg_size 136
		.amdhsa_user_sgpr_count 2
		.amdhsa_user_sgpr_dispatch_ptr 0
		.amdhsa_user_sgpr_queue_ptr 0
		.amdhsa_user_sgpr_kernarg_segment_ptr 1
		.amdhsa_user_sgpr_dispatch_id 0
		.amdhsa_user_sgpr_kernarg_preload_length 0
		.amdhsa_user_sgpr_kernarg_preload_offset 0
		.amdhsa_user_sgpr_private_segment_size 0
		.amdhsa_wavefront_size32 1
		.amdhsa_uses_dynamic_stack 0
		.amdhsa_enable_private_segment 0
		.amdhsa_system_sgpr_workgroup_id_x 1
		.amdhsa_system_sgpr_workgroup_id_y 0
		.amdhsa_system_sgpr_workgroup_id_z 0
		.amdhsa_system_sgpr_workgroup_info 0
		.amdhsa_system_vgpr_workitem_id 0
		.amdhsa_next_free_vgpr 24
		.amdhsa_next_free_sgpr 26
		.amdhsa_named_barrier_count 0
		.amdhsa_reserve_vcc 1
		.amdhsa_float_round_mode_32 0
		.amdhsa_float_round_mode_16_64 0
		.amdhsa_float_denorm_mode_32 3
		.amdhsa_float_denorm_mode_16_64 3
		.amdhsa_fp16_overflow 0
		.amdhsa_memory_ordered 1
		.amdhsa_forward_progress 1
		.amdhsa_inst_pref_size 10
		.amdhsa_round_robin_scheduling 0
		.amdhsa_exception_fp_ieee_invalid_op 0
		.amdhsa_exception_fp_denorm_src 0
		.amdhsa_exception_fp_ieee_div_zero 0
		.amdhsa_exception_fp_ieee_overflow 0
		.amdhsa_exception_fp_ieee_underflow 0
		.amdhsa_exception_fp_ieee_inexact 0
		.amdhsa_exception_int_div_zero 0
	.end_amdhsa_kernel
	.section	.text._ZL22rocblas_gemvtsm_kernelILb0ELi256EDF16_fDF16_EviiT2_lPKT1_lilS3_lilS0_lPT3_lil,"axG",@progbits,_ZL22rocblas_gemvtsm_kernelILb0ELi256EDF16_fDF16_EviiT2_lPKT1_lilS3_lilS0_lPT3_lil,comdat
.Lfunc_end395:
	.size	_ZL22rocblas_gemvtsm_kernelILb0ELi256EDF16_fDF16_EviiT2_lPKT1_lilS3_lilS0_lPT3_lil, .Lfunc_end395-_ZL22rocblas_gemvtsm_kernelILb0ELi256EDF16_fDF16_EviiT2_lPKT1_lilS3_lilS0_lPT3_lil
                                        ; -- End function
	.set _ZL22rocblas_gemvtsm_kernelILb0ELi256EDF16_fDF16_EviiT2_lPKT1_lilS3_lilS0_lPT3_lil.num_vgpr, 24
	.set _ZL22rocblas_gemvtsm_kernelILb0ELi256EDF16_fDF16_EviiT2_lPKT1_lilS3_lilS0_lPT3_lil.num_agpr, 0
	.set _ZL22rocblas_gemvtsm_kernelILb0ELi256EDF16_fDF16_EviiT2_lPKT1_lilS3_lilS0_lPT3_lil.numbered_sgpr, 26
	.set _ZL22rocblas_gemvtsm_kernelILb0ELi256EDF16_fDF16_EviiT2_lPKT1_lilS3_lilS0_lPT3_lil.num_named_barrier, 0
	.set _ZL22rocblas_gemvtsm_kernelILb0ELi256EDF16_fDF16_EviiT2_lPKT1_lilS3_lilS0_lPT3_lil.private_seg_size, 0
	.set _ZL22rocblas_gemvtsm_kernelILb0ELi256EDF16_fDF16_EviiT2_lPKT1_lilS3_lilS0_lPT3_lil.uses_vcc, 1
	.set _ZL22rocblas_gemvtsm_kernelILb0ELi256EDF16_fDF16_EviiT2_lPKT1_lilS3_lilS0_lPT3_lil.uses_flat_scratch, 0
	.set _ZL22rocblas_gemvtsm_kernelILb0ELi256EDF16_fDF16_EviiT2_lPKT1_lilS3_lilS0_lPT3_lil.has_dyn_sized_stack, 0
	.set _ZL22rocblas_gemvtsm_kernelILb0ELi256EDF16_fDF16_EviiT2_lPKT1_lilS3_lilS0_lPT3_lil.has_recursion, 0
	.set _ZL22rocblas_gemvtsm_kernelILb0ELi256EDF16_fDF16_EviiT2_lPKT1_lilS3_lilS0_lPT3_lil.has_indirect_call, 0
	.section	.AMDGPU.csdata,"",@progbits
; Kernel info:
; codeLenInByte = 1236
; TotalNumSgprs: 28
; NumVgprs: 24
; ScratchSize: 0
; MemoryBound: 0
; FloatMode: 240
; IeeeMode: 1
; LDSByteSize: 256 bytes/workgroup (compile time only)
; SGPRBlocks: 0
; VGPRBlocks: 1
; NumSGPRsForWavesPerEU: 28
; NumVGPRsForWavesPerEU: 24
; NamedBarCnt: 0
; Occupancy: 16
; WaveLimiterHint : 1
; COMPUTE_PGM_RSRC2:SCRATCH_EN: 0
; COMPUTE_PGM_RSRC2:USER_SGPR: 2
; COMPUTE_PGM_RSRC2:TRAP_HANDLER: 0
; COMPUTE_PGM_RSRC2:TGID_X_EN: 1
; COMPUTE_PGM_RSRC2:TGID_Y_EN: 0
; COMPUTE_PGM_RSRC2:TGID_Z_EN: 0
; COMPUTE_PGM_RSRC2:TIDIG_COMP_CNT: 0
	.section	.text._ZL23rocblas_gemvt_sn_kernelILb0ELi256ELi4EiDF16_PKffEviiT4_lPKT3_lilS5_lilPT5_i,"axG",@progbits,_ZL23rocblas_gemvt_sn_kernelILb0ELi256ELi4EiDF16_PKffEviiT4_lPKT3_lilS5_lilPT5_i,comdat
	.globl	_ZL23rocblas_gemvt_sn_kernelILb0ELi256ELi4EiDF16_PKffEviiT4_lPKT3_lilS5_lilPT5_i ; -- Begin function _ZL23rocblas_gemvt_sn_kernelILb0ELi256ELi4EiDF16_PKffEviiT4_lPKT3_lilS5_lilPT5_i
	.p2align	8
	.type	_ZL23rocblas_gemvt_sn_kernelILb0ELi256ELi4EiDF16_PKffEviiT4_lPKT3_lilS5_lilPT5_i,@function
_ZL23rocblas_gemvt_sn_kernelILb0ELi256ELi4EiDF16_PKffEviiT4_lPKT3_lilS5_lilPT5_i: ; @_ZL23rocblas_gemvt_sn_kernelILb0ELi256ELi4EiDF16_PKffEviiT4_lPKT3_lilS5_lilPT5_i
; %bb.0:
	s_load_b32 s11, s[0:1], 0x60
	s_bfe_u32 s2, ttmp6, 0x40014
	s_lshr_b32 s3, ttmp7, 16
	s_add_co_i32 s2, s2, 1
	s_bfe_u32 s5, ttmp6, 0x40008
	s_mul_i32 s2, s3, s2
	s_getreg_b32 s4, hwreg(HW_REG_IB_STS2, 6, 4)
	s_add_co_i32 s5, s5, s2
	s_cmp_eq_u32 s4, 0
	s_mov_b32 s31, 0
	s_cselect_b32 s28, s3, s5
	s_wait_kmcnt 0x0
	s_cmp_ge_u32 s28, s11
	s_cbranch_scc1 .LBB396_88
; %bb.1:
	s_clause 0x6
	s_load_b96 s[8:10], s[0:1], 0x40
	s_load_b256 s[12:19], s[0:1], 0x8
	s_load_b64 s[34:35], s[0:1], 0x0
	s_load_b32 s36, s[0:1], 0x28
	s_load_b128 s[20:23], s[0:1], 0x30
	s_load_b128 s[24:27], s[0:1], 0x50
	s_load_b32 s38, s[0:1], 0x68
	s_wait_xcnt 0x0
	v_cmp_eq_u32_e64 s0, 0, v0
	v_dual_lshrrev_b32 v2, 3, v0 :: v_dual_bitop2_b32 v1, 31, v0 bitop3:0x40
	v_cmp_gt_u32_e64 s1, 32, v0
	v_cmp_gt_u32_e64 s2, 8, v0
	v_mbcnt_lo_u32_b32 v38, -1, 0
	s_delay_alu instid0(VALU_DEP_4)
	v_cmp_eq_u32_e64 s3, 0, v1
	v_dual_lshlrev_b32 v36, 2, v1 :: v_dual_bitop2_b32 v37, 28, v2 bitop3:0x40
	v_mov_b64_e32 v[18:19], 0
	s_mov_b32 s39, s31
	s_mov_b32 s41, s31
	v_lshl_or_b32 v39, v38, 2, 64
	s_wait_kmcnt 0x0
	s_lshl_b64 s[6:7], s[8:9], 1
	s_lshl_b64 s[8:9], s[18:19], 1
	s_ashr_i32 s47, s35, 31
	s_cmp_gt_i32 s35, 0
	s_add_nc_u64 s[18:19], s[22:23], s[6:7]
	s_cselect_b32 s5, -1, 0
	s_bfe_u32 s29, ttmp6, 0x4000c
	s_and_b32 s6, ttmp6, 15
	s_add_co_i32 s29, s29, 1
	s_and_b32 s33, s0, s5
	s_mul_i32 s7, ttmp9, s29
	s_mov_b32 s46, s35
	s_add_co_i32 s6, s6, s7
	s_cmp_eq_u32 s4, 0
	s_add_nc_u64 s[4:5], s[16:17], s[8:9]
	s_cselect_b32 s40, ttmp9, s6
	s_ashr_i32 s7, s34, 31
	s_lshl_b32 s6, s40, 10
	s_lshr_b32 s7, s7, 30
	v_lshl_or_b32 v0, v0, 2, s6
	s_lshr_b32 s6, s47, 30
	s_add_co_i32 s7, s34, s7
	s_add_co_i32 s6, s35, s6
	s_and_b32 s7, s7, -4
	v_mul_lo_u32 v8, s10, v0
	s_and_b32 s70, s6, -4
	s_sub_co_i32 s71, s34, s7
	s_cmp_gt_i32 s70, 0
	v_dual_ashrrev_i32 v1, 31, v0 :: v_dual_add_nc_u32 v2, 4, v0
	s_cselect_b32 s72, -1, 0
	s_cmp_gt_i32 s71, 0
	s_mul_u64 s[16:17], s[46:47], s[38:39]
	s_cselect_b32 s73, -1, 0
	s_cmp_gt_u32 s35, 1
	s_delay_alu instid0(VALU_DEP_2) | instskip(SKIP_3) | instid1(VALU_DEP_2)
	v_dual_add_nc_u32 v10, s10, v8 :: v_dual_ashrrev_i32 v9, 31, v8
	v_add_nc_u32_e32 v3, s71, v0
	s_cselect_b32 s6, -1, 0
	s_cmp_eq_u32 s38, 1
	v_add_nc_u32_e32 v14, s10, v10
	s_cselect_b32 s7, -1, 0
	v_lshl_add_u64 v[12:13], v[0:1], 1, s[4:5]
	v_cmp_ge_i32_e64 s4, s34, v2
	v_cmp_ge_i32_e64 s5, s34, v3
	v_dual_add_nc_u32 v16, s10, v14 :: v_dual_ashrrev_i32 v15, 31, v14
	s_and_b32 s34, s35, 0x7ffffffe
	s_and_b32 s74, s6, s7
	s_cmp_lg_u32 s35, s34
	s_delay_alu instid0(VALU_DEP_1)
	v_dual_ashrrev_i32 v11, 31, v10 :: v_dual_ashrrev_i32 v17, 31, v16
	s_cselect_b32 s75, -1, 0
	s_lshl_b32 s30, s36, 1
	v_mov_b32_e32 v0, 0
	s_lshl_b64 s[22:23], s[40:41], 2
	s_mov_b64 s[52:53], s[30:31]
	s_mul_i32 s30, s36, 3
	s_add_nc_u64 s[42:43], s[26:27], s[22:23]
	s_lshl_b64 s[44:45], s[16:17], 2
	s_lshl_b64 s[46:47], s[46:47], 2
	;; [unrolled: 1-line block ×3, first 2 shown]
	s_mov_b32 s37, s31
	s_lshl_b32 s50, s36, 2
	s_mov_b32 s51, s31
	s_mov_b64 s[54:55], s[30:31]
	s_lshl_b64 s[56:57], s[20:21], 1
	s_branch .LBB396_3
.LBB396_2:                              ;   in Loop: Header=BB396_3 Depth=1
	s_add_co_i32 s28, s28, 0x10000
	s_delay_alu instid0(SALU_CYCLE_1)
	s_cmp_lt_u32 s28, s11
	s_cbranch_scc0 .LBB396_88
.LBB396_3:                              ; =>This Loop Header: Depth=1
                                        ;     Child Loop BB396_7 Depth 2
                                        ;     Child Loop BB396_11 Depth 2
	;; [unrolled: 1-line block ×3, first 2 shown]
                                        ;       Child Loop BB396_48 Depth 3
                                        ;       Child Loop BB396_51 Depth 3
                                        ;     Child Loop BB396_67 Depth 2
                                        ;       Child Loop BB396_80 Depth 3
                                        ;       Child Loop BB396_83 Depth 3
	s_mov_b32 s29, s31
	s_delay_alu instid0(SALU_CYCLE_1) | instskip(NEXT) | instid1(SALU_CYCLE_1)
	s_mul_u64 s[6:7], s[14:15], s[28:29]
	s_lshl_b64 s[6:7], s[6:7], 2
	s_delay_alu instid0(SALU_CYCLE_1)
	s_add_nc_u64 s[6:7], s[12:13], s[6:7]
	global_load_b32 v40, v0, s[6:7]
	s_wait_xcnt 0x0
	s_mov_b32 s6, -1
	s_wait_loadcnt 0x0
	v_cmp_neq_f32_e32 vcc_lo, 0, v40
	s_cbranch_vccnz .LBB396_13
; %bb.4:                                ;   in Loop: Header=BB396_3 Depth=1
	s_and_saveexec_b32 s8, s33
	s_cbranch_execz .LBB396_12
; %bb.5:                                ;   in Loop: Header=BB396_3 Depth=1
	s_and_not1_b32 vcc_lo, exec_lo, s74
	s_cbranch_vccnz .LBB396_9
; %bb.6:                                ;   in Loop: Header=BB396_3 Depth=1
	s_mul_u64 s[6:7], s[44:45], s[28:29]
	s_mov_b32 s9, s34
	s_add_nc_u64 s[6:7], s[42:43], s[6:7]
.LBB396_7:                              ;   Parent Loop BB396_3 Depth=1
                                        ; =>  This Inner Loop Header: Depth=2
	s_add_co_i32 s9, s9, -2
	global_store_b64 v0, v[18:19], s[6:7]
	s_wait_xcnt 0x0
	s_add_nc_u64 s[6:7], s[6:7], 8
	s_mov_b32 s30, s34
	s_cmp_lg_u32 s9, 0
	s_mov_b32 s41, s75
	s_cbranch_scc1 .LBB396_7
; %bb.8:                                ;   in Loop: Header=BB396_3 Depth=1
	s_and_b32 vcc_lo, exec_lo, s41
	s_cbranch_vccnz .LBB396_10
	s_branch .LBB396_12
.LBB396_9:                              ;   in Loop: Header=BB396_3 Depth=1
	s_mov_b32 s30, 0
	s_cbranch_execz .LBB396_12
.LBB396_10:                             ;   in Loop: Header=BB396_3 Depth=1
	s_mul_u64 s[6:7], s[46:47], s[28:29]
	s_lshl_b64 s[58:59], s[30:31], 2
	s_sub_co_i32 s9, s35, s30
	s_add_nc_u64 s[6:7], s[6:7], s[58:59]
	s_delay_alu instid0(SALU_CYCLE_1) | instskip(NEXT) | instid1(SALU_CYCLE_1)
	s_mul_u64 s[6:7], s[38:39], s[6:7]
	s_add_nc_u64 s[6:7], s[42:43], s[6:7]
.LBB396_11:                             ;   Parent Loop BB396_3 Depth=1
                                        ; =>  This Inner Loop Header: Depth=2
	s_add_co_i32 s9, s9, -1
	global_store_b32 v0, v0, s[6:7]
	s_cmp_eq_u32 s9, 0
	s_wait_xcnt 0x0
	s_add_nc_u64 s[6:7], s[6:7], s[48:49]
	s_cbranch_scc0 .LBB396_11
.LBB396_12:                             ;   in Loop: Header=BB396_3 Depth=1
	s_or_b32 exec_lo, exec_lo, s8
	s_mov_b32 s6, 0
.LBB396_13:                             ;   in Loop: Header=BB396_3 Depth=1
	s_delay_alu instid0(SALU_CYCLE_1)
	s_and_not1_b32 vcc_lo, exec_lo, s6
	s_cbranch_vccnz .LBB396_2
; %bb.14:                               ;   in Loop: Header=BB396_3 Depth=1
	s_mul_u64 s[6:7], s[24:25], s[28:29]
	s_mul_u64 s[8:9], s[56:57], s[28:29]
	s_lshl_b64 s[6:7], s[6:7], 1
	s_mul_u64 s[60:61], s[20:21], s[28:29]
	s_add_nc_u64 s[58:59], s[18:19], s[6:7]
	v_add_nc_u64_e32 v[30:31], s[8:9], v[12:13]
	s_mul_u64 s[62:63], s[16:17], s[28:29]
	v_lshl_add_u64 v[20:21], s[60:61], 1, v[12:13]
	v_lshl_add_u64 v[22:23], v[8:9], 1, s[58:59]
	;; [unrolled: 1-line block ×5, first 2 shown]
	v_cmp_gt_u32_e64 s9, 24, v38
	v_cmp_gt_u32_e64 s8, 28, v38
	;; [unrolled: 1-line block ×3, first 2 shown]
	v_cmp_ne_u32_e64 s6, 31, v38
	s_lshl_b64 s[60:61], s[62:63], 2
	s_and_not1_b32 vcc_lo, exec_lo, s72
	s_add_nc_u64 s[60:61], s[26:27], s[60:61]
	s_cbranch_vccnz .LBB396_63
; %bb.15:                               ;   in Loop: Header=BB396_3 Depth=1
	v_cndmask_b32_e64 v1, 0, 8, s9
	v_cndmask_b32_e64 v4, 0, 4, s8
	;; [unrolled: 1-line block ×3, first 2 shown]
	s_wait_dscnt 0x0
	v_add_co_ci_u32_e64 v6, null, 0, v38, s6
	v_add_lshl_u32 v41, v1, v38, 2
	v_dual_mov_b32 v1, v0 :: v_dual_mov_b32 v2, v0
	s_delay_alu instid0(VALU_DEP_3) | instskip(SKIP_3) | instid1(VALU_DEP_3)
	v_dual_mov_b32 v3, v0 :: v_dual_lshlrev_b32 v44, 2, v6
	v_add_lshl_u32 v42, v4, v38, 2
	v_add_lshl_u32 v43, v5, v38, 2
	s_mov_b32 s62, 0
	v_mov_b64_e32 v[4:5], v[2:3]
	v_mov_b64_e32 v[2:3], v[0:1]
	s_mov_b64 s[8:9], s[54:55]
	s_mov_b64 s[64:65], s[52:53]
	;; [unrolled: 1-line block ×3, first 2 shown]
	s_mov_b32 s30, s62
	s_branch .LBB396_17
.LBB396_16:                             ;   in Loop: Header=BB396_17 Depth=2
	s_wait_xcnt 0x0
	s_or_b32 exec_lo, exec_lo, s6
	s_add_co_i32 s30, s30, 4
	s_add_co_i32 s62, s62, s50
	s_add_nc_u64 s[66:67], s[66:67], s[50:51]
	s_add_nc_u64 s[64:65], s[64:65], s[50:51]
	s_cmp_ge_i32 s30, s70
	s_add_nc_u64 s[8:9], s[8:9], s[50:51]
	s_cbranch_scc1 .LBB396_64
.LBB396_17:                             ;   Parent Loop BB396_3 Depth=1
                                        ; =>  This Loop Header: Depth=2
                                        ;       Child Loop BB396_48 Depth 3
                                        ;       Child Loop BB396_51 Depth 3
                                        ; implicit-def: $vgpr7
                                        ; implicit-def: $vgpr33
	s_and_saveexec_b32 s6, s4
	s_delay_alu instid0(SALU_CYCLE_1)
	s_xor_b32 s6, exec_lo, s6
	s_cbranch_execnz .LBB396_44
; %bb.18:                               ;   in Loop: Header=BB396_17 Depth=2
	s_and_not1_saveexec_b32 s29, s6
	s_cbranch_execnz .LBB396_45
.LBB396_19:                             ;   in Loop: Header=BB396_17 Depth=2
	s_or_b32 exec_lo, exec_lo, s29
	s_and_saveexec_b32 s6, s1
.LBB396_20:                             ;   in Loop: Header=BB396_17 Depth=2
	ds_store_b32 v36, v0
.LBB396_21:                             ;   in Loop: Header=BB396_17 Depth=2
	s_or_b32 exec_lo, exec_lo, s6
	ds_bpermute_b32 v1, v39, v32
	s_wait_storecnt_dscnt 0x0
	s_barrier_signal -1
	s_barrier_wait -1
	v_add_f32_e32 v1, v32, v1
	ds_bpermute_b32 v32, v41, v1
	s_wait_dscnt 0x0
	v_add_f32_e32 v1, v1, v32
	ds_bpermute_b32 v32, v42, v1
	s_wait_dscnt 0x0
	;; [unrolled: 3-line block ×3, first 2 shown]
	v_add_f32_e32 v1, v1, v32
	ds_bpermute_b32 v32, v44, v1
	s_and_saveexec_b32 s6, s3
	s_cbranch_execz .LBB396_23
; %bb.22:                               ;   in Loop: Header=BB396_17 Depth=2
	s_wait_dscnt 0x0
	v_add_f32_e32 v1, v1, v32
	ds_store_b32 v37, v1
.LBB396_23:                             ;   in Loop: Header=BB396_17 Depth=2
	s_or_b32 exec_lo, exec_lo, s6
	v_mov_b32_e32 v1, 0
	s_wait_dscnt 0x0
	s_barrier_signal -1
	s_barrier_wait -1
	s_and_saveexec_b32 s6, s2
	s_cbranch_execnz .LBB396_52
; %bb.24:                               ;   in Loop: Header=BB396_17 Depth=2
	s_or_b32 exec_lo, exec_lo, s6
	s_and_saveexec_b32 s6, s1
	s_cbranch_execnz .LBB396_53
.LBB396_25:                             ;   in Loop: Header=BB396_17 Depth=2
	s_or_b32 exec_lo, exec_lo, s6
	s_and_saveexec_b32 s6, s1
.LBB396_26:                             ;   in Loop: Header=BB396_17 Depth=2
	ds_store_b32 v36, v0
.LBB396_27:                             ;   in Loop: Header=BB396_17 Depth=2
	s_or_b32 exec_lo, exec_lo, s6
	ds_bpermute_b32 v32, v39, v33
	s_wait_dscnt 0x0
	s_barrier_signal -1
	s_barrier_wait -1
	v_add_f32_e32 v32, v33, v32
	ds_bpermute_b32 v33, v41, v32
	s_wait_dscnt 0x0
	v_add_f32_e32 v32, v32, v33
	ds_bpermute_b32 v33, v42, v32
	s_wait_dscnt 0x0
	;; [unrolled: 3-line block ×3, first 2 shown]
	v_add_f32_e32 v32, v32, v33
	ds_bpermute_b32 v33, v44, v32
	s_and_saveexec_b32 s6, s3
	s_cbranch_execz .LBB396_29
; %bb.28:                               ;   in Loop: Header=BB396_17 Depth=2
	s_wait_dscnt 0x0
	v_add_f32_e32 v32, v32, v33
	ds_store_b32 v37, v32
.LBB396_29:                             ;   in Loop: Header=BB396_17 Depth=2
	s_or_b32 exec_lo, exec_lo, s6
	v_mov_b32_e32 v32, 0
	s_wait_dscnt 0x0
	s_barrier_signal -1
	s_barrier_wait -1
	s_and_saveexec_b32 s6, s2
	s_cbranch_execnz .LBB396_54
; %bb.30:                               ;   in Loop: Header=BB396_17 Depth=2
	s_or_b32 exec_lo, exec_lo, s6
	s_and_saveexec_b32 s6, s1
	s_cbranch_execnz .LBB396_55
.LBB396_31:                             ;   in Loop: Header=BB396_17 Depth=2
	s_or_b32 exec_lo, exec_lo, s6
	s_and_saveexec_b32 s6, s1
.LBB396_32:                             ;   in Loop: Header=BB396_17 Depth=2
	ds_store_b32 v36, v0
.LBB396_33:                             ;   in Loop: Header=BB396_17 Depth=2
	s_or_b32 exec_lo, exec_lo, s6
	ds_bpermute_b32 v33, v39, v6
	s_wait_dscnt 0x0
	s_barrier_signal -1
	s_barrier_wait -1
	v_add_f32_e32 v6, v6, v33
	ds_bpermute_b32 v33, v41, v6
	s_wait_dscnt 0x0
	v_add_f32_e32 v6, v6, v33
	ds_bpermute_b32 v33, v42, v6
	s_wait_dscnt 0x0
	;; [unrolled: 3-line block ×3, first 2 shown]
	v_add_f32_e32 v6, v6, v33
	ds_bpermute_b32 v33, v44, v6
	s_and_saveexec_b32 s6, s3
	s_cbranch_execz .LBB396_35
; %bb.34:                               ;   in Loop: Header=BB396_17 Depth=2
	s_wait_dscnt 0x0
	v_add_f32_e32 v6, v6, v33
	ds_store_b32 v37, v6
.LBB396_35:                             ;   in Loop: Header=BB396_17 Depth=2
	s_or_b32 exec_lo, exec_lo, s6
	v_mov_b32_e32 v6, 0
	s_wait_dscnt 0x0
	s_barrier_signal -1
	s_barrier_wait -1
	s_and_saveexec_b32 s6, s2
	s_cbranch_execnz .LBB396_56
; %bb.36:                               ;   in Loop: Header=BB396_17 Depth=2
	s_or_b32 exec_lo, exec_lo, s6
	s_and_saveexec_b32 s6, s1
	s_cbranch_execnz .LBB396_57
.LBB396_37:                             ;   in Loop: Header=BB396_17 Depth=2
	s_or_b32 exec_lo, exec_lo, s6
	s_and_saveexec_b32 s6, s1
.LBB396_38:                             ;   in Loop: Header=BB396_17 Depth=2
	ds_store_b32 v36, v0
.LBB396_39:                             ;   in Loop: Header=BB396_17 Depth=2
	s_or_b32 exec_lo, exec_lo, s6
	ds_bpermute_b32 v33, v39, v7
	s_wait_dscnt 0x0
	s_barrier_signal -1
	s_barrier_wait -1
	v_add_f32_e32 v7, v7, v33
	ds_bpermute_b32 v33, v41, v7
	s_wait_dscnt 0x0
	v_add_f32_e32 v7, v7, v33
	ds_bpermute_b32 v33, v42, v7
	s_wait_dscnt 0x0
	;; [unrolled: 3-line block ×3, first 2 shown]
	v_add_f32_e32 v7, v7, v33
	ds_bpermute_b32 v33, v44, v7
	s_and_saveexec_b32 s6, s3
	s_cbranch_execz .LBB396_41
; %bb.40:                               ;   in Loop: Header=BB396_17 Depth=2
	s_wait_dscnt 0x0
	v_add_f32_e32 v7, v7, v33
	ds_store_b32 v37, v7
.LBB396_41:                             ;   in Loop: Header=BB396_17 Depth=2
	s_or_b32 exec_lo, exec_lo, s6
	v_mov_b32_e32 v7, 0
	s_wait_dscnt 0x0
	s_barrier_signal -1
	s_barrier_wait -1
	s_and_saveexec_b32 s6, s2
	s_cbranch_execnz .LBB396_58
; %bb.42:                               ;   in Loop: Header=BB396_17 Depth=2
	s_or_b32 exec_lo, exec_lo, s6
	s_and_saveexec_b32 s6, s1
	s_cbranch_execnz .LBB396_59
.LBB396_43:                             ;   in Loop: Header=BB396_17 Depth=2
	s_or_b32 exec_lo, exec_lo, s6
	s_and_saveexec_b32 s6, s0
	s_cbranch_execz .LBB396_16
	s_branch .LBB396_60
.LBB396_44:                             ;   in Loop: Header=BB396_17 Depth=2
	s_mul_i32 s68, s30, s36
	s_clause 0x1
	global_load_u16 v1, v[24:25], off
	global_load_u16 v45, v[28:29], off
	s_add_co_i32 s76, s68, s36
	s_ashr_i32 s69, s68, 31
	s_add_co_i32 s78, s76, s36
	v_lshl_add_u64 v[2:3], s[68:69], 1, v[20:21]
	s_ashr_i32 s79, s78, 31
	s_add_co_i32 s68, s78, s36
	v_lshl_add_u64 v[4:5], s[78:79], 1, v[20:21]
	s_ashr_i32 s69, s68, 31
	s_clause 0x1
	global_load_u16 v46, v[22:23], off
	global_load_u16 v48, v[26:27], off
	s_wait_dscnt 0x0
	global_load_b64 v[6:7], v[2:3], off
	s_ashr_i32 s77, s76, 31
	global_load_b64 v[4:5], v[4:5], off
	s_wait_xcnt 0x1
	v_lshl_add_u64 v[2:3], s[68:69], 1, v[20:21]
	global_load_b64 v[32:33], v[2:3], off
	s_wait_xcnt 0x0
	v_lshl_add_u64 v[2:3], s[76:77], 1, v[20:21]
	global_load_b64 v[34:35], v[2:3], off
	s_wait_loadcnt 0x7
	v_cvt_f32_f16_e32 v47, v1
	s_wait_loadcnt 0x6
	v_cvt_f32_f16_e32 v49, v45
	s_delay_alu instid0(VALU_DEP_1)
	v_dual_mov_b32 v52, v47 :: v_dual_mov_b32 v54, v49
	s_wait_loadcnt 0x5
	s_wait_xcnt 0x0
	v_cvt_f32_f16_e32 v2, v46
	s_wait_loadcnt 0x4
	v_cvt_f32_f16_e32 v50, v48
	s_wait_loadcnt 0x3
	v_dual_lshrrev_b32 v1, 16, v6 :: v_dual_lshrrev_b32 v3, 16, v7
	s_wait_loadcnt 0x2
	v_dual_lshrrev_b32 v45, 16, v4 :: v_dual_lshrrev_b32 v53, 16, v5
	v_cvt_f32_f16_e32 v51, v4
	s_delay_alu instid0(VALU_DEP_3)
	v_cvt_f32_f16_e32 v4, v1
	v_cvt_f32_f16_e32 v55, v5
	;; [unrolled: 1-line block ×3, first 2 shown]
	s_wait_loadcnt 0x1
	v_dual_lshrrev_b32 v1, 16, v32 :: v_dual_lshrrev_b32 v5, 16, v33
	v_cvt_f32_f16_e32 v46, v32
	v_cvt_f32_f16_e32 v48, v33
	v_cvt_f32_f16_e32 v56, v6
	s_delay_alu instid0(VALU_DEP_4)
	v_cvt_f32_f16_e32 v3, v1
	v_cvt_f32_f16_e32 v6, v7
	s_wait_loadcnt 0x0
	v_cvt_f32_f16_e32 v57, v34
	v_dual_lshrrev_b32 v1, 16, v34 :: v_dual_lshrrev_b32 v59, 16, v35
	v_pk_mul_f32 v[32:33], v[46:47], v[2:3]
	v_cvt_f32_f16_e32 v7, v35
	v_cvt_f32_f16_e32 v45, v45
	v_mul_f32_e32 v34, v2, v51
	v_cvt_f32_f16_e32 v51, v5
	v_dual_mov_b32 v35, v32 :: v_dual_mov_b32 v3, v47
	s_delay_alu instid0(VALU_DEP_4) | instskip(SKIP_1) | instid1(VALU_DEP_4)
	v_mul_f32_e32 v32, v47, v45
	v_cvt_f32_f16_e32 v5, v1
	v_pk_mul_f32 v[46:47], v[48:49], v[50:51]
	s_delay_alu instid0(VALU_DEP_4)
	v_pk_add_f32 v[34:35], v[34:35], 0 op_sel_hi:[1,0]
	v_pk_fma_f32 v[56:57], v[2:3], v[56:57], 0 op_sel_hi:[0,1,0]
	v_cvt_f32_f16_e32 v1, v53
	v_mul_f32_e32 v60, v50, v55
	v_mov_b32_e32 v61, v46
	v_pk_add_f32 v[32:33], v[34:35], v[32:33]
	v_pk_fma_f32 v[4:5], v[52:53], v[4:5], v[56:57] op_sel_hi:[0,1,1]
	v_cvt_f32_f16_e32 v59, v59
	v_mul_f32_e32 v46, v49, v1
	s_delay_alu instid0(VALU_DEP_3) | instskip(SKIP_3) | instid1(VALU_DEP_2)
	v_pk_fma_f32 v[34:35], v[50:51], v[6:7], v[4:5] op_sel_hi:[0,1,1]
	v_mov_b32_e32 v4, v50
	v_pk_add_f32 v[32:33], v[32:33], v[60:61]
	v_mov_b32_e32 v5, v49
	v_pk_add_f32 v[6:7], v[32:33], v[46:47]
	v_pk_fma_f32 v[32:33], v[54:55], v[58:59], v[34:35] op_sel_hi:[0,1,1]
	s_and_not1_saveexec_b32 s29, s6
	s_cbranch_execz .LBB396_19
.LBB396_45:                             ;   in Loop: Header=BB396_17 Depth=2
	s_wait_dscnt 0x0
	v_dual_mov_b32 v7, 0 :: v_dual_mov_b32 v6, 0
	v_dual_mov_b32 v33, 0 :: v_dual_mov_b32 v32, 0
	s_and_saveexec_b32 s41, s5
	s_cbranch_execz .LBB396_62
; %bb.46:                               ;   in Loop: Header=BB396_17 Depth=2
	s_and_not1_b32 vcc_lo, exec_lo, s73
	s_cbranch_vccnz .LBB396_49
; %bb.47:                               ;   in Loop: Header=BB396_17 Depth=2
	v_mov_b32_e32 v1, v8
	s_mov_b64 s[68:69], 0
.LBB396_48:                             ;   Parent Loop BB396_3 Depth=1
                                        ;     Parent Loop BB396_17 Depth=2
                                        ; =>    This Inner Loop Header: Depth=3
	global_load_u16 v6, v1, s[58:59] scale_offset
	s_cmp_eq_u32 s68, 3
	s_cselect_b32 vcc_lo, -1, 0
	s_cmp_eq_u32 s68, 2
	s_cselect_b32 s6, -1, 0
	s_cmp_eq_u32 s68, 1
	s_cselect_b32 s7, -1, 0
	s_cmp_eq_u32 s68, 0
	s_add_nc_u64 s[68:69], s[68:69], 1
	s_wait_loadcnt 0x0
	v_cvt_f32_f16_e32 v6, v6
	s_wait_xcnt 0x0
	s_delay_alu instid0(VALU_DEP_1)
	v_dual_add_nc_u32 v1, s10, v1 :: v_dual_cndmask_b32 v5, v5, v6, vcc_lo
	s_cselect_b32 vcc_lo, -1, 0
	v_dual_cndmask_b32 v4, v4, v6, s6 :: v_dual_cndmask_b32 v3, v3, v6, s7
	v_cndmask_b32_e32 v2, v2, v6, vcc_lo
	s_cmp_eq_u32 s71, s68
	s_cbranch_scc0 .LBB396_48
.LBB396_49:                             ;   in Loop: Header=BB396_17 Depth=2
	s_and_not1_b32 vcc_lo, exec_lo, s73
	s_cbranch_vccnz .LBB396_61
; %bb.50:                               ;   in Loop: Header=BB396_17 Depth=2
	v_mov_b32_e32 v32, 0
	s_ashr_i32 s63, s62, 31
	s_mov_b64 s[6:7], 0
	v_lshl_add_u64 v[34:35], s[62:63], 1, v[30:31]
	s_delay_alu instid0(VALU_DEP_2)
	v_dual_mov_b32 v33, v32 :: v_dual_mov_b32 v6, v32
	v_mov_b32_e32 v7, v32
.LBB396_51:                             ;   Parent Loop BB396_3 Depth=1
                                        ;     Parent Loop BB396_17 Depth=2
                                        ; =>    This Inner Loop Header: Depth=3
	s_cmp_eq_u32 s6, 1
	s_cselect_b32 vcc_lo, -1, 0
	s_cmp_eq_u32 s6, 2
	v_cndmask_b32_e32 v1, v2, v3, vcc_lo
	s_cselect_b32 vcc_lo, -1, 0
	s_cmp_eq_u32 s6, 3
	s_delay_alu instid0(VALU_DEP_1)
	v_cndmask_b32_e32 v1, v1, v4, vcc_lo
	s_cselect_b32 vcc_lo, -1, 0
	s_add_co_i32 s78, s8, s6
	s_add_co_i32 s76, s64, s6
	;; [unrolled: 1-line block ×3, first 2 shown]
	s_ashr_i32 s79, s78, 31
	s_ashr_i32 s77, s76, 31
	;; [unrolled: 1-line block ×3, first 2 shown]
	v_lshl_add_u64 v[46:47], s[78:79], 1, v[20:21]
	v_lshl_add_u64 v[48:49], s[76:77], 1, v[20:21]
	;; [unrolled: 1-line block ×3, first 2 shown]
	global_load_u16 v45, v[34:35], off
	s_clause 0x2
	global_load_u16 v47, v[46:47], off
	global_load_u16 v49, v[48:49], off
	;; [unrolled: 1-line block ×3, first 2 shown]
	s_wait_xcnt 0x2
	v_cndmask_b32_e32 v46, v1, v5, vcc_lo
	v_add_nc_u64_e32 v[34:35], 2, v[34:35]
	s_add_nc_u64 s[6:7], s[6:7], 1
	s_delay_alu instid0(SALU_CYCLE_1)
	s_cmp_lg_u32 s71, s6
	s_wait_loadcnt 0x3
	s_wait_xcnt 0x1
	v_cvt_f32_f16_e32 v48, v45
	s_wait_loadcnt 0x2
	s_wait_xcnt 0x0
	v_cvt_f32_f16_e32 v51, v47
	s_wait_loadcnt 0x1
	v_cvt_f32_f16_e32 v50, v49
	s_wait_loadcnt 0x0
	v_cvt_f32_f16_e32 v49, v52
	s_delay_alu instid0(VALU_DEP_2) | instskip(NEXT) | instid1(VALU_DEP_2)
	v_pk_fma_f32 v[6:7], v[46:47], v[50:51], v[6:7] op_sel_hi:[0,1,1]
	v_pk_fma_f32 v[32:33], v[46:47], v[48:49], v[32:33] op_sel_hi:[0,1,1]
	s_cbranch_scc1 .LBB396_51
	s_branch .LBB396_62
.LBB396_52:                             ;   in Loop: Header=BB396_17 Depth=2
	ds_load_b32 v1, v36
	s_or_b32 exec_lo, exec_lo, s6
	s_and_saveexec_b32 s6, s1
	s_cbranch_execz .LBB396_25
.LBB396_53:                             ;   in Loop: Header=BB396_17 Depth=2
	s_wait_dscnt 0x0
	ds_bpermute_b32 v32, v42, v1
	s_wait_dscnt 0x0
	v_add_f32_e32 v1, v1, v32
	ds_bpermute_b32 v32, v43, v1
	s_wait_dscnt 0x0
	v_add_f32_e32 v1, v1, v32
	;; [unrolled: 3-line block ×3, first 2 shown]
	s_or_b32 exec_lo, exec_lo, s6
	s_and_saveexec_b32 s6, s1
	s_cbranch_execnz .LBB396_26
	s_branch .LBB396_27
.LBB396_54:                             ;   in Loop: Header=BB396_17 Depth=2
	ds_load_b32 v32, v36
	s_or_b32 exec_lo, exec_lo, s6
	s_and_saveexec_b32 s6, s1
	s_cbranch_execz .LBB396_31
.LBB396_55:                             ;   in Loop: Header=BB396_17 Depth=2
	s_wait_dscnt 0x0
	ds_bpermute_b32 v33, v42, v32
	s_wait_dscnt 0x0
	v_add_f32_e32 v32, v32, v33
	ds_bpermute_b32 v33, v43, v32
	s_wait_dscnt 0x0
	v_add_f32_e32 v32, v32, v33
	;; [unrolled: 3-line block ×3, first 2 shown]
	s_or_b32 exec_lo, exec_lo, s6
	s_and_saveexec_b32 s6, s1
	s_cbranch_execnz .LBB396_32
	s_branch .LBB396_33
.LBB396_56:                             ;   in Loop: Header=BB396_17 Depth=2
	ds_load_b32 v6, v36
	s_or_b32 exec_lo, exec_lo, s6
	s_and_saveexec_b32 s6, s1
	s_cbranch_execz .LBB396_37
.LBB396_57:                             ;   in Loop: Header=BB396_17 Depth=2
	s_wait_dscnt 0x0
	ds_bpermute_b32 v33, v42, v6
	s_wait_dscnt 0x0
	v_add_f32_e32 v6, v6, v33
	ds_bpermute_b32 v33, v43, v6
	s_wait_dscnt 0x0
	v_add_f32_e32 v6, v6, v33
	;; [unrolled: 3-line block ×3, first 2 shown]
	s_or_b32 exec_lo, exec_lo, s6
	s_and_saveexec_b32 s6, s1
	s_cbranch_execnz .LBB396_38
	s_branch .LBB396_39
.LBB396_58:                             ;   in Loop: Header=BB396_17 Depth=2
	ds_load_b32 v7, v36
	s_or_b32 exec_lo, exec_lo, s6
	s_and_saveexec_b32 s6, s1
	s_cbranch_execz .LBB396_43
.LBB396_59:                             ;   in Loop: Header=BB396_17 Depth=2
	s_wait_dscnt 0x0
	ds_bpermute_b32 v33, v42, v7
	s_wait_dscnt 0x0
	v_add_f32_e32 v7, v7, v33
	ds_bpermute_b32 v33, v43, v7
	s_wait_dscnt 0x0
	v_add_f32_e32 v7, v7, v33
	;; [unrolled: 3-line block ×3, first 2 shown]
	s_or_b32 exec_lo, exec_lo, s6
	s_and_saveexec_b32 s6, s0
	s_cbranch_execz .LBB396_16
.LBB396_60:                             ;   in Loop: Header=BB396_17 Depth=2
	s_mul_i32 s7, s30, s38
	v_dual_mul_f32 v1, v40, v1 :: v_dual_mul_f32 v32, v40, v32
	s_add_co_i32 s7, s7, s40
	s_delay_alu instid0(SALU_CYCLE_1) | instskip(NEXT) | instid1(SALU_CYCLE_1)
	s_add_co_i32 s29, s7, s38
	v_dual_mov_b32 v33, s7 :: v_dual_mov_b32 v34, s29
	s_add_co_i32 s7, s29, s38
	s_delay_alu instid0(SALU_CYCLE_1)
	v_dual_mul_f32 v6, v40, v6 :: v_dual_mov_b32 v35, s7
	s_add_co_i32 s7, s7, s38
	s_wait_dscnt 0x0
	v_dual_mul_f32 v7, v40, v7 :: v_dual_mov_b32 v45, s7
	s_clause 0x3
	global_store_b32 v33, v1, s[60:61] scale_offset
	global_store_b32 v34, v32, s[60:61] scale_offset
	;; [unrolled: 1-line block ×4, first 2 shown]
	s_branch .LBB396_16
.LBB396_61:                             ;   in Loop: Header=BB396_17 Depth=2
	v_mov_b32_e32 v7, 0
	s_delay_alu instid0(VALU_DEP_1)
	v_dual_mov_b32 v6, v7 :: v_dual_mov_b32 v33, v7
	v_mov_b32_e32 v32, v7
.LBB396_62:                             ;   in Loop: Header=BB396_17 Depth=2
	s_or_b32 exec_lo, exec_lo, s41
	s_delay_alu instid0(SALU_CYCLE_1)
	s_or_b32 exec_lo, exec_lo, s29
	s_and_saveexec_b32 s6, s1
	s_cbranch_execnz .LBB396_20
	s_branch .LBB396_21
.LBB396_63:                             ;   in Loop: Header=BB396_3 Depth=1
	v_dual_mov_b32 v1, v0 :: v_dual_mov_b32 v2, v0
	v_mov_b32_e32 v3, v0
	s_mov_b32 s30, 0
	s_delay_alu instid0(VALU_DEP_1) | instskip(NEXT) | instid1(VALU_DEP_3)
	v_mov_b64_e32 v[4:5], v[2:3]
	v_mov_b64_e32 v[2:3], v[0:1]
.LBB396_64:                             ;   in Loop: Header=BB396_3 Depth=1
	s_cmp_ge_i32 s30, s35
	s_cbranch_scc1 .LBB396_2
; %bb.65:                               ;   in Loop: Header=BB396_3 Depth=1
	v_cmp_gt_u32_e32 vcc_lo, 24, v38
	s_add_nc_u64 s[8:9], s[60:61], s[22:23]
	s_mul_i32 s60, s36, s30
	v_cndmask_b32_e64 v1, 0, 8, vcc_lo
	v_cmp_gt_u32_e32 vcc_lo, 28, v38
	s_delay_alu instid0(VALU_DEP_2) | instskip(SKIP_4) | instid1(VALU_DEP_2)
	v_add_lshl_u32 v1, v1, v38, 2
	s_wait_dscnt 0x0
	v_cndmask_b32_e64 v6, 0, 4, vcc_lo
	v_cmp_gt_u32_e32 vcc_lo, 30, v38
	s_wait_dscnt 0x0
	v_add_lshl_u32 v7, v6, v38, 2
	v_cndmask_b32_e64 v32, 0, 2, vcc_lo
	v_cmp_ne_u32_e32 vcc_lo, 31, v38
	s_delay_alu instid0(VALU_DEP_2) | instskip(SKIP_1) | instid1(VALU_DEP_1)
	v_add_lshl_u32 v34, v32, v38, 2
	v_add_co_ci_u32_e64 v33, null, 0, v38, vcc_lo
	v_lshlrev_b32_e32 v35, 2, v33
	s_branch .LBB396_67
.LBB396_66:                             ;   in Loop: Header=BB396_67 Depth=2
	s_wait_xcnt 0x0
	s_or_b32 exec_lo, exec_lo, s6
	s_add_co_i32 s30, s30, 1
	s_add_co_i32 s60, s60, s36
	s_cmp_ge_i32 s30, s35
	s_cbranch_scc1 .LBB396_2
.LBB396_67:                             ;   Parent Loop BB396_3 Depth=1
                                        ; =>  This Loop Header: Depth=2
                                        ;       Child Loop BB396_80 Depth 3
                                        ;       Child Loop BB396_83 Depth 3
	s_wait_dscnt 0x0
	v_mov_b32_e32 v6, s31
	s_and_saveexec_b32 s6, s4
	s_delay_alu instid0(SALU_CYCLE_1)
	s_xor_b32 s6, exec_lo, s6
	s_cbranch_execnz .LBB396_76
; %bb.68:                               ;   in Loop: Header=BB396_67 Depth=2
	s_and_not1_saveexec_b32 s29, s6
	s_cbranch_execnz .LBB396_77
.LBB396_69:                             ;   in Loop: Header=BB396_67 Depth=2
	s_or_b32 exec_lo, exec_lo, s29
	s_and_saveexec_b32 s6, s1
.LBB396_70:                             ;   in Loop: Header=BB396_67 Depth=2
	ds_store_b32 v36, v0
.LBB396_71:                             ;   in Loop: Header=BB396_67 Depth=2
	s_or_b32 exec_lo, exec_lo, s6
	ds_bpermute_b32 v32, v39, v6
	s_wait_storecnt_dscnt 0x0
	s_barrier_signal -1
	s_barrier_wait -1
	v_add_f32_e32 v6, v6, v32
	ds_bpermute_b32 v32, v1, v6
	s_wait_dscnt 0x0
	v_add_f32_e32 v6, v6, v32
	ds_bpermute_b32 v32, v7, v6
	s_wait_dscnt 0x0
	;; [unrolled: 3-line block ×3, first 2 shown]
	v_add_f32_e32 v6, v6, v32
	ds_bpermute_b32 v32, v35, v6
	s_and_saveexec_b32 s6, s3
	s_cbranch_execz .LBB396_73
; %bb.72:                               ;   in Loop: Header=BB396_67 Depth=2
	s_wait_dscnt 0x0
	v_add_f32_e32 v6, v6, v32
	ds_store_b32 v37, v6
.LBB396_73:                             ;   in Loop: Header=BB396_67 Depth=2
	s_or_b32 exec_lo, exec_lo, s6
	v_mov_b32_e32 v6, 0
	s_wait_dscnt 0x0
	s_barrier_signal -1
	s_barrier_wait -1
	s_and_saveexec_b32 s6, s2
	s_cbranch_execnz .LBB396_85
; %bb.74:                               ;   in Loop: Header=BB396_67 Depth=2
	s_or_b32 exec_lo, exec_lo, s6
	s_and_saveexec_b32 s6, s1
	s_cbranch_execnz .LBB396_86
.LBB396_75:                             ;   in Loop: Header=BB396_67 Depth=2
	s_or_b32 exec_lo, exec_lo, s6
	s_and_saveexec_b32 s6, s0
	s_cbranch_execz .LBB396_66
	s_branch .LBB396_87
.LBB396_76:                             ;   in Loop: Header=BB396_67 Depth=2
	s_mul_i32 s62, s30, s36
	s_delay_alu instid0(SALU_CYCLE_1) | instskip(NEXT) | instid1(SALU_CYCLE_1)
	s_ashr_i32 s63, s62, 31
	v_lshl_add_u64 v[2:3], s[62:63], 1, v[20:21]
	global_load_b64 v[32:33], v[2:3], off
	s_clause 0x3
	global_load_u16 v2, v[24:25], off
	global_load_u16 v4, v[22:23], off
	;; [unrolled: 1-line block ×4, first 2 shown]
	s_wait_loadcnt 0x4
	v_dual_lshrrev_b32 v5, 16, v32 :: v_dual_lshrrev_b32 v44, 16, v33
	s_wait_loadcnt 0x3
	v_cvt_f32_f16_e32 v3, v2
	s_wait_loadcnt 0x2
	v_cvt_f32_f16_e32 v2, v4
	v_cvt_f32_f16_e32 v4, v32
	v_cvt_f32_f16_e32 v5, v5
	v_cvt_f32_f16_e32 v32, v33
	v_cvt_f32_f16_e32 v33, v44
	s_delay_alu instid0(VALU_DEP_3)
	v_pk_mul_f32 v[42:43], v[2:3], v[4:5]
	s_wait_loadcnt 0x1
	v_cvt_f32_f16_e32 v5, v6
	s_wait_loadcnt 0x0
	v_cvt_f32_f16_e32 v4, v41
	v_add_f32_e32 v6, 0, v42
	s_delay_alu instid0(VALU_DEP_2) | instskip(NEXT) | instid1(VALU_DEP_2)
	v_pk_mul_f32 v[32:33], v[4:5], v[32:33]
	v_add_f32_e32 v6, v6, v43
	s_delay_alu instid0(VALU_DEP_1) | instskip(NEXT) | instid1(VALU_DEP_1)
	v_add_f32_e32 v6, v6, v32
	v_add_f32_e32 v6, v6, v33
	s_wait_xcnt 0x0
	s_and_not1_saveexec_b32 s29, s6
	s_cbranch_execz .LBB396_69
.LBB396_77:                             ;   in Loop: Header=BB396_67 Depth=2
	s_and_saveexec_b32 s41, s5
	s_cbranch_execz .LBB396_84
; %bb.78:                               ;   in Loop: Header=BB396_67 Depth=2
	s_and_not1_b32 vcc_lo, exec_lo, s73
	s_cbranch_vccnz .LBB396_81
; %bb.79:                               ;   in Loop: Header=BB396_67 Depth=2
	v_mov_b32_e32 v32, v8
	s_mov_b64 s[62:63], 0
.LBB396_80:                             ;   Parent Loop BB396_3 Depth=1
                                        ;     Parent Loop BB396_67 Depth=2
                                        ; =>    This Inner Loop Header: Depth=3
	global_load_u16 v33, v32, s[58:59] scale_offset
	s_cmp_eq_u32 s62, 3
	s_cselect_b32 vcc_lo, -1, 0
	s_cmp_eq_u32 s62, 2
	s_cselect_b32 s6, -1, 0
	s_cmp_eq_u32 s62, 1
	s_cselect_b32 s7, -1, 0
	s_cmp_eq_u32 s62, 0
	s_add_nc_u64 s[62:63], s[62:63], 1
	s_wait_loadcnt 0x0
	v_cvt_f32_f16_e32 v33, v33
	s_wait_xcnt 0x0
	s_delay_alu instid0(VALU_DEP_1)
	v_dual_cndmask_b32 v5, v5, v33 :: v_dual_add_nc_u32 v32, s10, v32
	s_cselect_b32 vcc_lo, -1, 0
	v_dual_cndmask_b32 v4, v4, v33, s6 :: v_dual_cndmask_b32 v3, v3, v33, s7
	v_cndmask_b32_e32 v2, v2, v33, vcc_lo
	s_cmp_eq_u32 s71, s62
	s_cbranch_scc0 .LBB396_80
.LBB396_81:                             ;   in Loop: Header=BB396_67 Depth=2
	s_and_not1_b32 vcc_lo, exec_lo, s73
	s_cbranch_vccnz .LBB396_84
; %bb.82:                               ;   in Loop: Header=BB396_67 Depth=2
	s_ashr_i32 s61, s60, 31
	s_mov_b64 s[6:7], 0
	v_lshl_add_u64 v[32:33], s[60:61], 1, v[30:31]
.LBB396_83:                             ;   Parent Loop BB396_3 Depth=1
                                        ;     Parent Loop BB396_67 Depth=2
                                        ; =>    This Inner Loop Header: Depth=3
	global_load_u16 v41, v[32:33], off
	s_cmp_eq_u32 s6, 1
	s_wait_xcnt 0x0
	v_add_nc_u64_e32 v[32:33], 2, v[32:33]
	s_cselect_b32 vcc_lo, -1, 0
	s_cmp_eq_u32 s6, 2
	v_cndmask_b32_e32 v42, v2, v3, vcc_lo
	s_cselect_b32 vcc_lo, -1, 0
	s_cmp_eq_u32 s6, 3
	s_add_nc_u64 s[6:7], s[6:7], 1
	s_delay_alu instid0(VALU_DEP_1) | instskip(SKIP_2) | instid1(VALU_DEP_1)
	v_cndmask_b32_e32 v42, v42, v4, vcc_lo
	s_cselect_b32 vcc_lo, -1, 0
	s_cmp_lg_u32 s71, s6
	v_cndmask_b32_e32 v42, v42, v5, vcc_lo
	s_wait_loadcnt 0x0
	s_delay_alu instid0(VALU_DEP_1)
	v_fma_mix_f32 v6, v42, v41, v6 op_sel_hi:[0,1,0]
	s_cbranch_scc1 .LBB396_83
.LBB396_84:                             ;   in Loop: Header=BB396_67 Depth=2
	s_or_b32 exec_lo, exec_lo, s41
	s_delay_alu instid0(SALU_CYCLE_1)
	s_or_b32 exec_lo, exec_lo, s29
	s_and_saveexec_b32 s6, s1
	s_cbranch_execnz .LBB396_70
	s_branch .LBB396_71
.LBB396_85:                             ;   in Loop: Header=BB396_67 Depth=2
	ds_load_b32 v6, v36
	s_or_b32 exec_lo, exec_lo, s6
	s_and_saveexec_b32 s6, s1
	s_cbranch_execz .LBB396_75
.LBB396_86:                             ;   in Loop: Header=BB396_67 Depth=2
	s_wait_dscnt 0x0
	ds_bpermute_b32 v32, v7, v6
	s_wait_dscnt 0x0
	v_add_f32_e32 v6, v6, v32
	ds_bpermute_b32 v32, v34, v6
	s_wait_dscnt 0x0
	v_add_f32_e32 v6, v6, v32
	;; [unrolled: 3-line block ×3, first 2 shown]
	s_or_b32 exec_lo, exec_lo, s6
	s_and_saveexec_b32 s6, s0
	s_cbranch_execz .LBB396_66
.LBB396_87:                             ;   in Loop: Header=BB396_67 Depth=2
	s_mul_u64 s[62:63], s[30:31], s[38:39]
	s_wait_dscnt 0x0
	v_mul_f32_e32 v6, v40, v6
	s_lshl_b64 s[62:63], s[62:63], 2
	s_delay_alu instid0(SALU_CYCLE_1)
	s_add_nc_u64 s[62:63], s[8:9], s[62:63]
	global_store_b32 v0, v6, s[62:63]
	s_branch .LBB396_66
.LBB396_88:
	s_endpgm
	.section	.rodata,"a",@progbits
	.p2align	6, 0x0
	.amdhsa_kernel _ZL23rocblas_gemvt_sn_kernelILb0ELi256ELi4EiDF16_PKffEviiT4_lPKT3_lilS5_lilPT5_i
		.amdhsa_group_segment_fixed_size 128
		.amdhsa_private_segment_fixed_size 0
		.amdhsa_kernarg_size 360
		.amdhsa_user_sgpr_count 2
		.amdhsa_user_sgpr_dispatch_ptr 0
		.amdhsa_user_sgpr_queue_ptr 0
		.amdhsa_user_sgpr_kernarg_segment_ptr 1
		.amdhsa_user_sgpr_dispatch_id 0
		.amdhsa_user_sgpr_kernarg_preload_length 0
		.amdhsa_user_sgpr_kernarg_preload_offset 0
		.amdhsa_user_sgpr_private_segment_size 0
		.amdhsa_wavefront_size32 1
		.amdhsa_uses_dynamic_stack 0
		.amdhsa_enable_private_segment 0
		.amdhsa_system_sgpr_workgroup_id_x 1
		.amdhsa_system_sgpr_workgroup_id_y 0
		.amdhsa_system_sgpr_workgroup_id_z 1
		.amdhsa_system_sgpr_workgroup_info 0
		.amdhsa_system_vgpr_workitem_id 0
		.amdhsa_next_free_vgpr 62
		.amdhsa_next_free_sgpr 80
		.amdhsa_named_barrier_count 0
		.amdhsa_reserve_vcc 1
		.amdhsa_float_round_mode_32 0
		.amdhsa_float_round_mode_16_64 0
		.amdhsa_float_denorm_mode_32 3
		.amdhsa_float_denorm_mode_16_64 3
		.amdhsa_fp16_overflow 0
		.amdhsa_memory_ordered 1
		.amdhsa_forward_progress 1
		.amdhsa_inst_pref_size 33
		.amdhsa_round_robin_scheduling 0
		.amdhsa_exception_fp_ieee_invalid_op 0
		.amdhsa_exception_fp_denorm_src 0
		.amdhsa_exception_fp_ieee_div_zero 0
		.amdhsa_exception_fp_ieee_overflow 0
		.amdhsa_exception_fp_ieee_underflow 0
		.amdhsa_exception_fp_ieee_inexact 0
		.amdhsa_exception_int_div_zero 0
	.end_amdhsa_kernel
	.section	.text._ZL23rocblas_gemvt_sn_kernelILb0ELi256ELi4EiDF16_PKffEviiT4_lPKT3_lilS5_lilPT5_i,"axG",@progbits,_ZL23rocblas_gemvt_sn_kernelILb0ELi256ELi4EiDF16_PKffEviiT4_lPKT3_lilS5_lilPT5_i,comdat
.Lfunc_end396:
	.size	_ZL23rocblas_gemvt_sn_kernelILb0ELi256ELi4EiDF16_PKffEviiT4_lPKT3_lilS5_lilPT5_i, .Lfunc_end396-_ZL23rocblas_gemvt_sn_kernelILb0ELi256ELi4EiDF16_PKffEviiT4_lPKT3_lilS5_lilPT5_i
                                        ; -- End function
	.set _ZL23rocblas_gemvt_sn_kernelILb0ELi256ELi4EiDF16_PKffEviiT4_lPKT3_lilS5_lilPT5_i.num_vgpr, 62
	.set _ZL23rocblas_gemvt_sn_kernelILb0ELi256ELi4EiDF16_PKffEviiT4_lPKT3_lilS5_lilPT5_i.num_agpr, 0
	.set _ZL23rocblas_gemvt_sn_kernelILb0ELi256ELi4EiDF16_PKffEviiT4_lPKT3_lilS5_lilPT5_i.numbered_sgpr, 80
	.set _ZL23rocblas_gemvt_sn_kernelILb0ELi256ELi4EiDF16_PKffEviiT4_lPKT3_lilS5_lilPT5_i.num_named_barrier, 0
	.set _ZL23rocblas_gemvt_sn_kernelILb0ELi256ELi4EiDF16_PKffEviiT4_lPKT3_lilS5_lilPT5_i.private_seg_size, 0
	.set _ZL23rocblas_gemvt_sn_kernelILb0ELi256ELi4EiDF16_PKffEviiT4_lPKT3_lilS5_lilPT5_i.uses_vcc, 1
	.set _ZL23rocblas_gemvt_sn_kernelILb0ELi256ELi4EiDF16_PKffEviiT4_lPKT3_lilS5_lilPT5_i.uses_flat_scratch, 0
	.set _ZL23rocblas_gemvt_sn_kernelILb0ELi256ELi4EiDF16_PKffEviiT4_lPKT3_lilS5_lilPT5_i.has_dyn_sized_stack, 0
	.set _ZL23rocblas_gemvt_sn_kernelILb0ELi256ELi4EiDF16_PKffEviiT4_lPKT3_lilS5_lilPT5_i.has_recursion, 0
	.set _ZL23rocblas_gemvt_sn_kernelILb0ELi256ELi4EiDF16_PKffEviiT4_lPKT3_lilS5_lilPT5_i.has_indirect_call, 0
	.section	.AMDGPU.csdata,"",@progbits
; Kernel info:
; codeLenInByte = 4156
; TotalNumSgprs: 82
; NumVgprs: 62
; ScratchSize: 0
; MemoryBound: 0
; FloatMode: 240
; IeeeMode: 1
; LDSByteSize: 128 bytes/workgroup (compile time only)
; SGPRBlocks: 0
; VGPRBlocks: 3
; NumSGPRsForWavesPerEU: 82
; NumVGPRsForWavesPerEU: 62
; NamedBarCnt: 0
; Occupancy: 16
; WaveLimiterHint : 0
; COMPUTE_PGM_RSRC2:SCRATCH_EN: 0
; COMPUTE_PGM_RSRC2:USER_SGPR: 2
; COMPUTE_PGM_RSRC2:TRAP_HANDLER: 0
; COMPUTE_PGM_RSRC2:TGID_X_EN: 1
; COMPUTE_PGM_RSRC2:TGID_Y_EN: 0
; COMPUTE_PGM_RSRC2:TGID_Z_EN: 1
; COMPUTE_PGM_RSRC2:TIDIG_COMP_CNT: 0
	.section	.text._ZL23rocblas_gemvt_sn_kernelILb0ELi256ELi4ElDF16_PKffEviiT4_lPKT3_lilS5_lilPT5_i,"axG",@progbits,_ZL23rocblas_gemvt_sn_kernelILb0ELi256ELi4ElDF16_PKffEviiT4_lPKT3_lilS5_lilPT5_i,comdat
	.globl	_ZL23rocblas_gemvt_sn_kernelILb0ELi256ELi4ElDF16_PKffEviiT4_lPKT3_lilS5_lilPT5_i ; -- Begin function _ZL23rocblas_gemvt_sn_kernelILb0ELi256ELi4ElDF16_PKffEviiT4_lPKT3_lilS5_lilPT5_i
	.p2align	8
	.type	_ZL23rocblas_gemvt_sn_kernelILb0ELi256ELi4ElDF16_PKffEviiT4_lPKT3_lilS5_lilPT5_i,@function
_ZL23rocblas_gemvt_sn_kernelILb0ELi256ELi4ElDF16_PKffEviiT4_lPKT3_lilS5_lilPT5_i: ; @_ZL23rocblas_gemvt_sn_kernelILb0ELi256ELi4ElDF16_PKffEviiT4_lPKT3_lilS5_lilPT5_i
; %bb.0:
	s_load_b32 s33, s[0:1], 0x60
	s_bfe_u32 s2, ttmp6, 0x40014
	s_lshr_b32 s3, ttmp7, 16
	s_add_co_i32 s2, s2, 1
	s_bfe_u32 s5, ttmp6, 0x40008
	s_mul_i32 s4, s3, s2
	s_getreg_b32 s2, hwreg(HW_REG_IB_STS2, 6, 4)
	s_add_co_i32 s5, s5, s4
	s_cmp_eq_u32 s2, 0
	s_mov_b32 s29, 0
	s_cselect_b32 s10, s3, s5
	s_wait_kmcnt 0x0
	s_cmp_ge_u32 s10, s33
	s_cbranch_scc1 .LBB397_88
; %bb.1:
	s_clause 0x6
	s_load_b32 s30, s[0:1], 0x28
	s_load_b96 s[4:6], s[0:1], 0x40
	s_load_b256 s[12:19], s[0:1], 0x8
	s_load_b64 s[34:35], s[0:1], 0x0
	s_load_b128 s[20:23], s[0:1], 0x30
	s_load_b128 s[24:27], s[0:1], 0x50
	s_load_b32 s36, s[0:1], 0x68
	s_wait_xcnt 0x0
	v_cmp_eq_u32_e64 s0, 0, v0
	v_mbcnt_lo_u32_b32 v42, -1, 0
	v_mov_b64_e32 v[20:21], 0
	s_mov_b32 s37, s29
	s_delay_alu instid0(VALU_DEP_2)
	v_lshl_or_b32 v43, v42, 2, 64
	s_wait_kmcnt 0x0
	s_ashr_i32 s31, s30, 31
	s_ashr_i32 s7, s6, 31
	s_lshl_b64 s[4:5], s[4:5], 1
	s_lshl_b64 s[8:9], s[18:19], 1
	s_ashr_i32 s43, s35, 31
	s_cmp_gt_i32 s35, 0
	s_add_nc_u64 s[18:19], s[22:23], s[4:5]
	s_cselect_b32 s1, -1, 0
	s_bfe_u32 s3, ttmp6, 0x4000c
	s_add_nc_u64 s[4:5], s[16:17], s[8:9]
	s_add_co_i32 s3, s3, 1
	s_and_b32 s8, ttmp6, 15
	s_mul_i32 s3, ttmp9, s3
	s_and_b32 s64, s0, s1
	s_add_co_i32 s8, s8, s3
	s_cmp_eq_u32 s2, 0
	s_mov_b32 s42, s35
	s_cselect_b32 s28, ttmp9, s8
	s_ashr_i32 s2, s34, 31
	s_lshl_b32 s3, s28, 10
	s_lshr_b32 s2, s2, 30
	v_lshl_or_b32 v2, v0, 2, s3
	s_add_co_i32 s2, s34, s2
	s_lshr_b32 s1, s43, 30
	s_and_b32 s2, s2, -4
	s_add_co_i32 s1, s35, s1
	s_sub_co_i32 s66, s34, s2
	v_dual_ashrrev_i32 v3, 31, v2 :: v_dual_add_nc_u32 v1, 4, v2
	v_dual_add_nc_u32 v4, s66, v2 :: v_dual_bitop2_b32 v6, 2, v2 bitop3:0x54
	s_and_b32 s65, s1, -4
	s_delay_alu instid0(VALU_DEP_2) | instskip(SKIP_1) | instid1(VALU_DEP_3)
	v_lshl_add_u64 v[8:9], v[2:3], 1, s[4:5]
	v_mul_u64_e32 v[10:11], s[6:7], v[2:3]
	v_cmp_ge_i32_e64 s2, s34, v4
	v_or_b32_e32 v4, 1, v2
	v_or_b32_e32 v2, 3, v2
	v_cmp_ge_i32_e64 s1, s34, v1
	v_dual_ashrrev_i32 v7, 31, v6 :: v_dual_bitop2_b32 v1, 31, v0 bitop3:0x40
	s_cmp_gt_i32 s65, 0
	v_dual_ashrrev_i32 v3, 31, v2 :: v_dual_ashrrev_i32 v5, 31, v4
	s_cselect_b32 s67, -1, 0
	s_delay_alu instid0(VALU_DEP_2) | instskip(SKIP_1) | instid1(VALU_DEP_2)
	v_mul_u64_e32 v[14:15], s[6:7], v[6:7]
	s_cmp_gt_i32 s66, 0
	v_mul_u64_e32 v[16:17], s[6:7], v[2:3]
	v_mul_u64_e32 v[12:13], s[6:7], v[4:5]
	s_cselect_b32 s34, -1, 0
	s_cmp_gt_u32 s35, 1
	v_cmp_gt_u32_e64 s3, 32, v0
	s_cselect_b32 s8, -1, 0
	s_cmp_eq_u32 s36, 1
	v_cmp_gt_u32_e64 s5, 8, v0
	v_dual_lshrrev_b32 v0, 3, v0 :: v_dual_lshlrev_b32 v40, 2, v1
	s_cselect_b32 s9, -1, 0
	s_and_b32 s68, s35, 0x7ffffffe
	s_and_b32 s69, s8, s9
	s_cmp_lg_u32 s35, s68
	v_cmp_eq_u32_e64 s4, 0, v1
	v_dual_mov_b32 v0, 0 :: v_dual_bitop2_b32 v41, 28, v0 bitop3:0x40
	s_mul_u64 s[16:17], s[42:43], s[36:37]
	s_cselect_b32 s70, -1, 0
	v_lshl_add_u64 v[18:19], v[10:11], 1, s[18:19]
	s_lshl_b64 s[22:23], s[28:29], 2
	s_lshl_b64 s[40:41], s[16:17], 2
	s_add_nc_u64 s[38:39], s[26:27], s[22:23]
	s_lshl_b64 s[42:43], s[42:43], 2
	s_lshl_b64 s[44:45], s[36:37], 2
	;; [unrolled: 1-line block ×8, first 2 shown]
	s_mul_u64 s[58:59], s[30:31], 6
	s_branch .LBB397_3
.LBB397_2:                              ;   in Loop: Header=BB397_3 Depth=1
	s_add_co_i32 s10, s10, 0x10000
	s_delay_alu instid0(SALU_CYCLE_1)
	s_cmp_lt_u32 s10, s33
	s_cbranch_scc0 .LBB397_88
.LBB397_3:                              ; =>This Loop Header: Depth=1
                                        ;     Child Loop BB397_7 Depth 2
                                        ;     Child Loop BB397_11 Depth 2
	;; [unrolled: 1-line block ×3, first 2 shown]
                                        ;       Child Loop BB397_48 Depth 3
                                        ;       Child Loop BB397_51 Depth 3
                                        ;     Child Loop BB397_67 Depth 2
                                        ;       Child Loop BB397_80 Depth 3
                                        ;       Child Loop BB397_83 Depth 3
	s_mov_b32 s11, s29
	s_delay_alu instid0(SALU_CYCLE_1) | instskip(NEXT) | instid1(SALU_CYCLE_1)
	s_mul_u64 s[6:7], s[14:15], s[10:11]
	s_lshl_b64 s[6:7], s[6:7], 2
	s_delay_alu instid0(SALU_CYCLE_1)
	s_add_nc_u64 s[6:7], s[12:13], s[6:7]
	global_load_b32 v44, v0, s[6:7]
	s_wait_xcnt 0x0
	s_mov_b32 s6, -1
	s_wait_loadcnt 0x0
	v_cmp_neq_f32_e32 vcc_lo, 0, v44
	s_cbranch_vccnz .LBB397_13
; %bb.4:                                ;   in Loop: Header=BB397_3 Depth=1
	s_and_saveexec_b32 s8, s64
	s_cbranch_execz .LBB397_12
; %bb.5:                                ;   in Loop: Header=BB397_3 Depth=1
	s_and_not1_b32 vcc_lo, exec_lo, s69
	s_cbranch_vccnz .LBB397_9
; %bb.6:                                ;   in Loop: Header=BB397_3 Depth=1
	s_mul_u64 s[6:7], s[40:41], s[10:11]
	s_mov_b32 s9, s68
	s_add_nc_u64 s[6:7], s[38:39], s[6:7]
.LBB397_7:                              ;   Parent Loop BB397_3 Depth=1
                                        ; =>  This Inner Loop Header: Depth=2
	s_add_co_i32 s9, s9, -2
	global_store_b64 v0, v[20:21], s[6:7]
	s_wait_xcnt 0x0
	s_add_nc_u64 s[6:7], s[6:7], 8
	s_mov_b32 s28, s68
	s_cmp_lg_u32 s9, 0
	s_mov_b32 s60, s70
	s_cbranch_scc1 .LBB397_7
; %bb.8:                                ;   in Loop: Header=BB397_3 Depth=1
	s_and_b32 vcc_lo, exec_lo, s60
	s_cbranch_vccnz .LBB397_10
	s_branch .LBB397_12
.LBB397_9:                              ;   in Loop: Header=BB397_3 Depth=1
	s_mov_b32 s28, 0
	s_cbranch_execz .LBB397_12
.LBB397_10:                             ;   in Loop: Header=BB397_3 Depth=1
	s_mul_u64 s[6:7], s[42:43], s[10:11]
	s_lshl_b64 s[60:61], s[28:29], 2
	s_sub_co_i32 s9, s35, s28
	s_add_nc_u64 s[6:7], s[6:7], s[60:61]
	s_delay_alu instid0(SALU_CYCLE_1) | instskip(NEXT) | instid1(SALU_CYCLE_1)
	s_mul_u64 s[6:7], s[36:37], s[6:7]
	s_add_nc_u64 s[6:7], s[38:39], s[6:7]
.LBB397_11:                             ;   Parent Loop BB397_3 Depth=1
                                        ; =>  This Inner Loop Header: Depth=2
	s_add_co_i32 s9, s9, -1
	global_store_b32 v0, v0, s[6:7]
	s_cmp_eq_u32 s9, 0
	s_wait_xcnt 0x0
	s_add_nc_u64 s[6:7], s[6:7], s[44:45]
	s_cbranch_scc0 .LBB397_11
.LBB397_12:                             ;   in Loop: Header=BB397_3 Depth=1
	s_or_b32 exec_lo, exec_lo, s8
	s_mov_b32 s6, 0
.LBB397_13:                             ;   in Loop: Header=BB397_3 Depth=1
	s_delay_alu instid0(SALU_CYCLE_1)
	s_and_not1_b32 vcc_lo, exec_lo, s6
	s_cbranch_vccnz .LBB397_2
; %bb.14:                               ;   in Loop: Header=BB397_3 Depth=1
	v_mad_nc_u64_u32 v[22:23], s46, s10, v[18:19]
	s_mul_u64 s[6:7], s[24:25], s[10:11]
	s_mul_u64 s[8:9], s[16:17], s[10:11]
	s_lshl_b64 s[6:7], s[6:7], 1
	s_mul_u64 s[60:61], s[20:21], s[10:11]
	s_add_nc_u64 s[6:7], s[18:19], s[6:7]
	s_lshl_b64 s[72:73], s[8:9], 2
	v_lshl_add_u64 v[24:25], s[60:61], 1, v[8:9]
	v_lshl_add_u64 v[26:27], v[10:11], 1, s[6:7]
	;; [unrolled: 1-line block ×4, first 2 shown]
	v_mad_u32 v23, s47, s10, v23
	v_lshl_add_u64 v[32:33], v[16:17], 1, s[6:7]
	v_cmp_gt_u32_e64 s9, 24, v42
	v_cmp_gt_u32_e64 s8, 28, v42
	v_cmp_gt_u32_e64 s7, 30, v42
	v_cmp_ne_u32_e64 s6, 31, v42
	s_add_nc_u64 s[60:61], s[26:27], s[72:73]
	s_mul_u64 s[62:63], s[50:51], s[10:11]
	s_and_not1_b32 vcc_lo, exec_lo, s67
	s_add_nc_u64 s[60:61], s[60:61], s[22:23]
	s_cbranch_vccnz .LBB397_63
; %bb.15:                               ;   in Loop: Header=BB397_3 Depth=1
	v_cndmask_b32_e64 v4, 0, 8, s9
	v_cndmask_b32_e64 v5, 0, 4, s8
	s_wait_dscnt 0x0
	v_add_co_ci_u32_e64 v35, null, 0, v42, s6
	v_dual_mov_b32 v1, v0 :: v_dual_mov_b32 v2, v0
	s_delay_alu instid0(VALU_DEP_2) | instskip(SKIP_3) | instid1(VALU_DEP_4)
	v_dual_mov_b32 v3, v0 :: v_dual_lshlrev_b32 v48, 2, v35
	v_cndmask_b32_e64 v34, 0, 2, s7
	v_add_lshl_u32 v45, v4, v42, 2
	v_add_lshl_u32 v46, v5, v42, 2
	v_mov_b64_e32 v[4:5], v[2:3]
	v_add_nc_u64_e32 v[6:7], s[62:63], v[8:9]
	v_mov_b64_e32 v[2:3], v[0:1]
	v_add_lshl_u32 v47, v34, v42, 2
	s_mov_b32 s28, 0
	s_branch .LBB397_17
.LBB397_16:                             ;   in Loop: Header=BB397_17 Depth=2
	s_wait_xcnt 0x0
	s_or_b32 exec_lo, exec_lo, s6
	v_add_nc_u64_e32 v[6:7], s[52:53], v[6:7]
	s_add_co_i32 s28, s28, 4
	s_delay_alu instid0(SALU_CYCLE_1)
	s_cmp_ge_i32 s28, s65
	s_cbranch_scc1 .LBB397_64
.LBB397_17:                             ;   Parent Loop BB397_3 Depth=1
                                        ; =>  This Loop Header: Depth=2
                                        ;       Child Loop BB397_48 Depth 3
                                        ;       Child Loop BB397_51 Depth 3
                                        ; implicit-def: $vgpr35
                                        ; implicit-def: $vgpr37
	s_and_saveexec_b32 s6, s1
	s_delay_alu instid0(SALU_CYCLE_1)
	s_xor_b32 s6, exec_lo, s6
	s_cbranch_execnz .LBB397_44
; %bb.18:                               ;   in Loop: Header=BB397_17 Depth=2
	s_and_not1_saveexec_b32 s11, s6
	s_cbranch_execnz .LBB397_45
.LBB397_19:                             ;   in Loop: Header=BB397_17 Depth=2
	s_or_b32 exec_lo, exec_lo, s11
	s_and_saveexec_b32 s6, s3
.LBB397_20:                             ;   in Loop: Header=BB397_17 Depth=2
	ds_store_b32 v40, v0
.LBB397_21:                             ;   in Loop: Header=BB397_17 Depth=2
	s_or_b32 exec_lo, exec_lo, s6
	ds_bpermute_b32 v1, v43, v36
	s_wait_storecnt_dscnt 0x0
	s_barrier_signal -1
	s_barrier_wait -1
	v_add_f32_e32 v1, v36, v1
	ds_bpermute_b32 v36, v45, v1
	s_wait_dscnt 0x0
	v_add_f32_e32 v1, v1, v36
	ds_bpermute_b32 v36, v46, v1
	s_wait_dscnt 0x0
	;; [unrolled: 3-line block ×3, first 2 shown]
	v_add_f32_e32 v1, v1, v36
	ds_bpermute_b32 v36, v48, v1
	s_and_saveexec_b32 s6, s4
	s_cbranch_execz .LBB397_23
; %bb.22:                               ;   in Loop: Header=BB397_17 Depth=2
	s_wait_dscnt 0x0
	v_add_f32_e32 v1, v1, v36
	ds_store_b32 v41, v1
.LBB397_23:                             ;   in Loop: Header=BB397_17 Depth=2
	s_or_b32 exec_lo, exec_lo, s6
	v_mov_b32_e32 v1, 0
	s_wait_dscnt 0x0
	s_barrier_signal -1
	s_barrier_wait -1
	s_and_saveexec_b32 s6, s5
	s_cbranch_execnz .LBB397_52
; %bb.24:                               ;   in Loop: Header=BB397_17 Depth=2
	s_or_b32 exec_lo, exec_lo, s6
	s_and_saveexec_b32 s6, s3
	s_cbranch_execnz .LBB397_53
.LBB397_25:                             ;   in Loop: Header=BB397_17 Depth=2
	s_or_b32 exec_lo, exec_lo, s6
	s_and_saveexec_b32 s6, s3
.LBB397_26:                             ;   in Loop: Header=BB397_17 Depth=2
	ds_store_b32 v40, v0
.LBB397_27:                             ;   in Loop: Header=BB397_17 Depth=2
	s_or_b32 exec_lo, exec_lo, s6
	ds_bpermute_b32 v36, v43, v37
	s_wait_dscnt 0x0
	s_barrier_signal -1
	s_barrier_wait -1
	v_add_f32_e32 v36, v37, v36
	ds_bpermute_b32 v37, v45, v36
	s_wait_dscnt 0x0
	v_add_f32_e32 v36, v36, v37
	ds_bpermute_b32 v37, v46, v36
	s_wait_dscnt 0x0
	;; [unrolled: 3-line block ×3, first 2 shown]
	v_add_f32_e32 v36, v36, v37
	ds_bpermute_b32 v37, v48, v36
	s_and_saveexec_b32 s6, s4
	s_cbranch_execz .LBB397_29
; %bb.28:                               ;   in Loop: Header=BB397_17 Depth=2
	s_wait_dscnt 0x0
	v_add_f32_e32 v36, v36, v37
	ds_store_b32 v41, v36
.LBB397_29:                             ;   in Loop: Header=BB397_17 Depth=2
	s_or_b32 exec_lo, exec_lo, s6
	v_mov_b32_e32 v36, 0
	s_wait_dscnt 0x0
	s_barrier_signal -1
	s_barrier_wait -1
	s_and_saveexec_b32 s6, s5
	s_cbranch_execnz .LBB397_54
; %bb.30:                               ;   in Loop: Header=BB397_17 Depth=2
	s_or_b32 exec_lo, exec_lo, s6
	s_and_saveexec_b32 s6, s3
	s_cbranch_execnz .LBB397_55
.LBB397_31:                             ;   in Loop: Header=BB397_17 Depth=2
	s_or_b32 exec_lo, exec_lo, s6
	s_and_saveexec_b32 s6, s3
.LBB397_32:                             ;   in Loop: Header=BB397_17 Depth=2
	ds_store_b32 v40, v0
.LBB397_33:                             ;   in Loop: Header=BB397_17 Depth=2
	s_or_b32 exec_lo, exec_lo, s6
	ds_bpermute_b32 v37, v43, v34
	s_wait_dscnt 0x0
	s_barrier_signal -1
	s_barrier_wait -1
	v_add_f32_e32 v34, v34, v37
	ds_bpermute_b32 v37, v45, v34
	s_wait_dscnt 0x0
	v_add_f32_e32 v34, v34, v37
	ds_bpermute_b32 v37, v46, v34
	s_wait_dscnt 0x0
	;; [unrolled: 3-line block ×3, first 2 shown]
	v_add_f32_e32 v34, v34, v37
	ds_bpermute_b32 v37, v48, v34
	s_and_saveexec_b32 s6, s4
	s_cbranch_execz .LBB397_35
; %bb.34:                               ;   in Loop: Header=BB397_17 Depth=2
	s_wait_dscnt 0x0
	v_add_f32_e32 v34, v34, v37
	ds_store_b32 v41, v34
.LBB397_35:                             ;   in Loop: Header=BB397_17 Depth=2
	s_or_b32 exec_lo, exec_lo, s6
	v_mov_b32_e32 v34, 0
	s_wait_dscnt 0x0
	s_barrier_signal -1
	s_barrier_wait -1
	s_and_saveexec_b32 s6, s5
	s_cbranch_execnz .LBB397_56
; %bb.36:                               ;   in Loop: Header=BB397_17 Depth=2
	s_or_b32 exec_lo, exec_lo, s6
	s_and_saveexec_b32 s6, s3
	s_cbranch_execnz .LBB397_57
.LBB397_37:                             ;   in Loop: Header=BB397_17 Depth=2
	s_or_b32 exec_lo, exec_lo, s6
	s_and_saveexec_b32 s6, s3
.LBB397_38:                             ;   in Loop: Header=BB397_17 Depth=2
	ds_store_b32 v40, v0
.LBB397_39:                             ;   in Loop: Header=BB397_17 Depth=2
	s_or_b32 exec_lo, exec_lo, s6
	ds_bpermute_b32 v37, v43, v35
	s_wait_dscnt 0x0
	s_barrier_signal -1
	s_barrier_wait -1
	v_add_f32_e32 v35, v35, v37
	ds_bpermute_b32 v37, v45, v35
	s_wait_dscnt 0x0
	v_add_f32_e32 v35, v35, v37
	ds_bpermute_b32 v37, v46, v35
	s_wait_dscnt 0x0
	;; [unrolled: 3-line block ×3, first 2 shown]
	v_add_f32_e32 v35, v35, v37
	ds_bpermute_b32 v37, v48, v35
	s_and_saveexec_b32 s6, s4
	s_cbranch_execz .LBB397_41
; %bb.40:                               ;   in Loop: Header=BB397_17 Depth=2
	s_wait_dscnt 0x0
	v_add_f32_e32 v35, v35, v37
	ds_store_b32 v41, v35
.LBB397_41:                             ;   in Loop: Header=BB397_17 Depth=2
	s_or_b32 exec_lo, exec_lo, s6
	v_mov_b32_e32 v35, 0
	s_wait_dscnt 0x0
	s_barrier_signal -1
	s_barrier_wait -1
	s_and_saveexec_b32 s6, s5
	s_cbranch_execnz .LBB397_58
; %bb.42:                               ;   in Loop: Header=BB397_17 Depth=2
	s_or_b32 exec_lo, exec_lo, s6
	s_and_saveexec_b32 s6, s3
	s_cbranch_execnz .LBB397_59
.LBB397_43:                             ;   in Loop: Header=BB397_17 Depth=2
	s_or_b32 exec_lo, exec_lo, s6
	s_and_saveexec_b32 s6, s0
	s_cbranch_execz .LBB397_16
	s_branch .LBB397_60
.LBB397_44:                             ;   in Loop: Header=BB397_17 Depth=2
	s_mul_u64 s[8:9], s[28:29], s[30:31]
	s_or_b32 s74, s28, 3
	v_lshl_add_u64 v[2:3], s[8:9], 1, v[24:25]
	s_or_b32 s8, s28, 2
	s_mov_b32 s9, s29
	s_mov_b32 s75, s29
	s_mul_u64 s[8:9], s[8:9], s[30:31]
	s_or_b32 s72, s28, 1
	v_lshl_add_u64 v[4:5], s[8:9], 1, v[24:25]
	s_mul_u64 s[8:9], s[74:75], s[30:31]
	s_mov_b32 s73, s29
	s_clause 0x3
	global_load_u16 v1, v[26:27], off
	global_load_u16 v49, v[28:29], off
	;; [unrolled: 1-line block ×4, first 2 shown]
	s_wait_dscnt 0x0
	s_clause 0x1
	global_load_b64 v[34:35], v[2:3], off
	global_load_b64 v[4:5], v[4:5], off
	s_wait_xcnt 0x1
	v_lshl_add_u64 v[2:3], s[8:9], 1, v[24:25]
	s_mul_u64 s[8:9], s[72:73], s[30:31]
	s_delay_alu instid0(SALU_CYCLE_1)
	v_lshl_add_u64 v[36:37], s[8:9], 1, v[24:25]
	s_clause 0x1
	global_load_b64 v[38:39], v[2:3], off
	global_load_b64 v[36:37], v[36:37], off
	s_wait_loadcnt 0x7
	s_wait_xcnt 0x1
	v_cvt_f32_f16_e32 v2, v1
	s_wait_loadcnt 0x6
	v_cvt_f32_f16_e32 v51, v49
	s_wait_loadcnt 0x5
	;; [unrolled: 2-line block ×4, first 2 shown]
	v_dual_lshrrev_b32 v1, 16, v34 :: v_dual_lshrrev_b32 v49, 16, v35
	s_wait_loadcnt 0x2
	v_dual_lshrrev_b32 v55, 16, v4 :: v_dual_lshrrev_b32 v57, 16, v5
	v_cvt_f32_f16_e32 v64, v5
	v_cvt_f32_f16_e32 v59, v4
	;; [unrolled: 1-line block ×4, first 2 shown]
	s_wait_loadcnt 0x1
	v_dual_lshrrev_b32 v3, 16, v38 :: v_dual_lshrrev_b32 v5, 16, v39
	v_cvt_f32_f16_e32 v50, v38
	v_cvt_f32_f16_e32 v52, v39
	s_wait_loadcnt 0x0
	v_lshrrev_b32_e32 v63, 16, v36
	v_cvt_f32_f16_e32 v3, v3
	v_cvt_f32_f16_e32 v61, v36
	;; [unrolled: 1-line block ×3, first 2 shown]
	s_wait_xcnt 0x0
	v_lshrrev_b32_e32 v37, 16, v37
	v_cvt_f32_f16_e32 v4, v1
	v_pk_mul_f32 v[38:39], v[50:51], v[2:3]
	v_cvt_f32_f16_e32 v1, v55
	v_dual_mul_f32 v62, v2, v59 :: v_dual_mov_b32 v3, v51
	v_cvt_f32_f16_e32 v55, v5
	v_cvt_f32_f16_e32 v5, v63
	s_delay_alu instid0(VALU_DEP_4) | instskip(SKIP_1) | instid1(VALU_DEP_4)
	v_dual_mov_b32 v63, v38 :: v_dual_mul_f32 v38, v51, v1
	v_dual_mov_b32 v56, v51 :: v_dual_mov_b32 v58, v53
	v_pk_mul_f32 v[50:51], v[52:53], v[54:55]
	s_delay_alu instid0(VALU_DEP_3)
	v_pk_add_f32 v[62:63], v[62:63], 0 op_sel_hi:[1,0]
	v_pk_fma_f32 v[60:61], v[2:3], v[60:61], 0 op_sel_hi:[0,1,0]
	v_cvt_f32_f16_e32 v1, v57
	v_mul_f32_e32 v64, v54, v64
	v_mov_b32_e32 v65, v50
	v_pk_add_f32 v[38:39], v[62:63], v[38:39]
	v_pk_fma_f32 v[4:5], v[56:57], v[4:5], v[60:61] op_sel_hi:[0,1,1]
	v_cvt_f32_f16_e32 v36, v49
	v_cvt_f32_f16_e32 v37, v37
	v_mul_f32_e32 v50, v53, v1
	s_delay_alu instid0(VALU_DEP_4) | instskip(SKIP_3) | instid1(VALU_DEP_4)
	v_pk_fma_f32 v[56:57], v[54:55], v[34:35], v[4:5] op_sel_hi:[0,1,1]
	v_mov_b32_e32 v4, v54
	v_pk_add_f32 v[38:39], v[38:39], v[64:65]
	v_mov_b32_e32 v5, v53
	v_pk_fma_f32 v[36:37], v[58:59], v[36:37], v[56:57] op_sel_hi:[0,1,1]
	s_delay_alu instid0(VALU_DEP_3)
	v_pk_add_f32 v[34:35], v[38:39], v[50:51]
	s_and_not1_saveexec_b32 s11, s6
	s_cbranch_execz .LBB397_19
.LBB397_45:                             ;   in Loop: Header=BB397_17 Depth=2
	s_wait_dscnt 0x0
	v_dual_mov_b32 v35, 0 :: v_dual_mov_b32 v34, 0
	v_dual_mov_b32 v37, 0 :: v_dual_mov_b32 v36, 0
	s_and_saveexec_b32 s71, s2
	s_cbranch_execz .LBB397_62
; %bb.46:                               ;   in Loop: Header=BB397_17 Depth=2
	s_and_not1_b32 vcc_lo, exec_lo, s34
	s_cbranch_vccnz .LBB397_49
; %bb.47:                               ;   in Loop: Header=BB397_17 Depth=2
	v_mov_b64_e32 v[34:35], v[22:23]
	s_mov_b64 s[8:9], 0
.LBB397_48:                             ;   Parent Loop BB397_3 Depth=1
                                        ;     Parent Loop BB397_17 Depth=2
                                        ; =>    This Inner Loop Header: Depth=3
	global_load_u16 v1, v[34:35], off
	s_cmp_eq_u32 s8, 3
	s_wait_xcnt 0x0
	v_add_nc_u64_e32 v[34:35], s[48:49], v[34:35]
	s_cselect_b32 vcc_lo, -1, 0
	s_cmp_eq_u32 s8, 2
	s_cselect_b32 s6, -1, 0
	s_cmp_eq_u32 s8, 1
	s_cselect_b32 s7, -1, 0
	s_cmp_eq_u32 s8, 0
	s_add_nc_u64 s[8:9], s[8:9], 1
	s_wait_loadcnt 0x0
	v_cvt_f32_f16_e32 v1, v1
	s_delay_alu instid0(VALU_DEP_1) | instskip(SKIP_1) | instid1(SALU_CYCLE_1)
	v_dual_cndmask_b32 v5, v5, v1, vcc_lo :: v_dual_cndmask_b32 v4, v4, v1, s6
	s_cselect_b32 vcc_lo, -1, 0
	v_dual_cndmask_b32 v3, v3, v1, s7 :: v_dual_cndmask_b32 v2, v2, v1, vcc_lo
	s_cmp_eq_u32 s66, s8
	s_cbranch_scc0 .LBB397_48
.LBB397_49:                             ;   in Loop: Header=BB397_17 Depth=2
	s_and_not1_b32 vcc_lo, exec_lo, s34
	s_cbranch_vccnz .LBB397_61
; %bb.50:                               ;   in Loop: Header=BB397_17 Depth=2
	v_mov_b32_e32 v36, 0
	v_mov_b64_e32 v[38:39], v[6:7]
	s_mov_b64 s[6:7], 0
	s_delay_alu instid0(VALU_DEP_2)
	v_dual_mov_b32 v37, v36 :: v_dual_mov_b32 v34, v36
	v_mov_b32_e32 v35, v36
.LBB397_51:                             ;   Parent Loop BB397_3 Depth=1
                                        ;     Parent Loop BB397_17 Depth=2
                                        ; =>    This Inner Loop Header: Depth=3
	s_delay_alu instid0(VALU_DEP_3)
	v_add_nc_u64_e32 v[50:51], s[58:59], v[38:39]
	v_add_nc_u64_e32 v[52:53], s[56:57], v[38:39]
	;; [unrolled: 1-line block ×3, first 2 shown]
	s_cmp_eq_u32 s6, 1
	s_clause 0x3
	global_load_u16 v1, v[38:39], off
	global_load_u16 v49, v[50:51], off
	;; [unrolled: 1-line block ×4, first 2 shown]
	s_cselect_b32 vcc_lo, -1, 0
	s_cmp_eq_u32 s6, 2
	v_cndmask_b32_e32 v50, v2, v3, vcc_lo
	s_cselect_b32 vcc_lo, -1, 0
	s_cmp_eq_u32 s6, 3
	v_add_nc_u64_e32 v[38:39], 2, v[38:39]
	s_add_nc_u64 s[6:7], s[6:7], 1
	v_cndmask_b32_e32 v50, v50, v4, vcc_lo
	s_cselect_b32 vcc_lo, -1, 0
	s_cmp_lg_u32 s66, s6
	s_delay_alu instid0(VALU_DEP_1)
	v_cndmask_b32_e32 v50, v50, v5, vcc_lo
	s_wait_loadcnt 0x3
	v_cvt_f32_f16_e32 v52, v1
	s_wait_loadcnt 0x2
	s_wait_xcnt 0x0
	v_cvt_f32_f16_e32 v55, v49
	s_wait_loadcnt 0x1
	v_cvt_f32_f16_e32 v54, v51
	s_wait_loadcnt 0x0
	v_cvt_f32_f16_e32 v53, v53
	s_delay_alu instid0(VALU_DEP_2) | instskip(NEXT) | instid1(VALU_DEP_2)
	v_pk_fma_f32 v[34:35], v[50:51], v[54:55], v[34:35] op_sel_hi:[0,1,1]
	v_pk_fma_f32 v[36:37], v[50:51], v[52:53], v[36:37] op_sel_hi:[0,1,1]
	s_cbranch_scc1 .LBB397_51
	s_branch .LBB397_62
.LBB397_52:                             ;   in Loop: Header=BB397_17 Depth=2
	ds_load_b32 v1, v40
	s_or_b32 exec_lo, exec_lo, s6
	s_and_saveexec_b32 s6, s3
	s_cbranch_execz .LBB397_25
.LBB397_53:                             ;   in Loop: Header=BB397_17 Depth=2
	s_wait_dscnt 0x0
	ds_bpermute_b32 v36, v46, v1
	s_wait_dscnt 0x0
	v_add_f32_e32 v1, v1, v36
	ds_bpermute_b32 v36, v47, v1
	s_wait_dscnt 0x0
	v_add_f32_e32 v1, v1, v36
	;; [unrolled: 3-line block ×3, first 2 shown]
	s_or_b32 exec_lo, exec_lo, s6
	s_and_saveexec_b32 s6, s3
	s_cbranch_execnz .LBB397_26
	s_branch .LBB397_27
.LBB397_54:                             ;   in Loop: Header=BB397_17 Depth=2
	ds_load_b32 v36, v40
	s_or_b32 exec_lo, exec_lo, s6
	s_and_saveexec_b32 s6, s3
	s_cbranch_execz .LBB397_31
.LBB397_55:                             ;   in Loop: Header=BB397_17 Depth=2
	s_wait_dscnt 0x0
	ds_bpermute_b32 v37, v46, v36
	s_wait_dscnt 0x0
	v_add_f32_e32 v36, v36, v37
	ds_bpermute_b32 v37, v47, v36
	s_wait_dscnt 0x0
	v_add_f32_e32 v36, v36, v37
	;; [unrolled: 3-line block ×3, first 2 shown]
	s_or_b32 exec_lo, exec_lo, s6
	s_and_saveexec_b32 s6, s3
	s_cbranch_execnz .LBB397_32
	s_branch .LBB397_33
.LBB397_56:                             ;   in Loop: Header=BB397_17 Depth=2
	ds_load_b32 v34, v40
	s_or_b32 exec_lo, exec_lo, s6
	s_and_saveexec_b32 s6, s3
	s_cbranch_execz .LBB397_37
.LBB397_57:                             ;   in Loop: Header=BB397_17 Depth=2
	s_wait_dscnt 0x0
	ds_bpermute_b32 v37, v46, v34
	s_wait_dscnt 0x0
	v_add_f32_e32 v34, v34, v37
	ds_bpermute_b32 v37, v47, v34
	s_wait_dscnt 0x0
	v_add_f32_e32 v34, v34, v37
	;; [unrolled: 3-line block ×3, first 2 shown]
	s_or_b32 exec_lo, exec_lo, s6
	s_and_saveexec_b32 s6, s3
	s_cbranch_execnz .LBB397_38
	s_branch .LBB397_39
.LBB397_58:                             ;   in Loop: Header=BB397_17 Depth=2
	ds_load_b32 v35, v40
	s_or_b32 exec_lo, exec_lo, s6
	s_and_saveexec_b32 s6, s3
	s_cbranch_execz .LBB397_43
.LBB397_59:                             ;   in Loop: Header=BB397_17 Depth=2
	s_wait_dscnt 0x0
	ds_bpermute_b32 v37, v46, v35
	s_wait_dscnt 0x0
	v_add_f32_e32 v35, v35, v37
	ds_bpermute_b32 v37, v47, v35
	s_wait_dscnt 0x0
	v_add_f32_e32 v35, v35, v37
	;; [unrolled: 3-line block ×3, first 2 shown]
	s_or_b32 exec_lo, exec_lo, s6
	s_and_saveexec_b32 s6, s0
	s_cbranch_execz .LBB397_16
.LBB397_60:                             ;   in Loop: Header=BB397_17 Depth=2
	s_or_b32 s72, s28, 1
	s_mov_b32 s73, s29
	s_mul_u64 s[8:9], s[28:29], s[36:37]
	v_dual_mul_f32 v1, v44, v1 :: v_dual_mul_f32 v36, v44, v36
	s_mul_u64 s[72:73], s[72:73], s[36:37]
	s_lshl_b64 s[8:9], s[8:9], 2
	s_lshl_b64 s[72:73], s[72:73], 2
	s_add_nc_u64 s[8:9], s[60:61], s[8:9]
	s_add_nc_u64 s[72:73], s[60:61], s[72:73]
	s_clause 0x1
	global_store_b32 v0, v1, s[8:9]
	global_store_b32 v0, v36, s[72:73]
	s_wait_xcnt 0x1
	s_or_b32 s8, s28, 2
	s_mov_b32 s9, s29
	s_wait_xcnt 0x0
	s_or_b32 s72, s28, 3
	s_mov_b32 s73, s29
	s_mul_u64 s[8:9], s[8:9], s[36:37]
	s_wait_dscnt 0x0
	v_dual_mul_f32 v1, v44, v34 :: v_dual_mul_f32 v34, v44, v35
	s_mul_u64 s[72:73], s[72:73], s[36:37]
	s_lshl_b64 s[8:9], s[8:9], 2
	s_lshl_b64 s[72:73], s[72:73], 2
	s_add_nc_u64 s[8:9], s[60:61], s[8:9]
	s_add_nc_u64 s[72:73], s[60:61], s[72:73]
	s_clause 0x1
	global_store_b32 v0, v1, s[8:9]
	global_store_b32 v0, v34, s[72:73]
	s_branch .LBB397_16
.LBB397_61:                             ;   in Loop: Header=BB397_17 Depth=2
	v_mov_b32_e32 v35, 0
	s_delay_alu instid0(VALU_DEP_1)
	v_dual_mov_b32 v34, v35 :: v_dual_mov_b32 v37, v35
	v_mov_b32_e32 v36, v35
.LBB397_62:                             ;   in Loop: Header=BB397_17 Depth=2
	s_or_b32 exec_lo, exec_lo, s71
	s_delay_alu instid0(SALU_CYCLE_1)
	s_or_b32 exec_lo, exec_lo, s11
	s_and_saveexec_b32 s6, s3
	s_cbranch_execnz .LBB397_20
	s_branch .LBB397_21
.LBB397_63:                             ;   in Loop: Header=BB397_3 Depth=1
	v_dual_mov_b32 v1, v0 :: v_dual_mov_b32 v2, v0
	v_mov_b32_e32 v3, v0
	s_mov_b32 s28, 0
	s_delay_alu instid0(VALU_DEP_1) | instskip(NEXT) | instid1(VALU_DEP_3)
	v_mov_b64_e32 v[4:5], v[2:3]
	v_mov_b64_e32 v[2:3], v[0:1]
.LBB397_64:                             ;   in Loop: Header=BB397_3 Depth=1
	s_cmp_ge_i32 s28, s35
	s_cbranch_scc1 .LBB397_2
; %bb.65:                               ;   in Loop: Header=BB397_3 Depth=1
	v_cmp_gt_u32_e32 vcc_lo, 24, v42
	s_mul_u64 s[6:7], s[54:55], s[28:29]
	s_delay_alu instid0(SALU_CYCLE_1) | instskip(SKIP_4) | instid1(VALU_DEP_2)
	s_add_nc_u64 s[6:7], s[6:7], s[62:63]
	s_wait_dscnt 0x0
	v_add_nc_u64_e32 v[34:35], s[6:7], v[8:9]
	v_cndmask_b32_e64 v1, 0, 8, vcc_lo
	v_cmp_gt_u32_e32 vcc_lo, 28, v42
	v_add_lshl_u32 v1, v1, v42, 2
	v_cndmask_b32_e64 v6, 0, 4, vcc_lo
	v_cmp_gt_u32_e32 vcc_lo, 30, v42
	s_delay_alu instid0(VALU_DEP_2) | instskip(SKIP_2) | instid1(VALU_DEP_2)
	v_add_lshl_u32 v7, v6, v42, 2
	v_cndmask_b32_e64 v36, 0, 2, vcc_lo
	v_cmp_ne_u32_e32 vcc_lo, 31, v42
	v_add_lshl_u32 v38, v36, v42, 2
	v_add_co_ci_u32_e64 v37, null, 0, v42, vcc_lo
	s_delay_alu instid0(VALU_DEP_1)
	v_lshlrev_b32_e32 v39, 2, v37
	s_branch .LBB397_67
.LBB397_66:                             ;   in Loop: Header=BB397_67 Depth=2
	s_wait_xcnt 0x0
	s_or_b32 exec_lo, exec_lo, s6
	v_add_nc_u64_e32 v[34:35], s[54:55], v[34:35]
	s_add_co_i32 s28, s28, 1
	s_delay_alu instid0(SALU_CYCLE_1)
	s_cmp_ge_i32 s28, s35
	s_cbranch_scc1 .LBB397_2
.LBB397_67:                             ;   Parent Loop BB397_3 Depth=1
                                        ; =>  This Loop Header: Depth=2
                                        ;       Child Loop BB397_80 Depth 3
                                        ;       Child Loop BB397_83 Depth 3
	s_wait_dscnt 0x0
	v_mov_b32_e32 v6, s29
	s_and_saveexec_b32 s6, s1
	s_delay_alu instid0(SALU_CYCLE_1)
	s_xor_b32 s6, exec_lo, s6
	s_cbranch_execnz .LBB397_76
; %bb.68:                               ;   in Loop: Header=BB397_67 Depth=2
	s_and_not1_saveexec_b32 s11, s6
	s_cbranch_execnz .LBB397_77
.LBB397_69:                             ;   in Loop: Header=BB397_67 Depth=2
	s_or_b32 exec_lo, exec_lo, s11
	s_and_saveexec_b32 s6, s3
.LBB397_70:                             ;   in Loop: Header=BB397_67 Depth=2
	ds_store_b32 v40, v0
.LBB397_71:                             ;   in Loop: Header=BB397_67 Depth=2
	s_or_b32 exec_lo, exec_lo, s6
	ds_bpermute_b32 v36, v43, v6
	s_wait_storecnt_dscnt 0x0
	s_barrier_signal -1
	s_barrier_wait -1
	v_add_f32_e32 v6, v6, v36
	ds_bpermute_b32 v36, v1, v6
	s_wait_dscnt 0x0
	v_add_f32_e32 v6, v6, v36
	ds_bpermute_b32 v36, v7, v6
	s_wait_dscnt 0x0
	v_add_f32_e32 v6, v6, v36
	ds_bpermute_b32 v36, v38, v6
	s_wait_dscnt 0x0
	v_add_f32_e32 v6, v6, v36
	ds_bpermute_b32 v36, v39, v6
	s_and_saveexec_b32 s6, s4
	s_cbranch_execz .LBB397_73
; %bb.72:                               ;   in Loop: Header=BB397_67 Depth=2
	s_wait_dscnt 0x0
	v_add_f32_e32 v6, v6, v36
	ds_store_b32 v41, v6
.LBB397_73:                             ;   in Loop: Header=BB397_67 Depth=2
	s_or_b32 exec_lo, exec_lo, s6
	v_mov_b32_e32 v6, 0
	s_wait_dscnt 0x0
	s_barrier_signal -1
	s_barrier_wait -1
	s_and_saveexec_b32 s6, s5
	s_cbranch_execnz .LBB397_85
; %bb.74:                               ;   in Loop: Header=BB397_67 Depth=2
	s_or_b32 exec_lo, exec_lo, s6
	s_and_saveexec_b32 s6, s3
	s_cbranch_execnz .LBB397_86
.LBB397_75:                             ;   in Loop: Header=BB397_67 Depth=2
	s_or_b32 exec_lo, exec_lo, s6
	s_and_saveexec_b32 s6, s0
	s_cbranch_execz .LBB397_66
	s_branch .LBB397_87
.LBB397_76:                             ;   in Loop: Header=BB397_67 Depth=2
	s_mul_u64 s[8:9], s[28:29], s[30:31]
	s_delay_alu instid0(SALU_CYCLE_1)
	v_lshl_add_u64 v[2:3], s[8:9], 1, v[24:25]
	global_load_b64 v[36:37], v[2:3], off
	s_clause 0x3
	global_load_u16 v2, v[28:29], off
	global_load_u16 v4, v[26:27], off
	;; [unrolled: 1-line block ×4, first 2 shown]
	s_wait_loadcnt 0x4
	v_dual_lshrrev_b32 v5, 16, v36 :: v_dual_lshrrev_b32 v48, 16, v37
	s_wait_loadcnt 0x3
	v_cvt_f32_f16_e32 v3, v2
	s_wait_loadcnt 0x2
	v_cvt_f32_f16_e32 v2, v4
	v_cvt_f32_f16_e32 v4, v36
	;; [unrolled: 1-line block ×5, first 2 shown]
	s_delay_alu instid0(VALU_DEP_3)
	v_pk_mul_f32 v[46:47], v[2:3], v[4:5]
	s_wait_loadcnt 0x1
	v_cvt_f32_f16_e32 v5, v6
	s_wait_loadcnt 0x0
	v_cvt_f32_f16_e32 v4, v45
	v_add_f32_e32 v6, 0, v46
	s_delay_alu instid0(VALU_DEP_2) | instskip(NEXT) | instid1(VALU_DEP_2)
	v_pk_mul_f32 v[36:37], v[4:5], v[36:37]
	v_add_f32_e32 v6, v6, v47
	s_delay_alu instid0(VALU_DEP_1) | instskip(NEXT) | instid1(VALU_DEP_1)
	v_add_f32_e32 v6, v6, v36
	v_add_f32_e32 v6, v6, v37
	s_wait_xcnt 0x0
	s_and_not1_saveexec_b32 s11, s6
	s_cbranch_execz .LBB397_69
.LBB397_77:                             ;   in Loop: Header=BB397_67 Depth=2
	s_and_saveexec_b32 s62, s2
	s_cbranch_execz .LBB397_84
; %bb.78:                               ;   in Loop: Header=BB397_67 Depth=2
	s_and_not1_b32 vcc_lo, exec_lo, s34
	s_cbranch_vccnz .LBB397_81
; %bb.79:                               ;   in Loop: Header=BB397_67 Depth=2
	v_mov_b64_e32 v[36:37], v[22:23]
	s_mov_b64 s[8:9], 0
.LBB397_80:                             ;   Parent Loop BB397_3 Depth=1
                                        ;     Parent Loop BB397_67 Depth=2
                                        ; =>    This Inner Loop Header: Depth=3
	global_load_u16 v45, v[36:37], off
	s_cmp_eq_u32 s8, 3
	s_wait_xcnt 0x0
	v_add_nc_u64_e32 v[36:37], s[48:49], v[36:37]
	s_cselect_b32 vcc_lo, -1, 0
	s_cmp_eq_u32 s8, 2
	s_cselect_b32 s6, -1, 0
	s_cmp_eq_u32 s8, 1
	s_cselect_b32 s7, -1, 0
	s_cmp_eq_u32 s8, 0
	s_add_nc_u64 s[8:9], s[8:9], 1
	s_wait_loadcnt 0x0
	v_cvt_f32_f16_e32 v45, v45
	s_delay_alu instid0(VALU_DEP_1) | instskip(SKIP_1) | instid1(SALU_CYCLE_1)
	v_dual_cndmask_b32 v5, v5, v45, vcc_lo :: v_dual_cndmask_b32 v4, v4, v45, s6
	s_cselect_b32 vcc_lo, -1, 0
	v_dual_cndmask_b32 v3, v3, v45, s7 :: v_dual_cndmask_b32 v2, v2, v45, vcc_lo
	s_cmp_eq_u32 s66, s8
	s_cbranch_scc0 .LBB397_80
.LBB397_81:                             ;   in Loop: Header=BB397_67 Depth=2
	s_and_not1_b32 vcc_lo, exec_lo, s34
	s_cbranch_vccnz .LBB397_84
; %bb.82:                               ;   in Loop: Header=BB397_67 Depth=2
	v_mov_b64_e32 v[36:37], v[34:35]
	s_mov_b64 s[6:7], 0
.LBB397_83:                             ;   Parent Loop BB397_3 Depth=1
                                        ;     Parent Loop BB397_67 Depth=2
                                        ; =>    This Inner Loop Header: Depth=3
	global_load_u16 v45, v[36:37], off
	s_cmp_eq_u32 s6, 1
	s_wait_xcnt 0x0
	v_add_nc_u64_e32 v[36:37], 2, v[36:37]
	s_cselect_b32 vcc_lo, -1, 0
	s_cmp_eq_u32 s6, 2
	v_cndmask_b32_e32 v46, v2, v3, vcc_lo
	s_cselect_b32 vcc_lo, -1, 0
	s_cmp_eq_u32 s6, 3
	s_add_nc_u64 s[6:7], s[6:7], 1
	s_delay_alu instid0(VALU_DEP_1) | instskip(SKIP_2) | instid1(VALU_DEP_1)
	v_cndmask_b32_e32 v46, v46, v4, vcc_lo
	s_cselect_b32 vcc_lo, -1, 0
	s_cmp_lg_u32 s66, s6
	v_cndmask_b32_e32 v46, v46, v5, vcc_lo
	s_wait_loadcnt 0x0
	s_delay_alu instid0(VALU_DEP_1)
	v_fma_mix_f32 v6, v46, v45, v6 op_sel_hi:[0,1,0]
	s_cbranch_scc1 .LBB397_83
.LBB397_84:                             ;   in Loop: Header=BB397_67 Depth=2
	s_or_b32 exec_lo, exec_lo, s62
	s_delay_alu instid0(SALU_CYCLE_1)
	s_or_b32 exec_lo, exec_lo, s11
	s_and_saveexec_b32 s6, s3
	s_cbranch_execnz .LBB397_70
	s_branch .LBB397_71
.LBB397_85:                             ;   in Loop: Header=BB397_67 Depth=2
	ds_load_b32 v6, v40
	s_or_b32 exec_lo, exec_lo, s6
	s_and_saveexec_b32 s6, s3
	s_cbranch_execz .LBB397_75
.LBB397_86:                             ;   in Loop: Header=BB397_67 Depth=2
	s_wait_dscnt 0x0
	ds_bpermute_b32 v36, v7, v6
	s_wait_dscnt 0x0
	v_add_f32_e32 v6, v6, v36
	ds_bpermute_b32 v36, v38, v6
	s_wait_dscnt 0x0
	v_add_f32_e32 v6, v6, v36
	;; [unrolled: 3-line block ×3, first 2 shown]
	s_or_b32 exec_lo, exec_lo, s6
	s_and_saveexec_b32 s6, s0
	s_cbranch_execz .LBB397_66
.LBB397_87:                             ;   in Loop: Header=BB397_67 Depth=2
	s_mul_u64 s[8:9], s[28:29], s[36:37]
	s_wait_dscnt 0x0
	v_mul_f32_e32 v6, v44, v6
	s_lshl_b64 s[8:9], s[8:9], 2
	s_delay_alu instid0(SALU_CYCLE_1)
	s_add_nc_u64 s[8:9], s[60:61], s[8:9]
	global_store_b32 v0, v6, s[8:9]
	s_branch .LBB397_66
.LBB397_88:
	s_sendmsg sendmsg(MSG_DEALLOC_VGPRS)
	s_endpgm
	.section	.rodata,"a",@progbits
	.p2align	6, 0x0
	.amdhsa_kernel _ZL23rocblas_gemvt_sn_kernelILb0ELi256ELi4ElDF16_PKffEviiT4_lPKT3_lilS5_lilPT5_i
		.amdhsa_group_segment_fixed_size 128
		.amdhsa_private_segment_fixed_size 0
		.amdhsa_kernarg_size 360
		.amdhsa_user_sgpr_count 2
		.amdhsa_user_sgpr_dispatch_ptr 0
		.amdhsa_user_sgpr_queue_ptr 0
		.amdhsa_user_sgpr_kernarg_segment_ptr 1
		.amdhsa_user_sgpr_dispatch_id 0
		.amdhsa_user_sgpr_kernarg_preload_length 0
		.amdhsa_user_sgpr_kernarg_preload_offset 0
		.amdhsa_user_sgpr_private_segment_size 0
		.amdhsa_wavefront_size32 1
		.amdhsa_uses_dynamic_stack 0
		.amdhsa_enable_private_segment 0
		.amdhsa_system_sgpr_workgroup_id_x 1
		.amdhsa_system_sgpr_workgroup_id_y 0
		.amdhsa_system_sgpr_workgroup_id_z 1
		.amdhsa_system_sgpr_workgroup_info 0
		.amdhsa_system_vgpr_workitem_id 0
		.amdhsa_next_free_vgpr 66
		.amdhsa_next_free_sgpr 76
		.amdhsa_named_barrier_count 0
		.amdhsa_reserve_vcc 1
		.amdhsa_float_round_mode_32 0
		.amdhsa_float_round_mode_16_64 0
		.amdhsa_float_denorm_mode_32 3
		.amdhsa_float_denorm_mode_16_64 3
		.amdhsa_fp16_overflow 0
		.amdhsa_memory_ordered 1
		.amdhsa_forward_progress 1
		.amdhsa_inst_pref_size 33
		.amdhsa_round_robin_scheduling 0
		.amdhsa_exception_fp_ieee_invalid_op 0
		.amdhsa_exception_fp_denorm_src 0
		.amdhsa_exception_fp_ieee_div_zero 0
		.amdhsa_exception_fp_ieee_overflow 0
		.amdhsa_exception_fp_ieee_underflow 0
		.amdhsa_exception_fp_ieee_inexact 0
		.amdhsa_exception_int_div_zero 0
	.end_amdhsa_kernel
	.section	.text._ZL23rocblas_gemvt_sn_kernelILb0ELi256ELi4ElDF16_PKffEviiT4_lPKT3_lilS5_lilPT5_i,"axG",@progbits,_ZL23rocblas_gemvt_sn_kernelILb0ELi256ELi4ElDF16_PKffEviiT4_lPKT3_lilS5_lilPT5_i,comdat
.Lfunc_end397:
	.size	_ZL23rocblas_gemvt_sn_kernelILb0ELi256ELi4ElDF16_PKffEviiT4_lPKT3_lilS5_lilPT5_i, .Lfunc_end397-_ZL23rocblas_gemvt_sn_kernelILb0ELi256ELi4ElDF16_PKffEviiT4_lPKT3_lilS5_lilPT5_i
                                        ; -- End function
	.set _ZL23rocblas_gemvt_sn_kernelILb0ELi256ELi4ElDF16_PKffEviiT4_lPKT3_lilS5_lilPT5_i.num_vgpr, 66
	.set _ZL23rocblas_gemvt_sn_kernelILb0ELi256ELi4ElDF16_PKffEviiT4_lPKT3_lilS5_lilPT5_i.num_agpr, 0
	.set _ZL23rocblas_gemvt_sn_kernelILb0ELi256ELi4ElDF16_PKffEviiT4_lPKT3_lilS5_lilPT5_i.numbered_sgpr, 76
	.set _ZL23rocblas_gemvt_sn_kernelILb0ELi256ELi4ElDF16_PKffEviiT4_lPKT3_lilS5_lilPT5_i.num_named_barrier, 0
	.set _ZL23rocblas_gemvt_sn_kernelILb0ELi256ELi4ElDF16_PKffEviiT4_lPKT3_lilS5_lilPT5_i.private_seg_size, 0
	.set _ZL23rocblas_gemvt_sn_kernelILb0ELi256ELi4ElDF16_PKffEviiT4_lPKT3_lilS5_lilPT5_i.uses_vcc, 1
	.set _ZL23rocblas_gemvt_sn_kernelILb0ELi256ELi4ElDF16_PKffEviiT4_lPKT3_lilS5_lilPT5_i.uses_flat_scratch, 0
	.set _ZL23rocblas_gemvt_sn_kernelILb0ELi256ELi4ElDF16_PKffEviiT4_lPKT3_lilS5_lilPT5_i.has_dyn_sized_stack, 0
	.set _ZL23rocblas_gemvt_sn_kernelILb0ELi256ELi4ElDF16_PKffEviiT4_lPKT3_lilS5_lilPT5_i.has_recursion, 0
	.set _ZL23rocblas_gemvt_sn_kernelILb0ELi256ELi4ElDF16_PKffEviiT4_lPKT3_lilS5_lilPT5_i.has_indirect_call, 0
	.section	.AMDGPU.csdata,"",@progbits
; Kernel info:
; codeLenInByte = 4152
; TotalNumSgprs: 78
; NumVgprs: 66
; ScratchSize: 0
; MemoryBound: 0
; FloatMode: 240
; IeeeMode: 1
; LDSByteSize: 128 bytes/workgroup (compile time only)
; SGPRBlocks: 0
; VGPRBlocks: 4
; NumSGPRsForWavesPerEU: 78
; NumVGPRsForWavesPerEU: 66
; NamedBarCnt: 0
; Occupancy: 12
; WaveLimiterHint : 0
; COMPUTE_PGM_RSRC2:SCRATCH_EN: 0
; COMPUTE_PGM_RSRC2:USER_SGPR: 2
; COMPUTE_PGM_RSRC2:TRAP_HANDLER: 0
; COMPUTE_PGM_RSRC2:TGID_X_EN: 1
; COMPUTE_PGM_RSRC2:TGID_Y_EN: 0
; COMPUTE_PGM_RSRC2:TGID_Z_EN: 1
; COMPUTE_PGM_RSRC2:TIDIG_COMP_CNT: 0
	.section	.text._ZL23rocblas_gemvt_sn_reduceILi256ELi8EfPKfDF16_EviT2_lPT3_lilPT1_i,"axG",@progbits,_ZL23rocblas_gemvt_sn_reduceILi256ELi8EfPKfDF16_EviT2_lPT3_lilPT1_i,comdat
	.globl	_ZL23rocblas_gemvt_sn_reduceILi256ELi8EfPKfDF16_EviT2_lPT3_lilPT1_i ; -- Begin function _ZL23rocblas_gemvt_sn_reduceILi256ELi8EfPKfDF16_EviT2_lPT3_lilPT1_i
	.p2align	8
	.type	_ZL23rocblas_gemvt_sn_reduceILi256ELi8EfPKfDF16_EviT2_lPT3_lilPT1_i,@function
_ZL23rocblas_gemvt_sn_reduceILi256ELi8EfPKfDF16_EviT2_lPT3_lilPT1_i: ; @_ZL23rocblas_gemvt_sn_reduceILi256ELi8EfPKfDF16_EviT2_lPT3_lilPT1_i
; %bb.0:
	s_load_b32 s30, s[0:1], 0x40
	s_bfe_u32 s2, ttmp6, 0x40014
	s_lshr_b32 s3, ttmp7, 16
	s_add_co_i32 s2, s2, 1
	s_bfe_u32 s5, ttmp6, 0x40008
	s_mul_i32 s4, s3, s2
	s_getreg_b32 s2, hwreg(HW_REG_IB_STS2, 6, 4)
	s_add_co_i32 s5, s5, s4
	s_cmp_eq_u32 s2, 0
	s_mov_b32 s7, 0
	s_cselect_b32 s6, s3, s5
	s_wait_kmcnt 0x0
	s_cmp_ge_u32 s6, s30
	s_cbranch_scc1 .LBB398_21
; %bb.1:
	s_clause 0x5
	s_load_b32 s20, s[0:1], 0x0
	s_load_b32 s31, s[0:1], 0x4c
	;; [unrolled: 1-line block ×4, first 2 shown]
	s_load_b256 s[8:15], s[0:1], 0x8
	s_load_b128 s[16:19], s[0:1], 0x30
	v_mbcnt_lo_u32_b32 v1, -1, 0
	s_wait_xcnt 0x0
	s_bfe_u32 s0, ttmp6, 0x40010
	v_dual_lshlrev_b32 v6, 3, v0 :: v_dual_bitop2_b32 v13, 31, v0 bitop3:0x40
	v_mov_b32_e32 v3, 0
	v_cmp_gt_u32_e32 vcc_lo, 24, v1
	s_and_b32 s4, ttmp7, 0xffff
	s_add_co_i32 s0, s0, 1
	s_bfe_u32 s1, ttmp6, 0x40004
	s_mul_i32 s0, s4, s0
	v_cndmask_b32_e64 v4, 0, 8, vcc_lo
	v_cmp_gt_u32_e32 vcc_lo, 28, v1
	v_lshlrev_b32_e32 v7, 2, v13
	s_add_co_i32 s5, s1, s0
	v_mov_b32_e32 v5, v3
	v_add_lshl_u32 v9, v4, v1, 2
	v_cndmask_b32_e64 v10, 0, 4, vcc_lo
	v_cmp_gt_u32_e32 vcc_lo, 30, v1
	v_lshlrev_b32_e32 v4, 5, v0
	s_wait_kmcnt 0x0
	s_ashr_i32 s21, s20, 31
	s_ashr_i32 s23, s22, 31
	s_lshl_b64 s[0:1], s[14:15], 1
	s_cmp_eq_u32 s2, 0
	v_cndmask_b32_e64 v11, 0, 2, vcc_lo
	s_cselect_b32 s14, s4, s5
	s_lshr_b32 s2, s21, 29
	v_cmp_ne_u32_e32 vcc_lo, 31, v1
	v_add_nc_u64_e32 v[4:5], s[18:19], v[4:5]
	s_add_nc_u64 s[12:13], s[12:13], s[0:1]
	s_add_co_i32 s0, s20, s2
	v_lshrrev_b32_e32 v14, 3, v0
	s_and_b32 s33, s0, -8
	v_add_co_ci_u32_e64 v12, null, 0, v1, vcc_lo
	s_sub_co_i32 s1, s20, s33
	v_xad_u32 v2, v0, -1, s20
	v_cmp_gt_u32_e64 s1, s1, v0
	v_cmp_gt_u32_e64 s2, 32, v0
	v_lshl_or_b32 v8, v1, 2, 64
	v_add_lshl_u32 v10, v10, v1, 2
	v_add_lshl_u32 v11, v11, v1, 2
	v_cmp_gt_u32_e64 s4, 8, v0
	v_cmp_eq_u32_e64 s5, 0, v0
	v_add_nc_u64_e32 v[0:1], 28, v[4:5]
	s_mov_b32 s15, s7
	s_and_b32 s24, s3, 0xffff
	v_cmp_gt_i32_e64 s0, s33, v6
	v_lshlrev_b32_e32 v12, 2, v12
	v_cmp_eq_u32_e64 s3, 0, v13
	v_and_b32_e32 v13, 28, v14
	s_mul_u64 s[26:27], s[22:23], s[14:15]
	s_mul_i32 s15, s6, s31
	s_lshl_b32 s34, s24, 3
	s_lshl_b64 s[22:23], s[20:21], 2
	s_add_co_i32 s15, s14, s15
	s_lshl_b32 s35, s31, 16
	s_lshl_b32 s24, s24, 5
	s_mov_b32 s25, s7
	s_lshl_b64 s[26:27], s[26:27], 1
	s_branch .LBB398_4
.LBB398_2:                              ;   in Loop: Header=BB398_4 Depth=1
	s_wait_dscnt 0x0
	s_delay_alu instid0(VALU_DEP_1)
	v_cvt_f16_f32_e32 v4, v4
	global_store_b16 v3, v4, s[28:29]
.LBB398_3:                              ;   in Loop: Header=BB398_4 Depth=1
	s_wait_xcnt 0x0
	s_or_b32 exec_lo, exec_lo, s36
	s_add_co_i32 s6, s6, 0x10000
	s_add_co_i32 s15, s15, s35
	s_cmp_lt_u32 s6, s30
	s_cbranch_scc0 .LBB398_21
.LBB398_4:                              ; =>This Loop Header: Depth=1
                                        ;     Child Loop BB398_14 Depth 2
	s_mul_u64 s[28:29], s[10:11], s[6:7]
	v_mov_b32_e32 v15, 0
	s_lshl_b64 s[28:29], s[28:29], 2
	s_delay_alu instid0(SALU_CYCLE_1)
	s_add_nc_u64 s[28:29], s[8:9], s[28:29]
	global_load_b32 v14, v3, s[28:29]
	s_wait_xcnt 0x0
	s_and_saveexec_b32 s28, s0
	s_cbranch_execnz .LBB398_13
; %bb.5:                                ;   in Loop: Header=BB398_4 Depth=1
	s_or_b32 exec_lo, exec_lo, s28
	s_and_saveexec_b32 s28, s1
	s_cbranch_execnz .LBB398_16
.LBB398_6:                              ;   in Loop: Header=BB398_4 Depth=1
	s_or_b32 exec_lo, exec_lo, s28
	s_and_saveexec_b32 s28, s2
.LBB398_7:                              ;   in Loop: Header=BB398_4 Depth=1
	ds_store_b32 v7, v3
.LBB398_8:                              ;   in Loop: Header=BB398_4 Depth=1
	s_or_b32 exec_lo, exec_lo, s28
	s_wait_dscnt 0x0
	ds_bpermute_b32 v4, v8, v15
	s_wait_loadcnt_dscnt 0x0
	s_barrier_signal -1
	s_barrier_wait -1
	v_add_f32_e32 v4, v15, v4
	ds_bpermute_b32 v5, v9, v4
	s_wait_dscnt 0x0
	v_add_f32_e32 v4, v4, v5
	ds_bpermute_b32 v5, v10, v4
	s_wait_dscnt 0x0
	;; [unrolled: 3-line block ×3, first 2 shown]
	v_add_f32_e32 v4, v4, v5
	ds_bpermute_b32 v5, v12, v4
	s_and_saveexec_b32 s28, s3
	s_cbranch_execz .LBB398_10
; %bb.9:                                ;   in Loop: Header=BB398_4 Depth=1
	s_wait_dscnt 0x0
	v_add_f32_e32 v4, v4, v5
	ds_store_b32 v13, v4
.LBB398_10:                             ;   in Loop: Header=BB398_4 Depth=1
	s_or_b32 exec_lo, exec_lo, s28
	v_mov_b32_e32 v4, 0
	s_wait_dscnt 0x0
	s_barrier_signal -1
	s_barrier_wait -1
	s_and_saveexec_b32 s28, s4
	s_cbranch_execnz .LBB398_17
; %bb.11:                               ;   in Loop: Header=BB398_4 Depth=1
	s_or_b32 exec_lo, exec_lo, s28
	s_and_saveexec_b32 s28, s2
	s_cbranch_execnz .LBB398_18
.LBB398_12:                             ;   in Loop: Header=BB398_4 Depth=1
	s_or_b32 exec_lo, exec_lo, s28
	s_and_saveexec_b32 s36, s5
	s_cbranch_execz .LBB398_3
	s_branch .LBB398_19
.LBB398_13:                             ;   in Loop: Header=BB398_4 Depth=1
	s_wait_dscnt 0x0
	v_mad_nc_u64_u32 v[4:5], s22, s15, v[0:1]
	v_dual_mov_b32 v15, 0 :: v_dual_mov_b32 v16, v6
	s_mov_b32 s29, 0
	s_delay_alu instid0(VALU_DEP_2)
	v_mad_u32 v5, s23, s15, v5
.LBB398_14:                             ;   Parent Loop BB398_4 Depth=1
                                        ; =>  This Inner Loop Header: Depth=2
	s_clause 0x1
	global_load_b128 v[18:21], v[4:5], off offset:-28
	global_load_b128 v[22:25], v[4:5], off offset:-12
	s_wait_xcnt 0x0
	v_add_nc_u64_e32 v[4:5], s[24:25], v[4:5]
	v_add_nc_u32_e32 v16, s34, v16
	s_delay_alu instid0(VALU_DEP_1) | instskip(SKIP_3) | instid1(VALU_DEP_1)
	v_cmp_le_i32_e32 vcc_lo, s33, v16
	s_or_b32 s29, vcc_lo, s29
	s_wait_loadcnt 0x1
	v_add_f32_e32 v15, v15, v18
	v_add_f32_e32 v15, v15, v19
	s_delay_alu instid0(VALU_DEP_1) | instskip(NEXT) | instid1(VALU_DEP_1)
	v_add_f32_e32 v15, v15, v20
	v_add_f32_e32 v15, v15, v21
	s_wait_loadcnt 0x0
	s_delay_alu instid0(VALU_DEP_1) | instskip(NEXT) | instid1(VALU_DEP_1)
	v_add_f32_e32 v15, v15, v22
	v_add_f32_e32 v15, v15, v23
	s_delay_alu instid0(VALU_DEP_1) | instskip(NEXT) | instid1(VALU_DEP_1)
	v_add_f32_e32 v15, v15, v24
	v_add_f32_e32 v15, v15, v25
	s_and_not1_b32 exec_lo, exec_lo, s29
	s_cbranch_execnz .LBB398_14
; %bb.15:                               ;   in Loop: Header=BB398_4 Depth=1
	s_or_b32 exec_lo, exec_lo, s29
	s_delay_alu instid0(SALU_CYCLE_1)
	s_or_b32 exec_lo, exec_lo, s28
	s_and_saveexec_b32 s28, s1
	s_cbranch_execz .LBB398_6
.LBB398_16:                             ;   in Loop: Header=BB398_4 Depth=1
	s_mul_i32 s29, s31, s6
	s_mov_b32 s37, s7
	s_add_co_i32 s36, s29, s14
	s_delay_alu instid0(SALU_CYCLE_1) | instskip(NEXT) | instid1(SALU_CYCLE_1)
	s_mul_u64 s[36:37], s[36:37], s[20:21]
	s_lshl_b64 s[36:37], s[36:37], 2
	s_delay_alu instid0(SALU_CYCLE_1)
	s_add_nc_u64 s[36:37], s[18:19], s[36:37]
	s_wait_dscnt 0x0
	v_lshl_add_u64 v[4:5], v[2:3], 2, s[36:37]
	global_load_b32 v4, v[4:5], off
	s_wait_loadcnt 0x0
	v_add_f32_e32 v15, v15, v4
	s_wait_xcnt 0x0
	s_or_b32 exec_lo, exec_lo, s28
	s_and_saveexec_b32 s28, s2
	s_cbranch_execnz .LBB398_7
	s_branch .LBB398_8
.LBB398_17:                             ;   in Loop: Header=BB398_4 Depth=1
	ds_load_b32 v4, v7
	s_or_b32 exec_lo, exec_lo, s28
	s_and_saveexec_b32 s28, s2
	s_cbranch_execz .LBB398_12
.LBB398_18:                             ;   in Loop: Header=BB398_4 Depth=1
	s_wait_dscnt 0x0
	ds_bpermute_b32 v5, v10, v4
	s_wait_dscnt 0x0
	v_add_f32_e32 v4, v4, v5
	ds_bpermute_b32 v5, v11, v4
	s_wait_dscnt 0x0
	v_add_f32_e32 v4, v4, v5
	;; [unrolled: 3-line block ×3, first 2 shown]
	s_or_b32 exec_lo, exec_lo, s28
	s_and_saveexec_b32 s36, s5
	s_cbranch_execz .LBB398_3
.LBB398_19:                             ;   in Loop: Header=BB398_4 Depth=1
	s_mul_u64 s[28:29], s[16:17], s[6:7]
	v_cmp_eq_f32_e32 vcc_lo, 0, v14
	s_lshl_b64 s[28:29], s[28:29], 1
	s_delay_alu instid0(SALU_CYCLE_1) | instskip(NEXT) | instid1(SALU_CYCLE_1)
	s_add_nc_u64 s[28:29], s[12:13], s[28:29]
	s_add_nc_u64 s[28:29], s[28:29], s[26:27]
	s_cbranch_vccnz .LBB398_2
; %bb.20:                               ;   in Loop: Header=BB398_4 Depth=1
	global_load_u16 v5, v3, s[28:29]
	s_wait_loadcnt_dscnt 0x0
	v_fma_mix_f32 v4, v14, v5, v4 op_sel_hi:[0,1,0]
	s_branch .LBB398_2
.LBB398_21:
	s_endpgm
	.section	.rodata,"a",@progbits
	.p2align	6, 0x0
	.amdhsa_kernel _ZL23rocblas_gemvt_sn_reduceILi256ELi8EfPKfDF16_EviT2_lPT3_lilPT1_i
		.amdhsa_group_segment_fixed_size 128
		.amdhsa_private_segment_fixed_size 0
		.amdhsa_kernarg_size 328
		.amdhsa_user_sgpr_count 2
		.amdhsa_user_sgpr_dispatch_ptr 0
		.amdhsa_user_sgpr_queue_ptr 0
		.amdhsa_user_sgpr_kernarg_segment_ptr 1
		.amdhsa_user_sgpr_dispatch_id 0
		.amdhsa_user_sgpr_kernarg_preload_length 0
		.amdhsa_user_sgpr_kernarg_preload_offset 0
		.amdhsa_user_sgpr_private_segment_size 0
		.amdhsa_wavefront_size32 1
		.amdhsa_uses_dynamic_stack 0
		.amdhsa_enable_private_segment 0
		.amdhsa_system_sgpr_workgroup_id_x 1
		.amdhsa_system_sgpr_workgroup_id_y 1
		.amdhsa_system_sgpr_workgroup_id_z 1
		.amdhsa_system_sgpr_workgroup_info 0
		.amdhsa_system_vgpr_workitem_id 0
		.amdhsa_next_free_vgpr 26
		.amdhsa_next_free_sgpr 38
		.amdhsa_named_barrier_count 0
		.amdhsa_reserve_vcc 1
		.amdhsa_float_round_mode_32 0
		.amdhsa_float_round_mode_16_64 0
		.amdhsa_float_denorm_mode_32 3
		.amdhsa_float_denorm_mode_16_64 3
		.amdhsa_fp16_overflow 0
		.amdhsa_memory_ordered 1
		.amdhsa_forward_progress 1
		.amdhsa_inst_pref_size 9
		.amdhsa_round_robin_scheduling 0
		.amdhsa_exception_fp_ieee_invalid_op 0
		.amdhsa_exception_fp_denorm_src 0
		.amdhsa_exception_fp_ieee_div_zero 0
		.amdhsa_exception_fp_ieee_overflow 0
		.amdhsa_exception_fp_ieee_underflow 0
		.amdhsa_exception_fp_ieee_inexact 0
		.amdhsa_exception_int_div_zero 0
	.end_amdhsa_kernel
	.section	.text._ZL23rocblas_gemvt_sn_reduceILi256ELi8EfPKfDF16_EviT2_lPT3_lilPT1_i,"axG",@progbits,_ZL23rocblas_gemvt_sn_reduceILi256ELi8EfPKfDF16_EviT2_lPT3_lilPT1_i,comdat
.Lfunc_end398:
	.size	_ZL23rocblas_gemvt_sn_reduceILi256ELi8EfPKfDF16_EviT2_lPT3_lilPT1_i, .Lfunc_end398-_ZL23rocblas_gemvt_sn_reduceILi256ELi8EfPKfDF16_EviT2_lPT3_lilPT1_i
                                        ; -- End function
	.set _ZL23rocblas_gemvt_sn_reduceILi256ELi8EfPKfDF16_EviT2_lPT3_lilPT1_i.num_vgpr, 26
	.set _ZL23rocblas_gemvt_sn_reduceILi256ELi8EfPKfDF16_EviT2_lPT3_lilPT1_i.num_agpr, 0
	.set _ZL23rocblas_gemvt_sn_reduceILi256ELi8EfPKfDF16_EviT2_lPT3_lilPT1_i.numbered_sgpr, 38
	.set _ZL23rocblas_gemvt_sn_reduceILi256ELi8EfPKfDF16_EviT2_lPT3_lilPT1_i.num_named_barrier, 0
	.set _ZL23rocblas_gemvt_sn_reduceILi256ELi8EfPKfDF16_EviT2_lPT3_lilPT1_i.private_seg_size, 0
	.set _ZL23rocblas_gemvt_sn_reduceILi256ELi8EfPKfDF16_EviT2_lPT3_lilPT1_i.uses_vcc, 1
	.set _ZL23rocblas_gemvt_sn_reduceILi256ELi8EfPKfDF16_EviT2_lPT3_lilPT1_i.uses_flat_scratch, 0
	.set _ZL23rocblas_gemvt_sn_reduceILi256ELi8EfPKfDF16_EviT2_lPT3_lilPT1_i.has_dyn_sized_stack, 0
	.set _ZL23rocblas_gemvt_sn_reduceILi256ELi8EfPKfDF16_EviT2_lPT3_lilPT1_i.has_recursion, 0
	.set _ZL23rocblas_gemvt_sn_reduceILi256ELi8EfPKfDF16_EviT2_lPT3_lilPT1_i.has_indirect_call, 0
	.section	.AMDGPU.csdata,"",@progbits
; Kernel info:
; codeLenInByte = 1136
; TotalNumSgprs: 40
; NumVgprs: 26
; ScratchSize: 0
; MemoryBound: 0
; FloatMode: 240
; IeeeMode: 1
; LDSByteSize: 128 bytes/workgroup (compile time only)
; SGPRBlocks: 0
; VGPRBlocks: 1
; NumSGPRsForWavesPerEU: 40
; NumVGPRsForWavesPerEU: 26
; NamedBarCnt: 0
; Occupancy: 16
; WaveLimiterHint : 0
; COMPUTE_PGM_RSRC2:SCRATCH_EN: 0
; COMPUTE_PGM_RSRC2:USER_SGPR: 2
; COMPUTE_PGM_RSRC2:TRAP_HANDLER: 0
; COMPUTE_PGM_RSRC2:TGID_X_EN: 1
; COMPUTE_PGM_RSRC2:TGID_Y_EN: 1
; COMPUTE_PGM_RSRC2:TGID_Z_EN: 1
; COMPUTE_PGM_RSRC2:TIDIG_COMP_CNT: 0
	.section	.text._ZL23rocblas_gemvt_sn_kernelILb0ELi256ELi4EiDF16_ffEviiT4_lPKT3_lilS3_lilPT5_i,"axG",@progbits,_ZL23rocblas_gemvt_sn_kernelILb0ELi256ELi4EiDF16_ffEviiT4_lPKT3_lilS3_lilPT5_i,comdat
	.globl	_ZL23rocblas_gemvt_sn_kernelILb0ELi256ELi4EiDF16_ffEviiT4_lPKT3_lilS3_lilPT5_i ; -- Begin function _ZL23rocblas_gemvt_sn_kernelILb0ELi256ELi4EiDF16_ffEviiT4_lPKT3_lilS3_lilPT5_i
	.p2align	8
	.type	_ZL23rocblas_gemvt_sn_kernelILb0ELi256ELi4EiDF16_ffEviiT4_lPKT3_lilS3_lilPT5_i,@function
_ZL23rocblas_gemvt_sn_kernelILb0ELi256ELi4EiDF16_ffEviiT4_lPKT3_lilS3_lilPT5_i: ; @_ZL23rocblas_gemvt_sn_kernelILb0ELi256ELi4EiDF16_ffEviiT4_lPKT3_lilS3_lilPT5_i
; %bb.0:
	s_load_b32 s11, s[0:1], 0x60
	s_bfe_u32 s2, ttmp6, 0x40014
	s_lshr_b32 s3, ttmp7, 16
	s_add_co_i32 s2, s2, 1
	s_bfe_u32 s4, ttmp6, 0x40008
	s_mul_i32 s2, s3, s2
	s_getreg_b32 s25, hwreg(HW_REG_IB_STS2, 6, 4)
	s_add_co_i32 s4, s4, s2
	s_cmp_eq_u32 s25, 0
	s_mov_b32 s27, 0
	s_cselect_b32 s24, s3, s4
	s_wait_kmcnt 0x0
	s_cmp_ge_u32 s24, s11
	s_cbranch_scc1 .LBB399_88
; %bb.1:
	s_clause 0x6
	s_load_b96 s[8:10], s[0:1], 0x40
	s_load_b128 s[4:7], s[0:1], 0x18
	s_load_b96 s[20:22], s[0:1], 0x0
	s_load_b32 s28, s[0:1], 0x28
	s_load_b128 s[12:15], s[0:1], 0x30
	s_load_b128 s[16:19], s[0:1], 0x50
	s_load_b32 s30, s[0:1], 0x68
	s_wait_xcnt 0x0
	v_cmp_eq_u32_e64 s0, 0, v0
	v_dual_lshrrev_b32 v2, 3, v0 :: v_dual_bitop2_b32 v1, 31, v0 bitop3:0x40
	v_cmp_gt_u32_e64 s1, 32, v0
	v_cmp_gt_u32_e64 s2, 8, v0
	v_mbcnt_lo_u32_b32 v38, -1, 0
	s_delay_alu instid0(VALU_DEP_4)
	v_cmp_eq_u32_e64 s3, 0, v1
	v_dual_lshlrev_b32 v36, 2, v1 :: v_dual_bitop2_b32 v37, 28, v2 bitop3:0x40
	v_mov_b64_e32 v[18:19], 0
	s_mov_b32 s31, s27
	s_mov_b32 s35, s27
	v_lshl_or_b32 v39, v38, 2, 64
	s_wait_kmcnt 0x0
	s_lshl_b64 s[8:9], s[8:9], 1
	s_lshl_b64 s[6:7], s[6:7], 1
	s_ashr_i32 s45, s21, 31
	s_cmp_eq_f32 s22, 0
	s_add_nc_u64 s[14:15], s[14:15], s[8:9]
	s_add_nc_u64 s[4:5], s[4:5], s[6:7]
	s_mov_b32 s44, s21
	s_cselect_b32 s23, -1, 0
	s_cmp_gt_i32 s21, 0
	s_mul_u64 s[36:37], s[44:45], s[30:31]
	s_cselect_b32 s8, -1, 0
	s_bfe_u32 s9, ttmp6, 0x4000c
	s_and_b32 s6, ttmp6, 15
	s_add_co_i32 s9, s9, 1
	s_and_b32 s33, s0, s8
	s_mul_i32 s7, ttmp9, s9
	s_mov_b32 s29, s27
	s_add_co_i32 s6, s6, s7
	s_cmp_eq_u32 s25, 0
	s_mov_b32 s49, s27
	s_cselect_b32 s34, ttmp9, s6
	s_ashr_i32 s7, s20, 31
	s_lshl_b32 s8, s34, 10
	s_lshr_b32 s6, s45, 30
	v_lshl_or_b32 v0, v0, 2, s8
	s_lshr_b32 s7, s7, 30
	s_add_co_i32 s6, s21, s6
	s_add_co_i32 s7, s20, s7
	s_and_b32 s68, s6, -4
	v_mul_lo_u32 v8, s10, v0
	s_and_b32 s6, s7, -4
	v_dual_ashrrev_i32 v1, 31, v0 :: v_dual_add_nc_u32 v2, 4, v0
	s_sub_co_i32 s69, s20, s6
	s_cmp_gt_i32 s68, 0
	s_cselect_b32 s70, -1, 0
	s_cmp_gt_i32 s69, 0
	v_lshl_add_u64 v[10:11], v[0:1], 1, s[4:5]
	s_cselect_b32 s71, -1, 0
	s_delay_alu instid0(VALU_DEP_3)
	v_dual_add_nc_u32 v12, s10, v8 :: v_dual_ashrrev_i32 v9, 31, v8
	s_cmp_gt_u32 s21, 1
	v_cmp_ge_i32_e64 s4, s20, v2
	s_cselect_b32 s6, -1, 0
	v_dual_add_nc_u32 v14, s10, v12 :: v_dual_ashrrev_i32 v13, 31, v12
	v_add_nc_u32_e32 v3, s69, v0
	s_cmp_eq_u32 s30, 1
	v_mov_b32_e32 v0, 0
	s_cselect_b32 s7, -1, 0
	v_add_nc_u32_e32 v16, s10, v14
	v_cmp_ge_i32_e64 s5, s20, v3
	s_and_b32 s20, s21, 0x7ffffffe
	s_and_b32 s72, s6, s7
	s_cmp_lg_u32 s21, s20
	v_dual_ashrrev_i32 v15, 31, v14 :: v_dual_ashrrev_i32 v17, 31, v16
	s_cselect_b32 s73, -1, 0
	s_lshl_b32 s26, s28, 1
	s_lshl_b64 s[38:39], s[34:35], 2
	s_mov_b64 s[50:51], s[26:27]
	s_mul_i32 s26, s28, 3
	s_add_nc_u64 s[40:41], s[18:19], s[38:39]
	s_lshl_b64 s[42:43], s[36:37], 2
	s_lshl_b64 s[44:45], s[44:45], 2
	;; [unrolled: 1-line block ×3, first 2 shown]
	s_lshl_b32 s48, s28, 2
	s_mov_b64 s[52:53], s[26:27]
	s_lshl_b64 s[54:55], s[12:13], 1
	s_branch .LBB399_3
.LBB399_2:                              ;   in Loop: Header=BB399_3 Depth=1
	s_add_co_i32 s24, s24, 0x10000
	s_delay_alu instid0(SALU_CYCLE_1)
	s_cmp_lt_u32 s24, s11
	s_cbranch_scc0 .LBB399_88
.LBB399_3:                              ; =>This Loop Header: Depth=1
                                        ;     Child Loop BB399_7 Depth 2
                                        ;     Child Loop BB399_11 Depth 2
	;; [unrolled: 1-line block ×3, first 2 shown]
                                        ;       Child Loop BB399_48 Depth 3
                                        ;       Child Loop BB399_51 Depth 3
                                        ;     Child Loop BB399_67 Depth 2
                                        ;       Child Loop BB399_80 Depth 3
                                        ;       Child Loop BB399_83 Depth 3
	s_mov_b32 s25, s27
	s_and_not1_b32 vcc_lo, exec_lo, s23
	s_mov_b32 s6, -1
	s_cbranch_vccnz .LBB399_13
; %bb.4:                                ;   in Loop: Header=BB399_3 Depth=1
	s_and_saveexec_b32 s8, s33
	s_cbranch_execz .LBB399_12
; %bb.5:                                ;   in Loop: Header=BB399_3 Depth=1
	s_and_not1_b32 vcc_lo, exec_lo, s72
	s_cbranch_vccnz .LBB399_9
; %bb.6:                                ;   in Loop: Header=BB399_3 Depth=1
	s_mul_u64 s[6:7], s[42:43], s[24:25]
	s_mov_b32 s9, s20
	s_add_nc_u64 s[6:7], s[40:41], s[6:7]
.LBB399_7:                              ;   Parent Loop BB399_3 Depth=1
                                        ; =>  This Inner Loop Header: Depth=2
	s_add_co_i32 s9, s9, -2
	global_store_b64 v0, v[18:19], s[6:7]
	s_wait_xcnt 0x0
	s_add_nc_u64 s[6:7], s[6:7], 8
	s_mov_b32 s26, s20
	s_cmp_lg_u32 s9, 0
	s_mov_b32 s35, s73
	s_cbranch_scc1 .LBB399_7
; %bb.8:                                ;   in Loop: Header=BB399_3 Depth=1
	s_and_b32 vcc_lo, exec_lo, s35
	s_cbranch_vccnz .LBB399_10
	s_branch .LBB399_12
.LBB399_9:                              ;   in Loop: Header=BB399_3 Depth=1
	s_mov_b32 s26, 0
	s_cbranch_execz .LBB399_12
.LBB399_10:                             ;   in Loop: Header=BB399_3 Depth=1
	s_mul_u64 s[6:7], s[44:45], s[24:25]
	s_lshl_b64 s[56:57], s[26:27], 2
	s_sub_co_i32 s9, s21, s26
	s_add_nc_u64 s[6:7], s[6:7], s[56:57]
	s_delay_alu instid0(SALU_CYCLE_1) | instskip(NEXT) | instid1(SALU_CYCLE_1)
	s_mul_u64 s[6:7], s[30:31], s[6:7]
	s_add_nc_u64 s[6:7], s[40:41], s[6:7]
.LBB399_11:                             ;   Parent Loop BB399_3 Depth=1
                                        ; =>  This Inner Loop Header: Depth=2
	s_add_co_i32 s9, s9, -1
	global_store_b32 v0, v0, s[6:7]
	s_cmp_eq_u32 s9, 0
	s_wait_xcnt 0x0
	s_add_nc_u64 s[6:7], s[6:7], s[46:47]
	s_cbranch_scc0 .LBB399_11
.LBB399_12:                             ;   in Loop: Header=BB399_3 Depth=1
	s_or_b32 exec_lo, exec_lo, s8
	s_mov_b32 s6, 0
.LBB399_13:                             ;   in Loop: Header=BB399_3 Depth=1
	s_delay_alu instid0(SALU_CYCLE_1)
	s_and_not1_b32 vcc_lo, exec_lo, s6
	s_cbranch_vccnz .LBB399_2
; %bb.14:                               ;   in Loop: Header=BB399_3 Depth=1
	s_mul_u64 s[6:7], s[16:17], s[24:25]
	s_mul_u64 s[8:9], s[54:55], s[24:25]
	s_lshl_b64 s[6:7], s[6:7], 1
	s_mul_u64 s[58:59], s[12:13], s[24:25]
	s_add_nc_u64 s[56:57], s[14:15], s[6:7]
	v_add_nc_u64_e32 v[30:31], s[8:9], v[10:11]
	s_mul_u64 s[60:61], s[36:37], s[24:25]
	v_lshl_add_u64 v[20:21], s[58:59], 1, v[10:11]
	v_lshl_add_u64 v[22:23], v[8:9], 1, s[56:57]
	;; [unrolled: 1-line block ×5, first 2 shown]
	v_cmp_gt_u32_e64 s9, 24, v38
	v_cmp_gt_u32_e64 s8, 28, v38
	;; [unrolled: 1-line block ×3, first 2 shown]
	v_cmp_ne_u32_e64 s6, 31, v38
	s_lshl_b64 s[58:59], s[60:61], 2
	s_and_not1_b32 vcc_lo, exec_lo, s70
	s_add_nc_u64 s[58:59], s[18:19], s[58:59]
	s_cbranch_vccnz .LBB399_63
; %bb.15:                               ;   in Loop: Header=BB399_3 Depth=1
	v_cndmask_b32_e64 v1, 0, 8, s9
	v_cndmask_b32_e64 v4, 0, 4, s8
	;; [unrolled: 1-line block ×3, first 2 shown]
	s_wait_dscnt 0x0
	v_add_co_ci_u32_e64 v6, null, 0, v38, s6
	v_add_lshl_u32 v40, v1, v38, 2
	v_dual_mov_b32 v1, v0 :: v_dual_mov_b32 v2, v0
	s_delay_alu instid0(VALU_DEP_3) | instskip(SKIP_3) | instid1(VALU_DEP_3)
	v_dual_mov_b32 v3, v0 :: v_dual_lshlrev_b32 v43, 2, v6
	v_add_lshl_u32 v41, v4, v38, 2
	v_add_lshl_u32 v42, v5, v38, 2
	s_mov_b32 s60, 0
	v_mov_b64_e32 v[4:5], v[2:3]
	v_mov_b64_e32 v[2:3], v[0:1]
	s_mov_b64 s[8:9], s[52:53]
	s_mov_b64 s[62:63], s[50:51]
	;; [unrolled: 1-line block ×3, first 2 shown]
	s_mov_b32 s26, s60
	s_branch .LBB399_17
.LBB399_16:                             ;   in Loop: Header=BB399_17 Depth=2
	s_wait_xcnt 0x0
	s_or_b32 exec_lo, exec_lo, s6
	s_add_co_i32 s26, s26, 4
	s_add_co_i32 s60, s60, s48
	s_add_nc_u64 s[64:65], s[64:65], s[48:49]
	s_add_nc_u64 s[62:63], s[62:63], s[48:49]
	s_cmp_ge_i32 s26, s68
	s_add_nc_u64 s[8:9], s[8:9], s[48:49]
	s_cbranch_scc1 .LBB399_64
.LBB399_17:                             ;   Parent Loop BB399_3 Depth=1
                                        ; =>  This Loop Header: Depth=2
                                        ;       Child Loop BB399_48 Depth 3
                                        ;       Child Loop BB399_51 Depth 3
                                        ; implicit-def: $vgpr7
                                        ; implicit-def: $vgpr33
	s_and_saveexec_b32 s6, s4
	s_delay_alu instid0(SALU_CYCLE_1)
	s_xor_b32 s6, exec_lo, s6
	s_cbranch_execnz .LBB399_44
; %bb.18:                               ;   in Loop: Header=BB399_17 Depth=2
	s_and_not1_saveexec_b32 s25, s6
	s_cbranch_execnz .LBB399_45
.LBB399_19:                             ;   in Loop: Header=BB399_17 Depth=2
	s_or_b32 exec_lo, exec_lo, s25
	s_and_saveexec_b32 s6, s1
.LBB399_20:                             ;   in Loop: Header=BB399_17 Depth=2
	ds_store_b32 v36, v0
.LBB399_21:                             ;   in Loop: Header=BB399_17 Depth=2
	s_or_b32 exec_lo, exec_lo, s6
	ds_bpermute_b32 v1, v39, v32
	s_wait_storecnt_dscnt 0x0
	s_barrier_signal -1
	s_barrier_wait -1
	v_add_f32_e32 v1, v32, v1
	ds_bpermute_b32 v32, v40, v1
	s_wait_dscnt 0x0
	v_add_f32_e32 v1, v1, v32
	ds_bpermute_b32 v32, v41, v1
	s_wait_dscnt 0x0
	;; [unrolled: 3-line block ×3, first 2 shown]
	v_add_f32_e32 v1, v1, v32
	ds_bpermute_b32 v32, v43, v1
	s_and_saveexec_b32 s6, s3
	s_cbranch_execz .LBB399_23
; %bb.22:                               ;   in Loop: Header=BB399_17 Depth=2
	s_wait_dscnt 0x0
	v_add_f32_e32 v1, v1, v32
	ds_store_b32 v37, v1
.LBB399_23:                             ;   in Loop: Header=BB399_17 Depth=2
	s_or_b32 exec_lo, exec_lo, s6
	v_mov_b32_e32 v1, 0
	s_wait_dscnt 0x0
	s_barrier_signal -1
	s_barrier_wait -1
	s_and_saveexec_b32 s6, s2
	s_cbranch_execnz .LBB399_52
; %bb.24:                               ;   in Loop: Header=BB399_17 Depth=2
	s_or_b32 exec_lo, exec_lo, s6
	s_and_saveexec_b32 s6, s1
	s_cbranch_execnz .LBB399_53
.LBB399_25:                             ;   in Loop: Header=BB399_17 Depth=2
	s_or_b32 exec_lo, exec_lo, s6
	s_and_saveexec_b32 s6, s1
.LBB399_26:                             ;   in Loop: Header=BB399_17 Depth=2
	ds_store_b32 v36, v0
.LBB399_27:                             ;   in Loop: Header=BB399_17 Depth=2
	s_or_b32 exec_lo, exec_lo, s6
	ds_bpermute_b32 v32, v39, v33
	s_wait_dscnt 0x0
	s_barrier_signal -1
	s_barrier_wait -1
	v_add_f32_e32 v32, v33, v32
	ds_bpermute_b32 v33, v40, v32
	s_wait_dscnt 0x0
	v_add_f32_e32 v32, v32, v33
	ds_bpermute_b32 v33, v41, v32
	s_wait_dscnt 0x0
	;; [unrolled: 3-line block ×3, first 2 shown]
	v_add_f32_e32 v32, v32, v33
	ds_bpermute_b32 v33, v43, v32
	s_and_saveexec_b32 s6, s3
	s_cbranch_execz .LBB399_29
; %bb.28:                               ;   in Loop: Header=BB399_17 Depth=2
	s_wait_dscnt 0x0
	v_add_f32_e32 v32, v32, v33
	ds_store_b32 v37, v32
.LBB399_29:                             ;   in Loop: Header=BB399_17 Depth=2
	s_or_b32 exec_lo, exec_lo, s6
	v_mov_b32_e32 v32, 0
	s_wait_dscnt 0x0
	s_barrier_signal -1
	s_barrier_wait -1
	s_and_saveexec_b32 s6, s2
	s_cbranch_execnz .LBB399_54
; %bb.30:                               ;   in Loop: Header=BB399_17 Depth=2
	s_or_b32 exec_lo, exec_lo, s6
	s_and_saveexec_b32 s6, s1
	s_cbranch_execnz .LBB399_55
.LBB399_31:                             ;   in Loop: Header=BB399_17 Depth=2
	s_or_b32 exec_lo, exec_lo, s6
	s_and_saveexec_b32 s6, s1
.LBB399_32:                             ;   in Loop: Header=BB399_17 Depth=2
	ds_store_b32 v36, v0
.LBB399_33:                             ;   in Loop: Header=BB399_17 Depth=2
	s_or_b32 exec_lo, exec_lo, s6
	ds_bpermute_b32 v33, v39, v6
	s_wait_dscnt 0x0
	s_barrier_signal -1
	s_barrier_wait -1
	v_add_f32_e32 v6, v6, v33
	ds_bpermute_b32 v33, v40, v6
	s_wait_dscnt 0x0
	v_add_f32_e32 v6, v6, v33
	ds_bpermute_b32 v33, v41, v6
	s_wait_dscnt 0x0
	;; [unrolled: 3-line block ×3, first 2 shown]
	v_add_f32_e32 v6, v6, v33
	ds_bpermute_b32 v33, v43, v6
	s_and_saveexec_b32 s6, s3
	s_cbranch_execz .LBB399_35
; %bb.34:                               ;   in Loop: Header=BB399_17 Depth=2
	s_wait_dscnt 0x0
	v_add_f32_e32 v6, v6, v33
	ds_store_b32 v37, v6
.LBB399_35:                             ;   in Loop: Header=BB399_17 Depth=2
	s_or_b32 exec_lo, exec_lo, s6
	v_mov_b32_e32 v6, 0
	s_wait_dscnt 0x0
	s_barrier_signal -1
	s_barrier_wait -1
	s_and_saveexec_b32 s6, s2
	s_cbranch_execnz .LBB399_56
; %bb.36:                               ;   in Loop: Header=BB399_17 Depth=2
	s_or_b32 exec_lo, exec_lo, s6
	s_and_saveexec_b32 s6, s1
	s_cbranch_execnz .LBB399_57
.LBB399_37:                             ;   in Loop: Header=BB399_17 Depth=2
	s_or_b32 exec_lo, exec_lo, s6
	s_and_saveexec_b32 s6, s1
.LBB399_38:                             ;   in Loop: Header=BB399_17 Depth=2
	ds_store_b32 v36, v0
.LBB399_39:                             ;   in Loop: Header=BB399_17 Depth=2
	s_or_b32 exec_lo, exec_lo, s6
	ds_bpermute_b32 v33, v39, v7
	s_wait_dscnt 0x0
	s_barrier_signal -1
	s_barrier_wait -1
	v_add_f32_e32 v7, v7, v33
	ds_bpermute_b32 v33, v40, v7
	s_wait_dscnt 0x0
	v_add_f32_e32 v7, v7, v33
	ds_bpermute_b32 v33, v41, v7
	s_wait_dscnt 0x0
	;; [unrolled: 3-line block ×3, first 2 shown]
	v_add_f32_e32 v7, v7, v33
	ds_bpermute_b32 v33, v43, v7
	s_and_saveexec_b32 s6, s3
	s_cbranch_execz .LBB399_41
; %bb.40:                               ;   in Loop: Header=BB399_17 Depth=2
	s_wait_dscnt 0x0
	v_add_f32_e32 v7, v7, v33
	ds_store_b32 v37, v7
.LBB399_41:                             ;   in Loop: Header=BB399_17 Depth=2
	s_or_b32 exec_lo, exec_lo, s6
	v_mov_b32_e32 v7, 0
	s_wait_dscnt 0x0
	s_barrier_signal -1
	s_barrier_wait -1
	s_and_saveexec_b32 s6, s2
	s_cbranch_execnz .LBB399_58
; %bb.42:                               ;   in Loop: Header=BB399_17 Depth=2
	s_or_b32 exec_lo, exec_lo, s6
	s_and_saveexec_b32 s6, s1
	s_cbranch_execnz .LBB399_59
.LBB399_43:                             ;   in Loop: Header=BB399_17 Depth=2
	s_or_b32 exec_lo, exec_lo, s6
	s_and_saveexec_b32 s6, s0
	s_cbranch_execz .LBB399_16
	s_branch .LBB399_60
.LBB399_44:                             ;   in Loop: Header=BB399_17 Depth=2
	s_mul_i32 s66, s26, s28
	s_clause 0x1
	global_load_u16 v1, v[24:25], off
	global_load_u16 v44, v[28:29], off
	s_add_co_i32 s74, s66, s28
	s_ashr_i32 s67, s66, 31
	s_add_co_i32 s76, s74, s28
	v_lshl_add_u64 v[2:3], s[66:67], 1, v[20:21]
	s_ashr_i32 s77, s76, 31
	s_add_co_i32 s66, s76, s28
	v_lshl_add_u64 v[4:5], s[76:77], 1, v[20:21]
	s_ashr_i32 s67, s66, 31
	s_clause 0x1
	global_load_u16 v46, v[22:23], off
	global_load_u16 v48, v[26:27], off
	s_wait_dscnt 0x0
	global_load_b64 v[6:7], v[2:3], off
	s_ashr_i32 s75, s74, 31
	global_load_b64 v[4:5], v[4:5], off
	s_wait_xcnt 0x1
	v_lshl_add_u64 v[2:3], s[66:67], 1, v[20:21]
	global_load_b64 v[32:33], v[2:3], off
	s_wait_xcnt 0x0
	v_lshl_add_u64 v[2:3], s[74:75], 1, v[20:21]
	global_load_b64 v[34:35], v[2:3], off
	s_wait_loadcnt 0x7
	v_cvt_f32_f16_e32 v45, v1
	s_wait_loadcnt 0x6
	v_cvt_f32_f16_e32 v47, v44
	s_delay_alu instid0(VALU_DEP_1)
	v_dual_mov_b32 v50, v45 :: v_dual_mov_b32 v52, v47
	s_wait_loadcnt 0x5
	s_wait_xcnt 0x0
	v_cvt_f32_f16_e32 v2, v46
	s_wait_loadcnt 0x4
	v_cvt_f32_f16_e32 v48, v48
	s_wait_loadcnt 0x3
	v_dual_lshrrev_b32 v1, 16, v6 :: v_dual_lshrrev_b32 v3, 16, v7
	s_wait_loadcnt 0x2
	v_dual_lshrrev_b32 v49, 16, v4 :: v_dual_lshrrev_b32 v51, 16, v5
	v_cvt_f32_f16_e32 v53, v4
	s_delay_alu instid0(VALU_DEP_3)
	v_cvt_f32_f16_e32 v4, v1
	v_cvt_f32_f16_e32 v57, v5
	;; [unrolled: 1-line block ×3, first 2 shown]
	s_wait_loadcnt 0x1
	v_dual_lshrrev_b32 v1, 16, v32 :: v_dual_lshrrev_b32 v5, 16, v33
	v_cvt_f32_f16_e32 v44, v32
	v_cvt_f32_f16_e32 v46, v33
	;; [unrolled: 1-line block ×3, first 2 shown]
	s_delay_alu instid0(VALU_DEP_4)
	v_cvt_f32_f16_e32 v3, v1
	v_cvt_f32_f16_e32 v6, v7
	s_wait_loadcnt 0x0
	v_cvt_f32_f16_e32 v55, v34
	v_dual_lshrrev_b32 v1, 16, v34 :: v_dual_lshrrev_b32 v60, 16, v35
	v_pk_mul_f32 v[32:33], v[44:45], v[2:3]
	v_cvt_f32_f16_e32 v7, v35
	v_cvt_f32_f16_e32 v44, v49
	v_mul_f32_e32 v34, v2, v53
	v_cvt_f32_f16_e32 v49, v5
	v_dual_mov_b32 v35, v32 :: v_dual_mov_b32 v3, v45
	s_delay_alu instid0(VALU_DEP_4) | instskip(SKIP_1) | instid1(VALU_DEP_4)
	v_mul_f32_e32 v32, v45, v44
	v_cvt_f32_f16_e32 v5, v1
	v_pk_mul_f32 v[44:45], v[46:47], v[48:49]
	s_delay_alu instid0(VALU_DEP_4)
	v_pk_add_f32 v[34:35], v[34:35], 0 op_sel_hi:[1,0]
	v_pk_fma_f32 v[54:55], v[2:3], v[54:55], 0 op_sel_hi:[0,1,0]
	v_cvt_f32_f16_e32 v1, v51
	v_mul_f32_e32 v58, v48, v57
	v_mov_b32_e32 v59, v44
	v_pk_add_f32 v[32:33], v[34:35], v[32:33]
	v_pk_fma_f32 v[4:5], v[50:51], v[4:5], v[54:55] op_sel_hi:[0,1,1]
	v_cvt_f32_f16_e32 v57, v60
	v_mul_f32_e32 v44, v47, v1
	s_delay_alu instid0(VALU_DEP_3) | instskip(SKIP_3) | instid1(VALU_DEP_2)
	v_pk_fma_f32 v[34:35], v[48:49], v[6:7], v[4:5] op_sel_hi:[0,1,1]
	v_mov_b32_e32 v4, v48
	v_pk_add_f32 v[32:33], v[32:33], v[58:59]
	v_mov_b32_e32 v5, v47
	v_pk_add_f32 v[6:7], v[32:33], v[44:45]
	v_pk_fma_f32 v[32:33], v[52:53], v[56:57], v[34:35] op_sel_hi:[0,1,1]
	s_and_not1_saveexec_b32 s25, s6
	s_cbranch_execz .LBB399_19
.LBB399_45:                             ;   in Loop: Header=BB399_17 Depth=2
	s_wait_dscnt 0x0
	v_dual_mov_b32 v7, 0 :: v_dual_mov_b32 v6, 0
	v_dual_mov_b32 v33, 0 :: v_dual_mov_b32 v32, 0
	s_and_saveexec_b32 s35, s5
	s_cbranch_execz .LBB399_62
; %bb.46:                               ;   in Loop: Header=BB399_17 Depth=2
	s_and_not1_b32 vcc_lo, exec_lo, s71
	s_cbranch_vccnz .LBB399_49
; %bb.47:                               ;   in Loop: Header=BB399_17 Depth=2
	v_mov_b32_e32 v1, v8
	s_mov_b64 s[66:67], 0
.LBB399_48:                             ;   Parent Loop BB399_3 Depth=1
                                        ;     Parent Loop BB399_17 Depth=2
                                        ; =>    This Inner Loop Header: Depth=3
	global_load_u16 v6, v1, s[56:57] scale_offset
	s_cmp_eq_u32 s66, 3
	s_cselect_b32 vcc_lo, -1, 0
	s_cmp_eq_u32 s66, 2
	s_cselect_b32 s6, -1, 0
	s_cmp_eq_u32 s66, 1
	s_cselect_b32 s7, -1, 0
	s_cmp_eq_u32 s66, 0
	s_add_nc_u64 s[66:67], s[66:67], 1
	s_wait_loadcnt 0x0
	v_cvt_f32_f16_e32 v6, v6
	s_wait_xcnt 0x0
	s_delay_alu instid0(VALU_DEP_1)
	v_dual_add_nc_u32 v1, s10, v1 :: v_dual_cndmask_b32 v5, v5, v6, vcc_lo
	s_cselect_b32 vcc_lo, -1, 0
	v_dual_cndmask_b32 v4, v4, v6, s6 :: v_dual_cndmask_b32 v3, v3, v6, s7
	v_cndmask_b32_e32 v2, v2, v6, vcc_lo
	s_cmp_eq_u32 s69, s66
	s_cbranch_scc0 .LBB399_48
.LBB399_49:                             ;   in Loop: Header=BB399_17 Depth=2
	s_and_not1_b32 vcc_lo, exec_lo, s71
	s_cbranch_vccnz .LBB399_61
; %bb.50:                               ;   in Loop: Header=BB399_17 Depth=2
	v_mov_b32_e32 v32, 0
	s_ashr_i32 s61, s60, 31
	s_mov_b64 s[6:7], 0
	v_lshl_add_u64 v[34:35], s[60:61], 1, v[30:31]
	s_delay_alu instid0(VALU_DEP_2)
	v_dual_mov_b32 v33, v32 :: v_dual_mov_b32 v6, v32
	v_mov_b32_e32 v7, v32
.LBB399_51:                             ;   Parent Loop BB399_3 Depth=1
                                        ;     Parent Loop BB399_17 Depth=2
                                        ; =>    This Inner Loop Header: Depth=3
	s_cmp_eq_u32 s6, 1
	s_cselect_b32 vcc_lo, -1, 0
	s_cmp_eq_u32 s6, 2
	v_cndmask_b32_e32 v1, v2, v3, vcc_lo
	s_cselect_b32 vcc_lo, -1, 0
	s_cmp_eq_u32 s6, 3
	s_delay_alu instid0(VALU_DEP_1)
	v_cndmask_b32_e32 v1, v1, v4, vcc_lo
	s_cselect_b32 vcc_lo, -1, 0
	s_add_co_i32 s76, s8, s6
	s_add_co_i32 s74, s62, s6
	s_add_co_i32 s66, s64, s6
	s_ashr_i32 s77, s76, 31
	s_ashr_i32 s75, s74, 31
	;; [unrolled: 1-line block ×3, first 2 shown]
	v_lshl_add_u64 v[44:45], s[76:77], 1, v[20:21]
	v_lshl_add_u64 v[46:47], s[74:75], 1, v[20:21]
	;; [unrolled: 1-line block ×3, first 2 shown]
	global_load_u16 v50, v[34:35], off
	s_clause 0x2
	global_load_u16 v45, v[44:45], off
	global_load_u16 v47, v[46:47], off
	;; [unrolled: 1-line block ×3, first 2 shown]
	s_wait_xcnt 0x2
	v_cndmask_b32_e32 v44, v1, v5, vcc_lo
	v_add_nc_u64_e32 v[34:35], 2, v[34:35]
	s_add_nc_u64 s[6:7], s[6:7], 1
	s_delay_alu instid0(SALU_CYCLE_1)
	s_cmp_lg_u32 s69, s6
	s_wait_loadcnt 0x3
	s_wait_xcnt 0x1
	v_cvt_f32_f16_e32 v46, v50
	s_wait_loadcnt 0x2
	s_wait_xcnt 0x0
	v_cvt_f32_f16_e32 v49, v45
	s_wait_loadcnt 0x1
	v_cvt_f32_f16_e32 v48, v47
	s_wait_loadcnt 0x0
	v_cvt_f32_f16_e32 v47, v51
	s_delay_alu instid0(VALU_DEP_2) | instskip(NEXT) | instid1(VALU_DEP_2)
	v_pk_fma_f32 v[6:7], v[44:45], v[48:49], v[6:7] op_sel_hi:[0,1,1]
	v_pk_fma_f32 v[32:33], v[44:45], v[46:47], v[32:33] op_sel_hi:[0,1,1]
	s_cbranch_scc1 .LBB399_51
	s_branch .LBB399_62
.LBB399_52:                             ;   in Loop: Header=BB399_17 Depth=2
	ds_load_b32 v1, v36
	s_or_b32 exec_lo, exec_lo, s6
	s_and_saveexec_b32 s6, s1
	s_cbranch_execz .LBB399_25
.LBB399_53:                             ;   in Loop: Header=BB399_17 Depth=2
	s_wait_dscnt 0x0
	ds_bpermute_b32 v32, v41, v1
	s_wait_dscnt 0x0
	v_add_f32_e32 v1, v1, v32
	ds_bpermute_b32 v32, v42, v1
	s_wait_dscnt 0x0
	v_add_f32_e32 v1, v1, v32
	;; [unrolled: 3-line block ×3, first 2 shown]
	s_or_b32 exec_lo, exec_lo, s6
	s_and_saveexec_b32 s6, s1
	s_cbranch_execnz .LBB399_26
	s_branch .LBB399_27
.LBB399_54:                             ;   in Loop: Header=BB399_17 Depth=2
	ds_load_b32 v32, v36
	s_or_b32 exec_lo, exec_lo, s6
	s_and_saveexec_b32 s6, s1
	s_cbranch_execz .LBB399_31
.LBB399_55:                             ;   in Loop: Header=BB399_17 Depth=2
	s_wait_dscnt 0x0
	ds_bpermute_b32 v33, v41, v32
	s_wait_dscnt 0x0
	v_add_f32_e32 v32, v32, v33
	ds_bpermute_b32 v33, v42, v32
	s_wait_dscnt 0x0
	v_add_f32_e32 v32, v32, v33
	;; [unrolled: 3-line block ×3, first 2 shown]
	s_or_b32 exec_lo, exec_lo, s6
	s_and_saveexec_b32 s6, s1
	s_cbranch_execnz .LBB399_32
	s_branch .LBB399_33
.LBB399_56:                             ;   in Loop: Header=BB399_17 Depth=2
	ds_load_b32 v6, v36
	s_or_b32 exec_lo, exec_lo, s6
	s_and_saveexec_b32 s6, s1
	s_cbranch_execz .LBB399_37
.LBB399_57:                             ;   in Loop: Header=BB399_17 Depth=2
	s_wait_dscnt 0x0
	ds_bpermute_b32 v33, v41, v6
	s_wait_dscnt 0x0
	v_add_f32_e32 v6, v6, v33
	ds_bpermute_b32 v33, v42, v6
	s_wait_dscnt 0x0
	v_add_f32_e32 v6, v6, v33
	;; [unrolled: 3-line block ×3, first 2 shown]
	s_or_b32 exec_lo, exec_lo, s6
	s_and_saveexec_b32 s6, s1
	s_cbranch_execnz .LBB399_38
	s_branch .LBB399_39
.LBB399_58:                             ;   in Loop: Header=BB399_17 Depth=2
	ds_load_b32 v7, v36
	s_or_b32 exec_lo, exec_lo, s6
	s_and_saveexec_b32 s6, s1
	s_cbranch_execz .LBB399_43
.LBB399_59:                             ;   in Loop: Header=BB399_17 Depth=2
	s_wait_dscnt 0x0
	ds_bpermute_b32 v33, v41, v7
	s_wait_dscnt 0x0
	v_add_f32_e32 v7, v7, v33
	ds_bpermute_b32 v33, v42, v7
	s_wait_dscnt 0x0
	v_add_f32_e32 v7, v7, v33
	;; [unrolled: 3-line block ×3, first 2 shown]
	s_or_b32 exec_lo, exec_lo, s6
	s_and_saveexec_b32 s6, s0
	s_cbranch_execz .LBB399_16
.LBB399_60:                             ;   in Loop: Header=BB399_17 Depth=2
	s_mul_i32 s7, s26, s30
	v_dual_mul_f32 v1, s22, v1 :: v_dual_mul_f32 v32, s22, v32
	s_add_co_i32 s7, s7, s34
	s_delay_alu instid0(SALU_CYCLE_1) | instskip(NEXT) | instid1(SALU_CYCLE_1)
	s_add_co_i32 s25, s7, s30
	v_dual_mov_b32 v33, s7 :: v_dual_mov_b32 v34, s25
	s_add_co_i32 s7, s25, s30
	s_delay_alu instid0(SALU_CYCLE_1)
	v_dual_mul_f32 v6, s22, v6 :: v_dual_mov_b32 v35, s7
	s_add_co_i32 s7, s7, s30
	s_wait_dscnt 0x0
	v_dual_mul_f32 v7, s22, v7 :: v_dual_mov_b32 v44, s7
	s_clause 0x3
	global_store_b32 v33, v1, s[58:59] scale_offset
	global_store_b32 v34, v32, s[58:59] scale_offset
	;; [unrolled: 1-line block ×4, first 2 shown]
	s_branch .LBB399_16
.LBB399_61:                             ;   in Loop: Header=BB399_17 Depth=2
	v_mov_b32_e32 v7, 0
	s_delay_alu instid0(VALU_DEP_1)
	v_dual_mov_b32 v6, v7 :: v_dual_mov_b32 v33, v7
	v_mov_b32_e32 v32, v7
.LBB399_62:                             ;   in Loop: Header=BB399_17 Depth=2
	s_or_b32 exec_lo, exec_lo, s35
	s_delay_alu instid0(SALU_CYCLE_1)
	s_or_b32 exec_lo, exec_lo, s25
	s_and_saveexec_b32 s6, s1
	s_cbranch_execnz .LBB399_20
	s_branch .LBB399_21
.LBB399_63:                             ;   in Loop: Header=BB399_3 Depth=1
	v_dual_mov_b32 v1, v0 :: v_dual_mov_b32 v2, v0
	v_mov_b32_e32 v3, v0
	s_mov_b32 s26, 0
	s_delay_alu instid0(VALU_DEP_1) | instskip(NEXT) | instid1(VALU_DEP_3)
	v_mov_b64_e32 v[4:5], v[2:3]
	v_mov_b64_e32 v[2:3], v[0:1]
.LBB399_64:                             ;   in Loop: Header=BB399_3 Depth=1
	s_cmp_ge_i32 s26, s21
	s_cbranch_scc1 .LBB399_2
; %bb.65:                               ;   in Loop: Header=BB399_3 Depth=1
	v_cmp_gt_u32_e32 vcc_lo, 24, v38
	s_add_nc_u64 s[8:9], s[58:59], s[38:39]
	s_mul_i32 s58, s28, s26
	v_cndmask_b32_e64 v1, 0, 8, vcc_lo
	v_cmp_gt_u32_e32 vcc_lo, 28, v38
	s_delay_alu instid0(VALU_DEP_2) | instskip(SKIP_4) | instid1(VALU_DEP_2)
	v_add_lshl_u32 v1, v1, v38, 2
	s_wait_dscnt 0x0
	v_cndmask_b32_e64 v6, 0, 4, vcc_lo
	v_cmp_gt_u32_e32 vcc_lo, 30, v38
	s_wait_dscnt 0x0
	v_add_lshl_u32 v7, v6, v38, 2
	v_cndmask_b32_e64 v32, 0, 2, vcc_lo
	v_cmp_ne_u32_e32 vcc_lo, 31, v38
	s_delay_alu instid0(VALU_DEP_2) | instskip(SKIP_1) | instid1(VALU_DEP_1)
	v_add_lshl_u32 v34, v32, v38, 2
	v_add_co_ci_u32_e64 v33, null, 0, v38, vcc_lo
	v_lshlrev_b32_e32 v35, 2, v33
	s_branch .LBB399_67
.LBB399_66:                             ;   in Loop: Header=BB399_67 Depth=2
	s_wait_xcnt 0x0
	s_or_b32 exec_lo, exec_lo, s6
	s_add_co_i32 s26, s26, 1
	s_add_co_i32 s58, s58, s28
	s_cmp_ge_i32 s26, s21
	s_cbranch_scc1 .LBB399_2
.LBB399_67:                             ;   Parent Loop BB399_3 Depth=1
                                        ; =>  This Loop Header: Depth=2
                                        ;       Child Loop BB399_80 Depth 3
                                        ;       Child Loop BB399_83 Depth 3
	s_wait_dscnt 0x0
	v_mov_b32_e32 v6, s27
	s_and_saveexec_b32 s6, s4
	s_delay_alu instid0(SALU_CYCLE_1)
	s_xor_b32 s6, exec_lo, s6
	s_cbranch_execnz .LBB399_76
; %bb.68:                               ;   in Loop: Header=BB399_67 Depth=2
	s_and_not1_saveexec_b32 s25, s6
	s_cbranch_execnz .LBB399_77
.LBB399_69:                             ;   in Loop: Header=BB399_67 Depth=2
	s_or_b32 exec_lo, exec_lo, s25
	s_and_saveexec_b32 s6, s1
.LBB399_70:                             ;   in Loop: Header=BB399_67 Depth=2
	ds_store_b32 v36, v0
.LBB399_71:                             ;   in Loop: Header=BB399_67 Depth=2
	s_or_b32 exec_lo, exec_lo, s6
	ds_bpermute_b32 v32, v39, v6
	s_wait_storecnt_dscnt 0x0
	s_barrier_signal -1
	s_barrier_wait -1
	v_add_f32_e32 v6, v6, v32
	ds_bpermute_b32 v32, v1, v6
	s_wait_dscnt 0x0
	v_add_f32_e32 v6, v6, v32
	ds_bpermute_b32 v32, v7, v6
	s_wait_dscnt 0x0
	;; [unrolled: 3-line block ×3, first 2 shown]
	v_add_f32_e32 v6, v6, v32
	ds_bpermute_b32 v32, v35, v6
	s_and_saveexec_b32 s6, s3
	s_cbranch_execz .LBB399_73
; %bb.72:                               ;   in Loop: Header=BB399_67 Depth=2
	s_wait_dscnt 0x0
	v_add_f32_e32 v6, v6, v32
	ds_store_b32 v37, v6
.LBB399_73:                             ;   in Loop: Header=BB399_67 Depth=2
	s_or_b32 exec_lo, exec_lo, s6
	v_mov_b32_e32 v6, 0
	s_wait_dscnt 0x0
	s_barrier_signal -1
	s_barrier_wait -1
	s_and_saveexec_b32 s6, s2
	s_cbranch_execnz .LBB399_85
; %bb.74:                               ;   in Loop: Header=BB399_67 Depth=2
	s_or_b32 exec_lo, exec_lo, s6
	s_and_saveexec_b32 s6, s1
	s_cbranch_execnz .LBB399_86
.LBB399_75:                             ;   in Loop: Header=BB399_67 Depth=2
	s_or_b32 exec_lo, exec_lo, s6
	s_and_saveexec_b32 s6, s0
	s_cbranch_execz .LBB399_66
	s_branch .LBB399_87
.LBB399_76:                             ;   in Loop: Header=BB399_67 Depth=2
	s_mul_i32 s60, s26, s28
	s_delay_alu instid0(SALU_CYCLE_1) | instskip(NEXT) | instid1(SALU_CYCLE_1)
	s_ashr_i32 s61, s60, 31
	v_lshl_add_u64 v[2:3], s[60:61], 1, v[20:21]
	global_load_b64 v[32:33], v[2:3], off
	s_clause 0x3
	global_load_u16 v2, v[24:25], off
	global_load_u16 v4, v[22:23], off
	;; [unrolled: 1-line block ×4, first 2 shown]
	s_wait_loadcnt 0x4
	v_dual_lshrrev_b32 v5, 16, v32 :: v_dual_lshrrev_b32 v43, 16, v33
	s_wait_loadcnt 0x3
	v_cvt_f32_f16_e32 v3, v2
	s_wait_loadcnt 0x2
	v_cvt_f32_f16_e32 v2, v4
	v_cvt_f32_f16_e32 v4, v32
	;; [unrolled: 1-line block ×5, first 2 shown]
	s_delay_alu instid0(VALU_DEP_3)
	v_pk_mul_f32 v[40:41], v[2:3], v[4:5]
	s_wait_loadcnt 0x1
	v_cvt_f32_f16_e32 v5, v6
	s_wait_loadcnt 0x0
	v_cvt_f32_f16_e32 v4, v42
	v_add_f32_e32 v6, 0, v40
	s_delay_alu instid0(VALU_DEP_2) | instskip(NEXT) | instid1(VALU_DEP_2)
	v_pk_mul_f32 v[32:33], v[4:5], v[32:33]
	v_add_f32_e32 v6, v6, v41
	s_delay_alu instid0(VALU_DEP_1) | instskip(NEXT) | instid1(VALU_DEP_1)
	v_add_f32_e32 v6, v6, v32
	v_add_f32_e32 v6, v6, v33
	s_wait_xcnt 0x0
	s_and_not1_saveexec_b32 s25, s6
	s_cbranch_execz .LBB399_69
.LBB399_77:                             ;   in Loop: Header=BB399_67 Depth=2
	s_and_saveexec_b32 s35, s5
	s_cbranch_execz .LBB399_84
; %bb.78:                               ;   in Loop: Header=BB399_67 Depth=2
	s_and_not1_b32 vcc_lo, exec_lo, s71
	s_cbranch_vccnz .LBB399_81
; %bb.79:                               ;   in Loop: Header=BB399_67 Depth=2
	v_mov_b32_e32 v32, v8
	s_mov_b64 s[60:61], 0
.LBB399_80:                             ;   Parent Loop BB399_3 Depth=1
                                        ;     Parent Loop BB399_67 Depth=2
                                        ; =>    This Inner Loop Header: Depth=3
	global_load_u16 v33, v32, s[56:57] scale_offset
	s_cmp_eq_u32 s60, 3
	s_cselect_b32 vcc_lo, -1, 0
	s_cmp_eq_u32 s60, 2
	s_cselect_b32 s6, -1, 0
	s_cmp_eq_u32 s60, 1
	s_cselect_b32 s7, -1, 0
	s_cmp_eq_u32 s60, 0
	s_add_nc_u64 s[60:61], s[60:61], 1
	s_wait_loadcnt 0x0
	v_cvt_f32_f16_e32 v33, v33
	s_wait_xcnt 0x0
	s_delay_alu instid0(VALU_DEP_1)
	v_dual_cndmask_b32 v5, v5, v33 :: v_dual_add_nc_u32 v32, s10, v32
	s_cselect_b32 vcc_lo, -1, 0
	v_dual_cndmask_b32 v4, v4, v33, s6 :: v_dual_cndmask_b32 v3, v3, v33, s7
	v_cndmask_b32_e32 v2, v2, v33, vcc_lo
	s_cmp_eq_u32 s69, s60
	s_cbranch_scc0 .LBB399_80
.LBB399_81:                             ;   in Loop: Header=BB399_67 Depth=2
	s_and_not1_b32 vcc_lo, exec_lo, s71
	s_cbranch_vccnz .LBB399_84
; %bb.82:                               ;   in Loop: Header=BB399_67 Depth=2
	s_ashr_i32 s59, s58, 31
	s_mov_b64 s[6:7], 0
	v_lshl_add_u64 v[32:33], s[58:59], 1, v[30:31]
.LBB399_83:                             ;   Parent Loop BB399_3 Depth=1
                                        ;     Parent Loop BB399_67 Depth=2
                                        ; =>    This Inner Loop Header: Depth=3
	global_load_u16 v40, v[32:33], off
	s_cmp_eq_u32 s6, 1
	s_wait_xcnt 0x0
	v_add_nc_u64_e32 v[32:33], 2, v[32:33]
	s_cselect_b32 vcc_lo, -1, 0
	s_cmp_eq_u32 s6, 2
	v_cndmask_b32_e32 v41, v2, v3, vcc_lo
	s_cselect_b32 vcc_lo, -1, 0
	s_cmp_eq_u32 s6, 3
	s_add_nc_u64 s[6:7], s[6:7], 1
	s_delay_alu instid0(VALU_DEP_1) | instskip(SKIP_2) | instid1(VALU_DEP_1)
	v_cndmask_b32_e32 v41, v41, v4, vcc_lo
	s_cselect_b32 vcc_lo, -1, 0
	s_cmp_lg_u32 s69, s6
	v_cndmask_b32_e32 v41, v41, v5, vcc_lo
	s_wait_loadcnt 0x0
	s_delay_alu instid0(VALU_DEP_1)
	v_fma_mix_f32 v6, v41, v40, v6 op_sel_hi:[0,1,0]
	s_cbranch_scc1 .LBB399_83
.LBB399_84:                             ;   in Loop: Header=BB399_67 Depth=2
	s_or_b32 exec_lo, exec_lo, s35
	s_delay_alu instid0(SALU_CYCLE_1)
	s_or_b32 exec_lo, exec_lo, s25
	s_and_saveexec_b32 s6, s1
	s_cbranch_execnz .LBB399_70
	s_branch .LBB399_71
.LBB399_85:                             ;   in Loop: Header=BB399_67 Depth=2
	ds_load_b32 v6, v36
	s_or_b32 exec_lo, exec_lo, s6
	s_and_saveexec_b32 s6, s1
	s_cbranch_execz .LBB399_75
.LBB399_86:                             ;   in Loop: Header=BB399_67 Depth=2
	s_wait_dscnt 0x0
	ds_bpermute_b32 v32, v7, v6
	s_wait_dscnt 0x0
	v_add_f32_e32 v6, v6, v32
	ds_bpermute_b32 v32, v34, v6
	s_wait_dscnt 0x0
	v_add_f32_e32 v6, v6, v32
	;; [unrolled: 3-line block ×3, first 2 shown]
	s_or_b32 exec_lo, exec_lo, s6
	s_and_saveexec_b32 s6, s0
	s_cbranch_execz .LBB399_66
.LBB399_87:                             ;   in Loop: Header=BB399_67 Depth=2
	s_mul_u64 s[60:61], s[26:27], s[30:31]
	s_wait_dscnt 0x0
	v_mul_f32_e32 v6, s22, v6
	s_lshl_b64 s[60:61], s[60:61], 2
	s_delay_alu instid0(SALU_CYCLE_1)
	s_add_nc_u64 s[60:61], s[8:9], s[60:61]
	global_store_b32 v0, v6, s[60:61]
	s_branch .LBB399_66
.LBB399_88:
	s_endpgm
	.section	.rodata,"a",@progbits
	.p2align	6, 0x0
	.amdhsa_kernel _ZL23rocblas_gemvt_sn_kernelILb0ELi256ELi4EiDF16_ffEviiT4_lPKT3_lilS3_lilPT5_i
		.amdhsa_group_segment_fixed_size 128
		.amdhsa_private_segment_fixed_size 0
		.amdhsa_kernarg_size 360
		.amdhsa_user_sgpr_count 2
		.amdhsa_user_sgpr_dispatch_ptr 0
		.amdhsa_user_sgpr_queue_ptr 0
		.amdhsa_user_sgpr_kernarg_segment_ptr 1
		.amdhsa_user_sgpr_dispatch_id 0
		.amdhsa_user_sgpr_kernarg_preload_length 0
		.amdhsa_user_sgpr_kernarg_preload_offset 0
		.amdhsa_user_sgpr_private_segment_size 0
		.amdhsa_wavefront_size32 1
		.amdhsa_uses_dynamic_stack 0
		.amdhsa_enable_private_segment 0
		.amdhsa_system_sgpr_workgroup_id_x 1
		.amdhsa_system_sgpr_workgroup_id_y 0
		.amdhsa_system_sgpr_workgroup_id_z 1
		.amdhsa_system_sgpr_workgroup_info 0
		.amdhsa_system_vgpr_workitem_id 0
		.amdhsa_next_free_vgpr 61
		.amdhsa_next_free_sgpr 78
		.amdhsa_named_barrier_count 0
		.amdhsa_reserve_vcc 1
		.amdhsa_float_round_mode_32 0
		.amdhsa_float_round_mode_16_64 0
		.amdhsa_float_denorm_mode_32 3
		.amdhsa_float_denorm_mode_16_64 3
		.amdhsa_fp16_overflow 0
		.amdhsa_memory_ordered 1
		.amdhsa_forward_progress 1
		.amdhsa_inst_pref_size 33
		.amdhsa_round_robin_scheduling 0
		.amdhsa_exception_fp_ieee_invalid_op 0
		.amdhsa_exception_fp_denorm_src 0
		.amdhsa_exception_fp_ieee_div_zero 0
		.amdhsa_exception_fp_ieee_overflow 0
		.amdhsa_exception_fp_ieee_underflow 0
		.amdhsa_exception_fp_ieee_inexact 0
		.amdhsa_exception_int_div_zero 0
	.end_amdhsa_kernel
	.section	.text._ZL23rocblas_gemvt_sn_kernelILb0ELi256ELi4EiDF16_ffEviiT4_lPKT3_lilS3_lilPT5_i,"axG",@progbits,_ZL23rocblas_gemvt_sn_kernelILb0ELi256ELi4EiDF16_ffEviiT4_lPKT3_lilS3_lilPT5_i,comdat
.Lfunc_end399:
	.size	_ZL23rocblas_gemvt_sn_kernelILb0ELi256ELi4EiDF16_ffEviiT4_lPKT3_lilS3_lilPT5_i, .Lfunc_end399-_ZL23rocblas_gemvt_sn_kernelILb0ELi256ELi4EiDF16_ffEviiT4_lPKT3_lilS3_lilPT5_i
                                        ; -- End function
	.set _ZL23rocblas_gemvt_sn_kernelILb0ELi256ELi4EiDF16_ffEviiT4_lPKT3_lilS3_lilPT5_i.num_vgpr, 61
	.set _ZL23rocblas_gemvt_sn_kernelILb0ELi256ELi4EiDF16_ffEviiT4_lPKT3_lilS3_lilPT5_i.num_agpr, 0
	.set _ZL23rocblas_gemvt_sn_kernelILb0ELi256ELi4EiDF16_ffEviiT4_lPKT3_lilS3_lilPT5_i.numbered_sgpr, 78
	.set _ZL23rocblas_gemvt_sn_kernelILb0ELi256ELi4EiDF16_ffEviiT4_lPKT3_lilS3_lilPT5_i.num_named_barrier, 0
	.set _ZL23rocblas_gemvt_sn_kernelILb0ELi256ELi4EiDF16_ffEviiT4_lPKT3_lilS3_lilPT5_i.private_seg_size, 0
	.set _ZL23rocblas_gemvt_sn_kernelILb0ELi256ELi4EiDF16_ffEviiT4_lPKT3_lilS3_lilPT5_i.uses_vcc, 1
	.set _ZL23rocblas_gemvt_sn_kernelILb0ELi256ELi4EiDF16_ffEviiT4_lPKT3_lilS3_lilPT5_i.uses_flat_scratch, 0
	.set _ZL23rocblas_gemvt_sn_kernelILb0ELi256ELi4EiDF16_ffEviiT4_lPKT3_lilS3_lilPT5_i.has_dyn_sized_stack, 0
	.set _ZL23rocblas_gemvt_sn_kernelILb0ELi256ELi4EiDF16_ffEviiT4_lPKT3_lilS3_lilPT5_i.has_recursion, 0
	.set _ZL23rocblas_gemvt_sn_kernelILb0ELi256ELi4EiDF16_ffEviiT4_lPKT3_lilS3_lilPT5_i.has_indirect_call, 0
	.section	.AMDGPU.csdata,"",@progbits
; Kernel info:
; codeLenInByte = 4120
; TotalNumSgprs: 80
; NumVgprs: 61
; ScratchSize: 0
; MemoryBound: 0
; FloatMode: 240
; IeeeMode: 1
; LDSByteSize: 128 bytes/workgroup (compile time only)
; SGPRBlocks: 0
; VGPRBlocks: 3
; NumSGPRsForWavesPerEU: 80
; NumVGPRsForWavesPerEU: 61
; NamedBarCnt: 0
; Occupancy: 16
; WaveLimiterHint : 0
; COMPUTE_PGM_RSRC2:SCRATCH_EN: 0
; COMPUTE_PGM_RSRC2:USER_SGPR: 2
; COMPUTE_PGM_RSRC2:TRAP_HANDLER: 0
; COMPUTE_PGM_RSRC2:TGID_X_EN: 1
; COMPUTE_PGM_RSRC2:TGID_Y_EN: 0
; COMPUTE_PGM_RSRC2:TGID_Z_EN: 1
; COMPUTE_PGM_RSRC2:TIDIG_COMP_CNT: 0
	.section	.text._ZL23rocblas_gemvt_sn_kernelILb0ELi256ELi4ElDF16_ffEviiT4_lPKT3_lilS3_lilPT5_i,"axG",@progbits,_ZL23rocblas_gemvt_sn_kernelILb0ELi256ELi4ElDF16_ffEviiT4_lPKT3_lilS3_lilPT5_i,comdat
	.globl	_ZL23rocblas_gemvt_sn_kernelILb0ELi256ELi4ElDF16_ffEviiT4_lPKT3_lilS3_lilPT5_i ; -- Begin function _ZL23rocblas_gemvt_sn_kernelILb0ELi256ELi4ElDF16_ffEviiT4_lPKT3_lilS3_lilPT5_i
	.p2align	8
	.type	_ZL23rocblas_gemvt_sn_kernelILb0ELi256ELi4ElDF16_ffEviiT4_lPKT3_lilS3_lilPT5_i,@function
_ZL23rocblas_gemvt_sn_kernelILb0ELi256ELi4ElDF16_ffEviiT4_lPKT3_lilS3_lilPT5_i: ; @_ZL23rocblas_gemvt_sn_kernelILb0ELi256ELi4ElDF16_ffEviiT4_lPKT3_lilS3_lilPT5_i
; %bb.0:
	s_load_b32 s23, s[0:1], 0x60
	s_bfe_u32 s2, ttmp6, 0x40014
	s_lshr_b32 s3, ttmp7, 16
	s_add_co_i32 s2, s2, 1
	s_bfe_u32 s4, ttmp6, 0x40008
	s_mul_i32 s2, s3, s2
	s_getreg_b32 s25, hwreg(HW_REG_IB_STS2, 6, 4)
	s_add_co_i32 s4, s4, s2
	s_cmp_eq_u32 s25, 0
	s_mov_b32 s11, 0
	s_cselect_b32 s24, s3, s4
	s_wait_kmcnt 0x0
	s_cmp_ge_u32 s24, s23
	s_cbranch_scc1 .LBB400_88
; %bb.1:
	s_clause 0x6
	s_load_b32 s26, s[0:1], 0x28
	s_load_b96 s[8:10], s[0:1], 0x40
	s_load_b128 s[4:7], s[0:1], 0x18
	s_load_b96 s[20:22], s[0:1], 0x0
	s_load_b128 s[12:15], s[0:1], 0x30
	s_load_b128 s[16:19], s[0:1], 0x50
	s_load_b32 s28, s[0:1], 0x68
	s_wait_xcnt 0x0
	v_cmp_eq_u32_e64 s0, 0, v0
	v_dual_lshrrev_b32 v2, 3, v0 :: v_dual_bitop2_b32 v1, 31, v0 bitop3:0x40
	v_cmp_gt_u32_e64 s1, 32, v0
	v_cmp_gt_u32_e64 s2, 8, v0
	v_mbcnt_lo_u32_b32 v42, -1, 0
	s_delay_alu instid0(VALU_DEP_4)
	v_cmp_eq_u32_e64 s3, 0, v1
	v_dual_lshlrev_b32 v40, 2, v1 :: v_dual_bitop2_b32 v41, 28, v2 bitop3:0x40
	v_mov_b64_e32 v[20:21], 0
	s_mov_b32 s29, s11
	v_lshl_or_b32 v43, v42, 2, 64
	s_wait_kmcnt 0x0
	s_ashr_i32 s27, s26, 31
	s_ashr_i32 s47, s10, 31
	s_lshl_b64 s[8:9], s[8:9], 1
	s_lshl_b64 s[6:7], s[6:7], 1
	s_ashr_i32 s39, s21, 31
	s_cmp_eq_f32 s22, 0
	s_mov_b32 s46, s10
	s_add_nc_u64 s[14:15], s[14:15], s[8:9]
	s_add_nc_u64 s[4:5], s[4:5], s[6:7]
	s_cselect_b32 s33, -1, 0
	s_cmp_gt_i32 s21, 0
	s_mov_b32 s38, s21
	s_cselect_b32 s10, -1, 0
	s_bfe_u32 s30, ttmp6, 0x4000c
	s_and_b32 s8, ttmp6, 15
	s_add_co_i32 s30, s30, 1
	s_and_b32 s62, s0, s10
	s_mul_i32 s9, ttmp9, s30
	s_mul_u64 s[30:31], s[38:39], s[28:29]
	s_add_co_i32 s8, s8, s9
	s_cmp_eq_u32 s25, 0
	s_mul_u64 s[56:57], s[26:27], 6
	s_cselect_b32 s10, ttmp9, s8
	s_ashr_i32 s7, s20, 31
	s_lshl_b32 s6, s10, 10
	s_lshr_b32 s7, s7, 30
	v_lshl_or_b32 v0, v0, 2, s6
	s_add_co_i32 s7, s20, s7
	s_lshr_b32 s6, s39, 30
	s_and_b32 s7, s7, -4
	s_add_co_i32 s6, s21, s6
	s_sub_co_i32 s64, s20, s7
	v_dual_ashrrev_i32 v1, 31, v0 :: v_dual_add_nc_u32 v18, 4, v0
	v_dual_add_nc_u32 v19, s64, v0 :: v_dual_bitop2_b32 v2, 1, v0 bitop3:0x54
	v_or_b32_e32 v4, 2, v0
	v_or_b32_e32 v6, 3, v0
	s_delay_alu instid0(VALU_DEP_4) | instskip(NEXT) | instid1(VALU_DEP_4)
	v_mul_u64_e32 v[8:9], s[46:47], v[0:1]
	v_ashrrev_i32_e32 v3, 31, v2
	v_lshl_add_u64 v[16:17], v[0:1], 1, s[4:5]
	v_dual_mov_b32 v0, 0 :: v_dual_ashrrev_i32 v5, 31, v4
	v_ashrrev_i32_e32 v7, 31, v6
	s_delay_alu instid0(VALU_DEP_4)
	v_mul_u64_e32 v[10:11], s[46:47], v[2:3]
	s_and_b32 s63, s6, -4
	v_cmp_ge_i32_e64 s4, s20, v18
	v_mul_u64_e32 v[12:13], s[46:47], v[4:5]
	v_mul_u64_e32 v[14:15], s[46:47], v[6:7]
	s_cmp_gt_i32 s63, 0
	s_cselect_b32 s65, -1, 0
	s_cmp_gt_i32 s64, 0
	s_cselect_b32 s66, -1, 0
	s_cmp_gt_u32 s21, 1
	s_cselect_b32 s5, -1, 0
	s_cmp_eq_u32 s28, 1
	s_cselect_b32 s6, -1, 0
	s_and_b32 s67, s21, 0x7ffffffe
	s_and_b32 s68, s5, s6
	s_cmp_lg_u32 s21, s67
	v_cmp_ge_i32_e64 s5, s20, v19
	s_cselect_b32 s20, -1, 0
	s_lshl_b64 s[34:35], s[10:11], 2
	s_lshl_b64 s[36:37], s[30:31], 2
	;; [unrolled: 1-line block ×4, first 2 shown]
	v_lshl_add_u64 v[18:19], v[8:9], 1, s[14:15]
	s_lshl_b64 s[42:43], s[16:17], 1
	s_add_nc_u64 s[44:45], s[18:19], s[34:35]
	s_lshl_b64 s[46:47], s[46:47], 1
	s_lshl_b64 s[48:49], s[12:13], 1
	;; [unrolled: 1-line block ×5, first 2 shown]
	s_branch .LBB400_3
.LBB400_2:                              ;   in Loop: Header=BB400_3 Depth=1
	s_add_co_i32 s24, s24, 0x10000
	s_delay_alu instid0(SALU_CYCLE_1)
	s_cmp_lt_u32 s24, s23
	s_cbranch_scc0 .LBB400_88
.LBB400_3:                              ; =>This Loop Header: Depth=1
                                        ;     Child Loop BB400_7 Depth 2
                                        ;     Child Loop BB400_11 Depth 2
	;; [unrolled: 1-line block ×3, first 2 shown]
                                        ;       Child Loop BB400_48 Depth 3
                                        ;       Child Loop BB400_51 Depth 3
                                        ;     Child Loop BB400_67 Depth 2
                                        ;       Child Loop BB400_80 Depth 3
                                        ;       Child Loop BB400_83 Depth 3
	s_mov_b32 s25, s11
	s_and_not1_b32 vcc_lo, exec_lo, s33
	s_mov_b32 s6, -1
	s_cbranch_vccnz .LBB400_13
; %bb.4:                                ;   in Loop: Header=BB400_3 Depth=1
	s_and_saveexec_b32 s8, s62
	s_cbranch_execz .LBB400_12
; %bb.5:                                ;   in Loop: Header=BB400_3 Depth=1
	s_and_not1_b32 vcc_lo, exec_lo, s68
	s_cbranch_vccnz .LBB400_9
; %bb.6:                                ;   in Loop: Header=BB400_3 Depth=1
	s_mul_u64 s[6:7], s[36:37], s[24:25]
	s_mov_b32 s9, s67
	s_add_nc_u64 s[6:7], s[44:45], s[6:7]
.LBB400_7:                              ;   Parent Loop BB400_3 Depth=1
                                        ; =>  This Inner Loop Header: Depth=2
	s_add_co_i32 s9, s9, -2
	global_store_b64 v0, v[20:21], s[6:7]
	s_wait_xcnt 0x0
	s_add_nc_u64 s[6:7], s[6:7], 8
	s_mov_b32 s10, s67
	s_cmp_lg_u32 s9, 0
	s_mov_b32 s58, s20
	s_cbranch_scc1 .LBB400_7
; %bb.8:                                ;   in Loop: Header=BB400_3 Depth=1
	s_and_b32 vcc_lo, exec_lo, s58
	s_cbranch_vccnz .LBB400_10
	s_branch .LBB400_12
.LBB400_9:                              ;   in Loop: Header=BB400_3 Depth=1
	s_mov_b32 s10, 0
	s_cbranch_execz .LBB400_12
.LBB400_10:                             ;   in Loop: Header=BB400_3 Depth=1
	s_mul_u64 s[6:7], s[38:39], s[24:25]
	s_lshl_b64 s[58:59], s[10:11], 2
	s_sub_co_i32 s9, s21, s10
	s_add_nc_u64 s[6:7], s[6:7], s[58:59]
	s_delay_alu instid0(SALU_CYCLE_1) | instskip(NEXT) | instid1(SALU_CYCLE_1)
	s_mul_u64 s[6:7], s[28:29], s[6:7]
	s_add_nc_u64 s[6:7], s[44:45], s[6:7]
.LBB400_11:                             ;   Parent Loop BB400_3 Depth=1
                                        ; =>  This Inner Loop Header: Depth=2
	s_add_co_i32 s9, s9, -1
	global_store_b32 v0, v0, s[6:7]
	s_cmp_eq_u32 s9, 0
	s_wait_xcnt 0x0
	s_add_nc_u64 s[6:7], s[6:7], s[40:41]
	s_cbranch_scc0 .LBB400_11
.LBB400_12:                             ;   in Loop: Header=BB400_3 Depth=1
	s_or_b32 exec_lo, exec_lo, s8
	s_mov_b32 s6, 0
.LBB400_13:                             ;   in Loop: Header=BB400_3 Depth=1
	s_delay_alu instid0(SALU_CYCLE_1)
	s_and_not1_b32 vcc_lo, exec_lo, s6
	s_cbranch_vccnz .LBB400_2
; %bb.14:                               ;   in Loop: Header=BB400_3 Depth=1
	v_mad_nc_u64_u32 v[22:23], s42, s24, v[18:19]
	s_mul_u64 s[6:7], s[16:17], s[24:25]
	s_mul_u64 s[8:9], s[30:31], s[24:25]
	s_lshl_b64 s[6:7], s[6:7], 1
	s_mul_u64 s[58:59], s[12:13], s[24:25]
	s_add_nc_u64 s[6:7], s[14:15], s[6:7]
	s_lshl_b64 s[70:71], s[8:9], 2
	v_lshl_add_u64 v[24:25], s[58:59], 1, v[16:17]
	v_lshl_add_u64 v[26:27], v[8:9], 1, s[6:7]
	;; [unrolled: 1-line block ×4, first 2 shown]
	v_mad_u32 v23, s43, s24, v23
	v_lshl_add_u64 v[32:33], v[14:15], 1, s[6:7]
	v_cmp_gt_u32_e64 s9, 24, v42
	v_cmp_gt_u32_e64 s8, 28, v42
	;; [unrolled: 1-line block ×3, first 2 shown]
	v_cmp_ne_u32_e64 s6, 31, v42
	s_add_nc_u64 s[58:59], s[18:19], s[70:71]
	s_mul_u64 s[60:61], s[48:49], s[24:25]
	s_and_not1_b32 vcc_lo, exec_lo, s65
	s_add_nc_u64 s[58:59], s[58:59], s[34:35]
	s_cbranch_vccnz .LBB400_63
; %bb.15:                               ;   in Loop: Header=BB400_3 Depth=1
	v_cndmask_b32_e64 v4, 0, 8, s9
	v_cndmask_b32_e64 v5, 0, 4, s8
	s_wait_dscnt 0x0
	v_add_co_ci_u32_e64 v35, null, 0, v42, s6
	v_dual_mov_b32 v1, v0 :: v_dual_mov_b32 v2, v0
	s_delay_alu instid0(VALU_DEP_2) | instskip(SKIP_3) | instid1(VALU_DEP_4)
	v_dual_mov_b32 v3, v0 :: v_dual_lshlrev_b32 v47, 2, v35
	v_cndmask_b32_e64 v34, 0, 2, s7
	v_add_lshl_u32 v44, v4, v42, 2
	v_add_lshl_u32 v45, v5, v42, 2
	v_mov_b64_e32 v[4:5], v[2:3]
	v_add_nc_u64_e32 v[6:7], s[60:61], v[16:17]
	v_mov_b64_e32 v[2:3], v[0:1]
	v_add_lshl_u32 v46, v34, v42, 2
	s_mov_b32 s10, 0
	s_branch .LBB400_17
.LBB400_16:                             ;   in Loop: Header=BB400_17 Depth=2
	s_wait_xcnt 0x0
	s_or_b32 exec_lo, exec_lo, s6
	v_add_nc_u64_e32 v[6:7], s[50:51], v[6:7]
	s_add_co_i32 s10, s10, 4
	s_delay_alu instid0(SALU_CYCLE_1)
	s_cmp_ge_i32 s10, s63
	s_cbranch_scc1 .LBB400_64
.LBB400_17:                             ;   Parent Loop BB400_3 Depth=1
                                        ; =>  This Loop Header: Depth=2
                                        ;       Child Loop BB400_48 Depth 3
                                        ;       Child Loop BB400_51 Depth 3
                                        ; implicit-def: $vgpr35
                                        ; implicit-def: $vgpr37
	s_and_saveexec_b32 s6, s4
	s_delay_alu instid0(SALU_CYCLE_1)
	s_xor_b32 s6, exec_lo, s6
	s_cbranch_execnz .LBB400_44
; %bb.18:                               ;   in Loop: Header=BB400_17 Depth=2
	s_and_not1_saveexec_b32 s25, s6
	s_cbranch_execnz .LBB400_45
.LBB400_19:                             ;   in Loop: Header=BB400_17 Depth=2
	s_or_b32 exec_lo, exec_lo, s25
	s_and_saveexec_b32 s6, s1
.LBB400_20:                             ;   in Loop: Header=BB400_17 Depth=2
	ds_store_b32 v40, v0
.LBB400_21:                             ;   in Loop: Header=BB400_17 Depth=2
	s_or_b32 exec_lo, exec_lo, s6
	ds_bpermute_b32 v1, v43, v36
	s_wait_storecnt_dscnt 0x0
	s_barrier_signal -1
	s_barrier_wait -1
	v_add_f32_e32 v1, v36, v1
	ds_bpermute_b32 v36, v44, v1
	s_wait_dscnt 0x0
	v_add_f32_e32 v1, v1, v36
	ds_bpermute_b32 v36, v45, v1
	s_wait_dscnt 0x0
	;; [unrolled: 3-line block ×3, first 2 shown]
	v_add_f32_e32 v1, v1, v36
	ds_bpermute_b32 v36, v47, v1
	s_and_saveexec_b32 s6, s3
	s_cbranch_execz .LBB400_23
; %bb.22:                               ;   in Loop: Header=BB400_17 Depth=2
	s_wait_dscnt 0x0
	v_add_f32_e32 v1, v1, v36
	ds_store_b32 v41, v1
.LBB400_23:                             ;   in Loop: Header=BB400_17 Depth=2
	s_or_b32 exec_lo, exec_lo, s6
	v_mov_b32_e32 v1, 0
	s_wait_dscnt 0x0
	s_barrier_signal -1
	s_barrier_wait -1
	s_and_saveexec_b32 s6, s2
	s_cbranch_execnz .LBB400_52
; %bb.24:                               ;   in Loop: Header=BB400_17 Depth=2
	s_or_b32 exec_lo, exec_lo, s6
	s_and_saveexec_b32 s6, s1
	s_cbranch_execnz .LBB400_53
.LBB400_25:                             ;   in Loop: Header=BB400_17 Depth=2
	s_or_b32 exec_lo, exec_lo, s6
	s_and_saveexec_b32 s6, s1
.LBB400_26:                             ;   in Loop: Header=BB400_17 Depth=2
	ds_store_b32 v40, v0
.LBB400_27:                             ;   in Loop: Header=BB400_17 Depth=2
	s_or_b32 exec_lo, exec_lo, s6
	ds_bpermute_b32 v36, v43, v37
	s_wait_dscnt 0x0
	s_barrier_signal -1
	s_barrier_wait -1
	v_add_f32_e32 v36, v37, v36
	ds_bpermute_b32 v37, v44, v36
	s_wait_dscnt 0x0
	v_add_f32_e32 v36, v36, v37
	ds_bpermute_b32 v37, v45, v36
	s_wait_dscnt 0x0
	;; [unrolled: 3-line block ×3, first 2 shown]
	v_add_f32_e32 v36, v36, v37
	ds_bpermute_b32 v37, v47, v36
	s_and_saveexec_b32 s6, s3
	s_cbranch_execz .LBB400_29
; %bb.28:                               ;   in Loop: Header=BB400_17 Depth=2
	s_wait_dscnt 0x0
	v_add_f32_e32 v36, v36, v37
	ds_store_b32 v41, v36
.LBB400_29:                             ;   in Loop: Header=BB400_17 Depth=2
	s_or_b32 exec_lo, exec_lo, s6
	v_mov_b32_e32 v36, 0
	s_wait_dscnt 0x0
	s_barrier_signal -1
	s_barrier_wait -1
	s_and_saveexec_b32 s6, s2
	s_cbranch_execnz .LBB400_54
; %bb.30:                               ;   in Loop: Header=BB400_17 Depth=2
	s_or_b32 exec_lo, exec_lo, s6
	s_and_saveexec_b32 s6, s1
	s_cbranch_execnz .LBB400_55
.LBB400_31:                             ;   in Loop: Header=BB400_17 Depth=2
	s_or_b32 exec_lo, exec_lo, s6
	s_and_saveexec_b32 s6, s1
.LBB400_32:                             ;   in Loop: Header=BB400_17 Depth=2
	ds_store_b32 v40, v0
.LBB400_33:                             ;   in Loop: Header=BB400_17 Depth=2
	s_or_b32 exec_lo, exec_lo, s6
	ds_bpermute_b32 v37, v43, v34
	s_wait_dscnt 0x0
	s_barrier_signal -1
	s_barrier_wait -1
	v_add_f32_e32 v34, v34, v37
	ds_bpermute_b32 v37, v44, v34
	s_wait_dscnt 0x0
	v_add_f32_e32 v34, v34, v37
	ds_bpermute_b32 v37, v45, v34
	s_wait_dscnt 0x0
	;; [unrolled: 3-line block ×3, first 2 shown]
	v_add_f32_e32 v34, v34, v37
	ds_bpermute_b32 v37, v47, v34
	s_and_saveexec_b32 s6, s3
	s_cbranch_execz .LBB400_35
; %bb.34:                               ;   in Loop: Header=BB400_17 Depth=2
	s_wait_dscnt 0x0
	v_add_f32_e32 v34, v34, v37
	ds_store_b32 v41, v34
.LBB400_35:                             ;   in Loop: Header=BB400_17 Depth=2
	s_or_b32 exec_lo, exec_lo, s6
	v_mov_b32_e32 v34, 0
	s_wait_dscnt 0x0
	s_barrier_signal -1
	s_barrier_wait -1
	s_and_saveexec_b32 s6, s2
	s_cbranch_execnz .LBB400_56
; %bb.36:                               ;   in Loop: Header=BB400_17 Depth=2
	s_or_b32 exec_lo, exec_lo, s6
	s_and_saveexec_b32 s6, s1
	s_cbranch_execnz .LBB400_57
.LBB400_37:                             ;   in Loop: Header=BB400_17 Depth=2
	s_or_b32 exec_lo, exec_lo, s6
	s_and_saveexec_b32 s6, s1
.LBB400_38:                             ;   in Loop: Header=BB400_17 Depth=2
	ds_store_b32 v40, v0
.LBB400_39:                             ;   in Loop: Header=BB400_17 Depth=2
	s_or_b32 exec_lo, exec_lo, s6
	ds_bpermute_b32 v37, v43, v35
	s_wait_dscnt 0x0
	s_barrier_signal -1
	s_barrier_wait -1
	v_add_f32_e32 v35, v35, v37
	ds_bpermute_b32 v37, v44, v35
	s_wait_dscnt 0x0
	v_add_f32_e32 v35, v35, v37
	ds_bpermute_b32 v37, v45, v35
	s_wait_dscnt 0x0
	;; [unrolled: 3-line block ×3, first 2 shown]
	v_add_f32_e32 v35, v35, v37
	ds_bpermute_b32 v37, v47, v35
	s_and_saveexec_b32 s6, s3
	s_cbranch_execz .LBB400_41
; %bb.40:                               ;   in Loop: Header=BB400_17 Depth=2
	s_wait_dscnt 0x0
	v_add_f32_e32 v35, v35, v37
	ds_store_b32 v41, v35
.LBB400_41:                             ;   in Loop: Header=BB400_17 Depth=2
	s_or_b32 exec_lo, exec_lo, s6
	v_mov_b32_e32 v35, 0
	s_wait_dscnt 0x0
	s_barrier_signal -1
	s_barrier_wait -1
	s_and_saveexec_b32 s6, s2
	s_cbranch_execnz .LBB400_58
; %bb.42:                               ;   in Loop: Header=BB400_17 Depth=2
	s_or_b32 exec_lo, exec_lo, s6
	s_and_saveexec_b32 s6, s1
	s_cbranch_execnz .LBB400_59
.LBB400_43:                             ;   in Loop: Header=BB400_17 Depth=2
	s_or_b32 exec_lo, exec_lo, s6
	s_and_saveexec_b32 s6, s0
	s_cbranch_execz .LBB400_16
	s_branch .LBB400_60
.LBB400_44:                             ;   in Loop: Header=BB400_17 Depth=2
	s_mul_u64 s[8:9], s[10:11], s[26:27]
	s_or_b32 s72, s10, 3
	v_lshl_add_u64 v[2:3], s[8:9], 1, v[24:25]
	s_or_b32 s8, s10, 2
	s_mov_b32 s9, s11
	s_mov_b32 s73, s11
	s_mul_u64 s[8:9], s[8:9], s[26:27]
	s_or_b32 s70, s10, 1
	v_lshl_add_u64 v[4:5], s[8:9], 1, v[24:25]
	s_mul_u64 s[8:9], s[72:73], s[26:27]
	s_mov_b32 s71, s11
	s_clause 0x3
	global_load_u16 v1, v[26:27], off
	global_load_u16 v48, v[28:29], off
	;; [unrolled: 1-line block ×4, first 2 shown]
	s_wait_dscnt 0x0
	s_clause 0x1
	global_load_b64 v[34:35], v[2:3], off
	global_load_b64 v[4:5], v[4:5], off
	s_wait_xcnt 0x1
	v_lshl_add_u64 v[2:3], s[8:9], 1, v[24:25]
	s_mul_u64 s[8:9], s[70:71], s[26:27]
	s_delay_alu instid0(SALU_CYCLE_1)
	v_lshl_add_u64 v[36:37], s[8:9], 1, v[24:25]
	s_clause 0x1
	global_load_b64 v[38:39], v[2:3], off
	global_load_b64 v[36:37], v[36:37], off
	s_wait_loadcnt 0x7
	s_wait_xcnt 0x1
	v_cvt_f32_f16_e32 v2, v1
	s_wait_loadcnt 0x6
	v_cvt_f32_f16_e32 v49, v48
	s_wait_loadcnt 0x5
	;; [unrolled: 2-line block ×4, first 2 shown]
	v_dual_lshrrev_b32 v1, 16, v34 :: v_dual_lshrrev_b32 v53, 16, v35
	s_wait_loadcnt 0x2
	v_dual_lshrrev_b32 v55, 16, v4 :: v_dual_lshrrev_b32 v57, 16, v5
	v_cvt_f32_f16_e32 v62, v5
	v_cvt_f32_f16_e32 v60, v4
	;; [unrolled: 1-line block ×4, first 2 shown]
	s_wait_loadcnt 0x1
	v_dual_lshrrev_b32 v3, 16, v38 :: v_dual_lshrrev_b32 v5, 16, v39
	v_cvt_f32_f16_e32 v48, v38
	v_cvt_f32_f16_e32 v50, v39
	s_wait_loadcnt 0x0
	v_lshrrev_b32_e32 v61, 16, v36
	v_cvt_f32_f16_e32 v3, v3
	v_cvt_f32_f16_e32 v59, v36
	;; [unrolled: 1-line block ×3, first 2 shown]
	s_wait_xcnt 0x0
	v_lshrrev_b32_e32 v37, 16, v37
	v_cvt_f32_f16_e32 v4, v1
	v_pk_mul_f32 v[38:39], v[48:49], v[2:3]
	v_cvt_f32_f16_e32 v36, v53
	v_cvt_f32_f16_e32 v1, v55
	v_dual_mul_f32 v60, v2, v60 :: v_dual_mov_b32 v3, v49
	v_cvt_f32_f16_e32 v53, v5
	v_cvt_f32_f16_e32 v5, v61
	s_delay_alu instid0(VALU_DEP_4) | instskip(SKIP_1) | instid1(VALU_DEP_4)
	v_dual_mov_b32 v61, v38 :: v_dual_mul_f32 v38, v49, v1
	v_dual_mov_b32 v54, v49 :: v_dual_mov_b32 v56, v51
	v_pk_mul_f32 v[48:49], v[50:51], v[52:53]
	s_delay_alu instid0(VALU_DEP_3)
	v_pk_add_f32 v[60:61], v[60:61], 0 op_sel_hi:[1,0]
	v_pk_fma_f32 v[58:59], v[2:3], v[58:59], 0 op_sel_hi:[0,1,0]
	v_cvt_f32_f16_e32 v1, v57
	v_mul_f32_e32 v62, v52, v62
	v_mov_b32_e32 v63, v48
	v_pk_add_f32 v[38:39], v[60:61], v[38:39]
	v_pk_fma_f32 v[4:5], v[54:55], v[4:5], v[58:59] op_sel_hi:[0,1,1]
	v_cvt_f32_f16_e32 v37, v37
	v_mul_f32_e32 v48, v51, v1
	s_delay_alu instid0(VALU_DEP_3) | instskip(SKIP_3) | instid1(VALU_DEP_4)
	v_pk_fma_f32 v[54:55], v[52:53], v[34:35], v[4:5] op_sel_hi:[0,1,1]
	v_mov_b32_e32 v4, v52
	v_pk_add_f32 v[38:39], v[38:39], v[62:63]
	v_mov_b32_e32 v5, v51
	v_pk_fma_f32 v[36:37], v[56:57], v[36:37], v[54:55] op_sel_hi:[0,1,1]
	s_delay_alu instid0(VALU_DEP_3)
	v_pk_add_f32 v[34:35], v[38:39], v[48:49]
	s_and_not1_saveexec_b32 s25, s6
	s_cbranch_execz .LBB400_19
.LBB400_45:                             ;   in Loop: Header=BB400_17 Depth=2
	s_wait_dscnt 0x0
	v_dual_mov_b32 v35, 0 :: v_dual_mov_b32 v34, 0
	v_dual_mov_b32 v37, 0 :: v_dual_mov_b32 v36, 0
	s_and_saveexec_b32 s69, s5
	s_cbranch_execz .LBB400_62
; %bb.46:                               ;   in Loop: Header=BB400_17 Depth=2
	s_and_not1_b32 vcc_lo, exec_lo, s66
	s_cbranch_vccnz .LBB400_49
; %bb.47:                               ;   in Loop: Header=BB400_17 Depth=2
	v_mov_b64_e32 v[34:35], v[22:23]
	s_mov_b64 s[8:9], 0
.LBB400_48:                             ;   Parent Loop BB400_3 Depth=1
                                        ;     Parent Loop BB400_17 Depth=2
                                        ; =>    This Inner Loop Header: Depth=3
	global_load_u16 v1, v[34:35], off
	s_cmp_eq_u32 s8, 3
	s_wait_xcnt 0x0
	v_add_nc_u64_e32 v[34:35], s[46:47], v[34:35]
	s_cselect_b32 vcc_lo, -1, 0
	s_cmp_eq_u32 s8, 2
	s_cselect_b32 s6, -1, 0
	s_cmp_eq_u32 s8, 1
	s_cselect_b32 s7, -1, 0
	s_cmp_eq_u32 s8, 0
	s_add_nc_u64 s[8:9], s[8:9], 1
	s_wait_loadcnt 0x0
	v_cvt_f32_f16_e32 v1, v1
	s_delay_alu instid0(VALU_DEP_1) | instskip(SKIP_1) | instid1(SALU_CYCLE_1)
	v_dual_cndmask_b32 v5, v5, v1, vcc_lo :: v_dual_cndmask_b32 v4, v4, v1, s6
	s_cselect_b32 vcc_lo, -1, 0
	v_dual_cndmask_b32 v3, v3, v1, s7 :: v_dual_cndmask_b32 v2, v2, v1, vcc_lo
	s_cmp_eq_u32 s64, s8
	s_cbranch_scc0 .LBB400_48
.LBB400_49:                             ;   in Loop: Header=BB400_17 Depth=2
	s_and_not1_b32 vcc_lo, exec_lo, s66
	s_cbranch_vccnz .LBB400_61
; %bb.50:                               ;   in Loop: Header=BB400_17 Depth=2
	v_mov_b32_e32 v36, 0
	v_mov_b64_e32 v[38:39], v[6:7]
	s_mov_b64 s[6:7], 0
	s_delay_alu instid0(VALU_DEP_2)
	v_dual_mov_b32 v37, v36 :: v_dual_mov_b32 v34, v36
	v_mov_b32_e32 v35, v36
.LBB400_51:                             ;   Parent Loop BB400_3 Depth=1
                                        ;     Parent Loop BB400_17 Depth=2
                                        ; =>    This Inner Loop Header: Depth=3
	s_delay_alu instid0(VALU_DEP_3)
	v_add_nc_u64_e32 v[48:49], s[56:57], v[38:39]
	v_add_nc_u64_e32 v[50:51], s[54:55], v[38:39]
	;; [unrolled: 1-line block ×3, first 2 shown]
	s_cmp_eq_u32 s6, 1
	s_clause 0x3
	global_load_u16 v1, v[38:39], off
	global_load_u16 v49, v[48:49], off
	;; [unrolled: 1-line block ×4, first 2 shown]
	s_cselect_b32 vcc_lo, -1, 0
	s_cmp_eq_u32 s6, 2
	s_wait_xcnt 0x2
	v_cndmask_b32_e32 v48, v2, v3, vcc_lo
	s_cselect_b32 vcc_lo, -1, 0
	s_cmp_eq_u32 s6, 3
	v_add_nc_u64_e32 v[38:39], 2, v[38:39]
	s_add_nc_u64 s[6:7], s[6:7], 1
	v_cndmask_b32_e32 v48, v48, v4, vcc_lo
	s_cselect_b32 vcc_lo, -1, 0
	s_cmp_lg_u32 s64, s6
	s_delay_alu instid0(VALU_DEP_1)
	v_cndmask_b32_e32 v48, v48, v5, vcc_lo
	s_wait_loadcnt 0x3
	s_wait_xcnt 0x1
	v_cvt_f32_f16_e32 v50, v1
	s_wait_loadcnt 0x2
	s_wait_xcnt 0x0
	v_cvt_f32_f16_e32 v53, v49
	s_wait_loadcnt 0x1
	v_cvt_f32_f16_e32 v52, v51
	s_wait_loadcnt 0x0
	v_cvt_f32_f16_e32 v51, v54
	s_delay_alu instid0(VALU_DEP_2) | instskip(NEXT) | instid1(VALU_DEP_2)
	v_pk_fma_f32 v[34:35], v[48:49], v[52:53], v[34:35] op_sel_hi:[0,1,1]
	v_pk_fma_f32 v[36:37], v[48:49], v[50:51], v[36:37] op_sel_hi:[0,1,1]
	s_cbranch_scc1 .LBB400_51
	s_branch .LBB400_62
.LBB400_52:                             ;   in Loop: Header=BB400_17 Depth=2
	ds_load_b32 v1, v40
	s_or_b32 exec_lo, exec_lo, s6
	s_and_saveexec_b32 s6, s1
	s_cbranch_execz .LBB400_25
.LBB400_53:                             ;   in Loop: Header=BB400_17 Depth=2
	s_wait_dscnt 0x0
	ds_bpermute_b32 v36, v45, v1
	s_wait_dscnt 0x0
	v_add_f32_e32 v1, v1, v36
	ds_bpermute_b32 v36, v46, v1
	s_wait_dscnt 0x0
	v_add_f32_e32 v1, v1, v36
	;; [unrolled: 3-line block ×3, first 2 shown]
	s_or_b32 exec_lo, exec_lo, s6
	s_and_saveexec_b32 s6, s1
	s_cbranch_execnz .LBB400_26
	s_branch .LBB400_27
.LBB400_54:                             ;   in Loop: Header=BB400_17 Depth=2
	ds_load_b32 v36, v40
	s_or_b32 exec_lo, exec_lo, s6
	s_and_saveexec_b32 s6, s1
	s_cbranch_execz .LBB400_31
.LBB400_55:                             ;   in Loop: Header=BB400_17 Depth=2
	s_wait_dscnt 0x0
	ds_bpermute_b32 v37, v45, v36
	s_wait_dscnt 0x0
	v_add_f32_e32 v36, v36, v37
	ds_bpermute_b32 v37, v46, v36
	s_wait_dscnt 0x0
	v_add_f32_e32 v36, v36, v37
	;; [unrolled: 3-line block ×3, first 2 shown]
	s_or_b32 exec_lo, exec_lo, s6
	s_and_saveexec_b32 s6, s1
	s_cbranch_execnz .LBB400_32
	s_branch .LBB400_33
.LBB400_56:                             ;   in Loop: Header=BB400_17 Depth=2
	ds_load_b32 v34, v40
	s_or_b32 exec_lo, exec_lo, s6
	s_and_saveexec_b32 s6, s1
	s_cbranch_execz .LBB400_37
.LBB400_57:                             ;   in Loop: Header=BB400_17 Depth=2
	s_wait_dscnt 0x0
	ds_bpermute_b32 v37, v45, v34
	s_wait_dscnt 0x0
	v_add_f32_e32 v34, v34, v37
	ds_bpermute_b32 v37, v46, v34
	s_wait_dscnt 0x0
	v_add_f32_e32 v34, v34, v37
	;; [unrolled: 3-line block ×3, first 2 shown]
	s_or_b32 exec_lo, exec_lo, s6
	s_and_saveexec_b32 s6, s1
	s_cbranch_execnz .LBB400_38
	s_branch .LBB400_39
.LBB400_58:                             ;   in Loop: Header=BB400_17 Depth=2
	ds_load_b32 v35, v40
	s_or_b32 exec_lo, exec_lo, s6
	s_and_saveexec_b32 s6, s1
	s_cbranch_execz .LBB400_43
.LBB400_59:                             ;   in Loop: Header=BB400_17 Depth=2
	s_wait_dscnt 0x0
	ds_bpermute_b32 v37, v45, v35
	s_wait_dscnt 0x0
	v_add_f32_e32 v35, v35, v37
	ds_bpermute_b32 v37, v46, v35
	s_wait_dscnt 0x0
	v_add_f32_e32 v35, v35, v37
	;; [unrolled: 3-line block ×3, first 2 shown]
	s_or_b32 exec_lo, exec_lo, s6
	s_and_saveexec_b32 s6, s0
	s_cbranch_execz .LBB400_16
.LBB400_60:                             ;   in Loop: Header=BB400_17 Depth=2
	s_or_b32 s70, s10, 1
	s_mov_b32 s71, s11
	s_mul_u64 s[8:9], s[10:11], s[28:29]
	v_dual_mul_f32 v1, s22, v1 :: v_dual_mul_f32 v36, s22, v36
	s_mul_u64 s[70:71], s[70:71], s[28:29]
	s_lshl_b64 s[8:9], s[8:9], 2
	s_lshl_b64 s[70:71], s[70:71], 2
	s_add_nc_u64 s[8:9], s[58:59], s[8:9]
	s_add_nc_u64 s[70:71], s[58:59], s[70:71]
	s_clause 0x1
	global_store_b32 v0, v1, s[8:9]
	global_store_b32 v0, v36, s[70:71]
	s_wait_xcnt 0x1
	s_or_b32 s8, s10, 2
	s_mov_b32 s9, s11
	s_wait_xcnt 0x0
	s_or_b32 s70, s10, 3
	s_mov_b32 s71, s11
	s_mul_u64 s[8:9], s[8:9], s[28:29]
	s_wait_dscnt 0x0
	v_dual_mul_f32 v1, s22, v34 :: v_dual_mul_f32 v34, s22, v35
	s_mul_u64 s[70:71], s[70:71], s[28:29]
	s_lshl_b64 s[8:9], s[8:9], 2
	s_lshl_b64 s[70:71], s[70:71], 2
	s_add_nc_u64 s[8:9], s[58:59], s[8:9]
	s_add_nc_u64 s[70:71], s[58:59], s[70:71]
	s_clause 0x1
	global_store_b32 v0, v1, s[8:9]
	global_store_b32 v0, v34, s[70:71]
	s_branch .LBB400_16
.LBB400_61:                             ;   in Loop: Header=BB400_17 Depth=2
	v_mov_b32_e32 v35, 0
	s_delay_alu instid0(VALU_DEP_1)
	v_dual_mov_b32 v34, v35 :: v_dual_mov_b32 v37, v35
	v_mov_b32_e32 v36, v35
.LBB400_62:                             ;   in Loop: Header=BB400_17 Depth=2
	s_or_b32 exec_lo, exec_lo, s69
	s_delay_alu instid0(SALU_CYCLE_1)
	s_or_b32 exec_lo, exec_lo, s25
	s_and_saveexec_b32 s6, s1
	s_cbranch_execnz .LBB400_20
	s_branch .LBB400_21
.LBB400_63:                             ;   in Loop: Header=BB400_3 Depth=1
	v_dual_mov_b32 v1, v0 :: v_dual_mov_b32 v2, v0
	v_mov_b32_e32 v3, v0
	s_mov_b32 s10, 0
	s_delay_alu instid0(VALU_DEP_1) | instskip(NEXT) | instid1(VALU_DEP_3)
	v_mov_b64_e32 v[4:5], v[2:3]
	v_mov_b64_e32 v[2:3], v[0:1]
.LBB400_64:                             ;   in Loop: Header=BB400_3 Depth=1
	s_cmp_ge_i32 s10, s21
	s_cbranch_scc1 .LBB400_2
; %bb.65:                               ;   in Loop: Header=BB400_3 Depth=1
	v_cmp_gt_u32_e32 vcc_lo, 24, v42
	s_mul_u64 s[6:7], s[52:53], s[10:11]
	s_delay_alu instid0(SALU_CYCLE_1) | instskip(SKIP_4) | instid1(VALU_DEP_2)
	s_add_nc_u64 s[6:7], s[6:7], s[60:61]
	s_wait_dscnt 0x0
	v_add_nc_u64_e32 v[34:35], s[6:7], v[16:17]
	v_cndmask_b32_e64 v1, 0, 8, vcc_lo
	v_cmp_gt_u32_e32 vcc_lo, 28, v42
	v_add_lshl_u32 v1, v1, v42, 2
	v_cndmask_b32_e64 v6, 0, 4, vcc_lo
	v_cmp_gt_u32_e32 vcc_lo, 30, v42
	s_delay_alu instid0(VALU_DEP_2) | instskip(SKIP_2) | instid1(VALU_DEP_2)
	v_add_lshl_u32 v7, v6, v42, 2
	v_cndmask_b32_e64 v36, 0, 2, vcc_lo
	v_cmp_ne_u32_e32 vcc_lo, 31, v42
	v_add_lshl_u32 v38, v36, v42, 2
	v_add_co_ci_u32_e64 v37, null, 0, v42, vcc_lo
	s_delay_alu instid0(VALU_DEP_1)
	v_lshlrev_b32_e32 v39, 2, v37
	s_branch .LBB400_67
.LBB400_66:                             ;   in Loop: Header=BB400_67 Depth=2
	s_wait_xcnt 0x0
	s_or_b32 exec_lo, exec_lo, s6
	v_add_nc_u64_e32 v[34:35], s[52:53], v[34:35]
	s_add_co_i32 s10, s10, 1
	s_delay_alu instid0(SALU_CYCLE_1)
	s_cmp_ge_i32 s10, s21
	s_cbranch_scc1 .LBB400_2
.LBB400_67:                             ;   Parent Loop BB400_3 Depth=1
                                        ; =>  This Loop Header: Depth=2
                                        ;       Child Loop BB400_80 Depth 3
                                        ;       Child Loop BB400_83 Depth 3
	s_wait_dscnt 0x0
	v_mov_b32_e32 v6, s11
	s_and_saveexec_b32 s6, s4
	s_delay_alu instid0(SALU_CYCLE_1)
	s_xor_b32 s6, exec_lo, s6
	s_cbranch_execnz .LBB400_76
; %bb.68:                               ;   in Loop: Header=BB400_67 Depth=2
	s_and_not1_saveexec_b32 s25, s6
	s_cbranch_execnz .LBB400_77
.LBB400_69:                             ;   in Loop: Header=BB400_67 Depth=2
	s_or_b32 exec_lo, exec_lo, s25
	s_and_saveexec_b32 s6, s1
.LBB400_70:                             ;   in Loop: Header=BB400_67 Depth=2
	ds_store_b32 v40, v0
.LBB400_71:                             ;   in Loop: Header=BB400_67 Depth=2
	s_or_b32 exec_lo, exec_lo, s6
	ds_bpermute_b32 v36, v43, v6
	s_wait_storecnt_dscnt 0x0
	s_barrier_signal -1
	s_barrier_wait -1
	v_add_f32_e32 v6, v6, v36
	ds_bpermute_b32 v36, v1, v6
	s_wait_dscnt 0x0
	v_add_f32_e32 v6, v6, v36
	ds_bpermute_b32 v36, v7, v6
	s_wait_dscnt 0x0
	;; [unrolled: 3-line block ×3, first 2 shown]
	v_add_f32_e32 v6, v6, v36
	ds_bpermute_b32 v36, v39, v6
	s_and_saveexec_b32 s6, s3
	s_cbranch_execz .LBB400_73
; %bb.72:                               ;   in Loop: Header=BB400_67 Depth=2
	s_wait_dscnt 0x0
	v_add_f32_e32 v6, v6, v36
	ds_store_b32 v41, v6
.LBB400_73:                             ;   in Loop: Header=BB400_67 Depth=2
	s_or_b32 exec_lo, exec_lo, s6
	v_mov_b32_e32 v6, 0
	s_wait_dscnt 0x0
	s_barrier_signal -1
	s_barrier_wait -1
	s_and_saveexec_b32 s6, s2
	s_cbranch_execnz .LBB400_85
; %bb.74:                               ;   in Loop: Header=BB400_67 Depth=2
	s_or_b32 exec_lo, exec_lo, s6
	s_and_saveexec_b32 s6, s1
	s_cbranch_execnz .LBB400_86
.LBB400_75:                             ;   in Loop: Header=BB400_67 Depth=2
	s_or_b32 exec_lo, exec_lo, s6
	s_and_saveexec_b32 s6, s0
	s_cbranch_execz .LBB400_66
	s_branch .LBB400_87
.LBB400_76:                             ;   in Loop: Header=BB400_67 Depth=2
	s_mul_u64 s[8:9], s[10:11], s[26:27]
	s_delay_alu instid0(SALU_CYCLE_1)
	v_lshl_add_u64 v[2:3], s[8:9], 1, v[24:25]
	global_load_b64 v[36:37], v[2:3], off
	s_clause 0x3
	global_load_u16 v2, v[28:29], off
	global_load_u16 v4, v[26:27], off
	;; [unrolled: 1-line block ×4, first 2 shown]
	s_wait_loadcnt 0x4
	v_dual_lshrrev_b32 v5, 16, v36 :: v_dual_lshrrev_b32 v47, 16, v37
	s_wait_loadcnt 0x3
	v_cvt_f32_f16_e32 v3, v2
	s_wait_loadcnt 0x2
	v_cvt_f32_f16_e32 v2, v4
	v_cvt_f32_f16_e32 v4, v36
	;; [unrolled: 1-line block ×5, first 2 shown]
	s_delay_alu instid0(VALU_DEP_3)
	v_pk_mul_f32 v[44:45], v[2:3], v[4:5]
	s_wait_loadcnt 0x1
	v_cvt_f32_f16_e32 v5, v6
	s_wait_loadcnt 0x0
	v_cvt_f32_f16_e32 v4, v46
	v_add_f32_e32 v6, 0, v44
	s_delay_alu instid0(VALU_DEP_2) | instskip(NEXT) | instid1(VALU_DEP_2)
	v_pk_mul_f32 v[36:37], v[4:5], v[36:37]
	v_add_f32_e32 v6, v6, v45
	s_delay_alu instid0(VALU_DEP_1) | instskip(NEXT) | instid1(VALU_DEP_1)
	v_add_f32_e32 v6, v6, v36
	v_add_f32_e32 v6, v6, v37
	s_wait_xcnt 0x0
	s_and_not1_saveexec_b32 s25, s6
	s_cbranch_execz .LBB400_69
.LBB400_77:                             ;   in Loop: Header=BB400_67 Depth=2
	s_and_saveexec_b32 s60, s5
	s_cbranch_execz .LBB400_84
; %bb.78:                               ;   in Loop: Header=BB400_67 Depth=2
	s_and_not1_b32 vcc_lo, exec_lo, s66
	s_cbranch_vccnz .LBB400_81
; %bb.79:                               ;   in Loop: Header=BB400_67 Depth=2
	v_mov_b64_e32 v[36:37], v[22:23]
	s_mov_b64 s[8:9], 0
.LBB400_80:                             ;   Parent Loop BB400_3 Depth=1
                                        ;     Parent Loop BB400_67 Depth=2
                                        ; =>    This Inner Loop Header: Depth=3
	global_load_u16 v44, v[36:37], off
	s_cmp_eq_u32 s8, 3
	s_wait_xcnt 0x0
	v_add_nc_u64_e32 v[36:37], s[46:47], v[36:37]
	s_cselect_b32 vcc_lo, -1, 0
	s_cmp_eq_u32 s8, 2
	s_cselect_b32 s6, -1, 0
	s_cmp_eq_u32 s8, 1
	s_cselect_b32 s7, -1, 0
	s_cmp_eq_u32 s8, 0
	s_add_nc_u64 s[8:9], s[8:9], 1
	s_wait_loadcnt 0x0
	v_cvt_f32_f16_e32 v44, v44
	s_delay_alu instid0(VALU_DEP_1) | instskip(SKIP_1) | instid1(SALU_CYCLE_1)
	v_dual_cndmask_b32 v5, v5, v44, vcc_lo :: v_dual_cndmask_b32 v4, v4, v44, s6
	s_cselect_b32 vcc_lo, -1, 0
	v_dual_cndmask_b32 v3, v3, v44, s7 :: v_dual_cndmask_b32 v2, v2, v44, vcc_lo
	s_cmp_eq_u32 s64, s8
	s_cbranch_scc0 .LBB400_80
.LBB400_81:                             ;   in Loop: Header=BB400_67 Depth=2
	s_and_not1_b32 vcc_lo, exec_lo, s66
	s_cbranch_vccnz .LBB400_84
; %bb.82:                               ;   in Loop: Header=BB400_67 Depth=2
	v_mov_b64_e32 v[36:37], v[34:35]
	s_mov_b64 s[6:7], 0
.LBB400_83:                             ;   Parent Loop BB400_3 Depth=1
                                        ;     Parent Loop BB400_67 Depth=2
                                        ; =>    This Inner Loop Header: Depth=3
	global_load_u16 v44, v[36:37], off
	s_cmp_eq_u32 s6, 1
	s_wait_xcnt 0x0
	v_add_nc_u64_e32 v[36:37], 2, v[36:37]
	s_cselect_b32 vcc_lo, -1, 0
	s_cmp_eq_u32 s6, 2
	v_cndmask_b32_e32 v45, v2, v3, vcc_lo
	s_cselect_b32 vcc_lo, -1, 0
	s_cmp_eq_u32 s6, 3
	s_add_nc_u64 s[6:7], s[6:7], 1
	s_delay_alu instid0(VALU_DEP_1) | instskip(SKIP_2) | instid1(VALU_DEP_1)
	v_cndmask_b32_e32 v45, v45, v4, vcc_lo
	s_cselect_b32 vcc_lo, -1, 0
	s_cmp_lg_u32 s64, s6
	v_cndmask_b32_e32 v45, v45, v5, vcc_lo
	s_wait_loadcnt 0x0
	s_delay_alu instid0(VALU_DEP_1)
	v_fma_mix_f32 v6, v45, v44, v6 op_sel_hi:[0,1,0]
	s_cbranch_scc1 .LBB400_83
.LBB400_84:                             ;   in Loop: Header=BB400_67 Depth=2
	s_or_b32 exec_lo, exec_lo, s60
	s_delay_alu instid0(SALU_CYCLE_1)
	s_or_b32 exec_lo, exec_lo, s25
	s_and_saveexec_b32 s6, s1
	s_cbranch_execnz .LBB400_70
	s_branch .LBB400_71
.LBB400_85:                             ;   in Loop: Header=BB400_67 Depth=2
	ds_load_b32 v6, v40
	s_or_b32 exec_lo, exec_lo, s6
	s_and_saveexec_b32 s6, s1
	s_cbranch_execz .LBB400_75
.LBB400_86:                             ;   in Loop: Header=BB400_67 Depth=2
	s_wait_dscnt 0x0
	ds_bpermute_b32 v36, v7, v6
	s_wait_dscnt 0x0
	v_add_f32_e32 v6, v6, v36
	ds_bpermute_b32 v36, v38, v6
	s_wait_dscnt 0x0
	v_add_f32_e32 v6, v6, v36
	ds_bpermute_b32 v36, v39, v6
	s_wait_dscnt 0x0
	v_add_f32_e32 v6, v6, v36
	s_or_b32 exec_lo, exec_lo, s6
	s_and_saveexec_b32 s6, s0
	s_cbranch_execz .LBB400_66
.LBB400_87:                             ;   in Loop: Header=BB400_67 Depth=2
	s_mul_u64 s[8:9], s[10:11], s[28:29]
	s_wait_dscnt 0x0
	v_mul_f32_e32 v6, s22, v6
	s_lshl_b64 s[8:9], s[8:9], 2
	s_delay_alu instid0(SALU_CYCLE_1)
	s_add_nc_u64 s[8:9], s[58:59], s[8:9]
	global_store_b32 v0, v6, s[8:9]
	s_branch .LBB400_66
.LBB400_88:
	s_endpgm
	.section	.rodata,"a",@progbits
	.p2align	6, 0x0
	.amdhsa_kernel _ZL23rocblas_gemvt_sn_kernelILb0ELi256ELi4ElDF16_ffEviiT4_lPKT3_lilS3_lilPT5_i
		.amdhsa_group_segment_fixed_size 128
		.amdhsa_private_segment_fixed_size 0
		.amdhsa_kernarg_size 360
		.amdhsa_user_sgpr_count 2
		.amdhsa_user_sgpr_dispatch_ptr 0
		.amdhsa_user_sgpr_queue_ptr 0
		.amdhsa_user_sgpr_kernarg_segment_ptr 1
		.amdhsa_user_sgpr_dispatch_id 0
		.amdhsa_user_sgpr_kernarg_preload_length 0
		.amdhsa_user_sgpr_kernarg_preload_offset 0
		.amdhsa_user_sgpr_private_segment_size 0
		.amdhsa_wavefront_size32 1
		.amdhsa_uses_dynamic_stack 0
		.amdhsa_enable_private_segment 0
		.amdhsa_system_sgpr_workgroup_id_x 1
		.amdhsa_system_sgpr_workgroup_id_y 0
		.amdhsa_system_sgpr_workgroup_id_z 1
		.amdhsa_system_sgpr_workgroup_info 0
		.amdhsa_system_vgpr_workitem_id 0
		.amdhsa_next_free_vgpr 64
		.amdhsa_next_free_sgpr 74
		.amdhsa_named_barrier_count 0
		.amdhsa_reserve_vcc 1
		.amdhsa_float_round_mode_32 0
		.amdhsa_float_round_mode_16_64 0
		.amdhsa_float_denorm_mode_32 3
		.amdhsa_float_denorm_mode_16_64 3
		.amdhsa_fp16_overflow 0
		.amdhsa_memory_ordered 1
		.amdhsa_forward_progress 1
		.amdhsa_inst_pref_size 33
		.amdhsa_round_robin_scheduling 0
		.amdhsa_exception_fp_ieee_invalid_op 0
		.amdhsa_exception_fp_denorm_src 0
		.amdhsa_exception_fp_ieee_div_zero 0
		.amdhsa_exception_fp_ieee_overflow 0
		.amdhsa_exception_fp_ieee_underflow 0
		.amdhsa_exception_fp_ieee_inexact 0
		.amdhsa_exception_int_div_zero 0
	.end_amdhsa_kernel
	.section	.text._ZL23rocblas_gemvt_sn_kernelILb0ELi256ELi4ElDF16_ffEviiT4_lPKT3_lilS3_lilPT5_i,"axG",@progbits,_ZL23rocblas_gemvt_sn_kernelILb0ELi256ELi4ElDF16_ffEviiT4_lPKT3_lilS3_lilPT5_i,comdat
.Lfunc_end400:
	.size	_ZL23rocblas_gemvt_sn_kernelILb0ELi256ELi4ElDF16_ffEviiT4_lPKT3_lilS3_lilPT5_i, .Lfunc_end400-_ZL23rocblas_gemvt_sn_kernelILb0ELi256ELi4ElDF16_ffEviiT4_lPKT3_lilS3_lilPT5_i
                                        ; -- End function
	.set _ZL23rocblas_gemvt_sn_kernelILb0ELi256ELi4ElDF16_ffEviiT4_lPKT3_lilS3_lilPT5_i.num_vgpr, 64
	.set _ZL23rocblas_gemvt_sn_kernelILb0ELi256ELi4ElDF16_ffEviiT4_lPKT3_lilS3_lilPT5_i.num_agpr, 0
	.set _ZL23rocblas_gemvt_sn_kernelILb0ELi256ELi4ElDF16_ffEviiT4_lPKT3_lilS3_lilPT5_i.numbered_sgpr, 74
	.set _ZL23rocblas_gemvt_sn_kernelILb0ELi256ELi4ElDF16_ffEviiT4_lPKT3_lilS3_lilPT5_i.num_named_barrier, 0
	.set _ZL23rocblas_gemvt_sn_kernelILb0ELi256ELi4ElDF16_ffEviiT4_lPKT3_lilS3_lilPT5_i.private_seg_size, 0
	.set _ZL23rocblas_gemvt_sn_kernelILb0ELi256ELi4ElDF16_ffEviiT4_lPKT3_lilS3_lilPT5_i.uses_vcc, 1
	.set _ZL23rocblas_gemvt_sn_kernelILb0ELi256ELi4ElDF16_ffEviiT4_lPKT3_lilS3_lilPT5_i.uses_flat_scratch, 0
	.set _ZL23rocblas_gemvt_sn_kernelILb0ELi256ELi4ElDF16_ffEviiT4_lPKT3_lilS3_lilPT5_i.has_dyn_sized_stack, 0
	.set _ZL23rocblas_gemvt_sn_kernelILb0ELi256ELi4ElDF16_ffEviiT4_lPKT3_lilS3_lilPT5_i.has_recursion, 0
	.set _ZL23rocblas_gemvt_sn_kernelILb0ELi256ELi4ElDF16_ffEviiT4_lPKT3_lilS3_lilPT5_i.has_indirect_call, 0
	.section	.AMDGPU.csdata,"",@progbits
; Kernel info:
; codeLenInByte = 4124
; TotalNumSgprs: 76
; NumVgprs: 64
; ScratchSize: 0
; MemoryBound: 0
; FloatMode: 240
; IeeeMode: 1
; LDSByteSize: 128 bytes/workgroup (compile time only)
; SGPRBlocks: 0
; VGPRBlocks: 3
; NumSGPRsForWavesPerEU: 76
; NumVGPRsForWavesPerEU: 64
; NamedBarCnt: 0
; Occupancy: 16
; WaveLimiterHint : 0
; COMPUTE_PGM_RSRC2:SCRATCH_EN: 0
; COMPUTE_PGM_RSRC2:USER_SGPR: 2
; COMPUTE_PGM_RSRC2:TRAP_HANDLER: 0
; COMPUTE_PGM_RSRC2:TGID_X_EN: 1
; COMPUTE_PGM_RSRC2:TGID_Y_EN: 0
; COMPUTE_PGM_RSRC2:TGID_Z_EN: 1
; COMPUTE_PGM_RSRC2:TIDIG_COMP_CNT: 0
	.section	.text._ZL23rocblas_gemvt_sn_reduceILi256ELi8EffDF16_EviT2_lPT3_lilPT1_i,"axG",@progbits,_ZL23rocblas_gemvt_sn_reduceILi256ELi8EffDF16_EviT2_lPT3_lilPT1_i,comdat
	.globl	_ZL23rocblas_gemvt_sn_reduceILi256ELi8EffDF16_EviT2_lPT3_lilPT1_i ; -- Begin function _ZL23rocblas_gemvt_sn_reduceILi256ELi8EffDF16_EviT2_lPT3_lilPT1_i
	.p2align	8
	.type	_ZL23rocblas_gemvt_sn_reduceILi256ELi8EffDF16_EviT2_lPT3_lilPT1_i,@function
_ZL23rocblas_gemvt_sn_reduceILi256ELi8EffDF16_EviT2_lPT3_lilPT1_i: ; @_ZL23rocblas_gemvt_sn_reduceILi256ELi8EffDF16_EviT2_lPT3_lilPT1_i
; %bb.0:
	s_load_b32 s28, s[0:1], 0x38
	s_bfe_u32 s2, ttmp6, 0x40014
	s_lshr_b32 s3, ttmp7, 16
	s_add_co_i32 s2, s2, 1
	s_bfe_u32 s5, ttmp6, 0x40008
	s_mul_i32 s4, s3, s2
	s_getreg_b32 s2, hwreg(HW_REG_IB_STS2, 6, 4)
	s_add_co_i32 s5, s5, s4
	s_cmp_eq_u32 s2, 0
	s_mov_b32 s7, 0
	s_cselect_b32 s6, s3, s5
	s_wait_kmcnt 0x0
	s_cmp_ge_u32 s6, s28
	s_cbranch_scc1 .LBB401_21
; %bb.1:
	v_mbcnt_lo_u32_b32 v11, -1, 0
	s_clause 0x5
	s_load_b32 s29, s[0:1], 0x44
	s_load_b32 s3, s[0:1], 0x4c
	;; [unrolled: 1-line block ×3, first 2 shown]
	s_load_b128 s[20:23], s[0:1], 0x10
	s_load_b64 s[12:13], s[0:1], 0x0
	s_load_b128 s[8:11], s[0:1], 0x28
	s_wait_xcnt 0x0
	s_bfe_u32 s0, ttmp6, 0x40010
	v_dual_mov_b32 v3, 0 :: v_dual_lshlrev_b32 v6, 3, v0
	v_cmp_gt_u32_e32 vcc_lo, 24, v11
	v_dual_lshrrev_b32 v14, 3, v0 :: v_dual_bitop2_b32 v1, 31, v0 bitop3:0x40
	s_and_b32 s4, ttmp7, 0xffff
	s_add_co_i32 s0, s0, 1
	v_cndmask_b32_e64 v4, 0, 8, vcc_lo
	v_cmp_gt_u32_e32 vcc_lo, 28, v11
	s_bfe_u32 s1, ttmp6, 0x40004
	s_mul_i32 s0, s4, s0
	v_lshlrev_b32_e32 v7, 2, v1
	v_add_lshl_u32 v9, v4, v11, 2
	v_cndmask_b32_e64 v5, 0, 4, vcc_lo
	v_cmp_gt_u32_e32 vcc_lo, 30, v11
	v_lshlrev_b32_e32 v4, 5, v0
	s_add_co_i32 s5, s1, s0
	s_wait_kmcnt 0x0
	s_ashr_i32 s25, s24, 31
	v_add_lshl_u32 v10, v5, v11, 2
	v_cndmask_b32_e64 v12, 0, 2, vcc_lo
	v_cmp_ne_u32_e32 vcc_lo, 31, v11
	s_lshl_b64 s[0:1], s[22:23], 1
	s_ashr_i32 s15, s12, 31
	s_cmp_eq_u32 s2, 0
	v_lshl_or_b32 v8, v11, 2, 64
	v_add_co_ci_u32_e64 v13, null, 0, v11, vcc_lo
	v_mov_b32_e32 v5, v3
	s_cselect_b32 s16, s4, s5
	s_lshr_b32 s2, s15, 29
	v_add_lshl_u32 v11, v12, v11, 2
	v_lshlrev_b32_e32 v12, 2, v13
	v_add_nc_u64_e32 v[4:5], s[10:11], v[4:5]
	s_add_nc_u64 s[18:19], s[20:21], s[0:1]
	s_add_co_i32 s0, s12, s2
	s_and_b32 s22, s3, 0xffff
	s_and_b32 s30, s0, -8
	v_xad_u32 v2, v0, -1, s12
	s_sub_co_i32 s1, s12, s30
	s_lshl_b32 s31, s22, 3
	v_cmp_gt_u32_e64 s1, s1, v0
	v_cmp_gt_u32_e64 s2, 32, v0
	v_cmp_eq_u32_e64 s3, 0, v1
	v_cmp_gt_u32_e64 s4, 8, v0
	v_cmp_eq_u32_e64 s5, 0, v0
	v_add_nc_u64_e32 v[0:1], 28, v[4:5]
	s_cmp_neq_f32 s13, 0
	s_mov_b32 s17, s7
	v_cmp_gt_i32_e64 s0, s30, v6
	v_and_b32_e32 v13, 28, v14
	s_mov_b32 s14, s12
	s_mul_u64 s[24:25], s[24:25], s[16:17]
	s_mul_i32 s17, s6, s29
	s_cselect_b32 s12, -1, 0
	s_lshl_b64 s[20:21], s[14:15], 2
	s_add_co_i32 s17, s16, s17
	s_lshl_b32 s33, s29, 16
	s_lshl_b32 s22, s22, 5
	s_mov_b32 s23, s7
	s_lshl_b64 s[24:25], s[24:25], 1
	s_branch .LBB401_4
.LBB401_2:                              ;   in Loop: Header=BB401_4 Depth=1
	s_wait_dscnt 0x0
	s_delay_alu instid0(VALU_DEP_1)
	v_cvt_f16_f32_e32 v4, v4
	global_store_b16 v3, v4, s[26:27]
.LBB401_3:                              ;   in Loop: Header=BB401_4 Depth=1
	s_wait_xcnt 0x0
	s_or_b32 exec_lo, exec_lo, s34
	s_add_co_i32 s6, s6, 0x10000
	s_add_co_i32 s17, s17, s33
	s_cmp_lt_u32 s6, s28
	s_cbranch_scc0 .LBB401_21
.LBB401_4:                              ; =>This Loop Header: Depth=1
                                        ;     Child Loop BB401_14 Depth 2
	v_mov_b32_e32 v14, 0
	s_and_saveexec_b32 s26, s0
	s_cbranch_execnz .LBB401_13
; %bb.5:                                ;   in Loop: Header=BB401_4 Depth=1
	s_or_b32 exec_lo, exec_lo, s26
	s_and_saveexec_b32 s26, s1
	s_cbranch_execnz .LBB401_16
.LBB401_6:                              ;   in Loop: Header=BB401_4 Depth=1
	s_or_b32 exec_lo, exec_lo, s26
	s_and_saveexec_b32 s26, s2
.LBB401_7:                              ;   in Loop: Header=BB401_4 Depth=1
	ds_store_b32 v7, v3
.LBB401_8:                              ;   in Loop: Header=BB401_4 Depth=1
	s_or_b32 exec_lo, exec_lo, s26
	s_wait_dscnt 0x0
	ds_bpermute_b32 v4, v8, v14
	s_wait_dscnt 0x0
	s_barrier_signal -1
	s_barrier_wait -1
	v_add_f32_e32 v4, v14, v4
	ds_bpermute_b32 v5, v9, v4
	s_wait_dscnt 0x0
	v_add_f32_e32 v4, v4, v5
	ds_bpermute_b32 v5, v10, v4
	s_wait_dscnt 0x0
	;; [unrolled: 3-line block ×3, first 2 shown]
	v_add_f32_e32 v4, v4, v5
	ds_bpermute_b32 v5, v12, v4
	s_and_saveexec_b32 s26, s3
	s_cbranch_execz .LBB401_10
; %bb.9:                                ;   in Loop: Header=BB401_4 Depth=1
	s_wait_dscnt 0x0
	v_add_f32_e32 v4, v4, v5
	ds_store_b32 v13, v4
.LBB401_10:                             ;   in Loop: Header=BB401_4 Depth=1
	s_or_b32 exec_lo, exec_lo, s26
	v_mov_b32_e32 v4, 0
	s_wait_dscnt 0x0
	s_barrier_signal -1
	s_barrier_wait -1
	s_and_saveexec_b32 s26, s4
	s_cbranch_execnz .LBB401_17
; %bb.11:                               ;   in Loop: Header=BB401_4 Depth=1
	s_or_b32 exec_lo, exec_lo, s26
	s_and_saveexec_b32 s26, s2
	s_cbranch_execnz .LBB401_18
.LBB401_12:                             ;   in Loop: Header=BB401_4 Depth=1
	s_or_b32 exec_lo, exec_lo, s26
	s_and_saveexec_b32 s34, s5
	s_cbranch_execz .LBB401_3
	s_branch .LBB401_19
.LBB401_13:                             ;   in Loop: Header=BB401_4 Depth=1
	s_wait_dscnt 0x0
	v_mad_nc_u64_u32 v[4:5], s20, s17, v[0:1]
	v_dual_mov_b32 v14, 0 :: v_dual_mov_b32 v15, v6
	s_mov_b32 s27, 0
	s_delay_alu instid0(VALU_DEP_2)
	v_mad_u32 v5, s21, s17, v5
.LBB401_14:                             ;   Parent Loop BB401_4 Depth=1
                                        ; =>  This Inner Loop Header: Depth=2
	s_clause 0x1
	global_load_b128 v[16:19], v[4:5], off offset:-28
	global_load_b128 v[20:23], v[4:5], off offset:-12
	s_wait_xcnt 0x0
	v_add_nc_u64_e32 v[4:5], s[22:23], v[4:5]
	v_add_nc_u32_e32 v15, s31, v15
	s_delay_alu instid0(VALU_DEP_1) | instskip(SKIP_3) | instid1(VALU_DEP_1)
	v_cmp_le_i32_e32 vcc_lo, s30, v15
	s_or_b32 s27, vcc_lo, s27
	s_wait_loadcnt 0x1
	v_add_f32_e32 v14, v14, v16
	v_add_f32_e32 v14, v14, v17
	s_delay_alu instid0(VALU_DEP_1) | instskip(NEXT) | instid1(VALU_DEP_1)
	v_add_f32_e32 v14, v14, v18
	v_add_f32_e32 v14, v14, v19
	s_wait_loadcnt 0x0
	s_delay_alu instid0(VALU_DEP_1) | instskip(NEXT) | instid1(VALU_DEP_1)
	v_add_f32_e32 v14, v14, v20
	v_add_f32_e32 v14, v14, v21
	s_delay_alu instid0(VALU_DEP_1) | instskip(NEXT) | instid1(VALU_DEP_1)
	v_add_f32_e32 v14, v14, v22
	v_add_f32_e32 v14, v14, v23
	s_and_not1_b32 exec_lo, exec_lo, s27
	s_cbranch_execnz .LBB401_14
; %bb.15:                               ;   in Loop: Header=BB401_4 Depth=1
	s_or_b32 exec_lo, exec_lo, s27
	s_delay_alu instid0(SALU_CYCLE_1)
	s_or_b32 exec_lo, exec_lo, s26
	s_and_saveexec_b32 s26, s1
	s_cbranch_execz .LBB401_6
.LBB401_16:                             ;   in Loop: Header=BB401_4 Depth=1
	s_mul_i32 s27, s29, s6
	s_mov_b32 s35, s7
	s_add_co_i32 s34, s27, s16
	s_delay_alu instid0(SALU_CYCLE_1) | instskip(NEXT) | instid1(SALU_CYCLE_1)
	s_mul_u64 s[34:35], s[34:35], s[14:15]
	s_lshl_b64 s[34:35], s[34:35], 2
	s_delay_alu instid0(SALU_CYCLE_1)
	s_add_nc_u64 s[34:35], s[10:11], s[34:35]
	s_wait_dscnt 0x0
	v_lshl_add_u64 v[4:5], v[2:3], 2, s[34:35]
	global_load_b32 v4, v[4:5], off
	s_wait_loadcnt 0x0
	v_add_f32_e32 v14, v14, v4
	s_wait_xcnt 0x0
	s_or_b32 exec_lo, exec_lo, s26
	s_and_saveexec_b32 s26, s2
	s_cbranch_execnz .LBB401_7
	s_branch .LBB401_8
.LBB401_17:                             ;   in Loop: Header=BB401_4 Depth=1
	ds_load_b32 v4, v7
	s_or_b32 exec_lo, exec_lo, s26
	s_and_saveexec_b32 s26, s2
	s_cbranch_execz .LBB401_12
.LBB401_18:                             ;   in Loop: Header=BB401_4 Depth=1
	s_wait_dscnt 0x0
	ds_bpermute_b32 v5, v10, v4
	s_wait_dscnt 0x0
	v_add_f32_e32 v4, v4, v5
	ds_bpermute_b32 v5, v11, v4
	s_wait_dscnt 0x0
	v_add_f32_e32 v4, v4, v5
	;; [unrolled: 3-line block ×3, first 2 shown]
	s_or_b32 exec_lo, exec_lo, s26
	s_and_saveexec_b32 s34, s5
	s_cbranch_execz .LBB401_3
.LBB401_19:                             ;   in Loop: Header=BB401_4 Depth=1
	s_mul_u64 s[26:27], s[8:9], s[6:7]
	s_and_not1_b32 vcc_lo, exec_lo, s12
	s_lshl_b64 s[26:27], s[26:27], 1
	s_delay_alu instid0(SALU_CYCLE_1) | instskip(NEXT) | instid1(SALU_CYCLE_1)
	s_add_nc_u64 s[26:27], s[18:19], s[26:27]
	s_add_nc_u64 s[26:27], s[26:27], s[24:25]
	s_cbranch_vccnz .LBB401_2
; %bb.20:                               ;   in Loop: Header=BB401_4 Depth=1
	global_load_u16 v5, v3, s[26:27]
	s_wait_loadcnt_dscnt 0x0
	v_fma_mix_f32 v4, s13, v5, v4 op_sel_hi:[0,1,0]
	s_branch .LBB401_2
.LBB401_21:
	s_endpgm
	.section	.rodata,"a",@progbits
	.p2align	6, 0x0
	.amdhsa_kernel _ZL23rocblas_gemvt_sn_reduceILi256ELi8EffDF16_EviT2_lPT3_lilPT1_i
		.amdhsa_group_segment_fixed_size 128
		.amdhsa_private_segment_fixed_size 0
		.amdhsa_kernarg_size 320
		.amdhsa_user_sgpr_count 2
		.amdhsa_user_sgpr_dispatch_ptr 0
		.amdhsa_user_sgpr_queue_ptr 0
		.amdhsa_user_sgpr_kernarg_segment_ptr 1
		.amdhsa_user_sgpr_dispatch_id 0
		.amdhsa_user_sgpr_kernarg_preload_length 0
		.amdhsa_user_sgpr_kernarg_preload_offset 0
		.amdhsa_user_sgpr_private_segment_size 0
		.amdhsa_wavefront_size32 1
		.amdhsa_uses_dynamic_stack 0
		.amdhsa_enable_private_segment 0
		.amdhsa_system_sgpr_workgroup_id_x 1
		.amdhsa_system_sgpr_workgroup_id_y 1
		.amdhsa_system_sgpr_workgroup_id_z 1
		.amdhsa_system_sgpr_workgroup_info 0
		.amdhsa_system_vgpr_workitem_id 0
		.amdhsa_next_free_vgpr 24
		.amdhsa_next_free_sgpr 36
		.amdhsa_named_barrier_count 0
		.amdhsa_reserve_vcc 1
		.amdhsa_float_round_mode_32 0
		.amdhsa_float_round_mode_16_64 0
		.amdhsa_float_denorm_mode_32 3
		.amdhsa_float_denorm_mode_16_64 3
		.amdhsa_fp16_overflow 0
		.amdhsa_memory_ordered 1
		.amdhsa_forward_progress 1
		.amdhsa_inst_pref_size 9
		.amdhsa_round_robin_scheduling 0
		.amdhsa_exception_fp_ieee_invalid_op 0
		.amdhsa_exception_fp_denorm_src 0
		.amdhsa_exception_fp_ieee_div_zero 0
		.amdhsa_exception_fp_ieee_overflow 0
		.amdhsa_exception_fp_ieee_underflow 0
		.amdhsa_exception_fp_ieee_inexact 0
		.amdhsa_exception_int_div_zero 0
	.end_amdhsa_kernel
	.section	.text._ZL23rocblas_gemvt_sn_reduceILi256ELi8EffDF16_EviT2_lPT3_lilPT1_i,"axG",@progbits,_ZL23rocblas_gemvt_sn_reduceILi256ELi8EffDF16_EviT2_lPT3_lilPT1_i,comdat
.Lfunc_end401:
	.size	_ZL23rocblas_gemvt_sn_reduceILi256ELi8EffDF16_EviT2_lPT3_lilPT1_i, .Lfunc_end401-_ZL23rocblas_gemvt_sn_reduceILi256ELi8EffDF16_EviT2_lPT3_lilPT1_i
                                        ; -- End function
	.set _ZL23rocblas_gemvt_sn_reduceILi256ELi8EffDF16_EviT2_lPT3_lilPT1_i.num_vgpr, 24
	.set _ZL23rocblas_gemvt_sn_reduceILi256ELi8EffDF16_EviT2_lPT3_lilPT1_i.num_agpr, 0
	.set _ZL23rocblas_gemvt_sn_reduceILi256ELi8EffDF16_EviT2_lPT3_lilPT1_i.numbered_sgpr, 36
	.set _ZL23rocblas_gemvt_sn_reduceILi256ELi8EffDF16_EviT2_lPT3_lilPT1_i.num_named_barrier, 0
	.set _ZL23rocblas_gemvt_sn_reduceILi256ELi8EffDF16_EviT2_lPT3_lilPT1_i.private_seg_size, 0
	.set _ZL23rocblas_gemvt_sn_reduceILi256ELi8EffDF16_EviT2_lPT3_lilPT1_i.uses_vcc, 1
	.set _ZL23rocblas_gemvt_sn_reduceILi256ELi8EffDF16_EviT2_lPT3_lilPT1_i.uses_flat_scratch, 0
	.set _ZL23rocblas_gemvt_sn_reduceILi256ELi8EffDF16_EviT2_lPT3_lilPT1_i.has_dyn_sized_stack, 0
	.set _ZL23rocblas_gemvt_sn_reduceILi256ELi8EffDF16_EviT2_lPT3_lilPT1_i.has_recursion, 0
	.set _ZL23rocblas_gemvt_sn_reduceILi256ELi8EffDF16_EviT2_lPT3_lilPT1_i.has_indirect_call, 0
	.section	.AMDGPU.csdata,"",@progbits
; Kernel info:
; codeLenInByte = 1116
; TotalNumSgprs: 38
; NumVgprs: 24
; ScratchSize: 0
; MemoryBound: 0
; FloatMode: 240
; IeeeMode: 1
; LDSByteSize: 128 bytes/workgroup (compile time only)
; SGPRBlocks: 0
; VGPRBlocks: 1
; NumSGPRsForWavesPerEU: 38
; NumVGPRsForWavesPerEU: 24
; NamedBarCnt: 0
; Occupancy: 16
; WaveLimiterHint : 0
; COMPUTE_PGM_RSRC2:SCRATCH_EN: 0
; COMPUTE_PGM_RSRC2:USER_SGPR: 2
; COMPUTE_PGM_RSRC2:TRAP_HANDLER: 0
; COMPUTE_PGM_RSRC2:TGID_X_EN: 1
; COMPUTE_PGM_RSRC2:TGID_Y_EN: 1
; COMPUTE_PGM_RSRC2:TGID_Z_EN: 1
; COMPUTE_PGM_RSRC2:TIDIG_COMP_CNT: 0
	.section	.text._ZL32rocblas_gemvt_warp_reduce_kernelILb0ELi256EiDF16_PKfDF16_EviiT3_lPKT2_lT1_lS5_lS6_lS2_lPT4_lS6_li,"axG",@progbits,_ZL32rocblas_gemvt_warp_reduce_kernelILb0ELi256EiDF16_PKfDF16_EviiT3_lPKT2_lT1_lS5_lS6_lS2_lPT4_lS6_li,comdat
	.globl	_ZL32rocblas_gemvt_warp_reduce_kernelILb0ELi256EiDF16_PKfDF16_EviiT3_lPKT2_lT1_lS5_lS6_lS2_lPT4_lS6_li ; -- Begin function _ZL32rocblas_gemvt_warp_reduce_kernelILb0ELi256EiDF16_PKfDF16_EviiT3_lPKT2_lT1_lS5_lS6_lS2_lPT4_lS6_li
	.p2align	8
	.type	_ZL32rocblas_gemvt_warp_reduce_kernelILb0ELi256EiDF16_PKfDF16_EviiT3_lPKT2_lT1_lS5_lS6_lS2_lPT4_lS6_li,@function
_ZL32rocblas_gemvt_warp_reduce_kernelILb0ELi256EiDF16_PKfDF16_EviiT3_lPKT2_lT1_lS5_lS6_lS2_lPT4_lS6_li: ; @_ZL32rocblas_gemvt_warp_reduce_kernelILb0ELi256EiDF16_PKfDF16_EviiT3_lPKT2_lT1_lS5_lS6_lS2_lPT4_lS6_li
; %bb.0:
	s_load_b32 s33, s[0:1], 0x88
	s_bfe_u32 s2, ttmp6, 0x40014
	s_lshr_b32 s3, ttmp7, 16
	s_add_co_i32 s2, s2, 1
	s_bfe_u32 s5, ttmp6, 0x40008
	s_mul_i32 s4, s3, s2
	s_getreg_b32 s2, hwreg(HW_REG_IB_STS2, 6, 4)
	s_add_co_i32 s5, s5, s4
	s_cmp_eq_u32 s2, 0
	s_mov_b32 s35, 0
	s_cselect_b32 s34, s3, s5
	s_wait_kmcnt 0x0
	s_cmp_ge_u32 s34, s33
	s_cbranch_scc1 .LBB402_34
; %bb.1:
	s_clause 0x7
	s_load_b96 s[4:6], s[0:1], 0x40
	s_load_b96 s[28:30], s[0:1], 0x70
	s_load_b256 s[8:15], s[0:1], 0x8
	s_load_b32 s7, s[0:1], 0x0
	s_load_b32 s3, s[0:1], 0x28
	s_load_b128 s[24:27], s[0:1], 0x30
	s_load_b256 s[16:23], s[0:1], 0x50
	s_load_b64 s[36:37], s[0:1], 0x80
	s_wait_xcnt 0x0
	s_bfe_u32 s1, ttmp6, 0x4000c
	s_and_b32 s31, ttmp6, 15
	s_add_co_i32 s1, s1, 1
	v_dual_mov_b32 v3, 0 :: v_dual_bitop2_b32 v2, 31, v0 bitop3:0x40
	s_mul_i32 s1, ttmp9, s1
	v_lshrrev_b32_e32 v8, 3, v0
	s_add_co_i32 s31, s31, s1
	v_mbcnt_lo_u32_b32 v13, -1, 0
	v_lshlrev_b32_e32 v1, 2, v2
	v_cmp_eq_u32_e64 s0, 0, v0
	v_and_b32_e32 v14, 28, v8
	s_wait_kmcnt 0x0
	s_lshl_b64 s[4:5], s[4:5], 1
	s_lshl_b64 s[28:29], s[28:29], 1
	;; [unrolled: 1-line block ×3, first 2 shown]
	s_cmp_eq_u32 s2, 0
	v_cmp_gt_i32_e32 vcc_lo, s7, v0
	s_cselect_b32 s15, ttmp9, s31
	s_ashr_i32 s2, s7, 31
	s_add_nc_u64 s[26:27], s[26:27], s[4:5]
	s_lshr_b32 s2, s2, 24
	s_add_nc_u64 s[4:5], s[12:13], s[38:39]
	s_add_co_i32 s2, s7, s2
	s_add_nc_u64 s[22:23], s[22:23], s[28:29]
	s_and_b32 s14, s2, 0xffffff00
	s_delay_alu instid0(SALU_CYCLE_1)
	v_dual_cndmask_b32 v4, 0, v0, vcc_lo :: v_dual_bitop2_b32 v5, s14, v0 bitop3:0x54
	v_cmp_eq_u32_e64 s2, 0, v2
	s_mul_i32 s28, s30, s15
	s_mul_i32 s30, s3, s15
	v_lshlrev_b32_e32 v2, 1, v4
	v_mul_lo_u32 v4, s6, v5
	s_ashr_i32 s31, s30, 31
	v_mul_lo_u32 v12, v0, s6
	s_lshl_b64 s[30:31], s[30:31], 1
	v_add_nc_u64_e32 v[6:7], s[4:5], v[2:3]
	v_cmp_gt_i32_e64 s4, s7, v5
	v_cmp_gt_u32_e64 s1, 32, v0
	v_cmp_gt_i32_e64 s3, s14, v0
	v_cmp_gt_u32_e64 s5, 8, v0
	s_ashr_i32 s29, s28, 31
	s_ashr_i32 s15, s14, 31
	v_add_nc_u64_e32 v[6:7], s[30:31], v[6:7]
	s_add_nc_u64 s[30:31], s[38:39], s[30:31]
	v_ashrrev_i32_e32 v5, 31, v4
	s_add_nc_u64 s[12:13], s[12:13], s[30:31]
	s_lshl_b32 s38, s6, 8
	v_add_nc_u64_e32 v[8:9], s[12:13], v[2:3]
	v_lshl_or_b32 v2, v13, 2, 64
	s_lshl_b64 s[12:13], s[24:25], 1
	s_lshl_b64 s[28:29], s[28:29], 1
	s_branch .LBB402_4
.LBB402_2:                              ;   in Loop: Header=BB402_4 Depth=1
	s_wait_xcnt 0x0
	s_or_b32 exec_lo, exec_lo, s30
.LBB402_3:                              ;   in Loop: Header=BB402_4 Depth=1
	s_add_co_i32 s34, s34, 0x10000
	s_delay_alu instid0(SALU_CYCLE_1)
	s_cmp_lt_u32 s34, s33
	s_cbranch_scc0 .LBB402_34
.LBB402_4:                              ; =>This Loop Header: Depth=1
                                        ;     Child Loop BB402_23 Depth 2
	s_mul_u64 s[6:7], s[10:11], s[34:35]
	s_wait_xcnt 0x0
	s_mul_u64 s[30:31], s[20:21], s[34:35]
	s_lshl_b64 s[6:7], s[6:7], 2
	s_lshl_b64 s[30:31], s[30:31], 2
	s_add_nc_u64 s[6:7], s[8:9], s[6:7]
	s_add_nc_u64 s[30:31], s[18:19], s[30:31]
	s_clause 0x1
	global_load_b32 v15, v3, s[6:7]
	global_load_b32 v10, v3, s[30:31]
	s_wait_loadcnt 0x1
	v_cmp_eq_f32_e32 vcc_lo, 0, v15
	s_wait_loadcnt 0x0
	s_wait_xcnt 0x1
	v_cmp_eq_f32_e64 s6, 1.0, v10
	v_readfirstlane_b32 s39, v10
	s_and_b32 s6, vcc_lo, s6
	s_delay_alu instid0(SALU_CYCLE_1)
	s_and_b32 vcc_lo, exec_lo, s6
	s_cbranch_vccnz .LBB402_3
; %bb.5:                                ;   in Loop: Header=BB402_4 Depth=1
	v_cmp_neq_f32_e32 vcc_lo, 0, v15
	s_mul_u64 s[6:7], s[36:37], s[34:35]
	s_delay_alu instid0(SALU_CYCLE_1) | instskip(NEXT) | instid1(SALU_CYCLE_1)
	s_lshl_b64 s[6:7], s[6:7], 1
	s_add_nc_u64 s[6:7], s[22:23], s[6:7]
	s_cbranch_vccnz .LBB402_9
; %bb.6:                                ;   in Loop: Header=BB402_4 Depth=1
	s_wait_xcnt 0x0
	s_mov_b32 s30, 0
	s_mov_b32 s40, 0
                                        ; implicit-def: $vgpr10
	s_and_saveexec_b32 s31, s0
	s_cbranch_execz .LBB402_10
; %bb.7:                                ;   in Loop: Header=BB402_4 Depth=1
	s_cmp_eq_f32 s39, 0
	s_cbranch_scc1 .LBB402_11
; %bb.8:                                ;   in Loop: Header=BB402_4 Depth=1
	s_add_nc_u64 s[40:41], s[6:7], s[28:29]
	global_load_u16 v10, v3, s[40:41]
	s_wait_loadcnt 0x0
	v_fma_mixlo_f16 v10, s39, v10, 0 op_sel_hi:[0,1,0]
	s_branch .LBB402_12
.LBB402_9:                              ;   in Loop: Header=BB402_4 Depth=1
	s_wait_xcnt 0x0
	s_mov_b32 s40, 0
                                        ; implicit-def: $vgpr10
	s_cbranch_execnz .LBB402_13
	s_branch .LBB402_32
.LBB402_10:                             ;   in Loop: Header=BB402_4 Depth=1
	s_or_b32 exec_lo, exec_lo, s31
	s_delay_alu instid0(SALU_CYCLE_1)
	s_and_b32 vcc_lo, exec_lo, s30
	s_cbranch_vccnz .LBB402_13
	s_branch .LBB402_32
.LBB402_11:                             ;   in Loop: Header=BB402_4 Depth=1
	v_mov_b32_e32 v10, 0
.LBB402_12:                             ;   in Loop: Header=BB402_4 Depth=1
	s_wait_xcnt 0x0
	s_mov_b32 s40, exec_lo
	s_or_b32 exec_lo, exec_lo, s31
	s_delay_alu instid0(SALU_CYCLE_1)
	s_and_b32 vcc_lo, exec_lo, s30
	s_cbranch_vccz .LBB402_32
.LBB402_13:                             ;   in Loop: Header=BB402_4 Depth=1
	s_mul_u64 s[30:31], s[16:17], s[34:35]
	v_mov_b32_e32 v16, 0
	s_lshl_b64 s[30:31], s[30:31], 1
	s_delay_alu instid0(SALU_CYCLE_1)
	s_add_nc_u64 s[30:31], s[26:27], s[30:31]
	s_and_saveexec_b32 s41, s3
	s_cbranch_execnz .LBB402_22
; %bb.14:                               ;   in Loop: Header=BB402_4 Depth=1
	s_or_b32 exec_lo, exec_lo, s41
	s_and_saveexec_b32 s41, s4
	s_cbranch_execnz .LBB402_25
.LBB402_15:                             ;   in Loop: Header=BB402_4 Depth=1
	s_or_b32 exec_lo, exec_lo, s41
	s_and_saveexec_b32 s30, s1
.LBB402_16:                             ;   in Loop: Header=BB402_4 Depth=1
	ds_store_b32 v1, v3
.LBB402_17:                             ;   in Loop: Header=BB402_4 Depth=1
	s_or_b32 exec_lo, exec_lo, s30
	ds_bpermute_b32 v10, v2, v16
	v_cmp_gt_u32_e32 vcc_lo, 24, v13
	s_wait_dscnt 0x0
	s_barrier_signal -1
	s_barrier_wait -1
	v_cndmask_b32_e64 v11, 0, 8, vcc_lo
	v_cmp_gt_u32_e32 vcc_lo, 28, v13
	s_delay_alu instid0(VALU_DEP_2)
	v_add_lshl_u32 v11, v11, v13, 2
	v_add_f32_e32 v16, v16, v10
	v_cndmask_b32_e64 v10, 0, 4, vcc_lo
	v_cmp_gt_u32_e32 vcc_lo, 30, v13
	ds_bpermute_b32 v11, v11, v16
	v_add_lshl_u32 v10, v10, v13, 2
	s_wait_dscnt 0x0
	v_add_f32_e32 v16, v16, v11
	v_cndmask_b32_e64 v11, 0, 2, vcc_lo
	v_cmp_ne_u32_e32 vcc_lo, 31, v13
	ds_bpermute_b32 v17, v10, v16
	v_add_lshl_u32 v11, v11, v13, 2
	v_add_co_ci_u32_e64 v18, null, 0, v13, vcc_lo
	s_wait_dscnt 0x0
	v_add_f32_e32 v16, v16, v17
	ds_bpermute_b32 v17, v11, v16
	s_wait_dscnt 0x0
	v_dual_add_f32 v17, v16, v17 :: v_dual_lshlrev_b32 v16, 2, v18
	ds_bpermute_b32 v18, v16, v17
	s_and_saveexec_b32 s30, s2
	s_cbranch_execz .LBB402_19
; %bb.18:                               ;   in Loop: Header=BB402_4 Depth=1
	s_wait_dscnt 0x0
	v_add_f32_e32 v17, v17, v18
	ds_store_b32 v14, v17
.LBB402_19:                             ;   in Loop: Header=BB402_4 Depth=1
	s_or_b32 exec_lo, exec_lo, s30
	v_mov_b32_e32 v17, 0
	s_wait_dscnt 0x0
	s_barrier_signal -1
	s_barrier_wait -1
	s_and_saveexec_b32 s30, s5
	s_cbranch_execnz .LBB402_26
; %bb.20:                               ;   in Loop: Header=BB402_4 Depth=1
	s_or_b32 exec_lo, exec_lo, s30
	s_and_saveexec_b32 s30, s1
	s_cbranch_execnz .LBB402_27
.LBB402_21:                             ;   in Loop: Header=BB402_4 Depth=1
	s_or_b32 exec_lo, exec_lo, s30
                                        ; implicit-def: $vgpr10
	s_and_saveexec_b32 s30, s0
	s_cbranch_execnz .LBB402_28
	s_branch .LBB402_31
.LBB402_22:                             ;   in Loop: Header=BB402_4 Depth=1
	v_mad_nc_u64_u32 v[10:11], s12, s34, v[8:9]
	s_wait_dscnt 0x0
	v_dual_mov_b32 v16, 0 :: v_dual_mov_b32 v17, v12
	v_mov_b32_e32 v18, v0
	s_mov_b32 s42, 0
	s_delay_alu instid0(VALU_DEP_3)
	v_mad_u32 v11, s13, s34, v11
.LBB402_23:                             ;   Parent Loop BB402_4 Depth=1
                                        ; =>  This Inner Loop Header: Depth=2
	global_load_u16 v19, v[10:11], off
	global_load_u16 v20, v17, s[30:31] scale_offset
	v_add_nc_u32_e32 v18, 0x100, v18
	s_wait_xcnt 0x1
	v_add_nc_u64_e32 v[10:11], 0x200, v[10:11]
	s_delay_alu instid0(VALU_DEP_2) | instskip(SKIP_3) | instid1(VALU_DEP_1)
	v_cmp_le_i32_e32 vcc_lo, s14, v18
	s_or_b32 s42, vcc_lo, s42
	s_wait_loadcnt 0x0
	v_mul_f16_e32 v19, v19, v20
	v_cvt_f32_f16_e32 v19, v19
	s_wait_xcnt 0x0
	s_delay_alu instid0(VALU_DEP_1)
	v_dual_add_f32 v16, v16, v19 :: v_dual_add_nc_u32 v17, s38, v17
	s_and_not1_b32 exec_lo, exec_lo, s42
	s_cbranch_execnz .LBB402_23
; %bb.24:                               ;   in Loop: Header=BB402_4 Depth=1
	s_or_b32 exec_lo, exec_lo, s42
	s_delay_alu instid0(SALU_CYCLE_1)
	s_or_b32 exec_lo, exec_lo, s41
	s_and_saveexec_b32 s41, s4
	s_cbranch_execz .LBB402_15
.LBB402_25:                             ;   in Loop: Header=BB402_4 Depth=1
	s_mul_u64 s[42:43], s[24:25], s[34:35]
	v_lshl_add_u64 v[18:19], v[4:5], 1, s[30:31]
	v_lshl_add_u64 v[10:11], s[42:43], 1, v[6:7]
	s_delay_alu instid0(VALU_DEP_1)
	v_lshl_add_u64 v[10:11], s[14:15], 1, v[10:11]
	s_wait_dscnt 0x0
	global_load_u16 v17, v[10:11], off
	global_load_u16 v20, v[18:19], off
	s_wait_loadcnt 0x0
	s_wait_xcnt 0x1
	v_mul_f16_e32 v10, v17, v20
	s_delay_alu instid0(VALU_DEP_1) | instskip(NEXT) | instid1(VALU_DEP_1)
	v_cvt_f32_f16_e32 v10, v10
	v_add_f32_e32 v16, v16, v10
	s_wait_xcnt 0x0
	s_or_b32 exec_lo, exec_lo, s41
	s_and_saveexec_b32 s30, s1
	s_cbranch_execnz .LBB402_16
	s_branch .LBB402_17
.LBB402_26:                             ;   in Loop: Header=BB402_4 Depth=1
	ds_load_b32 v17, v1
	s_or_b32 exec_lo, exec_lo, s30
	s_and_saveexec_b32 s30, s1
	s_cbranch_execz .LBB402_21
.LBB402_27:                             ;   in Loop: Header=BB402_4 Depth=1
	s_wait_dscnt 0x0
	ds_bpermute_b32 v10, v10, v17
	s_wait_dscnt 0x0
	v_add_f32_e32 v10, v17, v10
	ds_bpermute_b32 v11, v11, v10
	s_wait_dscnt 0x0
	v_add_f32_e32 v10, v10, v11
	;; [unrolled: 3-line block ×3, first 2 shown]
	s_or_b32 exec_lo, exec_lo, s30
                                        ; implicit-def: $vgpr10
	s_and_saveexec_b32 s30, s0
	s_cbranch_execz .LBB402_31
.LBB402_28:                             ;   in Loop: Header=BB402_4 Depth=1
	s_wait_dscnt 0x0
	v_mul_f32_e32 v10, v15, v17
	s_cmp_eq_f32 s39, 0
	s_cbranch_scc1 .LBB402_30
; %bb.29:                               ;   in Loop: Header=BB402_4 Depth=1
	s_add_nc_u64 s[42:43], s[6:7], s[28:29]
	global_load_u16 v11, v3, s[42:43]
	s_wait_loadcnt 0x0
	v_fma_mix_f32 v10, s39, v11, v10 op_sel_hi:[0,1,0]
.LBB402_30:                             ;   in Loop: Header=BB402_4 Depth=1
	s_delay_alu instid0(VALU_DEP_1)
	v_cvt_f16_f32_e32 v10, v10
	s_or_b32 s40, s40, exec_lo
.LBB402_31:                             ;   in Loop: Header=BB402_4 Depth=1
	s_wait_xcnt 0x0
	s_or_b32 exec_lo, exec_lo, s30
.LBB402_32:                             ;   in Loop: Header=BB402_4 Depth=1
	s_and_saveexec_b32 s30, s40
	s_cbranch_execz .LBB402_2
; %bb.33:                               ;   in Loop: Header=BB402_4 Depth=1
	s_add_nc_u64 s[6:7], s[6:7], s[28:29]
	global_store_b16 v3, v10, s[6:7]
	s_branch .LBB402_2
.LBB402_34:
	s_endpgm
	.section	.rodata,"a",@progbits
	.p2align	6, 0x0
	.amdhsa_kernel _ZL32rocblas_gemvt_warp_reduce_kernelILb0ELi256EiDF16_PKfDF16_EviiT3_lPKT2_lT1_lS5_lS6_lS2_lPT4_lS6_li
		.amdhsa_group_segment_fixed_size 128
		.amdhsa_private_segment_fixed_size 0
		.amdhsa_kernarg_size 140
		.amdhsa_user_sgpr_count 2
		.amdhsa_user_sgpr_dispatch_ptr 0
		.amdhsa_user_sgpr_queue_ptr 0
		.amdhsa_user_sgpr_kernarg_segment_ptr 1
		.amdhsa_user_sgpr_dispatch_id 0
		.amdhsa_user_sgpr_kernarg_preload_length 0
		.amdhsa_user_sgpr_kernarg_preload_offset 0
		.amdhsa_user_sgpr_private_segment_size 0
		.amdhsa_wavefront_size32 1
		.amdhsa_uses_dynamic_stack 0
		.amdhsa_enable_private_segment 0
		.amdhsa_system_sgpr_workgroup_id_x 1
		.amdhsa_system_sgpr_workgroup_id_y 0
		.amdhsa_system_sgpr_workgroup_id_z 1
		.amdhsa_system_sgpr_workgroup_info 0
		.amdhsa_system_vgpr_workitem_id 0
		.amdhsa_next_free_vgpr 21
		.amdhsa_next_free_sgpr 44
		.amdhsa_named_barrier_count 0
		.amdhsa_reserve_vcc 1
		.amdhsa_float_round_mode_32 0
		.amdhsa_float_round_mode_16_64 0
		.amdhsa_float_denorm_mode_32 3
		.amdhsa_float_denorm_mode_16_64 3
		.amdhsa_fp16_overflow 0
		.amdhsa_memory_ordered 1
		.amdhsa_forward_progress 1
		.amdhsa_inst_pref_size 12
		.amdhsa_round_robin_scheduling 0
		.amdhsa_exception_fp_ieee_invalid_op 0
		.amdhsa_exception_fp_denorm_src 0
		.amdhsa_exception_fp_ieee_div_zero 0
		.amdhsa_exception_fp_ieee_overflow 0
		.amdhsa_exception_fp_ieee_underflow 0
		.amdhsa_exception_fp_ieee_inexact 0
		.amdhsa_exception_int_div_zero 0
	.end_amdhsa_kernel
	.section	.text._ZL32rocblas_gemvt_warp_reduce_kernelILb0ELi256EiDF16_PKfDF16_EviiT3_lPKT2_lT1_lS5_lS6_lS2_lPT4_lS6_li,"axG",@progbits,_ZL32rocblas_gemvt_warp_reduce_kernelILb0ELi256EiDF16_PKfDF16_EviiT3_lPKT2_lT1_lS5_lS6_lS2_lPT4_lS6_li,comdat
.Lfunc_end402:
	.size	_ZL32rocblas_gemvt_warp_reduce_kernelILb0ELi256EiDF16_PKfDF16_EviiT3_lPKT2_lT1_lS5_lS6_lS2_lPT4_lS6_li, .Lfunc_end402-_ZL32rocblas_gemvt_warp_reduce_kernelILb0ELi256EiDF16_PKfDF16_EviiT3_lPKT2_lT1_lS5_lS6_lS2_lPT4_lS6_li
                                        ; -- End function
	.set _ZL32rocblas_gemvt_warp_reduce_kernelILb0ELi256EiDF16_PKfDF16_EviiT3_lPKT2_lT1_lS5_lS6_lS2_lPT4_lS6_li.num_vgpr, 21
	.set _ZL32rocblas_gemvt_warp_reduce_kernelILb0ELi256EiDF16_PKfDF16_EviiT3_lPKT2_lT1_lS5_lS6_lS2_lPT4_lS6_li.num_agpr, 0
	.set _ZL32rocblas_gemvt_warp_reduce_kernelILb0ELi256EiDF16_PKfDF16_EviiT3_lPKT2_lT1_lS5_lS6_lS2_lPT4_lS6_li.numbered_sgpr, 44
	.set _ZL32rocblas_gemvt_warp_reduce_kernelILb0ELi256EiDF16_PKfDF16_EviiT3_lPKT2_lT1_lS5_lS6_lS2_lPT4_lS6_li.num_named_barrier, 0
	.set _ZL32rocblas_gemvt_warp_reduce_kernelILb0ELi256EiDF16_PKfDF16_EviiT3_lPKT2_lT1_lS5_lS6_lS2_lPT4_lS6_li.private_seg_size, 0
	.set _ZL32rocblas_gemvt_warp_reduce_kernelILb0ELi256EiDF16_PKfDF16_EviiT3_lPKT2_lT1_lS5_lS6_lS2_lPT4_lS6_li.uses_vcc, 1
	.set _ZL32rocblas_gemvt_warp_reduce_kernelILb0ELi256EiDF16_PKfDF16_EviiT3_lPKT2_lT1_lS5_lS6_lS2_lPT4_lS6_li.uses_flat_scratch, 0
	.set _ZL32rocblas_gemvt_warp_reduce_kernelILb0ELi256EiDF16_PKfDF16_EviiT3_lPKT2_lT1_lS5_lS6_lS2_lPT4_lS6_li.has_dyn_sized_stack, 0
	.set _ZL32rocblas_gemvt_warp_reduce_kernelILb0ELi256EiDF16_PKfDF16_EviiT3_lPKT2_lT1_lS5_lS6_lS2_lPT4_lS6_li.has_recursion, 0
	.set _ZL32rocblas_gemvt_warp_reduce_kernelILb0ELi256EiDF16_PKfDF16_EviiT3_lPKT2_lT1_lS5_lS6_lS2_lPT4_lS6_li.has_indirect_call, 0
	.section	.AMDGPU.csdata,"",@progbits
; Kernel info:
; codeLenInByte = 1424
; TotalNumSgprs: 46
; NumVgprs: 21
; ScratchSize: 0
; MemoryBound: 0
; FloatMode: 240
; IeeeMode: 1
; LDSByteSize: 128 bytes/workgroup (compile time only)
; SGPRBlocks: 0
; VGPRBlocks: 1
; NumSGPRsForWavesPerEU: 46
; NumVGPRsForWavesPerEU: 21
; NamedBarCnt: 0
; Occupancy: 16
; WaveLimiterHint : 0
; COMPUTE_PGM_RSRC2:SCRATCH_EN: 0
; COMPUTE_PGM_RSRC2:USER_SGPR: 2
; COMPUTE_PGM_RSRC2:TRAP_HANDLER: 0
; COMPUTE_PGM_RSRC2:TGID_X_EN: 1
; COMPUTE_PGM_RSRC2:TGID_Y_EN: 0
; COMPUTE_PGM_RSRC2:TGID_Z_EN: 1
; COMPUTE_PGM_RSRC2:TIDIG_COMP_CNT: 0
	.section	.text._ZL32rocblas_gemvt_warp_reduce_kernelILb0ELi256ElDF16_PKfDF16_EviiT3_lPKT2_lT1_lS5_lS6_lS2_lPT4_lS6_li,"axG",@progbits,_ZL32rocblas_gemvt_warp_reduce_kernelILb0ELi256ElDF16_PKfDF16_EviiT3_lPKT2_lT1_lS5_lS6_lS2_lPT4_lS6_li,comdat
	.globl	_ZL32rocblas_gemvt_warp_reduce_kernelILb0ELi256ElDF16_PKfDF16_EviiT3_lPKT2_lT1_lS5_lS6_lS2_lPT4_lS6_li ; -- Begin function _ZL32rocblas_gemvt_warp_reduce_kernelILb0ELi256ElDF16_PKfDF16_EviiT3_lPKT2_lT1_lS5_lS6_lS2_lPT4_lS6_li
	.p2align	8
	.type	_ZL32rocblas_gemvt_warp_reduce_kernelILb0ELi256ElDF16_PKfDF16_EviiT3_lPKT2_lT1_lS5_lS6_lS2_lPT4_lS6_li,@function
_ZL32rocblas_gemvt_warp_reduce_kernelILb0ELi256ElDF16_PKfDF16_EviiT3_lPKT2_lT1_lS5_lS6_lS2_lPT4_lS6_li: ; @_ZL32rocblas_gemvt_warp_reduce_kernelILb0ELi256ElDF16_PKfDF16_EviiT3_lPKT2_lT1_lS5_lS6_lS2_lPT4_lS6_li
; %bb.0:
	s_load_b32 s30, s[0:1], 0x88
	s_bfe_u32 s2, ttmp6, 0x40014
	s_lshr_b32 s3, ttmp7, 16
	s_add_co_i32 s2, s2, 1
	s_bfe_u32 s5, ttmp6, 0x40008
	s_mul_i32 s4, s3, s2
	s_getreg_b32 s2, hwreg(HW_REG_IB_STS2, 6, 4)
	s_add_co_i32 s5, s5, s4
	s_cmp_eq_u32 s2, 0
	s_mov_b32 s25, 0
	s_cselect_b32 s24, s3, s5
	s_wait_kmcnt 0x0
	s_cmp_ge_u32 s24, s30
	s_cbranch_scc1 .LBB403_34
; %bb.1:
	s_clause 0x2
	s_load_b512 s[8:23], s[0:1], 0x8
	s_load_b512 s[36:51], s[0:1], 0x48
	s_load_b32 s26, s[0:1], 0x0
	s_wait_xcnt 0x0
	s_bfe_u32 s0, ttmp6, 0x4000c
	s_and_b32 s1, ttmp6, 15
	s_add_co_i32 s0, s0, 1
	v_mbcnt_lo_u32_b32 v17, -1, 0
	s_mul_i32 s0, ttmp9, s0
	s_delay_alu instid0(SALU_CYCLE_1)
	s_add_co_i32 s3, s1, s0
	s_wait_kmcnt 0x0
	s_lshl_b64 s[0:1], s[22:23], 1
	s_lshl_b64 s[4:5], s[46:47], 1
	;; [unrolled: 1-line block ×3, first 2 shown]
	s_cmp_eq_u32 s2, 0
	v_cmp_gt_i32_e32 vcc_lo, s26, v0
	s_cselect_b32 s2, ttmp9, s3
	s_ashr_i32 s3, s26, 31
	s_add_nc_u64 s[22:23], s[12:13], s[6:7]
	s_lshr_b32 s3, s3, 24
	s_add_nc_u64 s[20:21], s[20:21], s[0:1]
	s_add_co_i32 s3, s26, s3
	v_cmp_eq_u32_e64 s0, 0, v0
	s_and_b32 s14, s3, 0xffffff00
	s_delay_alu instid0(SALU_CYCLE_1) | instskip(SKIP_3) | instid1(VALU_DEP_3)
	v_dual_mov_b32 v3, 0 :: v_dual_bitop2_b32 v8, s14, v0 bitop3:0x54
	v_cndmask_b32_e32 v2, 0, v0, vcc_lo
	s_ashr_i32 s3, s2, 31
	v_cmp_gt_i32_e64 s1, s14, v0
	v_dual_mov_b32 v1, v3 :: v_dual_ashrrev_i32 v9, 31, v8
	s_delay_alu instid0(VALU_DEP_3) | instskip(SKIP_2) | instid1(VALU_DEP_2)
	v_lshlrev_b32_e32 v2, 1, v2
	s_mul_u64 s[28:29], s[48:49], s[2:3]
	s_ashr_i32 s15, s14, 31
	v_mul_u64_e32 v[10:11], s[36:37], v[0:1]
	v_mul_u64_e32 v[4:5], s[36:37], v[8:9]
	v_add_nc_u64_e32 v[6:7], s[22:23], v[2:3]
	s_add_nc_u64 s[22:23], s[44:45], s[4:5]
	s_mul_u64 s[4:5], s[16:17], s[2:3]
	v_and_b32_e32 v9, 31, v0
	s_lshl_b64 s[16:17], s[4:5], 1
	v_cmp_gt_i32_e64 s2, s26, v8
	v_lshrrev_b32_e32 v8, 3, v0
	s_add_nc_u64 s[6:7], s[16:17], s[6:7]
	v_add_nc_u64_e32 v[6:7], s[16:17], v[6:7]
	s_add_nc_u64 s[6:7], s[12:13], s[6:7]
	s_delay_alu instid0(VALU_DEP_2)
	v_dual_lshlrev_b32 v1, 2, v9 :: v_dual_bitop2_b32 v16, 28, v8 bitop3:0x40
	v_cmp_eq_u32_e64 s4, 0, v9
	v_add_nc_u64_e32 v[8:9], s[6:7], v[2:3]
	v_cmp_gt_u32_e64 s3, 32, v0
	v_cmp_gt_u32_e64 s5, 8, v0
	v_lshl_or_b32 v2, v17, 2, 64
	s_lshl_b64 s[12:13], s[18:19], 1
	s_lshl_b64 s[16:17], s[38:39], 1
	;; [unrolled: 1-line block ×4, first 2 shown]
	v_lshl_add_u64 v[10:11], v[10:11], 1, s[20:21]
	s_branch .LBB403_4
.LBB403_2:                              ;   in Loop: Header=BB403_4 Depth=1
	s_wait_xcnt 0x0
	s_or_b32 exec_lo, exec_lo, s31
.LBB403_3:                              ;   in Loop: Header=BB403_4 Depth=1
	s_add_co_i32 s24, s24, 0x10000
	s_delay_alu instid0(SALU_CYCLE_1)
	s_cmp_lt_u32 s24, s30
	s_cbranch_scc0 .LBB403_34
.LBB403_4:                              ; =>This Loop Header: Depth=1
                                        ;     Child Loop BB403_23 Depth 2
	s_mul_u64 s[6:7], s[10:11], s[24:25]
	s_wait_xcnt 0x0
	s_mul_u64 s[34:35], s[42:43], s[24:25]
	s_lshl_b64 s[6:7], s[6:7], 2
	s_lshl_b64 s[34:35], s[34:35], 2
	s_add_nc_u64 s[6:7], s[8:9], s[6:7]
	s_add_nc_u64 s[34:35], s[40:41], s[34:35]
	s_clause 0x1
	global_load_b32 v18, v3, s[6:7]
	global_load_b32 v12, v3, s[34:35]
	s_wait_loadcnt 0x1
	v_cmp_eq_f32_e32 vcc_lo, 0, v18
	s_wait_loadcnt 0x0
	s_wait_xcnt 0x1
	v_cmp_eq_f32_e64 s6, 1.0, v12
	v_readfirstlane_b32 s31, v12
	s_and_b32 s6, vcc_lo, s6
	s_delay_alu instid0(SALU_CYCLE_1)
	s_and_b32 vcc_lo, exec_lo, s6
	s_cbranch_vccnz .LBB403_3
; %bb.5:                                ;   in Loop: Header=BB403_4 Depth=1
	v_cmp_neq_f32_e32 vcc_lo, 0, v18
	s_mul_u64 s[6:7], s[50:51], s[24:25]
	s_delay_alu instid0(SALU_CYCLE_1) | instskip(NEXT) | instid1(SALU_CYCLE_1)
	s_lshl_b64 s[6:7], s[6:7], 1
	s_add_nc_u64 s[6:7], s[22:23], s[6:7]
	s_cbranch_vccnz .LBB403_9
; %bb.6:                                ;   in Loop: Header=BB403_4 Depth=1
	s_wait_xcnt 0x0
	s_mov_b32 s34, 0
	s_mov_b32 s33, 0
                                        ; implicit-def: $vgpr12
	s_and_saveexec_b32 s35, s0
	s_cbranch_execz .LBB403_10
; %bb.7:                                ;   in Loop: Header=BB403_4 Depth=1
	s_cmp_eq_f32 s31, 0
	s_cbranch_scc1 .LBB403_11
; %bb.8:                                ;   in Loop: Header=BB403_4 Depth=1
	s_add_nc_u64 s[36:37], s[6:7], s[28:29]
	global_load_u16 v12, v3, s[36:37]
	s_wait_loadcnt 0x0
	v_fma_mixlo_f16 v12, s31, v12, 0 op_sel_hi:[0,1,0]
	s_branch .LBB403_12
.LBB403_9:                              ;   in Loop: Header=BB403_4 Depth=1
	s_wait_xcnt 0x0
	s_mov_b32 s33, 0
                                        ; implicit-def: $vgpr12
	s_cbranch_execnz .LBB403_13
	s_branch .LBB403_32
.LBB403_10:                             ;   in Loop: Header=BB403_4 Depth=1
	s_or_b32 exec_lo, exec_lo, s35
	s_delay_alu instid0(SALU_CYCLE_1)
	s_and_b32 vcc_lo, exec_lo, s34
	s_cbranch_vccnz .LBB403_13
	s_branch .LBB403_32
.LBB403_11:                             ;   in Loop: Header=BB403_4 Depth=1
	v_mov_b32_e32 v12, 0
.LBB403_12:                             ;   in Loop: Header=BB403_4 Depth=1
	s_mov_b32 s33, exec_lo
	s_wait_xcnt 0x0
	s_or_b32 exec_lo, exec_lo, s35
	s_delay_alu instid0(SALU_CYCLE_1)
	s_and_b32 vcc_lo, exec_lo, s34
	s_cbranch_vccz .LBB403_32
.LBB403_13:                             ;   in Loop: Header=BB403_4 Depth=1
	v_mov_b32_e32 v19, 0
	s_and_saveexec_b32 s34, s1
	s_cbranch_execnz .LBB403_22
; %bb.14:                               ;   in Loop: Header=BB403_4 Depth=1
	s_or_b32 exec_lo, exec_lo, s34
	s_and_saveexec_b32 s34, s2
	s_cbranch_execnz .LBB403_25
.LBB403_15:                             ;   in Loop: Header=BB403_4 Depth=1
	s_or_b32 exec_lo, exec_lo, s34
	s_and_saveexec_b32 s34, s3
.LBB403_16:                             ;   in Loop: Header=BB403_4 Depth=1
	ds_store_b32 v1, v3
.LBB403_17:                             ;   in Loop: Header=BB403_4 Depth=1
	s_or_b32 exec_lo, exec_lo, s34
	ds_bpermute_b32 v12, v2, v19
	v_cmp_gt_u32_e32 vcc_lo, 24, v17
	s_wait_dscnt 0x0
	s_barrier_signal -1
	s_barrier_wait -1
	v_cndmask_b32_e64 v13, 0, 8, vcc_lo
	v_cmp_gt_u32_e32 vcc_lo, 28, v17
	s_delay_alu instid0(VALU_DEP_2)
	v_add_lshl_u32 v13, v13, v17, 2
	v_add_f32_e32 v14, v19, v12
	v_cndmask_b32_e64 v12, 0, 4, vcc_lo
	v_cmp_gt_u32_e32 vcc_lo, 30, v17
	ds_bpermute_b32 v13, v13, v14
	v_add_lshl_u32 v12, v12, v17, 2
	s_wait_dscnt 0x0
	v_add_f32_e32 v14, v14, v13
	v_cndmask_b32_e64 v13, 0, 2, vcc_lo
	v_cmp_ne_u32_e32 vcc_lo, 31, v17
	ds_bpermute_b32 v15, v12, v14
	v_add_lshl_u32 v13, v13, v17, 2
	v_add_co_ci_u32_e64 v19, null, 0, v17, vcc_lo
	s_wait_dscnt 0x0
	v_add_f32_e32 v14, v14, v15
	ds_bpermute_b32 v15, v13, v14
	s_wait_dscnt 0x0
	v_add_f32_e32 v15, v14, v15
	v_lshlrev_b32_e32 v14, 2, v19
	ds_bpermute_b32 v19, v14, v15
	s_and_saveexec_b32 s34, s4
	s_cbranch_execz .LBB403_19
; %bb.18:                               ;   in Loop: Header=BB403_4 Depth=1
	s_wait_dscnt 0x0
	v_add_f32_e32 v15, v15, v19
	ds_store_b32 v16, v15
.LBB403_19:                             ;   in Loop: Header=BB403_4 Depth=1
	s_or_b32 exec_lo, exec_lo, s34
	v_mov_b32_e32 v15, 0
	s_wait_dscnt 0x0
	s_barrier_signal -1
	s_barrier_wait -1
	s_and_saveexec_b32 s34, s5
	s_cbranch_execnz .LBB403_26
; %bb.20:                               ;   in Loop: Header=BB403_4 Depth=1
	s_or_b32 exec_lo, exec_lo, s34
	s_and_saveexec_b32 s34, s3
	s_cbranch_execnz .LBB403_27
.LBB403_21:                             ;   in Loop: Header=BB403_4 Depth=1
	s_or_b32 exec_lo, exec_lo, s34
                                        ; implicit-def: $vgpr12
	s_and_saveexec_b32 s34, s0
	s_cbranch_execnz .LBB403_28
	s_branch .LBB403_31
.LBB403_22:                             ;   in Loop: Header=BB403_4 Depth=1
	v_mad_nc_u64_u32 v[12:13], s12, s24, v[8:9]
	s_wait_dscnt 0x0
	v_mad_nc_u64_u32 v[14:15], s16, s24, v[10:11]
	v_dual_mov_b32 v19, 0 :: v_dual_mov_b32 v20, v0
	s_mov_b32 s35, 0
	s_delay_alu instid0(VALU_DEP_3) | instskip(NEXT) | instid1(VALU_DEP_3)
	v_mad_u32 v13, s13, s24, v13
	v_mad_u32 v15, s17, s24, v15
.LBB403_23:                             ;   Parent Loop BB403_4 Depth=1
                                        ; =>  This Inner Loop Header: Depth=2
	global_load_u16 v21, v[12:13], off
	global_load_u16 v22, v[14:15], off
	s_wait_xcnt 0x1
	v_add_nc_u64_e32 v[12:13], 0x200, v[12:13]
	s_wait_xcnt 0x0
	v_add_nc_u64_e32 v[14:15], s[26:27], v[14:15]
	s_wait_loadcnt 0x0
	v_mul_f16_e32 v21, v21, v22
	s_delay_alu instid0(VALU_DEP_1) | instskip(NEXT) | instid1(VALU_DEP_1)
	v_cvt_f32_f16_e32 v21, v21
	v_dual_add_f32 v19, v19, v21 :: v_dual_add_nc_u32 v20, 0x100, v20
	s_delay_alu instid0(VALU_DEP_1) | instskip(SKIP_1) | instid1(SALU_CYCLE_1)
	v_cmp_le_i32_e32 vcc_lo, s14, v20
	s_or_b32 s35, vcc_lo, s35
	s_and_not1_b32 exec_lo, exec_lo, s35
	s_cbranch_execnz .LBB403_23
; %bb.24:                               ;   in Loop: Header=BB403_4 Depth=1
	s_or_b32 exec_lo, exec_lo, s35
	s_delay_alu instid0(SALU_CYCLE_1)
	s_or_b32 exec_lo, exec_lo, s34
	s_and_saveexec_b32 s34, s2
	s_cbranch_execz .LBB403_15
.LBB403_25:                             ;   in Loop: Header=BB403_4 Depth=1
	s_mul_u64 s[36:37], s[18:19], s[24:25]
	s_mul_u64 s[44:45], s[38:39], s[24:25]
	v_lshl_add_u64 v[12:13], s[36:37], 1, v[6:7]
	s_lshl_b64 s[36:37], s[44:45], 1
	s_delay_alu instid0(SALU_CYCLE_1)
	s_add_nc_u64 s[36:37], s[20:21], s[36:37]
	s_wait_dscnt 0x0
	v_lshl_add_u64 v[14:15], v[4:5], 1, s[36:37]
	v_lshl_add_u64 v[12:13], s[14:15], 1, v[12:13]
	global_load_u16 v20, v[12:13], off
	global_load_u16 v21, v[14:15], off
	s_wait_loadcnt 0x0
	s_wait_xcnt 0x1
	v_mul_f16_e32 v12, v20, v21
	s_delay_alu instid0(VALU_DEP_1) | instskip(NEXT) | instid1(VALU_DEP_1)
	v_cvt_f32_f16_e32 v12, v12
	v_add_f32_e32 v19, v19, v12
	s_wait_xcnt 0x0
	s_or_b32 exec_lo, exec_lo, s34
	s_and_saveexec_b32 s34, s3
	s_cbranch_execnz .LBB403_16
	s_branch .LBB403_17
.LBB403_26:                             ;   in Loop: Header=BB403_4 Depth=1
	ds_load_b32 v15, v1
	s_or_b32 exec_lo, exec_lo, s34
	s_and_saveexec_b32 s34, s3
	s_cbranch_execz .LBB403_21
.LBB403_27:                             ;   in Loop: Header=BB403_4 Depth=1
	s_wait_dscnt 0x0
	ds_bpermute_b32 v12, v12, v15
	s_wait_dscnt 0x0
	v_add_f32_e32 v12, v15, v12
	ds_bpermute_b32 v13, v13, v12
	s_wait_dscnt 0x0
	v_add_f32_e32 v12, v12, v13
	;; [unrolled: 3-line block ×3, first 2 shown]
	s_or_b32 exec_lo, exec_lo, s34
                                        ; implicit-def: $vgpr12
	s_and_saveexec_b32 s34, s0
	s_cbranch_execz .LBB403_31
.LBB403_28:                             ;   in Loop: Header=BB403_4 Depth=1
	s_wait_dscnt 0x0
	v_mul_f32_e32 v12, v18, v15
	s_cmp_eq_f32 s31, 0
	s_cbranch_scc1 .LBB403_30
; %bb.29:                               ;   in Loop: Header=BB403_4 Depth=1
	s_add_nc_u64 s[36:37], s[6:7], s[28:29]
	global_load_u16 v13, v3, s[36:37]
	s_wait_loadcnt 0x0
	v_fma_mix_f32 v12, s31, v13, v12 op_sel_hi:[0,1,0]
.LBB403_30:                             ;   in Loop: Header=BB403_4 Depth=1
	s_delay_alu instid0(VALU_DEP_1)
	v_cvt_f16_f32_e32 v12, v12
	s_or_b32 s33, s33, exec_lo
.LBB403_31:                             ;   in Loop: Header=BB403_4 Depth=1
	s_wait_xcnt 0x0
	s_or_b32 exec_lo, exec_lo, s34
.LBB403_32:                             ;   in Loop: Header=BB403_4 Depth=1
	s_and_saveexec_b32 s31, s33
	s_cbranch_execz .LBB403_2
; %bb.33:                               ;   in Loop: Header=BB403_4 Depth=1
	s_add_nc_u64 s[6:7], s[6:7], s[28:29]
	global_store_b16 v3, v12, s[6:7]
	s_branch .LBB403_2
.LBB403_34:
	s_endpgm
	.section	.rodata,"a",@progbits
	.p2align	6, 0x0
	.amdhsa_kernel _ZL32rocblas_gemvt_warp_reduce_kernelILb0ELi256ElDF16_PKfDF16_EviiT3_lPKT2_lT1_lS5_lS6_lS2_lPT4_lS6_li
		.amdhsa_group_segment_fixed_size 128
		.amdhsa_private_segment_fixed_size 0
		.amdhsa_kernarg_size 140
		.amdhsa_user_sgpr_count 2
		.amdhsa_user_sgpr_dispatch_ptr 0
		.amdhsa_user_sgpr_queue_ptr 0
		.amdhsa_user_sgpr_kernarg_segment_ptr 1
		.amdhsa_user_sgpr_dispatch_id 0
		.amdhsa_user_sgpr_kernarg_preload_length 0
		.amdhsa_user_sgpr_kernarg_preload_offset 0
		.amdhsa_user_sgpr_private_segment_size 0
		.amdhsa_wavefront_size32 1
		.amdhsa_uses_dynamic_stack 0
		.amdhsa_enable_private_segment 0
		.amdhsa_system_sgpr_workgroup_id_x 1
		.amdhsa_system_sgpr_workgroup_id_y 0
		.amdhsa_system_sgpr_workgroup_id_z 1
		.amdhsa_system_sgpr_workgroup_info 0
		.amdhsa_system_vgpr_workitem_id 0
		.amdhsa_next_free_vgpr 23
		.amdhsa_next_free_sgpr 52
		.amdhsa_named_barrier_count 0
		.amdhsa_reserve_vcc 1
		.amdhsa_float_round_mode_32 0
		.amdhsa_float_round_mode_16_64 0
		.amdhsa_float_denorm_mode_32 3
		.amdhsa_float_denorm_mode_16_64 3
		.amdhsa_fp16_overflow 0
		.amdhsa_memory_ordered 1
		.amdhsa_forward_progress 1
		.amdhsa_inst_pref_size 12
		.amdhsa_round_robin_scheduling 0
		.amdhsa_exception_fp_ieee_invalid_op 0
		.amdhsa_exception_fp_denorm_src 0
		.amdhsa_exception_fp_ieee_div_zero 0
		.amdhsa_exception_fp_ieee_overflow 0
		.amdhsa_exception_fp_ieee_underflow 0
		.amdhsa_exception_fp_ieee_inexact 0
		.amdhsa_exception_int_div_zero 0
	.end_amdhsa_kernel
	.section	.text._ZL32rocblas_gemvt_warp_reduce_kernelILb0ELi256ElDF16_PKfDF16_EviiT3_lPKT2_lT1_lS5_lS6_lS2_lPT4_lS6_li,"axG",@progbits,_ZL32rocblas_gemvt_warp_reduce_kernelILb0ELi256ElDF16_PKfDF16_EviiT3_lPKT2_lT1_lS5_lS6_lS2_lPT4_lS6_li,comdat
.Lfunc_end403:
	.size	_ZL32rocblas_gemvt_warp_reduce_kernelILb0ELi256ElDF16_PKfDF16_EviiT3_lPKT2_lT1_lS5_lS6_lS2_lPT4_lS6_li, .Lfunc_end403-_ZL32rocblas_gemvt_warp_reduce_kernelILb0ELi256ElDF16_PKfDF16_EviiT3_lPKT2_lT1_lS5_lS6_lS2_lPT4_lS6_li
                                        ; -- End function
	.set _ZL32rocblas_gemvt_warp_reduce_kernelILb0ELi256ElDF16_PKfDF16_EviiT3_lPKT2_lT1_lS5_lS6_lS2_lPT4_lS6_li.num_vgpr, 23
	.set _ZL32rocblas_gemvt_warp_reduce_kernelILb0ELi256ElDF16_PKfDF16_EviiT3_lPKT2_lT1_lS5_lS6_lS2_lPT4_lS6_li.num_agpr, 0
	.set _ZL32rocblas_gemvt_warp_reduce_kernelILb0ELi256ElDF16_PKfDF16_EviiT3_lPKT2_lT1_lS5_lS6_lS2_lPT4_lS6_li.numbered_sgpr, 52
	.set _ZL32rocblas_gemvt_warp_reduce_kernelILb0ELi256ElDF16_PKfDF16_EviiT3_lPKT2_lT1_lS5_lS6_lS2_lPT4_lS6_li.num_named_barrier, 0
	.set _ZL32rocblas_gemvt_warp_reduce_kernelILb0ELi256ElDF16_PKfDF16_EviiT3_lPKT2_lT1_lS5_lS6_lS2_lPT4_lS6_li.private_seg_size, 0
	.set _ZL32rocblas_gemvt_warp_reduce_kernelILb0ELi256ElDF16_PKfDF16_EviiT3_lPKT2_lT1_lS5_lS6_lS2_lPT4_lS6_li.uses_vcc, 1
	.set _ZL32rocblas_gemvt_warp_reduce_kernelILb0ELi256ElDF16_PKfDF16_EviiT3_lPKT2_lT1_lS5_lS6_lS2_lPT4_lS6_li.uses_flat_scratch, 0
	.set _ZL32rocblas_gemvt_warp_reduce_kernelILb0ELi256ElDF16_PKfDF16_EviiT3_lPKT2_lT1_lS5_lS6_lS2_lPT4_lS6_li.has_dyn_sized_stack, 0
	.set _ZL32rocblas_gemvt_warp_reduce_kernelILb0ELi256ElDF16_PKfDF16_EviiT3_lPKT2_lT1_lS5_lS6_lS2_lPT4_lS6_li.has_recursion, 0
	.set _ZL32rocblas_gemvt_warp_reduce_kernelILb0ELi256ElDF16_PKfDF16_EviiT3_lPKT2_lT1_lS5_lS6_lS2_lPT4_lS6_li.has_indirect_call, 0
	.section	.AMDGPU.csdata,"",@progbits
; Kernel info:
; codeLenInByte = 1412
; TotalNumSgprs: 54
; NumVgprs: 23
; ScratchSize: 0
; MemoryBound: 0
; FloatMode: 240
; IeeeMode: 1
; LDSByteSize: 128 bytes/workgroup (compile time only)
; SGPRBlocks: 0
; VGPRBlocks: 1
; NumSGPRsForWavesPerEU: 54
; NumVGPRsForWavesPerEU: 23
; NamedBarCnt: 0
; Occupancy: 16
; WaveLimiterHint : 0
; COMPUTE_PGM_RSRC2:SCRATCH_EN: 0
; COMPUTE_PGM_RSRC2:USER_SGPR: 2
; COMPUTE_PGM_RSRC2:TRAP_HANDLER: 0
; COMPUTE_PGM_RSRC2:TGID_X_EN: 1
; COMPUTE_PGM_RSRC2:TGID_Y_EN: 0
; COMPUTE_PGM_RSRC2:TGID_Z_EN: 1
; COMPUTE_PGM_RSRC2:TIDIG_COMP_CNT: 0
	.section	.text._ZL32rocblas_gemvt_warp_reduce_kernelILb0ELi256EiDF16_fDF16_EviiT3_lPKT2_lT1_lS3_lS4_lS0_lPT4_lS4_li,"axG",@progbits,_ZL32rocblas_gemvt_warp_reduce_kernelILb0ELi256EiDF16_fDF16_EviiT3_lPKT2_lT1_lS3_lS4_lS0_lPT4_lS4_li,comdat
	.globl	_ZL32rocblas_gemvt_warp_reduce_kernelILb0ELi256EiDF16_fDF16_EviiT3_lPKT2_lT1_lS3_lS4_lS0_lPT4_lS4_li ; -- Begin function _ZL32rocblas_gemvt_warp_reduce_kernelILb0ELi256EiDF16_fDF16_EviiT3_lPKT2_lT1_lS3_lS4_lS0_lPT4_lS4_li
	.p2align	8
	.type	_ZL32rocblas_gemvt_warp_reduce_kernelILb0ELi256EiDF16_fDF16_EviiT3_lPKT2_lT1_lS3_lS4_lS0_lPT4_lS4_li,@function
_ZL32rocblas_gemvt_warp_reduce_kernelILb0ELi256EiDF16_fDF16_EviiT3_lPKT2_lT1_lS3_lS4_lS0_lPT4_lS4_li: ; @_ZL32rocblas_gemvt_warp_reduce_kernelILb0ELi256EiDF16_fDF16_EviiT3_lPKT2_lT1_lS3_lS4_lS0_lPT4_lS4_li
; %bb.0:
	s_load_b32 s19, s[0:1], 0x88
	s_bfe_u32 s2, ttmp6, 0x40014
	s_lshr_b32 s3, ttmp7, 16
	s_add_co_i32 s2, s2, 1
	s_bfe_u32 s4, ttmp6, 0x40008
	s_mul_i32 s2, s3, s2
	s_getreg_b32 s23, hwreg(HW_REG_IB_STS2, 6, 4)
	s_add_co_i32 s4, s4, s2
	s_cmp_eq_u32 s23, 0
	s_mov_b32 s25, 0
	s_cselect_b32 s24, s3, s4
	s_wait_kmcnt 0x0
	s_cmp_ge_u32 s24, s19
	s_cbranch_scc1 .LBB404_34
; %bb.1:
	s_clause 0x7
	s_load_b96 s[20:22], s[0:1], 0x40
	s_load_b128 s[4:7], s[0:1], 0x68
	s_load_b128 s[12:15], s[0:1], 0x18
	s_load_b32 s30, s[0:1], 0x8
	s_load_b96 s[16:18], s[0:1], 0x50
	s_load_b128 s[8:11], s[0:1], 0x30
	s_load_b32 s35, s[0:1], 0x0
	s_load_b32 s36, s[0:1], 0x28
	v_dual_mov_b32 v3, 0 :: v_dual_bitop2_b32 v2, 31, v0 bitop3:0x40
	v_lshrrev_b32_e32 v4, 3, v0
	v_mbcnt_lo_u32_b32 v1, -1, 0
	v_cmp_gt_u32_e64 s2, 8, v0
	s_delay_alu instid0(VALU_DEP_4)
	v_lshlrev_b32_e32 v12, 2, v2
	v_cmp_eq_u32_e64 s3, 0, v2
	s_wait_kmcnt 0x0
	s_lshl_b64 s[20:21], s[20:21], 1
	s_lshl_b64 s[28:29], s[6:7], 1
	;; [unrolled: 1-line block ×3, first 2 shown]
	s_cmp_eq_f32 s30, 0
	s_clause 0x1
	s_load_b32 s37, s[0:1], 0x78
	s_load_b64 s[6:7], s[0:1], 0x80
	s_add_nc_u64 s[10:11], s[10:11], s[20:21]
	v_cmp_gt_i32_e32 vcc_lo, s35, v0
	s_cselect_b32 s31, -1, 0
	s_cmp_neq_f32 s30, 0
	v_mul_lo_u32 v14, v0, s22
	s_wait_xcnt 0x0
	v_cmp_eq_u32_e64 s0, 0, v0
	v_cmp_gt_u32_e64 s1, 32, v0
	s_cselect_b32 s14, -1, 0
	s_cmp_neq_f32 s18, 1.0
	s_cselect_b32 s15, -1, 0
	s_delay_alu instid0(SALU_CYCLE_1)
	s_or_b32 s33, s14, s15
	s_cmp_neq_f32 s18, 0
	s_cselect_b32 s34, -1, 0
	s_bfe_u32 s14, ttmp6, 0x4000c
	s_and_b32 s15, ttmp6, 15
	s_add_co_i32 s14, s14, 1
	s_delay_alu instid0(SALU_CYCLE_1) | instskip(NEXT) | instid1(SALU_CYCLE_1)
	s_mul_i32 s14, ttmp9, s14
	s_add_co_i32 s20, s15, s14
	s_cmp_eq_u32 s23, 0
	s_add_nc_u64 s[14:15], s[4:5], s[28:29]
	s_cselect_b32 s21, ttmp9, s20
	s_ashr_i32 s4, s35, 31
	s_wait_kmcnt 0x0
	s_mul_i32 s28, s37, s21
	s_lshr_b32 s20, s4, 24
	s_add_nc_u64 s[4:5], s[12:13], s[26:27]
	s_add_co_i32 s20, s35, s20
	s_ashr_i32 s29, s28, 31
	s_and_b32 s20, s20, 0xffffff00
	s_delay_alu instid0(SALU_CYCLE_1) | instskip(NEXT) | instid1(VALU_DEP_1)
	v_dual_cndmask_b32 v2, 0, v0, vcc_lo :: v_dual_bitop2_b32 v5, s20, v0 bitop3:0x54
	v_dual_lshlrev_b32 v2, 1, v2 :: v_dual_bitop2_b32 v13, 28, v4 bitop3:0x40
	s_delay_alu instid0(VALU_DEP_2) | instskip(NEXT) | instid1(VALU_DEP_2)
	v_mul_lo_u32 v4, s22, v5
	v_add_nc_u64_e32 v[6:7], s[4:5], v[2:3]
	s_mul_i32 s4, s36, s21
	s_ashr_i32 s21, s20, 31
	s_ashr_i32 s5, s4, 31
	s_delay_alu instid0(SALU_CYCLE_1) | instskip(NEXT) | instid1(SALU_CYCLE_1)
	s_lshl_b64 s[4:5], s[4:5], 1
	s_add_nc_u64 s[26:27], s[26:27], s[4:5]
	s_delay_alu instid0(VALU_DEP_1)
	v_add_nc_u64_e32 v[6:7], s[4:5], v[6:7]
	s_add_nc_u64 s[12:13], s[12:13], s[26:27]
	v_cmp_gt_i32_e64 s4, s20, v0
	v_add_nc_u64_e32 v[8:9], s[12:13], v[2:3]
	v_cmp_gt_i32_e64 s5, s35, v5
	v_ashrrev_i32_e32 v5, 31, v4
	v_lshl_or_b32 v2, v1, 2, 64
	s_lshl_b64 s[12:13], s[8:9], 1
	s_lshl_b32 s35, s22, 8
	s_lshl_b64 s[22:23], s[28:29], 1
	s_branch .LBB404_4
.LBB404_2:                              ;   in Loop: Header=BB404_4 Depth=1
	s_wait_xcnt 0x0
	s_or_b32 exec_lo, exec_lo, s28
.LBB404_3:                              ;   in Loop: Header=BB404_4 Depth=1
	s_add_co_i32 s24, s24, 0x10000
	s_delay_alu instid0(SALU_CYCLE_1)
	s_cmp_lt_u32 s24, s19
	s_cbranch_scc0 .LBB404_34
.LBB404_4:                              ; =>This Loop Header: Depth=1
                                        ;     Child Loop BB404_23 Depth 2
	s_and_not1_b32 vcc_lo, exec_lo, s33
	s_cbranch_vccnz .LBB404_3
; %bb.5:                                ;   in Loop: Header=BB404_4 Depth=1
	s_mul_u64 s[26:27], s[6:7], s[24:25]
	s_and_not1_b32 vcc_lo, exec_lo, s31
	s_lshl_b64 s[26:27], s[26:27], 1
	s_delay_alu instid0(SALU_CYCLE_1)
	s_add_nc_u64 s[26:27], s[14:15], s[26:27]
	s_cbranch_vccnz .LBB404_9
; %bb.6:                                ;   in Loop: Header=BB404_4 Depth=1
	s_mov_b32 s28, 0
	s_mov_b32 s36, 0
                                        ; implicit-def: $vgpr10
	s_and_saveexec_b32 s29, s0
	s_cbranch_execz .LBB404_10
; %bb.7:                                ;   in Loop: Header=BB404_4 Depth=1
	s_and_not1_b32 vcc_lo, exec_lo, s34
	s_cbranch_vccnz .LBB404_11
; %bb.8:                                ;   in Loop: Header=BB404_4 Depth=1
	s_add_nc_u64 s[36:37], s[26:27], s[22:23]
	global_load_u16 v10, v3, s[36:37]
	s_wait_loadcnt 0x0
	v_fma_mixlo_f16 v10, s18, v10, 0 op_sel_hi:[0,1,0]
	s_branch .LBB404_12
.LBB404_9:                              ;   in Loop: Header=BB404_4 Depth=1
	s_mov_b32 s36, 0
                                        ; implicit-def: $vgpr10
	s_cbranch_execnz .LBB404_13
	s_branch .LBB404_32
.LBB404_10:                             ;   in Loop: Header=BB404_4 Depth=1
	s_or_b32 exec_lo, exec_lo, s29
	s_delay_alu instid0(SALU_CYCLE_1)
	s_and_b32 vcc_lo, exec_lo, s28
	s_cbranch_vccnz .LBB404_13
	s_branch .LBB404_32
.LBB404_11:                             ;   in Loop: Header=BB404_4 Depth=1
	v_mov_b32_e32 v10, 0
.LBB404_12:                             ;   in Loop: Header=BB404_4 Depth=1
	s_wait_xcnt 0x0
	s_mov_b32 s36, exec_lo
	s_or_b32 exec_lo, exec_lo, s29
	s_delay_alu instid0(SALU_CYCLE_1)
	s_and_b32 vcc_lo, exec_lo, s28
	s_cbranch_vccz .LBB404_32
.LBB404_13:                             ;   in Loop: Header=BB404_4 Depth=1
	s_mul_u64 s[28:29], s[16:17], s[24:25]
	v_mov_b32_e32 v15, 0
	s_lshl_b64 s[28:29], s[28:29], 1
	s_delay_alu instid0(SALU_CYCLE_1)
	s_add_nc_u64 s[28:29], s[10:11], s[28:29]
	s_and_saveexec_b32 s37, s4
	s_cbranch_execnz .LBB404_22
; %bb.14:                               ;   in Loop: Header=BB404_4 Depth=1
	s_or_b32 exec_lo, exec_lo, s37
	s_and_saveexec_b32 s37, s5
	s_cbranch_execnz .LBB404_25
.LBB404_15:                             ;   in Loop: Header=BB404_4 Depth=1
	s_or_b32 exec_lo, exec_lo, s37
	s_and_saveexec_b32 s28, s1
.LBB404_16:                             ;   in Loop: Header=BB404_4 Depth=1
	ds_store_b32 v12, v3
.LBB404_17:                             ;   in Loop: Header=BB404_4 Depth=1
	s_or_b32 exec_lo, exec_lo, s28
	ds_bpermute_b32 v10, v2, v15
	v_cmp_gt_u32_e32 vcc_lo, 24, v1
	s_wait_dscnt 0x0
	s_barrier_signal -1
	s_barrier_wait -1
	v_cndmask_b32_e64 v11, 0, 8, vcc_lo
	v_cmp_gt_u32_e32 vcc_lo, 28, v1
	s_delay_alu instid0(VALU_DEP_2)
	v_add_lshl_u32 v11, v11, v1, 2
	v_add_f32_e32 v15, v15, v10
	v_cndmask_b32_e64 v10, 0, 4, vcc_lo
	v_cmp_gt_u32_e32 vcc_lo, 30, v1
	ds_bpermute_b32 v11, v11, v15
	v_add_lshl_u32 v10, v10, v1, 2
	s_wait_dscnt 0x0
	v_add_f32_e32 v15, v15, v11
	v_cndmask_b32_e64 v11, 0, 2, vcc_lo
	v_cmp_ne_u32_e32 vcc_lo, 31, v1
	ds_bpermute_b32 v16, v10, v15
	v_add_lshl_u32 v11, v11, v1, 2
	v_add_co_ci_u32_e64 v17, null, 0, v1, vcc_lo
	s_wait_dscnt 0x0
	v_add_f32_e32 v15, v15, v16
	ds_bpermute_b32 v16, v11, v15
	s_wait_dscnt 0x0
	v_dual_add_f32 v16, v15, v16 :: v_dual_lshlrev_b32 v15, 2, v17
	ds_bpermute_b32 v17, v15, v16
	s_and_saveexec_b32 s28, s3
	s_cbranch_execz .LBB404_19
; %bb.18:                               ;   in Loop: Header=BB404_4 Depth=1
	s_wait_dscnt 0x0
	v_add_f32_e32 v16, v16, v17
	ds_store_b32 v13, v16
.LBB404_19:                             ;   in Loop: Header=BB404_4 Depth=1
	s_or_b32 exec_lo, exec_lo, s28
	v_mov_b32_e32 v16, 0
	s_wait_dscnt 0x0
	s_barrier_signal -1
	s_barrier_wait -1
	s_and_saveexec_b32 s28, s2
	s_cbranch_execnz .LBB404_26
; %bb.20:                               ;   in Loop: Header=BB404_4 Depth=1
	s_or_b32 exec_lo, exec_lo, s28
	s_and_saveexec_b32 s28, s1
	s_cbranch_execnz .LBB404_27
.LBB404_21:                             ;   in Loop: Header=BB404_4 Depth=1
	s_or_b32 exec_lo, exec_lo, s28
                                        ; implicit-def: $vgpr10
	s_and_saveexec_b32 s28, s0
	s_cbranch_execnz .LBB404_28
	s_branch .LBB404_31
.LBB404_22:                             ;   in Loop: Header=BB404_4 Depth=1
	v_mad_nc_u64_u32 v[10:11], s12, s24, v[8:9]
	s_wait_dscnt 0x0
	v_dual_mov_b32 v15, 0 :: v_dual_mov_b32 v16, v14
	v_mov_b32_e32 v17, v0
	s_mov_b32 s38, 0
	s_delay_alu instid0(VALU_DEP_3)
	v_mad_u32 v11, s13, s24, v11
.LBB404_23:                             ;   Parent Loop BB404_4 Depth=1
                                        ; =>  This Inner Loop Header: Depth=2
	global_load_u16 v18, v[10:11], off
	global_load_u16 v19, v16, s[28:29] scale_offset
	v_add_nc_u32_e32 v17, 0x100, v17
	s_wait_xcnt 0x1
	v_add_nc_u64_e32 v[10:11], 0x200, v[10:11]
	s_delay_alu instid0(VALU_DEP_2) | instskip(SKIP_3) | instid1(VALU_DEP_1)
	v_cmp_le_i32_e32 vcc_lo, s20, v17
	s_or_b32 s38, vcc_lo, s38
	s_wait_loadcnt 0x0
	v_mul_f16_e32 v18, v18, v19
	v_cvt_f32_f16_e32 v18, v18
	s_wait_xcnt 0x0
	s_delay_alu instid0(VALU_DEP_1)
	v_dual_add_f32 v15, v15, v18 :: v_dual_add_nc_u32 v16, s35, v16
	s_and_not1_b32 exec_lo, exec_lo, s38
	s_cbranch_execnz .LBB404_23
; %bb.24:                               ;   in Loop: Header=BB404_4 Depth=1
	s_or_b32 exec_lo, exec_lo, s38
	s_delay_alu instid0(SALU_CYCLE_1)
	s_or_b32 exec_lo, exec_lo, s37
	s_and_saveexec_b32 s37, s5
	s_cbranch_execz .LBB404_15
.LBB404_25:                             ;   in Loop: Header=BB404_4 Depth=1
	s_mul_u64 s[38:39], s[8:9], s[24:25]
	s_wait_dscnt 0x0
	v_lshl_add_u64 v[16:17], v[4:5], 1, s[28:29]
	v_lshl_add_u64 v[10:11], s[38:39], 1, v[6:7]
	s_delay_alu instid0(VALU_DEP_1)
	v_lshl_add_u64 v[10:11], s[20:21], 1, v[10:11]
	global_load_u16 v18, v[10:11], off
	global_load_u16 v19, v[16:17], off
	s_wait_loadcnt 0x0
	s_wait_xcnt 0x1
	v_mul_f16_e32 v10, v18, v19
	s_delay_alu instid0(VALU_DEP_1) | instskip(NEXT) | instid1(VALU_DEP_1)
	v_cvt_f32_f16_e32 v10, v10
	v_add_f32_e32 v15, v15, v10
	s_wait_xcnt 0x0
	s_or_b32 exec_lo, exec_lo, s37
	s_and_saveexec_b32 s28, s1
	s_cbranch_execnz .LBB404_16
	s_branch .LBB404_17
.LBB404_26:                             ;   in Loop: Header=BB404_4 Depth=1
	ds_load_b32 v16, v12
	s_or_b32 exec_lo, exec_lo, s28
	s_and_saveexec_b32 s28, s1
	s_cbranch_execz .LBB404_21
.LBB404_27:                             ;   in Loop: Header=BB404_4 Depth=1
	s_wait_dscnt 0x0
	ds_bpermute_b32 v10, v10, v16
	s_wait_dscnt 0x0
	v_add_f32_e32 v10, v16, v10
	ds_bpermute_b32 v11, v11, v10
	s_wait_dscnt 0x0
	v_add_f32_e32 v10, v10, v11
	;; [unrolled: 3-line block ×3, first 2 shown]
	s_or_b32 exec_lo, exec_lo, s28
                                        ; implicit-def: $vgpr10
	s_and_saveexec_b32 s28, s0
	s_cbranch_execz .LBB404_31
.LBB404_28:                             ;   in Loop: Header=BB404_4 Depth=1
	s_wait_dscnt 0x0
	v_mul_f32_e32 v10, s30, v16
	s_and_not1_b32 vcc_lo, exec_lo, s34
	s_cbranch_vccnz .LBB404_30
; %bb.29:                               ;   in Loop: Header=BB404_4 Depth=1
	s_add_nc_u64 s[38:39], s[26:27], s[22:23]
	global_load_u16 v11, v3, s[38:39]
	s_wait_loadcnt 0x0
	v_fma_mix_f32 v10, s18, v11, v10 op_sel_hi:[0,1,0]
.LBB404_30:                             ;   in Loop: Header=BB404_4 Depth=1
	s_delay_alu instid0(VALU_DEP_1)
	v_cvt_f16_f32_e32 v10, v10
	s_or_b32 s36, s36, exec_lo
.LBB404_31:                             ;   in Loop: Header=BB404_4 Depth=1
	s_wait_xcnt 0x0
	s_or_b32 exec_lo, exec_lo, s28
.LBB404_32:                             ;   in Loop: Header=BB404_4 Depth=1
	s_and_saveexec_b32 s28, s36
	s_cbranch_execz .LBB404_2
; %bb.33:                               ;   in Loop: Header=BB404_4 Depth=1
	s_add_nc_u64 s[26:27], s[26:27], s[22:23]
	global_store_b16 v3, v10, s[26:27]
	s_branch .LBB404_2
.LBB404_34:
	s_endpgm
	.section	.rodata,"a",@progbits
	.p2align	6, 0x0
	.amdhsa_kernel _ZL32rocblas_gemvt_warp_reduce_kernelILb0ELi256EiDF16_fDF16_EviiT3_lPKT2_lT1_lS3_lS4_lS0_lPT4_lS4_li
		.amdhsa_group_segment_fixed_size 128
		.amdhsa_private_segment_fixed_size 0
		.amdhsa_kernarg_size 140
		.amdhsa_user_sgpr_count 2
		.amdhsa_user_sgpr_dispatch_ptr 0
		.amdhsa_user_sgpr_queue_ptr 0
		.amdhsa_user_sgpr_kernarg_segment_ptr 1
		.amdhsa_user_sgpr_dispatch_id 0
		.amdhsa_user_sgpr_kernarg_preload_length 0
		.amdhsa_user_sgpr_kernarg_preload_offset 0
		.amdhsa_user_sgpr_private_segment_size 0
		.amdhsa_wavefront_size32 1
		.amdhsa_uses_dynamic_stack 0
		.amdhsa_enable_private_segment 0
		.amdhsa_system_sgpr_workgroup_id_x 1
		.amdhsa_system_sgpr_workgroup_id_y 0
		.amdhsa_system_sgpr_workgroup_id_z 1
		.amdhsa_system_sgpr_workgroup_info 0
		.amdhsa_system_vgpr_workitem_id 0
		.amdhsa_next_free_vgpr 20
		.amdhsa_next_free_sgpr 40
		.amdhsa_named_barrier_count 0
		.amdhsa_reserve_vcc 1
		.amdhsa_float_round_mode_32 0
		.amdhsa_float_round_mode_16_64 0
		.amdhsa_float_denorm_mode_32 3
		.amdhsa_float_denorm_mode_16_64 3
		.amdhsa_fp16_overflow 0
		.amdhsa_memory_ordered 1
		.amdhsa_forward_progress 1
		.amdhsa_inst_pref_size 12
		.amdhsa_round_robin_scheduling 0
		.amdhsa_exception_fp_ieee_invalid_op 0
		.amdhsa_exception_fp_denorm_src 0
		.amdhsa_exception_fp_ieee_div_zero 0
		.amdhsa_exception_fp_ieee_overflow 0
		.amdhsa_exception_fp_ieee_underflow 0
		.amdhsa_exception_fp_ieee_inexact 0
		.amdhsa_exception_int_div_zero 0
	.end_amdhsa_kernel
	.section	.text._ZL32rocblas_gemvt_warp_reduce_kernelILb0ELi256EiDF16_fDF16_EviiT3_lPKT2_lT1_lS3_lS4_lS0_lPT4_lS4_li,"axG",@progbits,_ZL32rocblas_gemvt_warp_reduce_kernelILb0ELi256EiDF16_fDF16_EviiT3_lPKT2_lT1_lS3_lS4_lS0_lPT4_lS4_li,comdat
.Lfunc_end404:
	.size	_ZL32rocblas_gemvt_warp_reduce_kernelILb0ELi256EiDF16_fDF16_EviiT3_lPKT2_lT1_lS3_lS4_lS0_lPT4_lS4_li, .Lfunc_end404-_ZL32rocblas_gemvt_warp_reduce_kernelILb0ELi256EiDF16_fDF16_EviiT3_lPKT2_lT1_lS3_lS4_lS0_lPT4_lS4_li
                                        ; -- End function
	.set _ZL32rocblas_gemvt_warp_reduce_kernelILb0ELi256EiDF16_fDF16_EviiT3_lPKT2_lT1_lS3_lS4_lS0_lPT4_lS4_li.num_vgpr, 20
	.set _ZL32rocblas_gemvt_warp_reduce_kernelILb0ELi256EiDF16_fDF16_EviiT3_lPKT2_lT1_lS3_lS4_lS0_lPT4_lS4_li.num_agpr, 0
	.set _ZL32rocblas_gemvt_warp_reduce_kernelILb0ELi256EiDF16_fDF16_EviiT3_lPKT2_lT1_lS3_lS4_lS0_lPT4_lS4_li.numbered_sgpr, 40
	.set _ZL32rocblas_gemvt_warp_reduce_kernelILb0ELi256EiDF16_fDF16_EviiT3_lPKT2_lT1_lS3_lS4_lS0_lPT4_lS4_li.num_named_barrier, 0
	.set _ZL32rocblas_gemvt_warp_reduce_kernelILb0ELi256EiDF16_fDF16_EviiT3_lPKT2_lT1_lS3_lS4_lS0_lPT4_lS4_li.private_seg_size, 0
	.set _ZL32rocblas_gemvt_warp_reduce_kernelILb0ELi256EiDF16_fDF16_EviiT3_lPKT2_lT1_lS3_lS4_lS0_lPT4_lS4_li.uses_vcc, 1
	.set _ZL32rocblas_gemvt_warp_reduce_kernelILb0ELi256EiDF16_fDF16_EviiT3_lPKT2_lT1_lS3_lS4_lS0_lPT4_lS4_li.uses_flat_scratch, 0
	.set _ZL32rocblas_gemvt_warp_reduce_kernelILb0ELi256EiDF16_fDF16_EviiT3_lPKT2_lT1_lS3_lS4_lS0_lPT4_lS4_li.has_dyn_sized_stack, 0
	.set _ZL32rocblas_gemvt_warp_reduce_kernelILb0ELi256EiDF16_fDF16_EviiT3_lPKT2_lT1_lS3_lS4_lS0_lPT4_lS4_li.has_recursion, 0
	.set _ZL32rocblas_gemvt_warp_reduce_kernelILb0ELi256EiDF16_fDF16_EviiT3_lPKT2_lT1_lS3_lS4_lS0_lPT4_lS4_li.has_indirect_call, 0
	.section	.AMDGPU.csdata,"",@progbits
; Kernel info:
; codeLenInByte = 1412
; TotalNumSgprs: 42
; NumVgprs: 20
; ScratchSize: 0
; MemoryBound: 0
; FloatMode: 240
; IeeeMode: 1
; LDSByteSize: 128 bytes/workgroup (compile time only)
; SGPRBlocks: 0
; VGPRBlocks: 1
; NumSGPRsForWavesPerEU: 42
; NumVGPRsForWavesPerEU: 20
; NamedBarCnt: 0
; Occupancy: 16
; WaveLimiterHint : 0
; COMPUTE_PGM_RSRC2:SCRATCH_EN: 0
; COMPUTE_PGM_RSRC2:USER_SGPR: 2
; COMPUTE_PGM_RSRC2:TRAP_HANDLER: 0
; COMPUTE_PGM_RSRC2:TGID_X_EN: 1
; COMPUTE_PGM_RSRC2:TGID_Y_EN: 0
; COMPUTE_PGM_RSRC2:TGID_Z_EN: 1
; COMPUTE_PGM_RSRC2:TIDIG_COMP_CNT: 0
	.section	.text._ZL32rocblas_gemvt_warp_reduce_kernelILb0ELi256ElDF16_fDF16_EviiT3_lPKT2_lT1_lS3_lS4_lS0_lPT4_lS4_li,"axG",@progbits,_ZL32rocblas_gemvt_warp_reduce_kernelILb0ELi256ElDF16_fDF16_EviiT3_lPKT2_lT1_lS3_lS4_lS0_lPT4_lS4_li,comdat
	.globl	_ZL32rocblas_gemvt_warp_reduce_kernelILb0ELi256ElDF16_fDF16_EviiT3_lPKT2_lT1_lS3_lS4_lS0_lPT4_lS4_li ; -- Begin function _ZL32rocblas_gemvt_warp_reduce_kernelILb0ELi256ElDF16_fDF16_EviiT3_lPKT2_lT1_lS3_lS4_lS0_lPT4_lS4_li
	.p2align	8
	.type	_ZL32rocblas_gemvt_warp_reduce_kernelILb0ELi256ElDF16_fDF16_EviiT3_lPKT2_lT1_lS3_lS4_lS0_lPT4_lS4_li,@function
_ZL32rocblas_gemvt_warp_reduce_kernelILb0ELi256ElDF16_fDF16_EviiT3_lPKT2_lT1_lS3_lS4_lS0_lPT4_lS4_li: ; @_ZL32rocblas_gemvt_warp_reduce_kernelILb0ELi256ElDF16_fDF16_EviiT3_lPKT2_lT1_lS3_lS4_lS0_lPT4_lS4_li
; %bb.0:
	s_load_b32 s33, s[0:1], 0x88
	s_bfe_u32 s2, ttmp6, 0x40014
	s_lshr_b32 s3, ttmp7, 16
	s_add_co_i32 s2, s2, 1
	s_bfe_u32 s5, ttmp6, 0x40008
	s_mul_i32 s4, s3, s2
	s_getreg_b32 s2, hwreg(HW_REG_IB_STS2, 6, 4)
	s_add_co_i32 s5, s5, s4
	s_cmp_eq_u32 s2, 0
	s_mov_b32 s7, 0
	s_cselect_b32 s6, s3, s5
	s_wait_kmcnt 0x0
	s_cmp_ge_u32 s6, s33
	s_cbranch_scc1 .LBB405_34
; %bb.1:
	s_clause 0x3
	s_load_b512 s[8:23], s[0:1], 0x18
	s_load_b256 s[24:31], s[0:1], 0x68
	s_load_b32 s34, s[0:1], 0x8
	s_load_b32 s35, s[0:1], 0x58
	s_wait_kmcnt 0x0
	s_lshl_b64 s[4:5], s[18:19], 1
	s_lshl_b64 s[18:19], s[26:27], 1
	;; [unrolled: 1-line block ×3, first 2 shown]
	s_cmp_eq_f32 s34, 0
	s_load_b32 s11, s[0:1], 0x0
	s_add_nc_u64 s[16:17], s[16:17], s[4:5]
	s_add_nc_u64 s[18:19], s[24:25], s[18:19]
	s_cselect_b32 s36, -1, 0
	s_cmp_neq_f32 s34, 0
	s_cselect_b32 s3, -1, 0
	s_cmp_neq_f32 s35, 1.0
	s_wait_xcnt 0x0
	s_cselect_b32 s0, -1, 0
	s_delay_alu instid0(SALU_CYCLE_1)
	s_or_b32 s37, s3, s0
	s_cmp_neq_f32 s35, 0
	s_cselect_b32 s38, -1, 0
	s_bfe_u32 s0, ttmp6, 0x4000c
	s_and_b32 s1, ttmp6, 15
	s_add_co_i32 s0, s0, 1
	s_wait_kmcnt 0x0
	v_cmp_gt_i32_e32 vcc_lo, s11, v0
	s_mul_i32 s0, ttmp9, s0
	v_mov_b32_e32 v3, 0
	s_add_co_i32 s1, s1, s0
	s_cmp_eq_u32 s2, 0
	v_cndmask_b32_e32 v2, 0, v0, vcc_lo
	s_cselect_b32 s2, ttmp9, s1
	s_ashr_i32 s0, s11, 31
	s_ashr_i32 s3, s2, 31
	s_lshr_b32 s0, s0, 24
	s_mul_u64 s[4:5], s[12:13], s[2:3]
	s_add_co_i32 s0, s11, s0
	s_lshl_b64 s[12:13], s[4:5], 1
	s_and_b32 s10, s0, 0xffffff00
	s_delay_alu instid0(SALU_CYCLE_1) | instskip(SKIP_3) | instid1(VALU_DEP_2)
	v_dual_mov_b32 v1, v3 :: v_dual_bitop2_b32 v8, s10, v0 bitop3:0x54
	v_lshlrev_b32_e32 v2, 1, v2
	s_add_nc_u64 s[0:1], s[8:9], s[26:27]
	s_mul_u64 s[24:25], s[28:29], s[2:3]
	v_mul_u64_e32 v[10:11], s[20:21], v[0:1]
	v_ashrrev_i32_e32 v9, 31, v8
	v_add_nc_u64_e32 v[6:7], s[0:1], v[2:3]
	v_cmp_gt_i32_e64 s2, s11, v8
	v_cmp_eq_u32_e64 s0, 0, v0
	v_cmp_gt_i32_e64 s1, s10, v0
	v_mul_u64_e32 v[4:5], s[20:21], v[8:9]
	v_dual_lshrrev_b32 v8, 3, v0 :: v_dual_bitop2_b32 v9, 31, v0 bitop3:0x40
	v_add_nc_u64_e32 v[6:7], s[12:13], v[6:7]
	s_add_nc_u64 s[12:13], s[12:13], s[26:27]
	v_cmp_gt_u32_e64 s3, 32, v0
	s_add_nc_u64 s[8:9], s[8:9], s[12:13]
	v_dual_lshlrev_b32 v1, 2, v9 :: v_dual_bitop2_b32 v16, 28, v8 bitop3:0x40
	v_cmp_eq_u32_e64 s4, 0, v9
	v_add_nc_u64_e32 v[8:9], s[8:9], v[2:3]
	v_mbcnt_lo_u32_b32 v2, -1, 0
	v_cmp_gt_u32_e64 s5, 8, v0
	s_ashr_i32 s11, s10, 31
	s_lshl_b64 s[8:9], s[14:15], 1
	s_lshl_b64 s[12:13], s[22:23], 1
	v_lshl_or_b32 v17, v2, 2, 64
	s_lshl_b64 s[20:21], s[20:21], 9
	s_lshl_b64 s[24:25], s[24:25], 1
	v_lshl_add_u64 v[10:11], v[10:11], 1, s[16:17]
	s_branch .LBB405_4
.LBB405_2:                              ;   in Loop: Header=BB405_4 Depth=1
	s_wait_xcnt 0x0
	s_or_b32 exec_lo, exec_lo, s29
.LBB405_3:                              ;   in Loop: Header=BB405_4 Depth=1
	s_add_co_i32 s6, s6, 0x10000
	s_delay_alu instid0(SALU_CYCLE_1)
	s_cmp_lt_u32 s6, s33
	s_cbranch_scc0 .LBB405_34
.LBB405_4:                              ; =>This Loop Header: Depth=1
                                        ;     Child Loop BB405_23 Depth 2
	s_and_not1_b32 vcc_lo, exec_lo, s37
	s_cbranch_vccnz .LBB405_3
; %bb.5:                                ;   in Loop: Header=BB405_4 Depth=1
	s_mul_u64 s[26:27], s[30:31], s[6:7]
	s_and_not1_b32 vcc_lo, exec_lo, s36
	s_lshl_b64 s[26:27], s[26:27], 1
	s_delay_alu instid0(SALU_CYCLE_1)
	s_add_nc_u64 s[26:27], s[18:19], s[26:27]
	s_cbranch_vccnz .LBB405_9
; %bb.6:                                ;   in Loop: Header=BB405_4 Depth=1
	s_mov_b32 s29, 0
	s_mov_b32 s28, 0
                                        ; implicit-def: $vgpr12
	s_and_saveexec_b32 s39, s0
	s_cbranch_execz .LBB405_10
; %bb.7:                                ;   in Loop: Header=BB405_4 Depth=1
	s_and_not1_b32 vcc_lo, exec_lo, s38
	s_cbranch_vccnz .LBB405_11
; %bb.8:                                ;   in Loop: Header=BB405_4 Depth=1
	s_add_nc_u64 s[40:41], s[26:27], s[24:25]
	global_load_u16 v12, v3, s[40:41]
	s_wait_loadcnt 0x0
	v_fma_mixlo_f16 v12, s35, v12, 0 op_sel_hi:[0,1,0]
	s_branch .LBB405_12
.LBB405_9:                              ;   in Loop: Header=BB405_4 Depth=1
	s_mov_b32 s28, 0
                                        ; implicit-def: $vgpr12
	s_cbranch_execnz .LBB405_13
	s_branch .LBB405_32
.LBB405_10:                             ;   in Loop: Header=BB405_4 Depth=1
	s_or_b32 exec_lo, exec_lo, s39
	s_delay_alu instid0(SALU_CYCLE_1)
	s_and_b32 vcc_lo, exec_lo, s29
	s_cbranch_vccnz .LBB405_13
	s_branch .LBB405_32
.LBB405_11:                             ;   in Loop: Header=BB405_4 Depth=1
	v_mov_b32_e32 v12, 0
.LBB405_12:                             ;   in Loop: Header=BB405_4 Depth=1
	s_mov_b32 s28, exec_lo
	s_wait_xcnt 0x0
	s_or_b32 exec_lo, exec_lo, s39
	s_delay_alu instid0(SALU_CYCLE_1)
	s_and_b32 vcc_lo, exec_lo, s29
	s_cbranch_vccz .LBB405_32
.LBB405_13:                             ;   in Loop: Header=BB405_4 Depth=1
	v_mov_b32_e32 v18, 0
	s_and_saveexec_b32 s29, s1
	s_cbranch_execnz .LBB405_22
; %bb.14:                               ;   in Loop: Header=BB405_4 Depth=1
	s_or_b32 exec_lo, exec_lo, s29
	s_and_saveexec_b32 s29, s2
	s_cbranch_execnz .LBB405_25
.LBB405_15:                             ;   in Loop: Header=BB405_4 Depth=1
	s_or_b32 exec_lo, exec_lo, s29
	s_and_saveexec_b32 s29, s3
.LBB405_16:                             ;   in Loop: Header=BB405_4 Depth=1
	ds_store_b32 v1, v3
.LBB405_17:                             ;   in Loop: Header=BB405_4 Depth=1
	s_or_b32 exec_lo, exec_lo, s29
	ds_bpermute_b32 v12, v17, v18
	v_cmp_gt_u32_e32 vcc_lo, 24, v2
	s_wait_dscnt 0x0
	s_barrier_signal -1
	s_barrier_wait -1
	v_cndmask_b32_e64 v13, 0, 8, vcc_lo
	v_cmp_gt_u32_e32 vcc_lo, 28, v2
	s_delay_alu instid0(VALU_DEP_2)
	v_add_lshl_u32 v13, v13, v2, 2
	v_add_f32_e32 v14, v18, v12
	v_cndmask_b32_e64 v12, 0, 4, vcc_lo
	v_cmp_gt_u32_e32 vcc_lo, 30, v2
	ds_bpermute_b32 v13, v13, v14
	v_add_lshl_u32 v12, v12, v2, 2
	s_wait_dscnt 0x0
	v_add_f32_e32 v14, v14, v13
	v_cndmask_b32_e64 v13, 0, 2, vcc_lo
	v_cmp_ne_u32_e32 vcc_lo, 31, v2
	ds_bpermute_b32 v15, v12, v14
	v_add_lshl_u32 v13, v13, v2, 2
	v_add_co_ci_u32_e64 v18, null, 0, v2, vcc_lo
	s_wait_dscnt 0x0
	v_add_f32_e32 v14, v14, v15
	ds_bpermute_b32 v15, v13, v14
	s_wait_dscnt 0x0
	v_dual_add_f32 v15, v14, v15 :: v_dual_lshlrev_b32 v14, 2, v18
	ds_bpermute_b32 v18, v14, v15
	s_and_saveexec_b32 s29, s4
	s_cbranch_execz .LBB405_19
; %bb.18:                               ;   in Loop: Header=BB405_4 Depth=1
	s_wait_dscnt 0x0
	v_add_f32_e32 v15, v15, v18
	ds_store_b32 v16, v15
.LBB405_19:                             ;   in Loop: Header=BB405_4 Depth=1
	s_or_b32 exec_lo, exec_lo, s29
	v_mov_b32_e32 v15, 0
	s_wait_dscnt 0x0
	s_barrier_signal -1
	s_barrier_wait -1
	s_and_saveexec_b32 s29, s5
	s_cbranch_execnz .LBB405_26
; %bb.20:                               ;   in Loop: Header=BB405_4 Depth=1
	s_or_b32 exec_lo, exec_lo, s29
	s_and_saveexec_b32 s29, s3
	s_cbranch_execnz .LBB405_27
.LBB405_21:                             ;   in Loop: Header=BB405_4 Depth=1
	s_or_b32 exec_lo, exec_lo, s29
                                        ; implicit-def: $vgpr12
	s_and_saveexec_b32 s29, s0
	s_cbranch_execnz .LBB405_28
	s_branch .LBB405_31
.LBB405_22:                             ;   in Loop: Header=BB405_4 Depth=1
	v_mad_nc_u64_u32 v[12:13], s8, s6, v[8:9]
	s_wait_dscnt 0x0
	v_mad_nc_u64_u32 v[14:15], s12, s6, v[10:11]
	v_dual_mov_b32 v18, 0 :: v_dual_mov_b32 v19, v0
	s_mov_b32 s39, 0
	s_delay_alu instid0(VALU_DEP_3) | instskip(NEXT) | instid1(VALU_DEP_3)
	v_mad_u32 v13, s9, s6, v13
	v_mad_u32 v15, s13, s6, v15
.LBB405_23:                             ;   Parent Loop BB405_4 Depth=1
                                        ; =>  This Inner Loop Header: Depth=2
	global_load_u16 v20, v[12:13], off
	global_load_u16 v21, v[14:15], off
	s_wait_xcnt 0x1
	v_add_nc_u64_e32 v[12:13], 0x200, v[12:13]
	s_wait_xcnt 0x0
	v_add_nc_u64_e32 v[14:15], s[20:21], v[14:15]
	s_wait_loadcnt 0x0
	v_mul_f16_e32 v20, v20, v21
	s_delay_alu instid0(VALU_DEP_1) | instskip(NEXT) | instid1(VALU_DEP_1)
	v_cvt_f32_f16_e32 v20, v20
	v_dual_add_f32 v18, v18, v20 :: v_dual_add_nc_u32 v19, 0x100, v19
	s_delay_alu instid0(VALU_DEP_1) | instskip(SKIP_1) | instid1(SALU_CYCLE_1)
	v_cmp_le_i32_e32 vcc_lo, s10, v19
	s_or_b32 s39, vcc_lo, s39
	s_and_not1_b32 exec_lo, exec_lo, s39
	s_cbranch_execnz .LBB405_23
; %bb.24:                               ;   in Loop: Header=BB405_4 Depth=1
	s_or_b32 exec_lo, exec_lo, s39
	s_delay_alu instid0(SALU_CYCLE_1)
	s_or_b32 exec_lo, exec_lo, s29
	s_and_saveexec_b32 s29, s2
	s_cbranch_execz .LBB405_15
.LBB405_25:                             ;   in Loop: Header=BB405_4 Depth=1
	s_mul_u64 s[40:41], s[14:15], s[6:7]
	s_mul_u64 s[42:43], s[22:23], s[6:7]
	v_lshl_add_u64 v[12:13], s[40:41], 1, v[6:7]
	s_lshl_b64 s[40:41], s[42:43], 1
	s_delay_alu instid0(SALU_CYCLE_1)
	s_add_nc_u64 s[40:41], s[16:17], s[40:41]
	s_wait_dscnt 0x0
	v_lshl_add_u64 v[14:15], v[4:5], 1, s[40:41]
	v_lshl_add_u64 v[12:13], s[10:11], 1, v[12:13]
	global_load_u16 v19, v[12:13], off
	global_load_u16 v20, v[14:15], off
	s_wait_loadcnt 0x0
	s_wait_xcnt 0x1
	v_mul_f16_e32 v12, v19, v20
	s_delay_alu instid0(VALU_DEP_1) | instskip(NEXT) | instid1(VALU_DEP_1)
	v_cvt_f32_f16_e32 v12, v12
	v_add_f32_e32 v18, v18, v12
	s_wait_xcnt 0x0
	s_or_b32 exec_lo, exec_lo, s29
	s_and_saveexec_b32 s29, s3
	s_cbranch_execnz .LBB405_16
	s_branch .LBB405_17
.LBB405_26:                             ;   in Loop: Header=BB405_4 Depth=1
	ds_load_b32 v15, v1
	s_or_b32 exec_lo, exec_lo, s29
	s_and_saveexec_b32 s29, s3
	s_cbranch_execz .LBB405_21
.LBB405_27:                             ;   in Loop: Header=BB405_4 Depth=1
	s_wait_dscnt 0x0
	ds_bpermute_b32 v12, v12, v15
	s_wait_dscnt 0x0
	v_add_f32_e32 v12, v15, v12
	ds_bpermute_b32 v13, v13, v12
	s_wait_dscnt 0x0
	v_add_f32_e32 v12, v12, v13
	ds_bpermute_b32 v13, v14, v12
	s_wait_dscnt 0x0
	v_add_f32_e32 v15, v12, v13
	s_or_b32 exec_lo, exec_lo, s29
                                        ; implicit-def: $vgpr12
	s_and_saveexec_b32 s29, s0
	s_cbranch_execz .LBB405_31
.LBB405_28:                             ;   in Loop: Header=BB405_4 Depth=1
	s_wait_dscnt 0x0
	v_mul_f32_e32 v12, s34, v15
	s_and_not1_b32 vcc_lo, exec_lo, s38
	s_cbranch_vccnz .LBB405_30
; %bb.29:                               ;   in Loop: Header=BB405_4 Depth=1
	s_add_nc_u64 s[40:41], s[26:27], s[24:25]
	global_load_u16 v13, v3, s[40:41]
	s_wait_loadcnt 0x0
	v_fma_mix_f32 v12, s35, v13, v12 op_sel_hi:[0,1,0]
.LBB405_30:                             ;   in Loop: Header=BB405_4 Depth=1
	s_delay_alu instid0(VALU_DEP_1)
	v_cvt_f16_f32_e32 v12, v12
	s_or_b32 s28, s28, exec_lo
.LBB405_31:                             ;   in Loop: Header=BB405_4 Depth=1
	s_wait_xcnt 0x0
	s_or_b32 exec_lo, exec_lo, s29
.LBB405_32:                             ;   in Loop: Header=BB405_4 Depth=1
	s_and_saveexec_b32 s29, s28
	s_cbranch_execz .LBB405_2
; %bb.33:                               ;   in Loop: Header=BB405_4 Depth=1
	s_add_nc_u64 s[26:27], s[26:27], s[24:25]
	global_store_b16 v3, v12, s[26:27]
	s_branch .LBB405_2
.LBB405_34:
	s_endpgm
	.section	.rodata,"a",@progbits
	.p2align	6, 0x0
	.amdhsa_kernel _ZL32rocblas_gemvt_warp_reduce_kernelILb0ELi256ElDF16_fDF16_EviiT3_lPKT2_lT1_lS3_lS4_lS0_lPT4_lS4_li
		.amdhsa_group_segment_fixed_size 128
		.amdhsa_private_segment_fixed_size 0
		.amdhsa_kernarg_size 140
		.amdhsa_user_sgpr_count 2
		.amdhsa_user_sgpr_dispatch_ptr 0
		.amdhsa_user_sgpr_queue_ptr 0
		.amdhsa_user_sgpr_kernarg_segment_ptr 1
		.amdhsa_user_sgpr_dispatch_id 0
		.amdhsa_user_sgpr_kernarg_preload_length 0
		.amdhsa_user_sgpr_kernarg_preload_offset 0
		.amdhsa_user_sgpr_private_segment_size 0
		.amdhsa_wavefront_size32 1
		.amdhsa_uses_dynamic_stack 0
		.amdhsa_enable_private_segment 0
		.amdhsa_system_sgpr_workgroup_id_x 1
		.amdhsa_system_sgpr_workgroup_id_y 0
		.amdhsa_system_sgpr_workgroup_id_z 1
		.amdhsa_system_sgpr_workgroup_info 0
		.amdhsa_system_vgpr_workitem_id 0
		.amdhsa_next_free_vgpr 22
		.amdhsa_next_free_sgpr 44
		.amdhsa_named_barrier_count 0
		.amdhsa_reserve_vcc 1
		.amdhsa_float_round_mode_32 0
		.amdhsa_float_round_mode_16_64 0
		.amdhsa_float_denorm_mode_32 3
		.amdhsa_float_denorm_mode_16_64 3
		.amdhsa_fp16_overflow 0
		.amdhsa_memory_ordered 1
		.amdhsa_forward_progress 1
		.amdhsa_inst_pref_size 11
		.amdhsa_round_robin_scheduling 0
		.amdhsa_exception_fp_ieee_invalid_op 0
		.amdhsa_exception_fp_denorm_src 0
		.amdhsa_exception_fp_ieee_div_zero 0
		.amdhsa_exception_fp_ieee_overflow 0
		.amdhsa_exception_fp_ieee_underflow 0
		.amdhsa_exception_fp_ieee_inexact 0
		.amdhsa_exception_int_div_zero 0
	.end_amdhsa_kernel
	.section	.text._ZL32rocblas_gemvt_warp_reduce_kernelILb0ELi256ElDF16_fDF16_EviiT3_lPKT2_lT1_lS3_lS4_lS0_lPT4_lS4_li,"axG",@progbits,_ZL32rocblas_gemvt_warp_reduce_kernelILb0ELi256ElDF16_fDF16_EviiT3_lPKT2_lT1_lS3_lS4_lS0_lPT4_lS4_li,comdat
.Lfunc_end405:
	.size	_ZL32rocblas_gemvt_warp_reduce_kernelILb0ELi256ElDF16_fDF16_EviiT3_lPKT2_lT1_lS3_lS4_lS0_lPT4_lS4_li, .Lfunc_end405-_ZL32rocblas_gemvt_warp_reduce_kernelILb0ELi256ElDF16_fDF16_EviiT3_lPKT2_lT1_lS3_lS4_lS0_lPT4_lS4_li
                                        ; -- End function
	.set _ZL32rocblas_gemvt_warp_reduce_kernelILb0ELi256ElDF16_fDF16_EviiT3_lPKT2_lT1_lS3_lS4_lS0_lPT4_lS4_li.num_vgpr, 22
	.set _ZL32rocblas_gemvt_warp_reduce_kernelILb0ELi256ElDF16_fDF16_EviiT3_lPKT2_lT1_lS3_lS4_lS0_lPT4_lS4_li.num_agpr, 0
	.set _ZL32rocblas_gemvt_warp_reduce_kernelILb0ELi256ElDF16_fDF16_EviiT3_lPKT2_lT1_lS3_lS4_lS0_lPT4_lS4_li.numbered_sgpr, 44
	.set _ZL32rocblas_gemvt_warp_reduce_kernelILb0ELi256ElDF16_fDF16_EviiT3_lPKT2_lT1_lS3_lS4_lS0_lPT4_lS4_li.num_named_barrier, 0
	.set _ZL32rocblas_gemvt_warp_reduce_kernelILb0ELi256ElDF16_fDF16_EviiT3_lPKT2_lT1_lS3_lS4_lS0_lPT4_lS4_li.private_seg_size, 0
	.set _ZL32rocblas_gemvt_warp_reduce_kernelILb0ELi256ElDF16_fDF16_EviiT3_lPKT2_lT1_lS3_lS4_lS0_lPT4_lS4_li.uses_vcc, 1
	.set _ZL32rocblas_gemvt_warp_reduce_kernelILb0ELi256ElDF16_fDF16_EviiT3_lPKT2_lT1_lS3_lS4_lS0_lPT4_lS4_li.uses_flat_scratch, 0
	.set _ZL32rocblas_gemvt_warp_reduce_kernelILb0ELi256ElDF16_fDF16_EviiT3_lPKT2_lT1_lS3_lS4_lS0_lPT4_lS4_li.has_dyn_sized_stack, 0
	.set _ZL32rocblas_gemvt_warp_reduce_kernelILb0ELi256ElDF16_fDF16_EviiT3_lPKT2_lT1_lS3_lS4_lS0_lPT4_lS4_li.has_recursion, 0
	.set _ZL32rocblas_gemvt_warp_reduce_kernelILb0ELi256ElDF16_fDF16_EviiT3_lPKT2_lT1_lS3_lS4_lS0_lPT4_lS4_li.has_indirect_call, 0
	.section	.AMDGPU.csdata,"",@progbits
; Kernel info:
; codeLenInByte = 1360
; TotalNumSgprs: 46
; NumVgprs: 22
; ScratchSize: 0
; MemoryBound: 0
; FloatMode: 240
; IeeeMode: 1
; LDSByteSize: 128 bytes/workgroup (compile time only)
; SGPRBlocks: 0
; VGPRBlocks: 1
; NumSGPRsForWavesPerEU: 46
; NumVGPRsForWavesPerEU: 22
; NamedBarCnt: 0
; Occupancy: 16
; WaveLimiterHint : 0
; COMPUTE_PGM_RSRC2:SCRATCH_EN: 0
; COMPUTE_PGM_RSRC2:USER_SGPR: 2
; COMPUTE_PGM_RSRC2:TRAP_HANDLER: 0
; COMPUTE_PGM_RSRC2:TGID_X_EN: 1
; COMPUTE_PGM_RSRC2:TGID_Y_EN: 0
; COMPUTE_PGM_RSRC2:TGID_Z_EN: 1
; COMPUTE_PGM_RSRC2:TIDIG_COMP_CNT: 0
	.section	.text._ZL20rocblas_gemvt_kernelILb0ELi256EDF16_PKfDF16_EviiT2_lPKT1_lilS5_lilS2_lPT3_lili,"axG",@progbits,_ZL20rocblas_gemvt_kernelILb0ELi256EDF16_PKfDF16_EviiT2_lPKT1_lilS5_lilS2_lPT3_lili,comdat
	.globl	_ZL20rocblas_gemvt_kernelILb0ELi256EDF16_PKfDF16_EviiT2_lPKT1_lilS5_lilS2_lPT3_lili ; -- Begin function _ZL20rocblas_gemvt_kernelILb0ELi256EDF16_PKfDF16_EviiT2_lPKT1_lilS5_lilS2_lPT3_lili
	.p2align	8
	.type	_ZL20rocblas_gemvt_kernelILb0ELi256EDF16_PKfDF16_EviiT2_lPKT1_lilS5_lilS2_lPT3_lili,@function
_ZL20rocblas_gemvt_kernelILb0ELi256EDF16_PKfDF16_EviiT2_lPKT1_lilS5_lilS2_lPT3_lili: ; @_ZL20rocblas_gemvt_kernelILb0ELi256EDF16_PKfDF16_EviiT2_lPKT1_lilS5_lilS2_lPT3_lili
; %bb.0:
	s_load_b32 s33, s[0:1], 0x88
	s_bfe_u32 s2, ttmp6, 0x40014
	s_lshr_b32 s3, ttmp7, 16
	s_add_co_i32 s2, s2, 1
	s_bfe_u32 s4, ttmp6, 0x40008
	s_mul_i32 s2, s3, s2
	s_getreg_b32 s7, hwreg(HW_REG_IB_STS2, 6, 4)
	s_add_co_i32 s4, s4, s2
	s_cmp_eq_u32 s7, 0
	s_mov_b32 s35, 0
	s_cselect_b32 s34, s3, s4
	s_wait_kmcnt 0x0
	s_cmp_ge_u32 s34, s33
	s_cbranch_scc1 .LBB406_41
; %bb.1:
	s_clause 0x4
	s_load_b32 s2, s[0:1], 0x28
	s_load_b96 s[4:6], s[0:1], 0x40
	s_load_b96 s[8:10], s[0:1], 0x70
	s_load_b256 s[12:19], s[0:1], 0x8
	s_load_b32 s46, s[0:1], 0x0
	s_bfe_u32 s3, ttmp6, 0x4000c
	s_and_b32 s11, ttmp6, 15
	s_add_co_i32 s3, s3, 1
	s_load_b128 s[28:31], s[0:1], 0x30
	s_mul_i32 s3, ttmp9, s3
	s_load_b64 s[36:37], s[0:1], 0x80
	s_add_co_i32 s11, s11, s3
	s_load_b256 s[20:27], s[0:1], 0x50
	v_lshlrev_b32_e32 v14, 2, v0
	s_wait_kmcnt 0x0
	s_ashr_i32 s3, s2, 31
	s_ashr_i32 s39, s6, 31
	;; [unrolled: 1-line block ×3, first 2 shown]
	s_lshl_b64 s[4:5], s[4:5], 1
	s_lshl_b64 s[8:9], s[8:9], 1
	;; [unrolled: 1-line block ×3, first 2 shown]
	s_cmp_eq_u32 s7, 0
	s_mov_b32 s38, s6
	s_cselect_b32 s44, ttmp9, s11
	s_ashr_i32 s7, s46, 31
	v_cmp_gt_i32_e32 vcc_lo, s46, v0
	s_lshr_b32 s0, s7, 24
	s_ashr_i32 s45, s44, 31
	s_add_co_i32 s0, s46, s0
	s_mul_u64 s[2:3], s[2:3], s[44:45]
	s_and_b32 s18, s0, 0xffffff00
	s_delay_alu instid0(SALU_CYCLE_1) | instskip(SKIP_3) | instid1(VALU_DEP_1)
	v_dual_mov_b32 v3, 0 :: v_dual_bitop2_b32 v8, s18, v0 bitop3:0x54
	s_add_nc_u64 s[0:1], s[16:17], s[42:43]
	s_add_nc_u64 s[26:27], s[26:27], s[8:9]
	s_lshl_b64 s[8:9], s[2:3], 1
	v_dual_mov_b32 v1, v3 :: v_dual_ashrrev_i32 v9, 31, v8
	s_mov_b32 s40, s10
	s_add_nc_u64 s[10:11], s[30:31], s[4:5]
	s_add_nc_u64 s[30:31], s[8:9], s[42:43]
	s_delay_alu instid0(VALU_DEP_1)
	v_mul_u64_e32 v[10:11], s[38:39], v[0:1]
	v_mul_u64_e32 v[4:5], s[38:39], v[8:9]
	v_cndmask_b32_e32 v1, 0, v0, vcc_lo
	s_add_nc_u64 s[16:17], s[16:17], s[30:31]
	v_cmp_gt_u32_e64 s2, 0x80, v0
	v_cmp_gt_u32_e64 s3, 64, v0
	v_cmp_gt_u32_e64 s4, 32, v0
	v_lshlrev_b32_e32 v2, 1, v1
	v_cmp_gt_u32_e64 s5, 16, v0
	v_cmp_gt_u32_e64 s6, 8, v0
	;; [unrolled: 1-line block ×3, first 2 shown]
	s_mul_u64 s[40:41], s[40:41], s[44:45]
	v_add_nc_u64_e32 v[6:7], s[0:1], v[2:3]
	v_cmp_gt_i32_e64 s1, s46, v8
	v_add_nc_u64_e32 v[8:9], s[16:17], v[2:3]
	v_cmp_eq_u32_e64 s0, 0, v0
	s_cmp_gt_i32 s46, 0xff
	s_cselect_b32 s44, -1, 0
	v_add_nc_u64_e32 v[6:7], s[8:9], v[6:7]
	v_cmp_gt_u32_e64 s8, 2, v0
	s_ashr_i32 s19, s18, 31
	s_lshl_b64 s[16:17], s[20:21], 1
	s_lshl_b64 s[30:31], s[38:39], 9
	;; [unrolled: 1-line block ×4, first 2 shown]
	v_lshl_add_u64 v[0:1], v[10:11], 1, s[10:11]
	s_branch .LBB406_4
.LBB406_2:                              ;   in Loop: Header=BB406_4 Depth=1
	s_wait_xcnt 0x0
	s_or_b32 exec_lo, exec_lo, s9
.LBB406_3:                              ;   in Loop: Header=BB406_4 Depth=1
	s_add_co_i32 s34, s34, 0x10000
	s_delay_alu instid0(SALU_CYCLE_1)
	s_cmp_lt_u32 s34, s33
	s_cbranch_scc0 .LBB406_41
.LBB406_4:                              ; =>This Loop Header: Depth=1
                                        ;     Child Loop BB406_15 Depth 2
	s_mul_u64 s[42:43], s[14:15], s[34:35]
	s_wait_xcnt 0x0
	s_mul_u64 s[46:47], s[24:25], s[34:35]
	s_lshl_b64 s[42:43], s[42:43], 2
	s_lshl_b64 s[46:47], s[46:47], 2
	s_add_nc_u64 s[42:43], s[12:13], s[42:43]
	s_add_nc_u64 s[46:47], s[22:23], s[46:47]
	s_clause 0x1
	global_load_b32 v2, v3, s[42:43]
	global_load_b32 v10, v3, s[46:47]
	s_wait_loadcnt 0x1
	v_cmp_eq_f32_e32 vcc_lo, 0, v2
	s_wait_loadcnt 0x0
	v_cmp_eq_f32_e64 s9, 1.0, v10
	s_wait_xcnt 0x1
	s_and_b32 s42, vcc_lo, s9
	v_readfirstlane_b32 s9, v10
	s_and_b32 vcc_lo, exec_lo, s42
	s_cbranch_vccnz .LBB406_3
; %bb.5:                                ;   in Loop: Header=BB406_4 Depth=1
	v_cmp_neq_f32_e32 vcc_lo, 0, v2
	s_mul_u64 s[42:43], s[36:37], s[34:35]
	s_delay_alu instid0(SALU_CYCLE_1) | instskip(NEXT) | instid1(SALU_CYCLE_1)
	s_lshl_b64 s[42:43], s[42:43], 1
	s_add_nc_u64 s[42:43], s[26:27], s[42:43]
	s_cbranch_vccnz .LBB406_9
; %bb.6:                                ;   in Loop: Header=BB406_4 Depth=1
	s_wait_xcnt 0x0
	s_mov_b32 s46, 0
	s_mov_b32 s45, 0
                                        ; implicit-def: $vgpr10
	s_and_saveexec_b32 s47, s0
	s_cbranch_execz .LBB406_10
; %bb.7:                                ;   in Loop: Header=BB406_4 Depth=1
	s_cmp_eq_f32 s9, 0
	s_cbranch_scc1 .LBB406_11
; %bb.8:                                ;   in Loop: Header=BB406_4 Depth=1
	s_add_nc_u64 s[48:49], s[42:43], s[40:41]
	global_load_u16 v10, v3, s[48:49]
	s_wait_loadcnt 0x0
	v_fma_mixlo_f16 v10, s9, v10, 0 op_sel_hi:[0,1,0]
	s_branch .LBB406_12
.LBB406_9:                              ;   in Loop: Header=BB406_4 Depth=1
	s_wait_xcnt 0x0
	s_mov_b32 s45, 0
                                        ; implicit-def: $vgpr10
	s_cbranch_execnz .LBB406_13
	s_branch .LBB406_39
.LBB406_10:                             ;   in Loop: Header=BB406_4 Depth=1
	s_or_b32 exec_lo, exec_lo, s47
	s_delay_alu instid0(SALU_CYCLE_1)
	s_and_b32 vcc_lo, exec_lo, s46
	s_cbranch_vccnz .LBB406_13
	s_branch .LBB406_39
.LBB406_11:                             ;   in Loop: Header=BB406_4 Depth=1
	v_mov_b32_e32 v10, 0
.LBB406_12:                             ;   in Loop: Header=BB406_4 Depth=1
	s_mov_b32 s45, exec_lo
	s_wait_xcnt 0x0
	s_or_b32 exec_lo, exec_lo, s47
	s_delay_alu instid0(SALU_CYCLE_1)
	s_and_b32 vcc_lo, exec_lo, s46
	s_cbranch_vccz .LBB406_39
.LBB406_13:                             ;   in Loop: Header=BB406_4 Depth=1
	v_mov_b32_e32 v15, 0
	s_and_not1_b32 vcc_lo, exec_lo, s44
	s_cbranch_vccnz .LBB406_16
; %bb.14:                               ;   in Loop: Header=BB406_4 Depth=1
	v_mad_nc_u64_u32 v[10:11], s16, s34, v[0:1]
	v_mad_nc_u64_u32 v[12:13], s38, s34, v[8:9]
	v_mov_b32_e32 v15, 0
	s_mov_b32 s46, 0
	s_delay_alu instid0(VALU_DEP_3) | instskip(NEXT) | instid1(VALU_DEP_3)
	v_mad_u32 v11, s17, s34, v11
	v_mad_u32 v13, s39, s34, v13
.LBB406_15:                             ;   Parent Loop BB406_4 Depth=1
                                        ; =>  This Inner Loop Header: Depth=2
	global_load_u16 v16, v[12:13], off
	global_load_u16 v17, v[10:11], off
	s_wait_xcnt 0x0
	v_add_nc_u64_e32 v[10:11], s[30:31], v[10:11]
	v_add_nc_u64_e32 v[12:13], 0x200, v[12:13]
	s_addk_co_i32 s46, 0x100
	s_delay_alu instid0(SALU_CYCLE_1) | instskip(SKIP_2) | instid1(VALU_DEP_1)
	s_cmp_ge_i32 s46, s18
	s_wait_loadcnt 0x0
	v_mul_f16_e32 v16, v16, v17
	v_cvt_f32_f16_e32 v16, v16
	s_delay_alu instid0(VALU_DEP_1)
	v_add_f32_e32 v15, v15, v16
	s_cbranch_scc0 .LBB406_15
.LBB406_16:                             ;   in Loop: Header=BB406_4 Depth=1
	s_and_saveexec_b32 s46, s1
	s_cbranch_execz .LBB406_18
; %bb.17:                               ;   in Loop: Header=BB406_4 Depth=1
	s_mul_u64 s[48:49], s[28:29], s[34:35]
	s_mul_u64 s[50:51], s[20:21], s[34:35]
	v_lshl_add_u64 v[10:11], s[48:49], 1, v[6:7]
	s_lshl_b64 s[48:49], s[50:51], 1
	s_delay_alu instid0(SALU_CYCLE_1) | instskip(NEXT) | instid1(SALU_CYCLE_1)
	s_add_nc_u64 s[48:49], s[10:11], s[48:49]
	v_lshl_add_u64 v[12:13], v[4:5], 1, s[48:49]
	s_delay_alu instid0(VALU_DEP_2)
	v_lshl_add_u64 v[10:11], s[18:19], 1, v[10:11]
	global_load_u16 v16, v[10:11], off
	global_load_u16 v17, v[12:13], off
	s_wait_loadcnt 0x0
	s_wait_xcnt 0x1
	v_mul_f16_e32 v10, v16, v17
	s_delay_alu instid0(VALU_DEP_1) | instskip(NEXT) | instid1(VALU_DEP_1)
	v_cvt_f32_f16_e32 v10, v10
	v_add_f32_e32 v15, v15, v10
.LBB406_18:                             ;   in Loop: Header=BB406_4 Depth=1
	s_wait_xcnt 0x0
	s_or_b32 exec_lo, exec_lo, s46
	ds_store_b32 v14, v15
	s_wait_dscnt 0x0
	s_barrier_signal -1
	s_barrier_wait -1
	s_and_saveexec_b32 s46, s2
	s_cbranch_execz .LBB406_20
; %bb.19:                               ;   in Loop: Header=BB406_4 Depth=1
	ds_load_2addr_stride64_b32 v[10:11], v14 offset1:2
	s_wait_dscnt 0x0
	v_add_f32_e32 v10, v11, v10
	ds_store_b32 v14, v10
.LBB406_20:                             ;   in Loop: Header=BB406_4 Depth=1
	s_or_b32 exec_lo, exec_lo, s46
	s_wait_dscnt 0x0
	s_barrier_signal -1
	s_barrier_wait -1
	s_and_saveexec_b32 s46, s3
	s_cbranch_execz .LBB406_22
; %bb.21:                               ;   in Loop: Header=BB406_4 Depth=1
	ds_load_2addr_stride64_b32 v[10:11], v14 offset1:1
	s_wait_dscnt 0x0
	v_add_f32_e32 v10, v11, v10
	ds_store_b32 v14, v10
.LBB406_22:                             ;   in Loop: Header=BB406_4 Depth=1
	s_or_b32 exec_lo, exec_lo, s46
	s_wait_dscnt 0x0
	s_barrier_signal -1
	s_barrier_wait -1
	s_and_saveexec_b32 s46, s4
	s_cbranch_execz .LBB406_24
; %bb.23:                               ;   in Loop: Header=BB406_4 Depth=1
	ds_load_2addr_b32 v[10:11], v14 offset1:32
	s_wait_dscnt 0x0
	v_add_f32_e32 v10, v11, v10
	ds_store_b32 v14, v10
.LBB406_24:                             ;   in Loop: Header=BB406_4 Depth=1
	s_or_b32 exec_lo, exec_lo, s46
	s_wait_dscnt 0x0
	s_barrier_signal -1
	s_barrier_wait -1
	s_and_saveexec_b32 s46, s5
	s_cbranch_execz .LBB406_26
; %bb.25:                               ;   in Loop: Header=BB406_4 Depth=1
	ds_load_2addr_b32 v[10:11], v14 offset1:16
	s_wait_dscnt 0x0
	v_add_f32_e32 v10, v11, v10
	ds_store_b32 v14, v10
.LBB406_26:                             ;   in Loop: Header=BB406_4 Depth=1
	;; [unrolled: 12-line block ×5, first 2 shown]
	s_or_b32 exec_lo, exec_lo, s46
	s_wait_dscnt 0x0
	s_barrier_signal -1
	s_barrier_wait -1
	s_and_saveexec_b32 s46, s0
	s_cbranch_execz .LBB406_34
; %bb.33:                               ;   in Loop: Header=BB406_4 Depth=1
	ds_load_b64 v[10:11], v3
	s_wait_dscnt 0x0
	v_add_f32_e32 v10, v11, v10
	ds_store_b32 v3, v10
.LBB406_34:                             ;   in Loop: Header=BB406_4 Depth=1
	s_or_b32 exec_lo, exec_lo, s46
	s_wait_dscnt 0x0
	s_barrier_signal -1
	s_barrier_wait -1
                                        ; implicit-def: $vgpr10
	s_and_saveexec_b32 s46, s0
	s_cbranch_execz .LBB406_38
; %bb.35:                               ;   in Loop: Header=BB406_4 Depth=1
	ds_load_b32 v10, v3
	s_cmp_eq_f32 s9, 0
	s_wait_dscnt 0x0
	v_mul_f32_e32 v2, v2, v10
	s_cbranch_scc1 .LBB406_37
; %bb.36:                               ;   in Loop: Header=BB406_4 Depth=1
	s_add_nc_u64 s[48:49], s[42:43], s[40:41]
	global_load_u16 v10, v3, s[48:49]
	s_wait_loadcnt 0x0
	v_fma_mix_f32 v2, s9, v10, v2 op_sel_hi:[0,1,0]
.LBB406_37:                             ;   in Loop: Header=BB406_4 Depth=1
	s_delay_alu instid0(VALU_DEP_1)
	v_cvt_f16_f32_e32 v10, v2
	s_or_b32 s45, s45, exec_lo
.LBB406_38:                             ;   in Loop: Header=BB406_4 Depth=1
	s_wait_xcnt 0x0
	s_or_b32 exec_lo, exec_lo, s46
.LBB406_39:                             ;   in Loop: Header=BB406_4 Depth=1
	s_and_saveexec_b32 s9, s45
	s_cbranch_execz .LBB406_2
; %bb.40:                               ;   in Loop: Header=BB406_4 Depth=1
	s_add_nc_u64 s[42:43], s[42:43], s[40:41]
	global_store_b16 v3, v10, s[42:43]
	s_branch .LBB406_2
.LBB406_41:
	s_endpgm
	.section	.rodata,"a",@progbits
	.p2align	6, 0x0
	.amdhsa_kernel _ZL20rocblas_gemvt_kernelILb0ELi256EDF16_PKfDF16_EviiT2_lPKT1_lilS5_lilS2_lPT3_lili
		.amdhsa_group_segment_fixed_size 1024
		.amdhsa_private_segment_fixed_size 0
		.amdhsa_kernarg_size 140
		.amdhsa_user_sgpr_count 2
		.amdhsa_user_sgpr_dispatch_ptr 0
		.amdhsa_user_sgpr_queue_ptr 0
		.amdhsa_user_sgpr_kernarg_segment_ptr 1
		.amdhsa_user_sgpr_dispatch_id 0
		.amdhsa_user_sgpr_kernarg_preload_length 0
		.amdhsa_user_sgpr_kernarg_preload_offset 0
		.amdhsa_user_sgpr_private_segment_size 0
		.amdhsa_wavefront_size32 1
		.amdhsa_uses_dynamic_stack 0
		.amdhsa_enable_private_segment 0
		.amdhsa_system_sgpr_workgroup_id_x 1
		.amdhsa_system_sgpr_workgroup_id_y 0
		.amdhsa_system_sgpr_workgroup_id_z 1
		.amdhsa_system_sgpr_workgroup_info 0
		.amdhsa_system_vgpr_workitem_id 0
		.amdhsa_next_free_vgpr 18
		.amdhsa_next_free_sgpr 52
		.amdhsa_named_barrier_count 0
		.amdhsa_reserve_vcc 1
		.amdhsa_float_round_mode_32 0
		.amdhsa_float_round_mode_16_64 0
		.amdhsa_float_denorm_mode_32 3
		.amdhsa_float_denorm_mode_16_64 3
		.amdhsa_fp16_overflow 0
		.amdhsa_memory_ordered 1
		.amdhsa_forward_progress 1
		.amdhsa_inst_pref_size 12
		.amdhsa_round_robin_scheduling 0
		.amdhsa_exception_fp_ieee_invalid_op 0
		.amdhsa_exception_fp_denorm_src 0
		.amdhsa_exception_fp_ieee_div_zero 0
		.amdhsa_exception_fp_ieee_overflow 0
		.amdhsa_exception_fp_ieee_underflow 0
		.amdhsa_exception_fp_ieee_inexact 0
		.amdhsa_exception_int_div_zero 0
	.end_amdhsa_kernel
	.section	.text._ZL20rocblas_gemvt_kernelILb0ELi256EDF16_PKfDF16_EviiT2_lPKT1_lilS5_lilS2_lPT3_lili,"axG",@progbits,_ZL20rocblas_gemvt_kernelILb0ELi256EDF16_PKfDF16_EviiT2_lPKT1_lilS5_lilS2_lPT3_lili,comdat
.Lfunc_end406:
	.size	_ZL20rocblas_gemvt_kernelILb0ELi256EDF16_PKfDF16_EviiT2_lPKT1_lilS5_lilS2_lPT3_lili, .Lfunc_end406-_ZL20rocblas_gemvt_kernelILb0ELi256EDF16_PKfDF16_EviiT2_lPKT1_lilS5_lilS2_lPT3_lili
                                        ; -- End function
	.set _ZL20rocblas_gemvt_kernelILb0ELi256EDF16_PKfDF16_EviiT2_lPKT1_lilS5_lilS2_lPT3_lili.num_vgpr, 18
	.set _ZL20rocblas_gemvt_kernelILb0ELi256EDF16_PKfDF16_EviiT2_lPKT1_lilS5_lilS2_lPT3_lili.num_agpr, 0
	.set _ZL20rocblas_gemvt_kernelILb0ELi256EDF16_PKfDF16_EviiT2_lPKT1_lilS5_lilS2_lPT3_lili.numbered_sgpr, 52
	.set _ZL20rocblas_gemvt_kernelILb0ELi256EDF16_PKfDF16_EviiT2_lPKT1_lilS5_lilS2_lPT3_lili.num_named_barrier, 0
	.set _ZL20rocblas_gemvt_kernelILb0ELi256EDF16_PKfDF16_EviiT2_lPKT1_lilS5_lilS2_lPT3_lili.private_seg_size, 0
	.set _ZL20rocblas_gemvt_kernelILb0ELi256EDF16_PKfDF16_EviiT2_lPKT1_lilS5_lilS2_lPT3_lili.uses_vcc, 1
	.set _ZL20rocblas_gemvt_kernelILb0ELi256EDF16_PKfDF16_EviiT2_lPKT1_lilS5_lilS2_lPT3_lili.uses_flat_scratch, 0
	.set _ZL20rocblas_gemvt_kernelILb0ELi256EDF16_PKfDF16_EviiT2_lPKT1_lilS5_lilS2_lPT3_lili.has_dyn_sized_stack, 0
	.set _ZL20rocblas_gemvt_kernelILb0ELi256EDF16_PKfDF16_EviiT2_lPKT1_lilS5_lilS2_lPT3_lili.has_recursion, 0
	.set _ZL20rocblas_gemvt_kernelILb0ELi256EDF16_PKfDF16_EviiT2_lPKT1_lilS5_lilS2_lPT3_lili.has_indirect_call, 0
	.section	.AMDGPU.csdata,"",@progbits
; Kernel info:
; codeLenInByte = 1480
; TotalNumSgprs: 54
; NumVgprs: 18
; ScratchSize: 0
; MemoryBound: 0
; FloatMode: 240
; IeeeMode: 1
; LDSByteSize: 1024 bytes/workgroup (compile time only)
; SGPRBlocks: 0
; VGPRBlocks: 1
; NumSGPRsForWavesPerEU: 54
; NumVGPRsForWavesPerEU: 18
; NamedBarCnt: 0
; Occupancy: 16
; WaveLimiterHint : 0
; COMPUTE_PGM_RSRC2:SCRATCH_EN: 0
; COMPUTE_PGM_RSRC2:USER_SGPR: 2
; COMPUTE_PGM_RSRC2:TRAP_HANDLER: 0
; COMPUTE_PGM_RSRC2:TGID_X_EN: 1
; COMPUTE_PGM_RSRC2:TGID_Y_EN: 0
; COMPUTE_PGM_RSRC2:TGID_Z_EN: 1
; COMPUTE_PGM_RSRC2:TIDIG_COMP_CNT: 0
	.section	.text._ZL20rocblas_gemvt_kernelILb0ELi256EDF16_fDF16_EviiT2_lPKT1_lilS3_lilS0_lPT3_lili,"axG",@progbits,_ZL20rocblas_gemvt_kernelILb0ELi256EDF16_fDF16_EviiT2_lPKT1_lilS3_lilS0_lPT3_lili,comdat
	.globl	_ZL20rocblas_gemvt_kernelILb0ELi256EDF16_fDF16_EviiT2_lPKT1_lilS3_lilS0_lPT3_lili ; -- Begin function _ZL20rocblas_gemvt_kernelILb0ELi256EDF16_fDF16_EviiT2_lPKT1_lilS3_lilS0_lPT3_lili
	.p2align	8
	.type	_ZL20rocblas_gemvt_kernelILb0ELi256EDF16_fDF16_EviiT2_lPKT1_lilS3_lilS0_lPT3_lili,@function
_ZL20rocblas_gemvt_kernelILb0ELi256EDF16_fDF16_EviiT2_lPKT1_lilS3_lilS0_lPT3_lili: ; @_ZL20rocblas_gemvt_kernelILb0ELi256EDF16_fDF16_EviiT2_lPKT1_lilS3_lilS0_lPT3_lili
; %bb.0:
	s_load_b32 s23, s[0:1], 0x88
	s_bfe_u32 s2, ttmp6, 0x40014
	s_lshr_b32 s3, ttmp7, 16
	s_add_co_i32 s2, s2, 1
	s_bfe_u32 s4, ttmp6, 0x40008
	s_mul_i32 s2, s3, s2
	s_getreg_b32 s11, hwreg(HW_REG_IB_STS2, 6, 4)
	s_add_co_i32 s4, s4, s2
	s_cmp_eq_u32 s11, 0
	s_mov_b32 s25, 0
	s_cselect_b32 s24, s3, s4
	s_wait_kmcnt 0x0
	s_cmp_ge_u32 s24, s23
	s_cbranch_scc1 .LBB407_41
; %bb.1:
	s_clause 0x8
	s_load_b32 s2, s[0:1], 0x28
	s_load_b96 s[8:10], s[0:1], 0x40
	s_load_b32 s30, s[0:1], 0x78
	s_load_b128 s[4:7], s[0:1], 0x68
	s_load_b128 s[16:19], s[0:1], 0x18
	s_load_b32 s33, s[0:1], 0x8
	s_load_b96 s[20:22], s[0:1], 0x50
	s_load_b64 s[26:27], s[0:1], 0x80
	s_load_b32 s42, s[0:1], 0x0
	v_lshlrev_b32_e32 v14, 2, v0
	s_wait_kmcnt 0x0
	s_ashr_i32 s3, s2, 31
	s_ashr_i32 s29, s10, 31
	;; [unrolled: 1-line block ×3, first 2 shown]
	s_lshl_b64 s[34:35], s[8:9], 1
	s_lshl_b64 s[6:7], s[6:7], 1
	;; [unrolled: 1-line block ×3, first 2 shown]
	s_cmp_eq_f32 s33, 0
	s_mov_b32 s28, s10
	s_cselect_b32 s9, -1, 0
	s_cmp_neq_f32 s33, 0
	s_cselect_b32 s8, -1, 0
	s_cmp_neq_f32 s22, 1.0
	s_cselect_b32 s12, -1, 0
	s_delay_alu instid0(SALU_CYCLE_1)
	s_or_b32 s38, s8, s12
	s_cmp_neq_f32 s22, 0
	s_load_b128 s[12:15], s[0:1], 0x30
	v_cmp_gt_i32_e32 vcc_lo, s42, v0
	v_mov_b32_e32 v3, 0
	s_cselect_b32 s39, -1, 0
	s_bfe_u32 s8, ttmp6, 0x4000c
	s_and_b32 s18, ttmp6, 15
	s_add_co_i32 s8, s8, 1
	s_delay_alu instid0(SALU_CYCLE_1) | instskip(NEXT) | instid1(SALU_CYCLE_1)
	s_mul_i32 s8, ttmp9, s8
	s_add_co_i32 s18, s18, s8
	s_cmp_eq_u32 s11, 0
	v_cmp_gt_u32_e64 s8, 2, v0
	s_cselect_b32 s40, ttmp9, s18
	s_wait_xcnt 0x0
	s_ashr_i32 s0, s42, 31
	s_ashr_i32 s41, s40, 31
	s_lshr_b32 s0, s0, 24
	s_mul_u64 s[2:3], s[2:3], s[40:41]
	s_add_co_i32 s0, s42, s0
	s_add_nc_u64 s[18:19], s[4:5], s[6:7]
	s_and_b32 s10, s0, 0xffffff00
	s_delay_alu instid0(SALU_CYCLE_1)
	v_dual_mov_b32 v1, v3 :: v_dual_bitop2_b32 v10, s10, v0 bitop3:0x54
	s_add_nc_u64 s[0:1], s[16:17], s[36:37]
	s_wait_kmcnt 0x0
	s_add_nc_u64 s[14:15], s[14:15], s[34:35]
	s_mul_u64 s[34:35], s[30:31], s[40:41]
	v_mul_u64_e32 v[8:9], s[28:29], v[0:1]
	v_dual_cndmask_b32 v1, 0, v0, vcc_lo :: v_dual_ashrrev_i32 v11, 31, v10
	s_lshl_b64 s[30:31], s[2:3], 1
	v_cmp_gt_u32_e64 s2, 0x80, v0
	v_cmp_gt_u32_e64 s3, 64, v0
	s_delay_alu instid0(VALU_DEP_3)
	v_lshlrev_b32_e32 v2, 1, v1
	v_mul_u64_e32 v[4:5], s[28:29], v[10:11]
	v_cmp_gt_u32_e64 s4, 32, v0
	v_cmp_gt_u32_e64 s5, 16, v0
	;; [unrolled: 1-line block ×3, first 2 shown]
	v_add_nc_u64_e32 v[6:7], s[0:1], v[2:3]
	v_cmp_eq_u32_e64 s0, 0, v0
	v_cmp_gt_u32_e64 s7, 4, v0
	v_cmp_gt_i32_e64 s1, s42, v10
	s_cmp_gt_i32 s42, 0xff
	s_cselect_b32 s40, -1, 0
	v_add_nc_u64_e32 v[6:7], s[30:31], v[6:7]
	s_add_nc_u64 s[30:31], s[30:31], s[36:37]
	s_ashr_i32 s11, s10, 31
	s_add_nc_u64 s[30:31], s[16:17], s[30:31]
	s_lshl_b64 s[16:17], s[20:21], 1
	s_lshl_b64 s[28:29], s[28:29], 9
	;; [unrolled: 1-line block ×3, first 2 shown]
	v_lshl_add_u64 v[0:1], v[8:9], 1, s[14:15]
	v_add_nc_u64_e32 v[8:9], s[30:31], v[2:3]
	s_lshl_b64 s[30:31], s[12:13], 1
	s_branch .LBB407_4
.LBB407_2:                              ;   in Loop: Header=BB407_4 Depth=1
	s_wait_xcnt 0x0
	s_or_b32 exec_lo, exec_lo, s42
.LBB407_3:                              ;   in Loop: Header=BB407_4 Depth=1
	s_add_co_i32 s24, s24, 0x10000
	s_delay_alu instid0(SALU_CYCLE_1)
	s_cmp_lt_u32 s24, s23
	s_cbranch_scc0 .LBB407_41
.LBB407_4:                              ; =>This Loop Header: Depth=1
                                        ;     Child Loop BB407_15 Depth 2
	s_and_not1_b32 vcc_lo, exec_lo, s38
	s_cbranch_vccnz .LBB407_3
; %bb.5:                                ;   in Loop: Header=BB407_4 Depth=1
	s_mul_u64 s[36:37], s[26:27], s[24:25]
	s_and_not1_b32 vcc_lo, exec_lo, s9
	s_lshl_b64 s[36:37], s[36:37], 1
	s_delay_alu instid0(SALU_CYCLE_1)
	s_add_nc_u64 s[36:37], s[18:19], s[36:37]
	s_cbranch_vccnz .LBB407_9
; %bb.6:                                ;   in Loop: Header=BB407_4 Depth=1
	s_mov_b32 s42, 0
	s_mov_b32 s41, 0
                                        ; implicit-def: $vgpr2
	s_and_saveexec_b32 s43, s0
	s_cbranch_execz .LBB407_10
; %bb.7:                                ;   in Loop: Header=BB407_4 Depth=1
	s_and_not1_b32 vcc_lo, exec_lo, s39
	s_cbranch_vccnz .LBB407_11
; %bb.8:                                ;   in Loop: Header=BB407_4 Depth=1
	s_add_nc_u64 s[44:45], s[36:37], s[34:35]
	global_load_u16 v2, v3, s[44:45]
	s_wait_loadcnt 0x0
	v_fma_mixlo_f16 v2, s22, v2, 0 op_sel_hi:[0,1,0]
	s_branch .LBB407_12
.LBB407_9:                              ;   in Loop: Header=BB407_4 Depth=1
	s_mov_b32 s41, 0
                                        ; implicit-def: $vgpr2
	s_cbranch_execnz .LBB407_13
	s_branch .LBB407_39
.LBB407_10:                             ;   in Loop: Header=BB407_4 Depth=1
	s_or_b32 exec_lo, exec_lo, s43
	s_delay_alu instid0(SALU_CYCLE_1)
	s_and_b32 vcc_lo, exec_lo, s42
	s_cbranch_vccnz .LBB407_13
	s_branch .LBB407_39
.LBB407_11:                             ;   in Loop: Header=BB407_4 Depth=1
	v_mov_b32_e32 v2, 0
.LBB407_12:                             ;   in Loop: Header=BB407_4 Depth=1
	s_mov_b32 s41, exec_lo
	s_wait_xcnt 0x0
	s_or_b32 exec_lo, exec_lo, s43
	s_delay_alu instid0(SALU_CYCLE_1)
	s_and_b32 vcc_lo, exec_lo, s42
	s_cbranch_vccz .LBB407_39
.LBB407_13:                             ;   in Loop: Header=BB407_4 Depth=1
	v_mov_b32_e32 v2, 0
	s_and_not1_b32 vcc_lo, exec_lo, s40
	s_cbranch_vccnz .LBB407_16
; %bb.14:                               ;   in Loop: Header=BB407_4 Depth=1
	v_mad_nc_u64_u32 v[10:11], s16, s24, v[0:1]
	v_mad_nc_u64_u32 v[12:13], s30, s24, v[8:9]
	v_mov_b32_e32 v2, 0
	s_mov_b32 s42, 0
	s_delay_alu instid0(VALU_DEP_3) | instskip(NEXT) | instid1(VALU_DEP_3)
	v_mad_u32 v11, s17, s24, v11
	v_mad_u32 v13, s31, s24, v13
.LBB407_15:                             ;   Parent Loop BB407_4 Depth=1
                                        ; =>  This Inner Loop Header: Depth=2
	global_load_u16 v15, v[12:13], off
	global_load_u16 v16, v[10:11], off
	s_wait_xcnt 0x0
	v_add_nc_u64_e32 v[10:11], s[28:29], v[10:11]
	v_add_nc_u64_e32 v[12:13], 0x200, v[12:13]
	s_addk_co_i32 s42, 0x100
	s_delay_alu instid0(SALU_CYCLE_1) | instskip(SKIP_2) | instid1(VALU_DEP_1)
	s_cmp_ge_i32 s42, s10
	s_wait_loadcnt 0x0
	v_mul_f16_e32 v15, v15, v16
	v_cvt_f32_f16_e32 v15, v15
	s_delay_alu instid0(VALU_DEP_1)
	v_add_f32_e32 v2, v2, v15
	s_cbranch_scc0 .LBB407_15
.LBB407_16:                             ;   in Loop: Header=BB407_4 Depth=1
	s_and_saveexec_b32 s42, s1
	s_cbranch_execz .LBB407_18
; %bb.17:                               ;   in Loop: Header=BB407_4 Depth=1
	s_mul_u64 s[44:45], s[12:13], s[24:25]
	s_mul_u64 s[46:47], s[20:21], s[24:25]
	v_lshl_add_u64 v[10:11], s[44:45], 1, v[6:7]
	s_lshl_b64 s[44:45], s[46:47], 1
	s_delay_alu instid0(SALU_CYCLE_1) | instskip(NEXT) | instid1(SALU_CYCLE_1)
	s_add_nc_u64 s[44:45], s[14:15], s[44:45]
	v_lshl_add_u64 v[12:13], v[4:5], 1, s[44:45]
	s_delay_alu instid0(VALU_DEP_2)
	v_lshl_add_u64 v[10:11], s[10:11], 1, v[10:11]
	global_load_u16 v15, v[10:11], off
	global_load_u16 v16, v[12:13], off
	s_wait_loadcnt 0x0
	s_wait_xcnt 0x1
	v_mul_f16_e32 v10, v15, v16
	s_delay_alu instid0(VALU_DEP_1) | instskip(NEXT) | instid1(VALU_DEP_1)
	v_cvt_f32_f16_e32 v10, v10
	v_add_f32_e32 v2, v2, v10
.LBB407_18:                             ;   in Loop: Header=BB407_4 Depth=1
	s_wait_xcnt 0x0
	s_or_b32 exec_lo, exec_lo, s42
	ds_store_b32 v14, v2
	s_wait_dscnt 0x0
	s_barrier_signal -1
	s_barrier_wait -1
	s_and_saveexec_b32 s42, s2
	s_cbranch_execz .LBB407_20
; %bb.19:                               ;   in Loop: Header=BB407_4 Depth=1
	ds_load_2addr_stride64_b32 v[10:11], v14 offset1:2
	s_wait_dscnt 0x0
	v_add_f32_e32 v2, v11, v10
	ds_store_b32 v14, v2
.LBB407_20:                             ;   in Loop: Header=BB407_4 Depth=1
	s_or_b32 exec_lo, exec_lo, s42
	s_wait_dscnt 0x0
	s_barrier_signal -1
	s_barrier_wait -1
	s_and_saveexec_b32 s42, s3
	s_cbranch_execz .LBB407_22
; %bb.21:                               ;   in Loop: Header=BB407_4 Depth=1
	ds_load_2addr_stride64_b32 v[10:11], v14 offset1:1
	s_wait_dscnt 0x0
	v_add_f32_e32 v2, v11, v10
	ds_store_b32 v14, v2
.LBB407_22:                             ;   in Loop: Header=BB407_4 Depth=1
	s_or_b32 exec_lo, exec_lo, s42
	s_wait_dscnt 0x0
	s_barrier_signal -1
	s_barrier_wait -1
	s_and_saveexec_b32 s42, s4
	s_cbranch_execz .LBB407_24
; %bb.23:                               ;   in Loop: Header=BB407_4 Depth=1
	ds_load_2addr_b32 v[10:11], v14 offset1:32
	s_wait_dscnt 0x0
	v_add_f32_e32 v2, v11, v10
	ds_store_b32 v14, v2
.LBB407_24:                             ;   in Loop: Header=BB407_4 Depth=1
	s_or_b32 exec_lo, exec_lo, s42
	s_wait_dscnt 0x0
	s_barrier_signal -1
	s_barrier_wait -1
	s_and_saveexec_b32 s42, s5
	s_cbranch_execz .LBB407_26
; %bb.25:                               ;   in Loop: Header=BB407_4 Depth=1
	ds_load_2addr_b32 v[10:11], v14 offset1:16
	s_wait_dscnt 0x0
	v_add_f32_e32 v2, v11, v10
	ds_store_b32 v14, v2
.LBB407_26:                             ;   in Loop: Header=BB407_4 Depth=1
	;; [unrolled: 12-line block ×5, first 2 shown]
	s_or_b32 exec_lo, exec_lo, s42
	s_wait_dscnt 0x0
	s_barrier_signal -1
	s_barrier_wait -1
	s_and_saveexec_b32 s42, s0
	s_cbranch_execz .LBB407_34
; %bb.33:                               ;   in Loop: Header=BB407_4 Depth=1
	ds_load_b64 v[10:11], v3
	s_wait_dscnt 0x0
	v_add_f32_e32 v2, v11, v10
	ds_store_b32 v3, v2
.LBB407_34:                             ;   in Loop: Header=BB407_4 Depth=1
	s_or_b32 exec_lo, exec_lo, s42
	s_wait_dscnt 0x0
	s_barrier_signal -1
	s_barrier_wait -1
                                        ; implicit-def: $vgpr2
	s_and_saveexec_b32 s42, s0
	s_cbranch_execz .LBB407_38
; %bb.35:                               ;   in Loop: Header=BB407_4 Depth=1
	ds_load_b32 v2, v3
	s_and_not1_b32 vcc_lo, exec_lo, s39
	s_wait_dscnt 0x0
	v_mul_f32_e32 v2, s33, v2
	s_cbranch_vccnz .LBB407_37
; %bb.36:                               ;   in Loop: Header=BB407_4 Depth=1
	s_add_nc_u64 s[44:45], s[36:37], s[34:35]
	global_load_u16 v10, v3, s[44:45]
	s_wait_loadcnt 0x0
	v_fma_mix_f32 v2, s22, v10, v2 op_sel_hi:[0,1,0]
.LBB407_37:                             ;   in Loop: Header=BB407_4 Depth=1
	s_delay_alu instid0(VALU_DEP_1)
	v_cvt_f16_f32_e32 v2, v2
	s_or_b32 s41, s41, exec_lo
.LBB407_38:                             ;   in Loop: Header=BB407_4 Depth=1
	s_wait_xcnt 0x0
	s_or_b32 exec_lo, exec_lo, s42
.LBB407_39:                             ;   in Loop: Header=BB407_4 Depth=1
	s_and_saveexec_b32 s42, s41
	s_cbranch_execz .LBB407_2
; %bb.40:                               ;   in Loop: Header=BB407_4 Depth=1
	s_add_nc_u64 s[36:37], s[36:37], s[34:35]
	global_store_b16 v3, v2, s[36:37]
	s_branch .LBB407_2
.LBB407_41:
	s_endpgm
	.section	.rodata,"a",@progbits
	.p2align	6, 0x0
	.amdhsa_kernel _ZL20rocblas_gemvt_kernelILb0ELi256EDF16_fDF16_EviiT2_lPKT1_lilS3_lilS0_lPT3_lili
		.amdhsa_group_segment_fixed_size 1024
		.amdhsa_private_segment_fixed_size 0
		.amdhsa_kernarg_size 140
		.amdhsa_user_sgpr_count 2
		.amdhsa_user_sgpr_dispatch_ptr 0
		.amdhsa_user_sgpr_queue_ptr 0
		.amdhsa_user_sgpr_kernarg_segment_ptr 1
		.amdhsa_user_sgpr_dispatch_id 0
		.amdhsa_user_sgpr_kernarg_preload_length 0
		.amdhsa_user_sgpr_kernarg_preload_offset 0
		.amdhsa_user_sgpr_private_segment_size 0
		.amdhsa_wavefront_size32 1
		.amdhsa_uses_dynamic_stack 0
		.amdhsa_enable_private_segment 0
		.amdhsa_system_sgpr_workgroup_id_x 1
		.amdhsa_system_sgpr_workgroup_id_y 0
		.amdhsa_system_sgpr_workgroup_id_z 1
		.amdhsa_system_sgpr_workgroup_info 0
		.amdhsa_system_vgpr_workitem_id 0
		.amdhsa_next_free_vgpr 17
		.amdhsa_next_free_sgpr 48
		.amdhsa_named_barrier_count 0
		.amdhsa_reserve_vcc 1
		.amdhsa_float_round_mode_32 0
		.amdhsa_float_round_mode_16_64 0
		.amdhsa_float_denorm_mode_32 3
		.amdhsa_float_denorm_mode_16_64 3
		.amdhsa_fp16_overflow 0
		.amdhsa_memory_ordered 1
		.amdhsa_forward_progress 1
		.amdhsa_inst_pref_size 12
		.amdhsa_round_robin_scheduling 0
		.amdhsa_exception_fp_ieee_invalid_op 0
		.amdhsa_exception_fp_denorm_src 0
		.amdhsa_exception_fp_ieee_div_zero 0
		.amdhsa_exception_fp_ieee_overflow 0
		.amdhsa_exception_fp_ieee_underflow 0
		.amdhsa_exception_fp_ieee_inexact 0
		.amdhsa_exception_int_div_zero 0
	.end_amdhsa_kernel
	.section	.text._ZL20rocblas_gemvt_kernelILb0ELi256EDF16_fDF16_EviiT2_lPKT1_lilS3_lilS0_lPT3_lili,"axG",@progbits,_ZL20rocblas_gemvt_kernelILb0ELi256EDF16_fDF16_EviiT2_lPKT1_lilS3_lilS0_lPT3_lili,comdat
.Lfunc_end407:
	.size	_ZL20rocblas_gemvt_kernelILb0ELi256EDF16_fDF16_EviiT2_lPKT1_lilS3_lilS0_lPT3_lili, .Lfunc_end407-_ZL20rocblas_gemvt_kernelILb0ELi256EDF16_fDF16_EviiT2_lPKT1_lilS3_lilS0_lPT3_lili
                                        ; -- End function
	.set _ZL20rocblas_gemvt_kernelILb0ELi256EDF16_fDF16_EviiT2_lPKT1_lilS3_lilS0_lPT3_lili.num_vgpr, 17
	.set _ZL20rocblas_gemvt_kernelILb0ELi256EDF16_fDF16_EviiT2_lPKT1_lilS3_lilS0_lPT3_lili.num_agpr, 0
	.set _ZL20rocblas_gemvt_kernelILb0ELi256EDF16_fDF16_EviiT2_lPKT1_lilS3_lilS0_lPT3_lili.numbered_sgpr, 48
	.set _ZL20rocblas_gemvt_kernelILb0ELi256EDF16_fDF16_EviiT2_lPKT1_lilS3_lilS0_lPT3_lili.num_named_barrier, 0
	.set _ZL20rocblas_gemvt_kernelILb0ELi256EDF16_fDF16_EviiT2_lPKT1_lilS3_lilS0_lPT3_lili.private_seg_size, 0
	.set _ZL20rocblas_gemvt_kernelILb0ELi256EDF16_fDF16_EviiT2_lPKT1_lilS3_lilS0_lPT3_lili.uses_vcc, 1
	.set _ZL20rocblas_gemvt_kernelILb0ELi256EDF16_fDF16_EviiT2_lPKT1_lilS3_lilS0_lPT3_lili.uses_flat_scratch, 0
	.set _ZL20rocblas_gemvt_kernelILb0ELi256EDF16_fDF16_EviiT2_lPKT1_lilS3_lilS0_lPT3_lili.has_dyn_sized_stack, 0
	.set _ZL20rocblas_gemvt_kernelILb0ELi256EDF16_fDF16_EviiT2_lPKT1_lilS3_lilS0_lPT3_lili.has_recursion, 0
	.set _ZL20rocblas_gemvt_kernelILb0ELi256EDF16_fDF16_EviiT2_lPKT1_lilS3_lilS0_lPT3_lili.has_indirect_call, 0
	.section	.AMDGPU.csdata,"",@progbits
; Kernel info:
; codeLenInByte = 1448
; TotalNumSgprs: 50
; NumVgprs: 17
; ScratchSize: 0
; MemoryBound: 0
; FloatMode: 240
; IeeeMode: 1
; LDSByteSize: 1024 bytes/workgroup (compile time only)
; SGPRBlocks: 0
; VGPRBlocks: 1
; NumSGPRsForWavesPerEU: 50
; NumVGPRsForWavesPerEU: 17
; NamedBarCnt: 0
; Occupancy: 16
; WaveLimiterHint : 0
; COMPUTE_PGM_RSRC2:SCRATCH_EN: 0
; COMPUTE_PGM_RSRC2:USER_SGPR: 2
; COMPUTE_PGM_RSRC2:TRAP_HANDLER: 0
; COMPUTE_PGM_RSRC2:TGID_X_EN: 1
; COMPUTE_PGM_RSRC2:TGID_Y_EN: 0
; COMPUTE_PGM_RSRC2:TGID_Z_EN: 1
; COMPUTE_PGM_RSRC2:TIDIG_COMP_CNT: 0
	.section	.text._ZL32rocblas_gemvt_warp_reduce_kernelILb0ELi1024EiDF16_PKfDF16_EviiT3_lPKT2_lT1_lS5_lS6_lS2_lPT4_lS6_li,"axG",@progbits,_ZL32rocblas_gemvt_warp_reduce_kernelILb0ELi1024EiDF16_PKfDF16_EviiT3_lPKT2_lT1_lS5_lS6_lS2_lPT4_lS6_li,comdat
	.globl	_ZL32rocblas_gemvt_warp_reduce_kernelILb0ELi1024EiDF16_PKfDF16_EviiT3_lPKT2_lT1_lS5_lS6_lS2_lPT4_lS6_li ; -- Begin function _ZL32rocblas_gemvt_warp_reduce_kernelILb0ELi1024EiDF16_PKfDF16_EviiT3_lPKT2_lT1_lS5_lS6_lS2_lPT4_lS6_li
	.p2align	8
	.type	_ZL32rocblas_gemvt_warp_reduce_kernelILb0ELi1024EiDF16_PKfDF16_EviiT3_lPKT2_lT1_lS5_lS6_lS2_lPT4_lS6_li,@function
_ZL32rocblas_gemvt_warp_reduce_kernelILb0ELi1024EiDF16_PKfDF16_EviiT3_lPKT2_lT1_lS5_lS6_lS2_lPT4_lS6_li: ; @_ZL32rocblas_gemvt_warp_reduce_kernelILb0ELi1024EiDF16_PKfDF16_EviiT3_lPKT2_lT1_lS5_lS6_lS2_lPT4_lS6_li
; %bb.0:
	s_load_b32 s33, s[0:1], 0x88
	s_bfe_u32 s2, ttmp6, 0x40014
	s_lshr_b32 s3, ttmp7, 16
	s_add_co_i32 s2, s2, 1
	s_bfe_u32 s5, ttmp6, 0x40008
	s_mul_i32 s4, s3, s2
	s_getreg_b32 s2, hwreg(HW_REG_IB_STS2, 6, 4)
	s_add_co_i32 s5, s5, s4
	s_cmp_eq_u32 s2, 0
	s_mov_b32 s35, 0
	s_cselect_b32 s34, s3, s5
	s_wait_kmcnt 0x0
	s_cmp_ge_u32 s34, s33
	s_cbranch_scc1 .LBB408_34
; %bb.1:
	s_clause 0x7
	s_load_b96 s[4:6], s[0:1], 0x40
	s_load_b96 s[28:30], s[0:1], 0x70
	s_load_b256 s[8:15], s[0:1], 0x8
	s_load_b32 s7, s[0:1], 0x0
	s_load_b32 s31, s[0:1], 0x28
	s_load_b128 s[24:27], s[0:1], 0x30
	s_load_b256 s[16:23], s[0:1], 0x50
	s_load_b64 s[36:37], s[0:1], 0x80
	s_wait_xcnt 0x0
	s_bfe_u32 s1, ttmp6, 0x4000c
	s_and_b32 s3, ttmp6, 15
	s_add_co_i32 s1, s1, 1
	v_dual_mov_b32 v3, 0 :: v_dual_bitop2_b32 v8, 31, v0 bitop3:0x40
	s_mul_i32 s1, ttmp9, s1
	v_mbcnt_lo_u32_b32 v13, -1, 0
	s_add_co_i32 s3, s3, s1
	v_cmp_eq_u32_e64 s0, 0, v0
	v_cmp_gt_u32_e64 s1, 32, v0
	s_delay_alu instid0(VALU_DEP_3)
	v_lshl_or_b32 v14, v13, 2, 64
	s_wait_kmcnt 0x0
	s_lshl_b64 s[4:5], s[4:5], 1
	s_lshl_b64 s[28:29], s[28:29], 1
	;; [unrolled: 1-line block ×3, first 2 shown]
	v_cmp_gt_i32_e32 vcc_lo, s7, v0
	s_cmp_eq_u32 s2, 0
	v_lshrrev_b32_e32 v10, 3, v0
	s_cselect_b32 s15, ttmp9, s3
	s_ashr_i32 s2, s7, 31
	v_cndmask_b32_e32 v2, 0, v0, vcc_lo
	s_lshr_b32 s2, s2, 22
	v_lshlrev_b32_e32 v1, 2, v8
	s_add_co_i32 s2, s7, s2
	s_add_nc_u64 s[26:27], s[26:27], s[4:5]
	s_and_b32 s14, s2, 0xfffffc00
	s_delay_alu instid0(SALU_CYCLE_1) | instskip(SKIP_3) | instid1(VALU_DEP_2)
	v_dual_lshlrev_b32 v2, 1, v2 :: v_dual_bitop2_b32 v5, s14, v0 bitop3:0x54
	s_add_nc_u64 s[2:3], s[12:13], s[38:39]
	s_mul_i32 s4, s31, s15
	v_mul_lo_u32 v12, v0, s6
	v_add_nc_u64_e32 v[6:7], s[2:3], v[2:3]
	v_mul_lo_u32 v4, s6, v5
	s_ashr_i32 s5, s4, 31
	s_add_nc_u64 s[22:23], s[22:23], s[28:29]
	s_lshl_b64 s[4:5], s[4:5], 1
	s_mul_i32 s28, s30, s15
	v_cmp_gt_i32_e64 s2, s14, v0
	v_add_nc_u64_e32 v[6:7], s[4:5], v[6:7]
	s_add_nc_u64 s[4:5], s[38:39], s[4:5]
	v_cmp_gt_i32_e64 s3, s7, v5
	s_add_nc_u64 s[12:13], s[12:13], s[4:5]
	v_cmp_eq_u32_e64 s4, 0, v8
	v_add_nc_u64_e32 v[8:9], s[12:13], v[2:3]
	v_ashrrev_i32_e32 v5, 31, v4
	v_and_b32_e32 v2, 0x7c, v10
	s_ashr_i32 s29, s28, 31
	s_ashr_i32 s15, s14, 31
	s_lshl_b32 s38, s6, 10
	s_lshl_b64 s[6:7], s[24:25], 1
	s_lshl_b64 s[12:13], s[28:29], 1
	s_branch .LBB408_4
.LBB408_2:                              ;   in Loop: Header=BB408_4 Depth=1
	s_wait_xcnt 0x0
	s_or_b32 exec_lo, exec_lo, s5
.LBB408_3:                              ;   in Loop: Header=BB408_4 Depth=1
	s_add_co_i32 s34, s34, 0x10000
	s_delay_alu instid0(SALU_CYCLE_1)
	s_cmp_lt_u32 s34, s33
	s_cbranch_scc0 .LBB408_34
.LBB408_4:                              ; =>This Loop Header: Depth=1
                                        ;     Child Loop BB408_23 Depth 2
	s_mul_u64 s[28:29], s[10:11], s[34:35]
	s_wait_xcnt 0x0
	s_mul_u64 s[30:31], s[20:21], s[34:35]
	s_lshl_b64 s[28:29], s[28:29], 2
	s_lshl_b64 s[30:31], s[30:31], 2
	s_add_nc_u64 s[28:29], s[8:9], s[28:29]
	s_add_nc_u64 s[30:31], s[18:19], s[30:31]
	s_clause 0x1
	global_load_b32 v15, v3, s[28:29]
	global_load_b32 v10, v3, s[30:31]
	s_wait_loadcnt 0x1
	v_cmp_eq_f32_e32 vcc_lo, 0, v15
	s_wait_loadcnt 0x0
	v_cmp_eq_f32_e64 s5, 1.0, v10
	s_wait_xcnt 0x1
	s_and_b32 s28, vcc_lo, s5
	v_readfirstlane_b32 s5, v10
	s_and_b32 vcc_lo, exec_lo, s28
	s_cbranch_vccnz .LBB408_3
; %bb.5:                                ;   in Loop: Header=BB408_4 Depth=1
	v_cmp_neq_f32_e32 vcc_lo, 0, v15
	s_mul_u64 s[28:29], s[36:37], s[34:35]
	s_delay_alu instid0(SALU_CYCLE_1) | instskip(NEXT) | instid1(SALU_CYCLE_1)
	s_lshl_b64 s[28:29], s[28:29], 1
	s_add_nc_u64 s[28:29], s[22:23], s[28:29]
	s_cbranch_vccnz .LBB408_9
; %bb.6:                                ;   in Loop: Header=BB408_4 Depth=1
	s_wait_xcnt 0x0
	s_mov_b32 s30, 0
	s_mov_b32 s39, 0
                                        ; implicit-def: $vgpr10
	s_and_saveexec_b32 s31, s0
	s_cbranch_execz .LBB408_10
; %bb.7:                                ;   in Loop: Header=BB408_4 Depth=1
	s_cmp_eq_f32 s5, 0
	s_cbranch_scc1 .LBB408_11
; %bb.8:                                ;   in Loop: Header=BB408_4 Depth=1
	s_add_nc_u64 s[40:41], s[28:29], s[12:13]
	global_load_u16 v10, v3, s[40:41]
	s_wait_loadcnt 0x0
	v_fma_mixlo_f16 v10, s5, v10, 0 op_sel_hi:[0,1,0]
	s_branch .LBB408_12
.LBB408_9:                              ;   in Loop: Header=BB408_4 Depth=1
	s_wait_xcnt 0x0
	s_mov_b32 s39, 0
                                        ; implicit-def: $vgpr10
	s_cbranch_execnz .LBB408_13
	s_branch .LBB408_32
.LBB408_10:                             ;   in Loop: Header=BB408_4 Depth=1
	s_or_b32 exec_lo, exec_lo, s31
	s_delay_alu instid0(SALU_CYCLE_1)
	s_and_b32 vcc_lo, exec_lo, s30
	s_cbranch_vccnz .LBB408_13
	s_branch .LBB408_32
.LBB408_11:                             ;   in Loop: Header=BB408_4 Depth=1
	v_mov_b32_e32 v10, 0
.LBB408_12:                             ;   in Loop: Header=BB408_4 Depth=1
	s_mov_b32 s39, exec_lo
	s_wait_xcnt 0x0
	s_or_b32 exec_lo, exec_lo, s31
	s_delay_alu instid0(SALU_CYCLE_1)
	s_and_b32 vcc_lo, exec_lo, s30
	s_cbranch_vccz .LBB408_32
.LBB408_13:                             ;   in Loop: Header=BB408_4 Depth=1
	s_mul_u64 s[30:31], s[16:17], s[34:35]
	v_mov_b32_e32 v16, 0
	s_lshl_b64 s[30:31], s[30:31], 1
	s_delay_alu instid0(SALU_CYCLE_1)
	s_add_nc_u64 s[30:31], s[26:27], s[30:31]
	s_and_saveexec_b32 s40, s2
	s_cbranch_execnz .LBB408_22
; %bb.14:                               ;   in Loop: Header=BB408_4 Depth=1
	s_or_b32 exec_lo, exec_lo, s40
	s_and_saveexec_b32 s40, s3
	s_cbranch_execnz .LBB408_25
.LBB408_15:                             ;   in Loop: Header=BB408_4 Depth=1
	s_or_b32 exec_lo, exec_lo, s40
	s_and_saveexec_b32 s30, s1
.LBB408_16:                             ;   in Loop: Header=BB408_4 Depth=1
	ds_store_b32 v1, v3
.LBB408_17:                             ;   in Loop: Header=BB408_4 Depth=1
	s_or_b32 exec_lo, exec_lo, s30
	ds_bpermute_b32 v11, v14, v16
	v_cmp_gt_u32_e32 vcc_lo, 24, v13
	s_wait_dscnt 0x0
	s_barrier_signal -1
	s_barrier_wait -1
	v_cndmask_b32_e64 v10, 0, 8, vcc_lo
	v_cmp_gt_u32_e32 vcc_lo, 28, v13
	s_delay_alu instid0(VALU_DEP_2)
	v_add_lshl_u32 v10, v10, v13, 2
	v_add_f32_e32 v16, v16, v11
	v_cndmask_b32_e64 v11, 0, 4, vcc_lo
	v_cmp_gt_u32_e32 vcc_lo, 30, v13
	ds_bpermute_b32 v17, v10, v16
	v_add_lshl_u32 v11, v11, v13, 2
	s_wait_dscnt 0x0
	v_add_f32_e32 v17, v16, v17
	v_cndmask_b32_e64 v16, 0, 2, vcc_lo
	v_cmp_ne_u32_e32 vcc_lo, 31, v13
	ds_bpermute_b32 v18, v11, v17
	v_add_lshl_u32 v16, v16, v13, 2
	v_add_co_ci_u32_e64 v19, null, 0, v13, vcc_lo
	s_wait_dscnt 0x0
	v_add_f32_e32 v17, v17, v18
	ds_bpermute_b32 v18, v16, v17
	s_wait_dscnt 0x0
	v_dual_add_f32 v18, v17, v18 :: v_dual_lshlrev_b32 v17, 2, v19
	ds_bpermute_b32 v19, v17, v18
	s_and_saveexec_b32 s30, s4
	s_cbranch_execz .LBB408_19
; %bb.18:                               ;   in Loop: Header=BB408_4 Depth=1
	s_wait_dscnt 0x0
	v_add_f32_e32 v18, v18, v19
	ds_store_b32 v2, v18
.LBB408_19:                             ;   in Loop: Header=BB408_4 Depth=1
	s_or_b32 exec_lo, exec_lo, s30
	v_mov_b32_e32 v18, 0
	s_wait_dscnt 0x0
	s_barrier_signal -1
	s_barrier_wait -1
	s_and_saveexec_b32 s30, s1
	s_cbranch_execnz .LBB408_26
; %bb.20:                               ;   in Loop: Header=BB408_4 Depth=1
	s_or_b32 exec_lo, exec_lo, s30
	s_and_saveexec_b32 s30, s1
	s_cbranch_execnz .LBB408_27
.LBB408_21:                             ;   in Loop: Header=BB408_4 Depth=1
	s_or_b32 exec_lo, exec_lo, s30
                                        ; implicit-def: $vgpr10
	s_and_saveexec_b32 s30, s0
	s_cbranch_execnz .LBB408_28
	s_branch .LBB408_31
.LBB408_22:                             ;   in Loop: Header=BB408_4 Depth=1
	v_mad_nc_u64_u32 v[10:11], s6, s34, v[8:9]
	v_dual_mov_b32 v16, 0 :: v_dual_mov_b32 v17, v0
	s_wait_dscnt 0x0
	v_mov_b32_e32 v18, v12
	s_mov_b32 s41, 0
	s_delay_alu instid0(VALU_DEP_3)
	v_mad_u32 v11, s7, s34, v11
.LBB408_23:                             ;   Parent Loop BB408_4 Depth=1
                                        ; =>  This Inner Loop Header: Depth=2
	global_load_u16 v19, v[10:11], off
	global_load_u16 v20, v18, s[30:31] scale_offset
	s_wait_xcnt 0x1
	v_add_nc_u64_e32 v[10:11], 0x800, v[10:11]
	s_wait_xcnt 0x0
	v_add_nc_u32_e32 v18, s38, v18
	s_wait_loadcnt 0x0
	v_mul_f16_e32 v19, v19, v20
	s_delay_alu instid0(VALU_DEP_1) | instskip(NEXT) | instid1(VALU_DEP_1)
	v_cvt_f32_f16_e32 v19, v19
	v_dual_add_f32 v16, v16, v19 :: v_dual_add_nc_u32 v17, 0x400, v17
	s_delay_alu instid0(VALU_DEP_1) | instskip(SKIP_1) | instid1(SALU_CYCLE_1)
	v_cmp_le_i32_e32 vcc_lo, s14, v17
	s_or_b32 s41, vcc_lo, s41
	s_and_not1_b32 exec_lo, exec_lo, s41
	s_cbranch_execnz .LBB408_23
; %bb.24:                               ;   in Loop: Header=BB408_4 Depth=1
	s_or_b32 exec_lo, exec_lo, s41
	s_delay_alu instid0(SALU_CYCLE_1)
	s_or_b32 exec_lo, exec_lo, s40
	s_and_saveexec_b32 s40, s3
	s_cbranch_execz .LBB408_15
.LBB408_25:                             ;   in Loop: Header=BB408_4 Depth=1
	s_mul_u64 s[42:43], s[24:25], s[34:35]
	s_wait_dscnt 0x0
	v_lshl_add_u64 v[18:19], v[4:5], 1, s[30:31]
	v_lshl_add_u64 v[10:11], s[42:43], 1, v[6:7]
	s_delay_alu instid0(VALU_DEP_1)
	v_lshl_add_u64 v[10:11], s[14:15], 1, v[10:11]
	global_load_u16 v17, v[10:11], off
	global_load_u16 v20, v[18:19], off
	s_wait_loadcnt 0x0
	s_wait_xcnt 0x1
	v_mul_f16_e32 v10, v17, v20
	s_delay_alu instid0(VALU_DEP_1) | instskip(NEXT) | instid1(VALU_DEP_1)
	v_cvt_f32_f16_e32 v10, v10
	v_add_f32_e32 v16, v16, v10
	s_wait_xcnt 0x0
	s_or_b32 exec_lo, exec_lo, s40
	s_and_saveexec_b32 s30, s1
	s_cbranch_execnz .LBB408_16
	s_branch .LBB408_17
.LBB408_26:                             ;   in Loop: Header=BB408_4 Depth=1
	ds_load_b32 v18, v1
	s_or_b32 exec_lo, exec_lo, s30
	s_and_saveexec_b32 s30, s1
	s_cbranch_execz .LBB408_21
.LBB408_27:                             ;   in Loop: Header=BB408_4 Depth=1
	s_wait_dscnt 0x0
	ds_bpermute_b32 v19, v14, v18
	s_wait_dscnt 0x0
	v_add_f32_e32 v18, v18, v19
	ds_bpermute_b32 v10, v10, v18
	s_wait_dscnt 0x0
	v_add_f32_e32 v10, v18, v10
	;; [unrolled: 3-line block ×5, first 2 shown]
	s_or_b32 exec_lo, exec_lo, s30
                                        ; implicit-def: $vgpr10
	s_and_saveexec_b32 s30, s0
	s_cbranch_execz .LBB408_31
.LBB408_28:                             ;   in Loop: Header=BB408_4 Depth=1
	s_wait_dscnt 0x0
	v_mul_f32_e32 v10, v15, v18
	s_cmp_eq_f32 s5, 0
	s_cbranch_scc1 .LBB408_30
; %bb.29:                               ;   in Loop: Header=BB408_4 Depth=1
	s_add_nc_u64 s[40:41], s[28:29], s[12:13]
	global_load_u16 v11, v3, s[40:41]
	s_wait_loadcnt 0x0
	v_fma_mix_f32 v10, s5, v11, v10 op_sel_hi:[0,1,0]
.LBB408_30:                             ;   in Loop: Header=BB408_4 Depth=1
	s_delay_alu instid0(VALU_DEP_1)
	v_cvt_f16_f32_e32 v10, v10
	s_or_b32 s39, s39, exec_lo
.LBB408_31:                             ;   in Loop: Header=BB408_4 Depth=1
	s_wait_xcnt 0x0
	s_or_b32 exec_lo, exec_lo, s30
.LBB408_32:                             ;   in Loop: Header=BB408_4 Depth=1
	s_and_saveexec_b32 s5, s39
	s_cbranch_execz .LBB408_2
; %bb.33:                               ;   in Loop: Header=BB408_4 Depth=1
	s_add_nc_u64 s[28:29], s[28:29], s[12:13]
	global_store_b16 v3, v10, s[28:29]
	s_branch .LBB408_2
.LBB408_34:
	s_endpgm
	.section	.rodata,"a",@progbits
	.p2align	6, 0x0
	.amdhsa_kernel _ZL32rocblas_gemvt_warp_reduce_kernelILb0ELi1024EiDF16_PKfDF16_EviiT3_lPKT2_lT1_lS5_lS6_lS2_lPT4_lS6_li
		.amdhsa_group_segment_fixed_size 128
		.amdhsa_private_segment_fixed_size 0
		.amdhsa_kernarg_size 140
		.amdhsa_user_sgpr_count 2
		.amdhsa_user_sgpr_dispatch_ptr 0
		.amdhsa_user_sgpr_queue_ptr 0
		.amdhsa_user_sgpr_kernarg_segment_ptr 1
		.amdhsa_user_sgpr_dispatch_id 0
		.amdhsa_user_sgpr_kernarg_preload_length 0
		.amdhsa_user_sgpr_kernarg_preload_offset 0
		.amdhsa_user_sgpr_private_segment_size 0
		.amdhsa_wavefront_size32 1
		.amdhsa_uses_dynamic_stack 0
		.amdhsa_enable_private_segment 0
		.amdhsa_system_sgpr_workgroup_id_x 1
		.amdhsa_system_sgpr_workgroup_id_y 0
		.amdhsa_system_sgpr_workgroup_id_z 1
		.amdhsa_system_sgpr_workgroup_info 0
		.amdhsa_system_vgpr_workitem_id 0
		.amdhsa_next_free_vgpr 21
		.amdhsa_next_free_sgpr 44
		.amdhsa_named_barrier_count 0
		.amdhsa_reserve_vcc 1
		.amdhsa_float_round_mode_32 0
		.amdhsa_float_round_mode_16_64 0
		.amdhsa_float_denorm_mode_32 3
		.amdhsa_float_denorm_mode_16_64 3
		.amdhsa_fp16_overflow 0
		.amdhsa_memory_ordered 1
		.amdhsa_forward_progress 1
		.amdhsa_inst_pref_size 12
		.amdhsa_round_robin_scheduling 0
		.amdhsa_exception_fp_ieee_invalid_op 0
		.amdhsa_exception_fp_denorm_src 0
		.amdhsa_exception_fp_ieee_div_zero 0
		.amdhsa_exception_fp_ieee_overflow 0
		.amdhsa_exception_fp_ieee_underflow 0
		.amdhsa_exception_fp_ieee_inexact 0
		.amdhsa_exception_int_div_zero 0
	.end_amdhsa_kernel
	.section	.text._ZL32rocblas_gemvt_warp_reduce_kernelILb0ELi1024EiDF16_PKfDF16_EviiT3_lPKT2_lT1_lS5_lS6_lS2_lPT4_lS6_li,"axG",@progbits,_ZL32rocblas_gemvt_warp_reduce_kernelILb0ELi1024EiDF16_PKfDF16_EviiT3_lPKT2_lT1_lS5_lS6_lS2_lPT4_lS6_li,comdat
.Lfunc_end408:
	.size	_ZL32rocblas_gemvt_warp_reduce_kernelILb0ELi1024EiDF16_PKfDF16_EviiT3_lPKT2_lT1_lS5_lS6_lS2_lPT4_lS6_li, .Lfunc_end408-_ZL32rocblas_gemvt_warp_reduce_kernelILb0ELi1024EiDF16_PKfDF16_EviiT3_lPKT2_lT1_lS5_lS6_lS2_lPT4_lS6_li
                                        ; -- End function
	.set _ZL32rocblas_gemvt_warp_reduce_kernelILb0ELi1024EiDF16_PKfDF16_EviiT3_lPKT2_lT1_lS5_lS6_lS2_lPT4_lS6_li.num_vgpr, 21
	.set _ZL32rocblas_gemvt_warp_reduce_kernelILb0ELi1024EiDF16_PKfDF16_EviiT3_lPKT2_lT1_lS5_lS6_lS2_lPT4_lS6_li.num_agpr, 0
	.set _ZL32rocblas_gemvt_warp_reduce_kernelILb0ELi1024EiDF16_PKfDF16_EviiT3_lPKT2_lT1_lS5_lS6_lS2_lPT4_lS6_li.numbered_sgpr, 44
	.set _ZL32rocblas_gemvt_warp_reduce_kernelILb0ELi1024EiDF16_PKfDF16_EviiT3_lPKT2_lT1_lS5_lS6_lS2_lPT4_lS6_li.num_named_barrier, 0
	.set _ZL32rocblas_gemvt_warp_reduce_kernelILb0ELi1024EiDF16_PKfDF16_EviiT3_lPKT2_lT1_lS5_lS6_lS2_lPT4_lS6_li.private_seg_size, 0
	.set _ZL32rocblas_gemvt_warp_reduce_kernelILb0ELi1024EiDF16_PKfDF16_EviiT3_lPKT2_lT1_lS5_lS6_lS2_lPT4_lS6_li.uses_vcc, 1
	.set _ZL32rocblas_gemvt_warp_reduce_kernelILb0ELi1024EiDF16_PKfDF16_EviiT3_lPKT2_lT1_lS5_lS6_lS2_lPT4_lS6_li.uses_flat_scratch, 0
	.set _ZL32rocblas_gemvt_warp_reduce_kernelILb0ELi1024EiDF16_PKfDF16_EviiT3_lPKT2_lT1_lS5_lS6_lS2_lPT4_lS6_li.has_dyn_sized_stack, 0
	.set _ZL32rocblas_gemvt_warp_reduce_kernelILb0ELi1024EiDF16_PKfDF16_EviiT3_lPKT2_lT1_lS5_lS6_lS2_lPT4_lS6_li.has_recursion, 0
	.set _ZL32rocblas_gemvt_warp_reduce_kernelILb0ELi1024EiDF16_PKfDF16_EviiT3_lPKT2_lT1_lS5_lS6_lS2_lPT4_lS6_li.has_indirect_call, 0
	.section	.AMDGPU.csdata,"",@progbits
; Kernel info:
; codeLenInByte = 1452
; TotalNumSgprs: 46
; NumVgprs: 21
; ScratchSize: 0
; MemoryBound: 0
; FloatMode: 240
; IeeeMode: 1
; LDSByteSize: 128 bytes/workgroup (compile time only)
; SGPRBlocks: 0
; VGPRBlocks: 1
; NumSGPRsForWavesPerEU: 46
; NumVGPRsForWavesPerEU: 21
; NamedBarCnt: 0
; Occupancy: 16
; WaveLimiterHint : 0
; COMPUTE_PGM_RSRC2:SCRATCH_EN: 0
; COMPUTE_PGM_RSRC2:USER_SGPR: 2
; COMPUTE_PGM_RSRC2:TRAP_HANDLER: 0
; COMPUTE_PGM_RSRC2:TGID_X_EN: 1
; COMPUTE_PGM_RSRC2:TGID_Y_EN: 0
; COMPUTE_PGM_RSRC2:TGID_Z_EN: 1
; COMPUTE_PGM_RSRC2:TIDIG_COMP_CNT: 0
	.section	.text._ZL32rocblas_gemvt_warp_reduce_kernelILb0ELi1024ElDF16_PKfDF16_EviiT3_lPKT2_lT1_lS5_lS6_lS2_lPT4_lS6_li,"axG",@progbits,_ZL32rocblas_gemvt_warp_reduce_kernelILb0ELi1024ElDF16_PKfDF16_EviiT3_lPKT2_lT1_lS5_lS6_lS2_lPT4_lS6_li,comdat
	.globl	_ZL32rocblas_gemvt_warp_reduce_kernelILb0ELi1024ElDF16_PKfDF16_EviiT3_lPKT2_lT1_lS5_lS6_lS2_lPT4_lS6_li ; -- Begin function _ZL32rocblas_gemvt_warp_reduce_kernelILb0ELi1024ElDF16_PKfDF16_EviiT3_lPKT2_lT1_lS5_lS6_lS2_lPT4_lS6_li
	.p2align	8
	.type	_ZL32rocblas_gemvt_warp_reduce_kernelILb0ELi1024ElDF16_PKfDF16_EviiT3_lPKT2_lT1_lS5_lS6_lS2_lPT4_lS6_li,@function
_ZL32rocblas_gemvt_warp_reduce_kernelILb0ELi1024ElDF16_PKfDF16_EviiT3_lPKT2_lT1_lS5_lS6_lS2_lPT4_lS6_li: ; @_ZL32rocblas_gemvt_warp_reduce_kernelILb0ELi1024ElDF16_PKfDF16_EviiT3_lPKT2_lT1_lS5_lS6_lS2_lPT4_lS6_li
; %bb.0:
	s_load_b32 s30, s[0:1], 0x88
	s_bfe_u32 s2, ttmp6, 0x40014
	s_lshr_b32 s3, ttmp7, 16
	s_add_co_i32 s2, s2, 1
	s_bfe_u32 s5, ttmp6, 0x40008
	s_mul_i32 s4, s3, s2
	s_getreg_b32 s2, hwreg(HW_REG_IB_STS2, 6, 4)
	s_add_co_i32 s5, s5, s4
	s_cmp_eq_u32 s2, 0
	s_mov_b32 s7, 0
	s_cselect_b32 s6, s3, s5
	s_wait_kmcnt 0x0
	s_cmp_ge_u32 s6, s30
	s_cbranch_scc1 .LBB409_34
; %bb.1:
	s_clause 0x2
	s_load_b512 s[8:23], s[0:1], 0x8
	s_load_b512 s[36:51], s[0:1], 0x48
	s_load_b32 s28, s[0:1], 0x0
	s_wait_xcnt 0x0
	s_bfe_u32 s0, ttmp6, 0x4000c
	s_and_b32 s1, ttmp6, 15
	s_add_co_i32 s0, s0, 1
	v_mbcnt_lo_u32_b32 v16, -1, 0
	s_mul_i32 s0, ttmp9, s0
	s_delay_alu instid0(SALU_CYCLE_1)
	s_add_co_i32 s3, s1, s0
	s_wait_kmcnt 0x0
	s_lshl_b64 s[0:1], s[22:23], 1
	s_lshl_b64 s[4:5], s[46:47], 1
	;; [unrolled: 1-line block ×3, first 2 shown]
	s_cmp_eq_u32 s2, 0
	v_cmp_gt_i32_e32 vcc_lo, s28, v0
	s_cselect_b32 s2, ttmp9, s3
	s_ashr_i32 s3, s28, 31
	s_add_nc_u64 s[22:23], s[12:13], s[24:25]
	s_lshr_b32 s3, s3, 22
	s_add_nc_u64 s[20:21], s[20:21], s[0:1]
	s_add_co_i32 s3, s28, s3
	v_cmp_eq_u32_e64 s0, 0, v0
	s_and_b32 s14, s3, 0xfffffc00
	s_delay_alu instid0(SALU_CYCLE_1) | instskip(SKIP_3) | instid1(VALU_DEP_3)
	v_dual_mov_b32 v3, 0 :: v_dual_bitop2_b32 v8, s14, v0 bitop3:0x54
	v_cndmask_b32_e32 v2, 0, v0, vcc_lo
	s_ashr_i32 s3, s2, 31
	v_cmp_gt_i32_e64 s1, s14, v0
	v_dual_mov_b32 v1, v3 :: v_dual_ashrrev_i32 v9, 31, v8
	s_delay_alu instid0(VALU_DEP_3) | instskip(SKIP_2) | instid1(VALU_DEP_2)
	v_lshlrev_b32_e32 v2, 1, v2
	s_mul_u64 s[26:27], s[48:49], s[2:3]
	s_ashr_i32 s15, s14, 31
	v_mul_u64_e32 v[10:11], s[36:37], v[0:1]
	v_mul_u64_e32 v[4:5], s[36:37], v[8:9]
	v_add_nc_u64_e32 v[6:7], s[22:23], v[2:3]
	s_add_nc_u64 s[22:23], s[44:45], s[4:5]
	s_mul_u64 s[4:5], s[16:17], s[2:3]
	v_and_b32_e32 v9, 31, v0
	s_lshl_b64 s[4:5], s[4:5], 1
	v_cmp_gt_i32_e64 s2, s28, v8
	v_lshrrev_b32_e32 v8, 3, v0
	s_add_nc_u64 s[16:17], s[4:5], s[24:25]
	v_add_nc_u64_e32 v[6:7], s[4:5], v[6:7]
	s_add_nc_u64 s[12:13], s[12:13], s[16:17]
	v_lshlrev_b32_e32 v1, 2, v9
	v_cmp_eq_u32_e64 s4, 0, v9
	v_and_b32_e32 v17, 0x7c, v8
	v_add_nc_u64_e32 v[8:9], s[12:13], v[2:3]
	v_cmp_gt_u32_e64 s3, 32, v0
	v_lshl_or_b32 v2, v16, 2, 64
	s_lshl_b64 s[12:13], s[18:19], 1
	s_lshl_b64 s[16:17], s[38:39], 1
	;; [unrolled: 1-line block ×4, first 2 shown]
	v_lshl_add_u64 v[10:11], v[10:11], 1, s[20:21]
	s_branch .LBB409_4
.LBB409_2:                              ;   in Loop: Header=BB409_4 Depth=1
	s_wait_xcnt 0x0
	s_or_b32 exec_lo, exec_lo, s5
.LBB409_3:                              ;   in Loop: Header=BB409_4 Depth=1
	s_add_co_i32 s6, s6, 0x10000
	s_delay_alu instid0(SALU_CYCLE_1)
	s_cmp_lt_u32 s6, s30
	s_cbranch_scc0 .LBB409_34
.LBB409_4:                              ; =>This Loop Header: Depth=1
                                        ;     Child Loop BB409_23 Depth 2
	s_mul_u64 s[28:29], s[10:11], s[6:7]
	s_wait_xcnt 0x0
	s_mul_u64 s[34:35], s[42:43], s[6:7]
	s_lshl_b64 s[28:29], s[28:29], 2
	s_lshl_b64 s[34:35], s[34:35], 2
	s_add_nc_u64 s[28:29], s[8:9], s[28:29]
	s_add_nc_u64 s[34:35], s[40:41], s[34:35]
	s_clause 0x1
	global_load_b32 v18, v3, s[28:29]
	global_load_b32 v12, v3, s[34:35]
	s_wait_loadcnt 0x1
	v_cmp_eq_f32_e32 vcc_lo, 0, v18
	s_wait_loadcnt 0x0
	v_cmp_eq_f32_e64 s5, 1.0, v12
	s_wait_xcnt 0x1
	s_and_b32 s28, vcc_lo, s5
	v_readfirstlane_b32 s5, v12
	s_and_b32 vcc_lo, exec_lo, s28
	s_cbranch_vccnz .LBB409_3
; %bb.5:                                ;   in Loop: Header=BB409_4 Depth=1
	v_cmp_neq_f32_e32 vcc_lo, 0, v18
	s_mul_u64 s[28:29], s[50:51], s[6:7]
	s_delay_alu instid0(SALU_CYCLE_1) | instskip(NEXT) | instid1(SALU_CYCLE_1)
	s_lshl_b64 s[28:29], s[28:29], 1
	s_add_nc_u64 s[28:29], s[22:23], s[28:29]
	s_cbranch_vccnz .LBB409_9
; %bb.6:                                ;   in Loop: Header=BB409_4 Depth=1
	s_mov_b32 s33, 0
	s_mov_b32 s31, 0
                                        ; implicit-def: $vgpr12
	s_wait_xcnt 0x0
	s_and_saveexec_b32 s34, s0
	s_cbranch_execz .LBB409_10
; %bb.7:                                ;   in Loop: Header=BB409_4 Depth=1
	s_cmp_eq_f32 s5, 0
	s_cbranch_scc1 .LBB409_11
; %bb.8:                                ;   in Loop: Header=BB409_4 Depth=1
	s_add_nc_u64 s[36:37], s[28:29], s[26:27]
	global_load_u16 v12, v3, s[36:37]
	s_wait_loadcnt 0x0
	v_fma_mixlo_f16 v12, s5, v12, 0 op_sel_hi:[0,1,0]
	s_branch .LBB409_12
.LBB409_9:                              ;   in Loop: Header=BB409_4 Depth=1
	s_mov_b32 s31, 0
                                        ; implicit-def: $vgpr12
	s_cbranch_execnz .LBB409_13
	s_branch .LBB409_32
.LBB409_10:                             ;   in Loop: Header=BB409_4 Depth=1
	s_or_b32 exec_lo, exec_lo, s34
	s_delay_alu instid0(SALU_CYCLE_1)
	s_and_b32 vcc_lo, exec_lo, s33
	s_cbranch_vccnz .LBB409_13
	s_branch .LBB409_32
.LBB409_11:                             ;   in Loop: Header=BB409_4 Depth=1
	v_mov_b32_e32 v12, 0
.LBB409_12:                             ;   in Loop: Header=BB409_4 Depth=1
	s_mov_b32 s31, exec_lo
	s_wait_xcnt 0x0
	s_or_b32 exec_lo, exec_lo, s34
	s_delay_alu instid0(SALU_CYCLE_1)
	s_and_b32 vcc_lo, exec_lo, s33
	s_cbranch_vccz .LBB409_32
.LBB409_13:                             ;   in Loop: Header=BB409_4 Depth=1
	s_wait_dscnt 0x0
	v_mov_b32_e32 v19, 0
	s_wait_xcnt 0x0
	s_and_saveexec_b32 s33, s1
	s_cbranch_execnz .LBB409_22
; %bb.14:                               ;   in Loop: Header=BB409_4 Depth=1
	s_or_b32 exec_lo, exec_lo, s33
	s_and_saveexec_b32 s33, s2
	s_cbranch_execnz .LBB409_25
.LBB409_15:                             ;   in Loop: Header=BB409_4 Depth=1
	s_or_b32 exec_lo, exec_lo, s33
	s_and_saveexec_b32 s33, s3
.LBB409_16:                             ;   in Loop: Header=BB409_4 Depth=1
	ds_store_b32 v1, v3
.LBB409_17:                             ;   in Loop: Header=BB409_4 Depth=1
	s_or_b32 exec_lo, exec_lo, s33
	ds_bpermute_b32 v13, v2, v19
	v_cmp_gt_u32_e32 vcc_lo, 24, v16
	s_wait_dscnt 0x0
	s_barrier_signal -1
	s_barrier_wait -1
	v_cndmask_b32_e64 v12, 0, 8, vcc_lo
	v_cmp_gt_u32_e32 vcc_lo, 28, v16
	s_delay_alu instid0(VALU_DEP_2)
	v_add_lshl_u32 v12, v12, v16, 2
	v_add_f32_e32 v14, v19, v13
	v_cndmask_b32_e64 v13, 0, 4, vcc_lo
	v_cmp_gt_u32_e32 vcc_lo, 30, v16
	ds_bpermute_b32 v15, v12, v14
	v_add_lshl_u32 v13, v13, v16, 2
	s_wait_dscnt 0x0
	v_add_f32_e32 v15, v14, v15
	v_cndmask_b32_e64 v14, 0, 2, vcc_lo
	v_cmp_ne_u32_e32 vcc_lo, 31, v16
	ds_bpermute_b32 v19, v13, v15
	v_add_lshl_u32 v14, v14, v16, 2
	v_add_co_ci_u32_e64 v20, null, 0, v16, vcc_lo
	s_wait_dscnt 0x0
	v_add_f32_e32 v15, v15, v19
	ds_bpermute_b32 v19, v14, v15
	s_wait_dscnt 0x0
	v_dual_add_f32 v19, v15, v19 :: v_dual_lshlrev_b32 v15, 2, v20
	ds_bpermute_b32 v20, v15, v19
	s_and_saveexec_b32 s33, s4
	s_cbranch_execz .LBB409_19
; %bb.18:                               ;   in Loop: Header=BB409_4 Depth=1
	s_wait_dscnt 0x0
	v_add_f32_e32 v19, v19, v20
	ds_store_b32 v17, v19
.LBB409_19:                             ;   in Loop: Header=BB409_4 Depth=1
	s_or_b32 exec_lo, exec_lo, s33
	v_mov_b32_e32 v19, 0
	s_wait_dscnt 0x0
	s_barrier_signal -1
	s_barrier_wait -1
	s_and_saveexec_b32 s33, s3
	s_cbranch_execnz .LBB409_26
; %bb.20:                               ;   in Loop: Header=BB409_4 Depth=1
	s_or_b32 exec_lo, exec_lo, s33
	s_and_saveexec_b32 s33, s3
	s_cbranch_execnz .LBB409_27
.LBB409_21:                             ;   in Loop: Header=BB409_4 Depth=1
	s_or_b32 exec_lo, exec_lo, s33
                                        ; implicit-def: $vgpr12
	s_and_saveexec_b32 s33, s0
	s_cbranch_execnz .LBB409_28
	s_branch .LBB409_31
.LBB409_22:                             ;   in Loop: Header=BB409_4 Depth=1
	v_mad_nc_u64_u32 v[12:13], s12, s6, v[8:9]
	v_mad_nc_u64_u32 v[14:15], s16, s6, v[10:11]
	v_dual_mov_b32 v19, 0 :: v_dual_mov_b32 v20, v0
	s_mov_b32 s34, 0
	s_delay_alu instid0(VALU_DEP_3) | instskip(NEXT) | instid1(VALU_DEP_3)
	v_mad_u32 v13, s13, s6, v13
	v_mad_u32 v15, s17, s6, v15
.LBB409_23:                             ;   Parent Loop BB409_4 Depth=1
                                        ; =>  This Inner Loop Header: Depth=2
	global_load_u16 v21, v[12:13], off
	global_load_u16 v22, v[14:15], off
	s_wait_xcnt 0x1
	v_add_nc_u64_e32 v[12:13], 0x800, v[12:13]
	s_wait_xcnt 0x0
	v_add_nc_u64_e32 v[14:15], s[24:25], v[14:15]
	s_wait_loadcnt 0x0
	v_mul_f16_e32 v21, v21, v22
	s_delay_alu instid0(VALU_DEP_1) | instskip(NEXT) | instid1(VALU_DEP_1)
	v_cvt_f32_f16_e32 v21, v21
	v_dual_add_f32 v19, v19, v21 :: v_dual_add_nc_u32 v20, 0x400, v20
	s_delay_alu instid0(VALU_DEP_1) | instskip(SKIP_1) | instid1(SALU_CYCLE_1)
	v_cmp_le_i32_e32 vcc_lo, s14, v20
	s_or_b32 s34, vcc_lo, s34
	s_and_not1_b32 exec_lo, exec_lo, s34
	s_cbranch_execnz .LBB409_23
; %bb.24:                               ;   in Loop: Header=BB409_4 Depth=1
	s_or_b32 exec_lo, exec_lo, s34
	s_delay_alu instid0(SALU_CYCLE_1)
	s_or_b32 exec_lo, exec_lo, s33
	s_and_saveexec_b32 s33, s2
	s_cbranch_execz .LBB409_15
.LBB409_25:                             ;   in Loop: Header=BB409_4 Depth=1
	s_mul_u64 s[34:35], s[18:19], s[6:7]
	s_mul_u64 s[36:37], s[38:39], s[6:7]
	v_lshl_add_u64 v[12:13], s[34:35], 1, v[6:7]
	s_lshl_b64 s[34:35], s[36:37], 1
	s_delay_alu instid0(SALU_CYCLE_1) | instskip(NEXT) | instid1(SALU_CYCLE_1)
	s_add_nc_u64 s[34:35], s[20:21], s[34:35]
	v_lshl_add_u64 v[14:15], v[4:5], 1, s[34:35]
	s_delay_alu instid0(VALU_DEP_2)
	v_lshl_add_u64 v[12:13], s[14:15], 1, v[12:13]
	global_load_u16 v20, v[12:13], off
	global_load_u16 v21, v[14:15], off
	s_wait_loadcnt 0x0
	s_wait_xcnt 0x1
	v_mul_f16_e32 v12, v20, v21
	s_delay_alu instid0(VALU_DEP_1) | instskip(NEXT) | instid1(VALU_DEP_1)
	v_cvt_f32_f16_e32 v12, v12
	v_add_f32_e32 v19, v19, v12
	s_wait_xcnt 0x0
	s_or_b32 exec_lo, exec_lo, s33
	s_and_saveexec_b32 s33, s3
	s_cbranch_execnz .LBB409_16
	s_branch .LBB409_17
.LBB409_26:                             ;   in Loop: Header=BB409_4 Depth=1
	ds_load_b32 v19, v1
	s_or_b32 exec_lo, exec_lo, s33
	s_and_saveexec_b32 s33, s3
	s_cbranch_execz .LBB409_21
.LBB409_27:                             ;   in Loop: Header=BB409_4 Depth=1
	s_wait_dscnt 0x0
	ds_bpermute_b32 v20, v2, v19
	s_wait_dscnt 0x0
	v_add_f32_e32 v19, v19, v20
	ds_bpermute_b32 v12, v12, v19
	s_wait_dscnt 0x0
	v_add_f32_e32 v12, v19, v12
	;; [unrolled: 3-line block ×5, first 2 shown]
	s_or_b32 exec_lo, exec_lo, s33
                                        ; implicit-def: $vgpr12
	s_and_saveexec_b32 s33, s0
	s_cbranch_execz .LBB409_31
.LBB409_28:                             ;   in Loop: Header=BB409_4 Depth=1
	s_wait_dscnt 0x0
	v_mul_f32_e32 v12, v18, v19
	s_cmp_eq_f32 s5, 0
	s_cbranch_scc1 .LBB409_30
; %bb.29:                               ;   in Loop: Header=BB409_4 Depth=1
	s_add_nc_u64 s[34:35], s[28:29], s[26:27]
	global_load_u16 v13, v3, s[34:35]
	s_wait_loadcnt 0x0
	v_fma_mix_f32 v12, s5, v13, v12 op_sel_hi:[0,1,0]
.LBB409_30:                             ;   in Loop: Header=BB409_4 Depth=1
	s_delay_alu instid0(VALU_DEP_1)
	v_cvt_f16_f32_e32 v12, v12
	s_or_b32 s31, s31, exec_lo
.LBB409_31:                             ;   in Loop: Header=BB409_4 Depth=1
	s_wait_xcnt 0x0
	s_or_b32 exec_lo, exec_lo, s33
.LBB409_32:                             ;   in Loop: Header=BB409_4 Depth=1
	s_wait_xcnt 0x0
	s_and_saveexec_b32 s5, s31
	s_cbranch_execz .LBB409_2
; %bb.33:                               ;   in Loop: Header=BB409_4 Depth=1
	s_add_nc_u64 s[28:29], s[28:29], s[26:27]
	global_store_b16 v3, v12, s[28:29]
	s_branch .LBB409_2
.LBB409_34:
	s_endpgm
	.section	.rodata,"a",@progbits
	.p2align	6, 0x0
	.amdhsa_kernel _ZL32rocblas_gemvt_warp_reduce_kernelILb0ELi1024ElDF16_PKfDF16_EviiT3_lPKT2_lT1_lS5_lS6_lS2_lPT4_lS6_li
		.amdhsa_group_segment_fixed_size 128
		.amdhsa_private_segment_fixed_size 0
		.amdhsa_kernarg_size 140
		.amdhsa_user_sgpr_count 2
		.amdhsa_user_sgpr_dispatch_ptr 0
		.amdhsa_user_sgpr_queue_ptr 0
		.amdhsa_user_sgpr_kernarg_segment_ptr 1
		.amdhsa_user_sgpr_dispatch_id 0
		.amdhsa_user_sgpr_kernarg_preload_length 0
		.amdhsa_user_sgpr_kernarg_preload_offset 0
		.amdhsa_user_sgpr_private_segment_size 0
		.amdhsa_wavefront_size32 1
		.amdhsa_uses_dynamic_stack 0
		.amdhsa_enable_private_segment 0
		.amdhsa_system_sgpr_workgroup_id_x 1
		.amdhsa_system_sgpr_workgroup_id_y 0
		.amdhsa_system_sgpr_workgroup_id_z 1
		.amdhsa_system_sgpr_workgroup_info 0
		.amdhsa_system_vgpr_workitem_id 0
		.amdhsa_next_free_vgpr 23
		.amdhsa_next_free_sgpr 52
		.amdhsa_named_barrier_count 0
		.amdhsa_reserve_vcc 1
		.amdhsa_float_round_mode_32 0
		.amdhsa_float_round_mode_16_64 0
		.amdhsa_float_denorm_mode_32 3
		.amdhsa_float_denorm_mode_16_64 3
		.amdhsa_fp16_overflow 0
		.amdhsa_memory_ordered 1
		.amdhsa_forward_progress 1
		.amdhsa_inst_pref_size 12
		.amdhsa_round_robin_scheduling 0
		.amdhsa_exception_fp_ieee_invalid_op 0
		.amdhsa_exception_fp_denorm_src 0
		.amdhsa_exception_fp_ieee_div_zero 0
		.amdhsa_exception_fp_ieee_overflow 0
		.amdhsa_exception_fp_ieee_underflow 0
		.amdhsa_exception_fp_ieee_inexact 0
		.amdhsa_exception_int_div_zero 0
	.end_amdhsa_kernel
	.section	.text._ZL32rocblas_gemvt_warp_reduce_kernelILb0ELi1024ElDF16_PKfDF16_EviiT3_lPKT2_lT1_lS5_lS6_lS2_lPT4_lS6_li,"axG",@progbits,_ZL32rocblas_gemvt_warp_reduce_kernelILb0ELi1024ElDF16_PKfDF16_EviiT3_lPKT2_lT1_lS5_lS6_lS2_lPT4_lS6_li,comdat
.Lfunc_end409:
	.size	_ZL32rocblas_gemvt_warp_reduce_kernelILb0ELi1024ElDF16_PKfDF16_EviiT3_lPKT2_lT1_lS5_lS6_lS2_lPT4_lS6_li, .Lfunc_end409-_ZL32rocblas_gemvt_warp_reduce_kernelILb0ELi1024ElDF16_PKfDF16_EviiT3_lPKT2_lT1_lS5_lS6_lS2_lPT4_lS6_li
                                        ; -- End function
	.set _ZL32rocblas_gemvt_warp_reduce_kernelILb0ELi1024ElDF16_PKfDF16_EviiT3_lPKT2_lT1_lS5_lS6_lS2_lPT4_lS6_li.num_vgpr, 23
	.set _ZL32rocblas_gemvt_warp_reduce_kernelILb0ELi1024ElDF16_PKfDF16_EviiT3_lPKT2_lT1_lS5_lS6_lS2_lPT4_lS6_li.num_agpr, 0
	.set _ZL32rocblas_gemvt_warp_reduce_kernelILb0ELi1024ElDF16_PKfDF16_EviiT3_lPKT2_lT1_lS5_lS6_lS2_lPT4_lS6_li.numbered_sgpr, 52
	.set _ZL32rocblas_gemvt_warp_reduce_kernelILb0ELi1024ElDF16_PKfDF16_EviiT3_lPKT2_lT1_lS5_lS6_lS2_lPT4_lS6_li.num_named_barrier, 0
	.set _ZL32rocblas_gemvt_warp_reduce_kernelILb0ELi1024ElDF16_PKfDF16_EviiT3_lPKT2_lT1_lS5_lS6_lS2_lPT4_lS6_li.private_seg_size, 0
	.set _ZL32rocblas_gemvt_warp_reduce_kernelILb0ELi1024ElDF16_PKfDF16_EviiT3_lPKT2_lT1_lS5_lS6_lS2_lPT4_lS6_li.uses_vcc, 1
	.set _ZL32rocblas_gemvt_warp_reduce_kernelILb0ELi1024ElDF16_PKfDF16_EviiT3_lPKT2_lT1_lS5_lS6_lS2_lPT4_lS6_li.uses_flat_scratch, 0
	.set _ZL32rocblas_gemvt_warp_reduce_kernelILb0ELi1024ElDF16_PKfDF16_EviiT3_lPKT2_lT1_lS5_lS6_lS2_lPT4_lS6_li.has_dyn_sized_stack, 0
	.set _ZL32rocblas_gemvt_warp_reduce_kernelILb0ELi1024ElDF16_PKfDF16_EviiT3_lPKT2_lT1_lS5_lS6_lS2_lPT4_lS6_li.has_recursion, 0
	.set _ZL32rocblas_gemvt_warp_reduce_kernelILb0ELi1024ElDF16_PKfDF16_EviiT3_lPKT2_lT1_lS5_lS6_lS2_lPT4_lS6_li.has_indirect_call, 0
	.section	.AMDGPU.csdata,"",@progbits
; Kernel info:
; codeLenInByte = 1436
; TotalNumSgprs: 54
; NumVgprs: 23
; ScratchSize: 0
; MemoryBound: 0
; FloatMode: 240
; IeeeMode: 1
; LDSByteSize: 128 bytes/workgroup (compile time only)
; SGPRBlocks: 0
; VGPRBlocks: 1
; NumSGPRsForWavesPerEU: 54
; NumVGPRsForWavesPerEU: 23
; NamedBarCnt: 0
; Occupancy: 16
; WaveLimiterHint : 0
; COMPUTE_PGM_RSRC2:SCRATCH_EN: 0
; COMPUTE_PGM_RSRC2:USER_SGPR: 2
; COMPUTE_PGM_RSRC2:TRAP_HANDLER: 0
; COMPUTE_PGM_RSRC2:TGID_X_EN: 1
; COMPUTE_PGM_RSRC2:TGID_Y_EN: 0
; COMPUTE_PGM_RSRC2:TGID_Z_EN: 1
; COMPUTE_PGM_RSRC2:TIDIG_COMP_CNT: 0
	.section	.text._ZL32rocblas_gemvt_warp_reduce_kernelILb0ELi1024EiDF16_fDF16_EviiT3_lPKT2_lT1_lS3_lS4_lS0_lPT4_lS4_li,"axG",@progbits,_ZL32rocblas_gemvt_warp_reduce_kernelILb0ELi1024EiDF16_fDF16_EviiT3_lPKT2_lT1_lS3_lS4_lS0_lPT4_lS4_li,comdat
	.globl	_ZL32rocblas_gemvt_warp_reduce_kernelILb0ELi1024EiDF16_fDF16_EviiT3_lPKT2_lT1_lS3_lS4_lS0_lPT4_lS4_li ; -- Begin function _ZL32rocblas_gemvt_warp_reduce_kernelILb0ELi1024EiDF16_fDF16_EviiT3_lPKT2_lT1_lS3_lS4_lS0_lPT4_lS4_li
	.p2align	8
	.type	_ZL32rocblas_gemvt_warp_reduce_kernelILb0ELi1024EiDF16_fDF16_EviiT3_lPKT2_lT1_lS3_lS4_lS0_lPT4_lS4_li,@function
_ZL32rocblas_gemvt_warp_reduce_kernelILb0ELi1024EiDF16_fDF16_EviiT3_lPKT2_lT1_lS3_lS4_lS0_lPT4_lS4_li: ; @_ZL32rocblas_gemvt_warp_reduce_kernelILb0ELi1024EiDF16_fDF16_EviiT3_lPKT2_lT1_lS3_lS4_lS0_lPT4_lS4_li
; %bb.0:
	s_load_b32 s19, s[0:1], 0x88
	s_bfe_u32 s2, ttmp6, 0x40014
	s_lshr_b32 s4, ttmp7, 16
	s_add_co_i32 s2, s2, 1
	s_bfe_u32 s5, ttmp6, 0x40008
	s_mul_i32 s2, s4, s2
	s_getreg_b32 s3, hwreg(HW_REG_IB_STS2, 6, 4)
	s_add_co_i32 s5, s5, s2
	s_cmp_eq_u32 s3, 0
	s_mov_b32 s25, 0
	s_cselect_b32 s24, s4, s5
	s_wait_kmcnt 0x0
	s_cmp_ge_u32 s24, s19
	s_cbranch_scc1 .LBB410_34
; %bb.1:
	s_clause 0x7
	s_load_b96 s[20:22], s[0:1], 0x40
	s_load_b128 s[12:15], s[0:1], 0x68
	s_load_b128 s[4:7], s[0:1], 0x18
	s_load_b32 s30, s[0:1], 0x8
	s_load_b96 s[16:18], s[0:1], 0x50
	s_load_b128 s[8:11], s[0:1], 0x30
	s_load_b32 s23, s[0:1], 0x0
	s_load_b32 s28, s[0:1], 0x28
	v_dual_mov_b32 v3, 0 :: v_dual_bitop2_b32 v2, 31, v0 bitop3:0x40
	v_lshrrev_b32_e32 v4, 3, v0
	v_mbcnt_lo_u32_b32 v1, -1, 0
	s_delay_alu instid0(VALU_DEP_3) | instskip(SKIP_1) | instid1(VALU_DEP_4)
	v_lshlrev_b32_e32 v12, 2, v2
	v_cmp_eq_u32_e64 s2, 0, v2
	v_and_b32_e32 v13, 0x7c, v4
	s_wait_kmcnt 0x0
	s_lshl_b64 s[26:27], s[20:21], 1
	s_lshl_b64 s[14:15], s[14:15], 1
	;; [unrolled: 1-line block ×3, first 2 shown]
	s_cmp_eq_f32 s30, 0
	s_add_nc_u64 s[12:13], s[12:13], s[14:15]
	s_clause 0x1
	s_load_b32 s29, s[0:1], 0x78
	s_load_b64 s[6:7], s[0:1], 0x80
	v_cmp_gt_i32_e32 vcc_lo, s23, v0
	s_cselect_b32 s31, -1, 0
	s_cmp_neq_f32 s30, 0
	s_add_nc_u64 s[10:11], s[10:11], s[26:27]
	s_add_nc_u64 s[26:27], s[4:5], s[20:21]
	v_mul_lo_u32 v14, v0, s22
	s_cselect_b32 s33, -1, 0
	s_cmp_neq_f32 s18, 1.0
	s_wait_xcnt 0x0
	v_cmp_eq_u32_e64 s0, 0, v0
	v_cmp_gt_u32_e64 s1, 32, v0
	s_cselect_b32 s34, -1, 0
	s_delay_alu instid0(SALU_CYCLE_1)
	s_or_b32 s33, s33, s34
	s_cmp_neq_f32 s18, 0
	s_cselect_b32 s34, -1, 0
	s_bfe_u32 s35, ttmp6, 0x4000c
	s_and_b32 s36, ttmp6, 15
	s_add_co_i32 s35, s35, 1
	s_delay_alu instid0(SALU_CYCLE_1) | instskip(NEXT) | instid1(SALU_CYCLE_1)
	s_mul_i32 s35, ttmp9, s35
	s_add_co_i32 s36, s36, s35
	s_cmp_eq_u32 s3, 0
	s_cselect_b32 s3, ttmp9, s36
	s_ashr_i32 s14, s23, 31
	s_delay_alu instid0(SALU_CYCLE_1) | instskip(NEXT) | instid1(SALU_CYCLE_1)
	s_lshr_b32 s14, s14, 22
	s_add_co_i32 s14, s23, s14
	s_delay_alu instid0(SALU_CYCLE_1) | instskip(NEXT) | instid1(SALU_CYCLE_1)
	s_and_b32 s14, s14, 0xfffffc00
	v_dual_cndmask_b32 v2, 0, v0, vcc_lo :: v_dual_bitop2_b32 v5, s14, v0 bitop3:0x54
	s_ashr_i32 s15, s14, 31
	s_delay_alu instid0(VALU_DEP_1) | instskip(NEXT) | instid1(VALU_DEP_2)
	v_mul_lo_u32 v4, s22, v5
	v_lshlrev_b32_e32 v2, 1, v2
	s_delay_alu instid0(VALU_DEP_1)
	v_add_nc_u64_e32 v[6:7], s[26:27], v[2:3]
	s_mul_i32 s26, s28, s3
	s_wait_kmcnt 0x0
	s_mul_i32 s28, s29, s3
	s_ashr_i32 s27, s26, 31
	v_cmp_gt_i32_e64 s3, s14, v0
	s_lshl_b64 s[26:27], s[26:27], 1
	s_ashr_i32 s29, s28, 31
	s_add_nc_u64 s[20:21], s[20:21], s[26:27]
	v_add_nc_u64_e32 v[6:7], s[26:27], v[6:7]
	s_add_nc_u64 s[4:5], s[4:5], s[20:21]
	s_lshl_b64 s[20:21], s[8:9], 1
	v_add_nc_u64_e32 v[8:9], s[4:5], v[2:3]
	v_cmp_gt_i32_e64 s4, s23, v5
	v_ashrrev_i32_e32 v5, 31, v4
	v_lshl_or_b32 v2, v1, 2, 64
	s_lshl_b32 s5, s22, 10
	s_lshl_b64 s[22:23], s[28:29], 1
	s_branch .LBB410_4
.LBB410_2:                              ;   in Loop: Header=BB410_4 Depth=1
	s_wait_xcnt 0x0
	s_or_b32 exec_lo, exec_lo, s28
.LBB410_3:                              ;   in Loop: Header=BB410_4 Depth=1
	s_add_co_i32 s24, s24, 0x10000
	s_delay_alu instid0(SALU_CYCLE_1)
	s_cmp_lt_u32 s24, s19
	s_cbranch_scc0 .LBB410_34
.LBB410_4:                              ; =>This Loop Header: Depth=1
                                        ;     Child Loop BB410_23 Depth 2
	s_and_not1_b32 vcc_lo, exec_lo, s33
	s_cbranch_vccnz .LBB410_3
; %bb.5:                                ;   in Loop: Header=BB410_4 Depth=1
	s_mul_u64 s[26:27], s[6:7], s[24:25]
	s_and_not1_b32 vcc_lo, exec_lo, s31
	s_lshl_b64 s[26:27], s[26:27], 1
	s_delay_alu instid0(SALU_CYCLE_1)
	s_add_nc_u64 s[26:27], s[12:13], s[26:27]
	s_cbranch_vccnz .LBB410_9
; %bb.6:                                ;   in Loop: Header=BB410_4 Depth=1
	s_mov_b32 s28, 0
	s_mov_b32 s35, 0
                                        ; implicit-def: $vgpr10
	s_and_saveexec_b32 s29, s0
	s_cbranch_execz .LBB410_10
; %bb.7:                                ;   in Loop: Header=BB410_4 Depth=1
	s_and_not1_b32 vcc_lo, exec_lo, s34
	s_cbranch_vccnz .LBB410_11
; %bb.8:                                ;   in Loop: Header=BB410_4 Depth=1
	s_add_nc_u64 s[36:37], s[26:27], s[22:23]
	global_load_u16 v10, v3, s[36:37]
	s_wait_loadcnt 0x0
	v_fma_mixlo_f16 v10, s18, v10, 0 op_sel_hi:[0,1,0]
	s_branch .LBB410_12
.LBB410_9:                              ;   in Loop: Header=BB410_4 Depth=1
	s_mov_b32 s35, 0
                                        ; implicit-def: $vgpr10
	s_cbranch_execnz .LBB410_13
	s_branch .LBB410_32
.LBB410_10:                             ;   in Loop: Header=BB410_4 Depth=1
	s_or_b32 exec_lo, exec_lo, s29
	s_delay_alu instid0(SALU_CYCLE_1)
	s_and_b32 vcc_lo, exec_lo, s28
	s_cbranch_vccnz .LBB410_13
	s_branch .LBB410_32
.LBB410_11:                             ;   in Loop: Header=BB410_4 Depth=1
	v_mov_b32_e32 v10, 0
.LBB410_12:                             ;   in Loop: Header=BB410_4 Depth=1
	s_mov_b32 s35, exec_lo
	s_wait_xcnt 0x0
	s_or_b32 exec_lo, exec_lo, s29
	s_delay_alu instid0(SALU_CYCLE_1)
	s_and_b32 vcc_lo, exec_lo, s28
	s_cbranch_vccz .LBB410_32
.LBB410_13:                             ;   in Loop: Header=BB410_4 Depth=1
	s_mul_u64 s[28:29], s[16:17], s[24:25]
	v_mov_b32_e32 v15, 0
	s_lshl_b64 s[28:29], s[28:29], 1
	s_delay_alu instid0(SALU_CYCLE_1)
	s_add_nc_u64 s[28:29], s[10:11], s[28:29]
	s_and_saveexec_b32 s36, s3
	s_cbranch_execnz .LBB410_22
; %bb.14:                               ;   in Loop: Header=BB410_4 Depth=1
	s_or_b32 exec_lo, exec_lo, s36
	s_and_saveexec_b32 s36, s4
	s_cbranch_execnz .LBB410_25
.LBB410_15:                             ;   in Loop: Header=BB410_4 Depth=1
	s_or_b32 exec_lo, exec_lo, s36
	s_and_saveexec_b32 s28, s1
.LBB410_16:                             ;   in Loop: Header=BB410_4 Depth=1
	ds_store_b32 v12, v3
.LBB410_17:                             ;   in Loop: Header=BB410_4 Depth=1
	s_or_b32 exec_lo, exec_lo, s28
	ds_bpermute_b32 v11, v2, v15
	v_cmp_gt_u32_e32 vcc_lo, 24, v1
	s_wait_dscnt 0x0
	s_barrier_signal -1
	s_barrier_wait -1
	v_cndmask_b32_e64 v10, 0, 8, vcc_lo
	v_cmp_gt_u32_e32 vcc_lo, 28, v1
	s_delay_alu instid0(VALU_DEP_2)
	v_add_lshl_u32 v10, v10, v1, 2
	v_add_f32_e32 v15, v15, v11
	v_cndmask_b32_e64 v11, 0, 4, vcc_lo
	v_cmp_gt_u32_e32 vcc_lo, 30, v1
	ds_bpermute_b32 v16, v10, v15
	v_add_lshl_u32 v11, v11, v1, 2
	s_wait_dscnt 0x0
	v_add_f32_e32 v16, v15, v16
	v_cndmask_b32_e64 v15, 0, 2, vcc_lo
	v_cmp_ne_u32_e32 vcc_lo, 31, v1
	ds_bpermute_b32 v17, v11, v16
	v_add_lshl_u32 v15, v15, v1, 2
	v_add_co_ci_u32_e64 v18, null, 0, v1, vcc_lo
	s_wait_dscnt 0x0
	v_add_f32_e32 v16, v16, v17
	ds_bpermute_b32 v17, v15, v16
	s_wait_dscnt 0x0
	v_dual_add_f32 v17, v16, v17 :: v_dual_lshlrev_b32 v16, 2, v18
	ds_bpermute_b32 v18, v16, v17
	s_and_saveexec_b32 s28, s2
	s_cbranch_execz .LBB410_19
; %bb.18:                               ;   in Loop: Header=BB410_4 Depth=1
	s_wait_dscnt 0x0
	v_add_f32_e32 v17, v17, v18
	ds_store_b32 v13, v17
.LBB410_19:                             ;   in Loop: Header=BB410_4 Depth=1
	s_or_b32 exec_lo, exec_lo, s28
	v_mov_b32_e32 v17, 0
	s_wait_dscnt 0x0
	s_barrier_signal -1
	s_barrier_wait -1
	s_and_saveexec_b32 s28, s1
	s_cbranch_execnz .LBB410_26
; %bb.20:                               ;   in Loop: Header=BB410_4 Depth=1
	s_or_b32 exec_lo, exec_lo, s28
	s_and_saveexec_b32 s28, s1
	s_cbranch_execnz .LBB410_27
.LBB410_21:                             ;   in Loop: Header=BB410_4 Depth=1
	s_or_b32 exec_lo, exec_lo, s28
                                        ; implicit-def: $vgpr10
	s_and_saveexec_b32 s28, s0
	s_cbranch_execnz .LBB410_28
	s_branch .LBB410_31
.LBB410_22:                             ;   in Loop: Header=BB410_4 Depth=1
	v_mad_nc_u64_u32 v[10:11], s20, s24, v[8:9]
	v_dual_mov_b32 v15, 0 :: v_dual_mov_b32 v16, v0
	s_wait_dscnt 0x0
	v_mov_b32_e32 v17, v14
	s_mov_b32 s37, 0
	s_delay_alu instid0(VALU_DEP_3)
	v_mad_u32 v11, s21, s24, v11
.LBB410_23:                             ;   Parent Loop BB410_4 Depth=1
                                        ; =>  This Inner Loop Header: Depth=2
	global_load_u16 v18, v[10:11], off
	global_load_u16 v19, v17, s[28:29] scale_offset
	s_wait_xcnt 0x1
	v_add_nc_u64_e32 v[10:11], 0x800, v[10:11]
	s_wait_xcnt 0x0
	v_add_nc_u32_e32 v17, s5, v17
	s_wait_loadcnt 0x0
	v_mul_f16_e32 v18, v18, v19
	s_delay_alu instid0(VALU_DEP_1) | instskip(NEXT) | instid1(VALU_DEP_1)
	v_cvt_f32_f16_e32 v18, v18
	v_dual_add_f32 v15, v15, v18 :: v_dual_add_nc_u32 v16, 0x400, v16
	s_delay_alu instid0(VALU_DEP_1) | instskip(SKIP_1) | instid1(SALU_CYCLE_1)
	v_cmp_le_i32_e32 vcc_lo, s14, v16
	s_or_b32 s37, vcc_lo, s37
	s_and_not1_b32 exec_lo, exec_lo, s37
	s_cbranch_execnz .LBB410_23
; %bb.24:                               ;   in Loop: Header=BB410_4 Depth=1
	s_or_b32 exec_lo, exec_lo, s37
	s_delay_alu instid0(SALU_CYCLE_1)
	s_or_b32 exec_lo, exec_lo, s36
	s_and_saveexec_b32 s36, s4
	s_cbranch_execz .LBB410_15
.LBB410_25:                             ;   in Loop: Header=BB410_4 Depth=1
	s_mul_u64 s[38:39], s[8:9], s[24:25]
	s_wait_dscnt 0x0
	v_lshl_add_u64 v[16:17], v[4:5], 1, s[28:29]
	v_lshl_add_u64 v[10:11], s[38:39], 1, v[6:7]
	s_delay_alu instid0(VALU_DEP_1)
	v_lshl_add_u64 v[10:11], s[14:15], 1, v[10:11]
	global_load_u16 v18, v[10:11], off
	global_load_u16 v19, v[16:17], off
	s_wait_loadcnt 0x0
	s_wait_xcnt 0x1
	v_mul_f16_e32 v10, v18, v19
	s_delay_alu instid0(VALU_DEP_1) | instskip(NEXT) | instid1(VALU_DEP_1)
	v_cvt_f32_f16_e32 v10, v10
	v_add_f32_e32 v15, v15, v10
	s_wait_xcnt 0x0
	s_or_b32 exec_lo, exec_lo, s36
	s_and_saveexec_b32 s28, s1
	s_cbranch_execnz .LBB410_16
	s_branch .LBB410_17
.LBB410_26:                             ;   in Loop: Header=BB410_4 Depth=1
	ds_load_b32 v17, v12
	s_or_b32 exec_lo, exec_lo, s28
	s_and_saveexec_b32 s28, s1
	s_cbranch_execz .LBB410_21
.LBB410_27:                             ;   in Loop: Header=BB410_4 Depth=1
	s_wait_dscnt 0x0
	ds_bpermute_b32 v18, v2, v17
	s_wait_dscnt 0x0
	v_add_f32_e32 v17, v17, v18
	ds_bpermute_b32 v10, v10, v17
	s_wait_dscnt 0x0
	v_add_f32_e32 v10, v17, v10
	;; [unrolled: 3-line block ×5, first 2 shown]
	s_or_b32 exec_lo, exec_lo, s28
                                        ; implicit-def: $vgpr10
	s_and_saveexec_b32 s28, s0
	s_cbranch_execz .LBB410_31
.LBB410_28:                             ;   in Loop: Header=BB410_4 Depth=1
	s_wait_dscnt 0x0
	v_mul_f32_e32 v10, s30, v17
	s_and_not1_b32 vcc_lo, exec_lo, s34
	s_cbranch_vccnz .LBB410_30
; %bb.29:                               ;   in Loop: Header=BB410_4 Depth=1
	s_add_nc_u64 s[36:37], s[26:27], s[22:23]
	global_load_u16 v11, v3, s[36:37]
	s_wait_loadcnt 0x0
	v_fma_mix_f32 v10, s18, v11, v10 op_sel_hi:[0,1,0]
.LBB410_30:                             ;   in Loop: Header=BB410_4 Depth=1
	s_delay_alu instid0(VALU_DEP_1)
	v_cvt_f16_f32_e32 v10, v10
	s_or_b32 s35, s35, exec_lo
.LBB410_31:                             ;   in Loop: Header=BB410_4 Depth=1
	s_wait_xcnt 0x0
	s_or_b32 exec_lo, exec_lo, s28
.LBB410_32:                             ;   in Loop: Header=BB410_4 Depth=1
	s_and_saveexec_b32 s28, s35
	s_cbranch_execz .LBB410_2
; %bb.33:                               ;   in Loop: Header=BB410_4 Depth=1
	s_add_nc_u64 s[26:27], s[26:27], s[22:23]
	global_store_b16 v3, v10, s[26:27]
	s_branch .LBB410_2
.LBB410_34:
	s_endpgm
	.section	.rodata,"a",@progbits
	.p2align	6, 0x0
	.amdhsa_kernel _ZL32rocblas_gemvt_warp_reduce_kernelILb0ELi1024EiDF16_fDF16_EviiT3_lPKT2_lT1_lS3_lS4_lS0_lPT4_lS4_li
		.amdhsa_group_segment_fixed_size 128
		.amdhsa_private_segment_fixed_size 0
		.amdhsa_kernarg_size 140
		.amdhsa_user_sgpr_count 2
		.amdhsa_user_sgpr_dispatch_ptr 0
		.amdhsa_user_sgpr_queue_ptr 0
		.amdhsa_user_sgpr_kernarg_segment_ptr 1
		.amdhsa_user_sgpr_dispatch_id 0
		.amdhsa_user_sgpr_kernarg_preload_length 0
		.amdhsa_user_sgpr_kernarg_preload_offset 0
		.amdhsa_user_sgpr_private_segment_size 0
		.amdhsa_wavefront_size32 1
		.amdhsa_uses_dynamic_stack 0
		.amdhsa_enable_private_segment 0
		.amdhsa_system_sgpr_workgroup_id_x 1
		.amdhsa_system_sgpr_workgroup_id_y 0
		.amdhsa_system_sgpr_workgroup_id_z 1
		.amdhsa_system_sgpr_workgroup_info 0
		.amdhsa_system_vgpr_workitem_id 0
		.amdhsa_next_free_vgpr 20
		.amdhsa_next_free_sgpr 40
		.amdhsa_named_barrier_count 0
		.amdhsa_reserve_vcc 1
		.amdhsa_float_round_mode_32 0
		.amdhsa_float_round_mode_16_64 0
		.amdhsa_float_denorm_mode_32 3
		.amdhsa_float_denorm_mode_16_64 3
		.amdhsa_fp16_overflow 0
		.amdhsa_memory_ordered 1
		.amdhsa_forward_progress 1
		.amdhsa_inst_pref_size 12
		.amdhsa_round_robin_scheduling 0
		.amdhsa_exception_fp_ieee_invalid_op 0
		.amdhsa_exception_fp_denorm_src 0
		.amdhsa_exception_fp_ieee_div_zero 0
		.amdhsa_exception_fp_ieee_overflow 0
		.amdhsa_exception_fp_ieee_underflow 0
		.amdhsa_exception_fp_ieee_inexact 0
		.amdhsa_exception_int_div_zero 0
	.end_amdhsa_kernel
	.section	.text._ZL32rocblas_gemvt_warp_reduce_kernelILb0ELi1024EiDF16_fDF16_EviiT3_lPKT2_lT1_lS3_lS4_lS0_lPT4_lS4_li,"axG",@progbits,_ZL32rocblas_gemvt_warp_reduce_kernelILb0ELi1024EiDF16_fDF16_EviiT3_lPKT2_lT1_lS3_lS4_lS0_lPT4_lS4_li,comdat
.Lfunc_end410:
	.size	_ZL32rocblas_gemvt_warp_reduce_kernelILb0ELi1024EiDF16_fDF16_EviiT3_lPKT2_lT1_lS3_lS4_lS0_lPT4_lS4_li, .Lfunc_end410-_ZL32rocblas_gemvt_warp_reduce_kernelILb0ELi1024EiDF16_fDF16_EviiT3_lPKT2_lT1_lS3_lS4_lS0_lPT4_lS4_li
                                        ; -- End function
	.set _ZL32rocblas_gemvt_warp_reduce_kernelILb0ELi1024EiDF16_fDF16_EviiT3_lPKT2_lT1_lS3_lS4_lS0_lPT4_lS4_li.num_vgpr, 20
	.set _ZL32rocblas_gemvt_warp_reduce_kernelILb0ELi1024EiDF16_fDF16_EviiT3_lPKT2_lT1_lS3_lS4_lS0_lPT4_lS4_li.num_agpr, 0
	.set _ZL32rocblas_gemvt_warp_reduce_kernelILb0ELi1024EiDF16_fDF16_EviiT3_lPKT2_lT1_lS3_lS4_lS0_lPT4_lS4_li.numbered_sgpr, 40
	.set _ZL32rocblas_gemvt_warp_reduce_kernelILb0ELi1024EiDF16_fDF16_EviiT3_lPKT2_lT1_lS3_lS4_lS0_lPT4_lS4_li.num_named_barrier, 0
	.set _ZL32rocblas_gemvt_warp_reduce_kernelILb0ELi1024EiDF16_fDF16_EviiT3_lPKT2_lT1_lS3_lS4_lS0_lPT4_lS4_li.private_seg_size, 0
	.set _ZL32rocblas_gemvt_warp_reduce_kernelILb0ELi1024EiDF16_fDF16_EviiT3_lPKT2_lT1_lS3_lS4_lS0_lPT4_lS4_li.uses_vcc, 1
	.set _ZL32rocblas_gemvt_warp_reduce_kernelILb0ELi1024EiDF16_fDF16_EviiT3_lPKT2_lT1_lS3_lS4_lS0_lPT4_lS4_li.uses_flat_scratch, 0
	.set _ZL32rocblas_gemvt_warp_reduce_kernelILb0ELi1024EiDF16_fDF16_EviiT3_lPKT2_lT1_lS3_lS4_lS0_lPT4_lS4_li.has_dyn_sized_stack, 0
	.set _ZL32rocblas_gemvt_warp_reduce_kernelILb0ELi1024EiDF16_fDF16_EviiT3_lPKT2_lT1_lS3_lS4_lS0_lPT4_lS4_li.has_recursion, 0
	.set _ZL32rocblas_gemvt_warp_reduce_kernelILb0ELi1024EiDF16_fDF16_EviiT3_lPKT2_lT1_lS3_lS4_lS0_lPT4_lS4_li.has_indirect_call, 0
	.section	.AMDGPU.csdata,"",@progbits
; Kernel info:
; codeLenInByte = 1436
; TotalNumSgprs: 42
; NumVgprs: 20
; ScratchSize: 0
; MemoryBound: 0
; FloatMode: 240
; IeeeMode: 1
; LDSByteSize: 128 bytes/workgroup (compile time only)
; SGPRBlocks: 0
; VGPRBlocks: 1
; NumSGPRsForWavesPerEU: 42
; NumVGPRsForWavesPerEU: 20
; NamedBarCnt: 0
; Occupancy: 16
; WaveLimiterHint : 0
; COMPUTE_PGM_RSRC2:SCRATCH_EN: 0
; COMPUTE_PGM_RSRC2:USER_SGPR: 2
; COMPUTE_PGM_RSRC2:TRAP_HANDLER: 0
; COMPUTE_PGM_RSRC2:TGID_X_EN: 1
; COMPUTE_PGM_RSRC2:TGID_Y_EN: 0
; COMPUTE_PGM_RSRC2:TGID_Z_EN: 1
; COMPUTE_PGM_RSRC2:TIDIG_COMP_CNT: 0
	.section	.text._ZL32rocblas_gemvt_warp_reduce_kernelILb0ELi1024ElDF16_fDF16_EviiT3_lPKT2_lT1_lS3_lS4_lS0_lPT4_lS4_li,"axG",@progbits,_ZL32rocblas_gemvt_warp_reduce_kernelILb0ELi1024ElDF16_fDF16_EviiT3_lPKT2_lT1_lS3_lS4_lS0_lPT4_lS4_li,comdat
	.globl	_ZL32rocblas_gemvt_warp_reduce_kernelILb0ELi1024ElDF16_fDF16_EviiT3_lPKT2_lT1_lS3_lS4_lS0_lPT4_lS4_li ; -- Begin function _ZL32rocblas_gemvt_warp_reduce_kernelILb0ELi1024ElDF16_fDF16_EviiT3_lPKT2_lT1_lS3_lS4_lS0_lPT4_lS4_li
	.p2align	8
	.type	_ZL32rocblas_gemvt_warp_reduce_kernelILb0ELi1024ElDF16_fDF16_EviiT3_lPKT2_lT1_lS3_lS4_lS0_lPT4_lS4_li,@function
_ZL32rocblas_gemvt_warp_reduce_kernelILb0ELi1024ElDF16_fDF16_EviiT3_lPKT2_lT1_lS3_lS4_lS0_lPT4_lS4_li: ; @_ZL32rocblas_gemvt_warp_reduce_kernelILb0ELi1024ElDF16_fDF16_EviiT3_lPKT2_lT1_lS3_lS4_lS0_lPT4_lS4_li
; %bb.0:
	s_load_b32 s5, s[0:1], 0x88
	s_bfe_u32 s2, ttmp6, 0x40014
	s_lshr_b32 s3, ttmp7, 16
	s_add_co_i32 s2, s2, 1
	s_bfe_u32 s6, ttmp6, 0x40008
	s_mul_i32 s4, s3, s2
	s_getreg_b32 s2, hwreg(HW_REG_IB_STS2, 6, 4)
	s_add_co_i32 s6, s6, s4
	s_cmp_eq_u32 s2, 0
	s_mov_b32 s7, 0
	s_cselect_b32 s6, s3, s6
	s_wait_kmcnt 0x0
	s_cmp_ge_u32 s6, s5
	s_cbranch_scc1 .LBB411_34
; %bb.1:
	s_clause 0x4
	s_load_b512 s[8:23], s[0:1], 0x18
	s_load_b256 s[24:31], s[0:1], 0x68
	s_load_b32 s33, s[0:1], 0x8
	s_load_b32 s34, s[0:1], 0x58
	;; [unrolled: 1-line block ×3, first 2 shown]
	s_wait_kmcnt 0x0
	s_lshl_b64 s[18:19], s[18:19], 1
	s_lshl_b64 s[26:27], s[26:27], 1
	;; [unrolled: 1-line block ×3, first 2 shown]
	s_cmp_eq_f32 s33, 0
	v_cmp_gt_i32_e32 vcc_lo, s4, v0
	v_mov_b32_e32 v3, 0
	s_add_nc_u64 s[16:17], s[16:17], s[18:19]
	s_cselect_b32 s35, -1, 0
	s_cmp_neq_f32 s33, 0
	v_cndmask_b32_e32 v2, 0, v0, vcc_lo
	s_add_nc_u64 s[18:19], s[24:25], s[26:27]
	s_cselect_b32 s3, -1, 0
	s_cmp_neq_f32 s34, 1.0
	s_delay_alu instid0(VALU_DEP_1) | instskip(SKIP_1) | instid1(SALU_CYCLE_1)
	v_lshlrev_b32_e32 v2, 1, v2
	s_cselect_b32 s0, -1, 0
	s_or_b32 s36, s3, s0
	s_cmp_neq_f32 s34, 0
	s_cselect_b32 s37, -1, 0
	s_bfe_u32 s0, ttmp6, 0x4000c
	s_and_b32 s1, ttmp6, 15
	s_add_co_i32 s0, s0, 1
	s_delay_alu instid0(SALU_CYCLE_1) | instskip(NEXT) | instid1(SALU_CYCLE_1)
	s_mul_i32 s0, ttmp9, s0
	s_add_co_i32 s1, s1, s0
	s_cmp_eq_u32 s2, 0
	s_cselect_b32 s2, ttmp9, s1
	s_ashr_i32 s0, s4, 31
	s_ashr_i32 s3, s2, 31
	s_lshr_b32 s0, s0, 22
	s_mul_u64 s[12:13], s[12:13], s[2:3]
	s_add_co_i32 s0, s4, s0
	s_lshl_b64 s[12:13], s[12:13], 1
	s_and_b32 s10, s0, 0xfffffc00
	s_delay_alu instid0(SALU_CYCLE_1) | instskip(SKIP_3) | instid1(VALU_DEP_2)
	v_dual_mov_b32 v1, v3 :: v_dual_bitop2_b32 v8, s10, v0 bitop3:0x54
	s_add_nc_u64 s[0:1], s[8:9], s[38:39]
	s_mul_u64 s[24:25], s[28:29], s[2:3]
	v_cmp_gt_u32_e64 s3, 32, v0
	v_mul_u64_e32 v[10:11], s[20:21], v[0:1]
	v_ashrrev_i32_e32 v9, 31, v8
	v_add_nc_u64_e32 v[6:7], s[0:1], v[2:3]
	v_cmp_gt_i32_e64 s2, s4, v8
	v_cmp_eq_u32_e64 s0, 0, v0
	v_cmp_gt_i32_e64 s1, s10, v0
	v_mul_u64_e32 v[4:5], s[20:21], v[8:9]
	v_dual_lshrrev_b32 v8, 3, v0 :: v_dual_bitop2_b32 v9, 31, v0 bitop3:0x40
	v_add_nc_u64_e32 v[6:7], s[12:13], v[6:7]
	s_add_nc_u64 s[12:13], s[12:13], s[38:39]
	s_ashr_i32 s11, s10, 31
	s_add_nc_u64 s[8:9], s[8:9], s[12:13]
	v_lshlrev_b32_e32 v1, 2, v9
	v_cmp_eq_u32_e64 s4, 0, v9
	v_and_b32_e32 v16, 0x7c, v8
	v_add_nc_u64_e32 v[8:9], s[8:9], v[2:3]
	v_mbcnt_lo_u32_b32 v2, -1, 0
	s_lshl_b64 s[8:9], s[14:15], 1
	s_lshl_b64 s[12:13], s[22:23], 1
	;; [unrolled: 1-line block ×4, first 2 shown]
	v_lshl_or_b32 v17, v2, 2, 64
	v_lshl_add_u64 v[10:11], v[10:11], 1, s[16:17]
	s_branch .LBB411_4
.LBB411_2:                              ;   in Loop: Header=BB411_4 Depth=1
	s_wait_xcnt 0x0
	s_or_b32 exec_lo, exec_lo, s29
.LBB411_3:                              ;   in Loop: Header=BB411_4 Depth=1
	s_add_co_i32 s6, s6, 0x10000
	s_delay_alu instid0(SALU_CYCLE_1)
	s_cmp_lt_u32 s6, s5
	s_cbranch_scc0 .LBB411_34
.LBB411_4:                              ; =>This Loop Header: Depth=1
                                        ;     Child Loop BB411_23 Depth 2
	s_and_not1_b32 vcc_lo, exec_lo, s36
	s_cbranch_vccnz .LBB411_3
; %bb.5:                                ;   in Loop: Header=BB411_4 Depth=1
	s_mul_u64 s[26:27], s[30:31], s[6:7]
	s_and_not1_b32 vcc_lo, exec_lo, s35
	s_lshl_b64 s[26:27], s[26:27], 1
	s_delay_alu instid0(SALU_CYCLE_1)
	s_add_nc_u64 s[26:27], s[18:19], s[26:27]
	s_cbranch_vccnz .LBB411_9
; %bb.6:                                ;   in Loop: Header=BB411_4 Depth=1
	s_mov_b32 s29, 0
	s_mov_b32 s28, 0
                                        ; implicit-def: $vgpr12
	s_and_saveexec_b32 s38, s0
	s_cbranch_execz .LBB411_10
; %bb.7:                                ;   in Loop: Header=BB411_4 Depth=1
	s_and_not1_b32 vcc_lo, exec_lo, s37
	s_cbranch_vccnz .LBB411_11
; %bb.8:                                ;   in Loop: Header=BB411_4 Depth=1
	s_add_nc_u64 s[40:41], s[26:27], s[24:25]
	global_load_u16 v12, v3, s[40:41]
	s_wait_loadcnt 0x0
	v_fma_mixlo_f16 v12, s34, v12, 0 op_sel_hi:[0,1,0]
	s_branch .LBB411_12
.LBB411_9:                              ;   in Loop: Header=BB411_4 Depth=1
	s_mov_b32 s28, 0
                                        ; implicit-def: $vgpr12
	s_cbranch_execnz .LBB411_13
	s_branch .LBB411_32
.LBB411_10:                             ;   in Loop: Header=BB411_4 Depth=1
	s_or_b32 exec_lo, exec_lo, s38
	s_delay_alu instid0(SALU_CYCLE_1)
	s_and_b32 vcc_lo, exec_lo, s29
	s_cbranch_vccnz .LBB411_13
	s_branch .LBB411_32
.LBB411_11:                             ;   in Loop: Header=BB411_4 Depth=1
	v_mov_b32_e32 v12, 0
.LBB411_12:                             ;   in Loop: Header=BB411_4 Depth=1
	s_mov_b32 s28, exec_lo
	s_wait_xcnt 0x0
	s_or_b32 exec_lo, exec_lo, s38
	s_delay_alu instid0(SALU_CYCLE_1)
	s_and_b32 vcc_lo, exec_lo, s29
	s_cbranch_vccz .LBB411_32
.LBB411_13:                             ;   in Loop: Header=BB411_4 Depth=1
	s_wait_dscnt 0x0
	v_mov_b32_e32 v18, 0
	s_and_saveexec_b32 s29, s1
	s_cbranch_execnz .LBB411_22
; %bb.14:                               ;   in Loop: Header=BB411_4 Depth=1
	s_or_b32 exec_lo, exec_lo, s29
	s_and_saveexec_b32 s29, s2
	s_cbranch_execnz .LBB411_25
.LBB411_15:                             ;   in Loop: Header=BB411_4 Depth=1
	s_or_b32 exec_lo, exec_lo, s29
	s_and_saveexec_b32 s29, s3
.LBB411_16:                             ;   in Loop: Header=BB411_4 Depth=1
	ds_store_b32 v1, v3
.LBB411_17:                             ;   in Loop: Header=BB411_4 Depth=1
	s_or_b32 exec_lo, exec_lo, s29
	ds_bpermute_b32 v13, v17, v18
	v_cmp_gt_u32_e32 vcc_lo, 24, v2
	s_wait_dscnt 0x0
	s_barrier_signal -1
	s_barrier_wait -1
	v_cndmask_b32_e64 v12, 0, 8, vcc_lo
	v_cmp_gt_u32_e32 vcc_lo, 28, v2
	s_delay_alu instid0(VALU_DEP_2)
	v_add_lshl_u32 v12, v12, v2, 2
	v_add_f32_e32 v14, v18, v13
	v_cndmask_b32_e64 v13, 0, 4, vcc_lo
	v_cmp_gt_u32_e32 vcc_lo, 30, v2
	ds_bpermute_b32 v15, v12, v14
	v_add_lshl_u32 v13, v13, v2, 2
	s_wait_dscnt 0x0
	v_add_f32_e32 v15, v14, v15
	v_cndmask_b32_e64 v14, 0, 2, vcc_lo
	v_cmp_ne_u32_e32 vcc_lo, 31, v2
	ds_bpermute_b32 v18, v13, v15
	v_add_lshl_u32 v14, v14, v2, 2
	v_add_co_ci_u32_e64 v19, null, 0, v2, vcc_lo
	s_wait_dscnt 0x0
	v_add_f32_e32 v15, v15, v18
	ds_bpermute_b32 v18, v14, v15
	s_wait_dscnt 0x0
	v_dual_add_f32 v18, v15, v18 :: v_dual_lshlrev_b32 v15, 2, v19
	ds_bpermute_b32 v19, v15, v18
	s_and_saveexec_b32 s29, s4
	s_cbranch_execz .LBB411_19
; %bb.18:                               ;   in Loop: Header=BB411_4 Depth=1
	s_wait_dscnt 0x0
	v_add_f32_e32 v18, v18, v19
	ds_store_b32 v16, v18
.LBB411_19:                             ;   in Loop: Header=BB411_4 Depth=1
	s_or_b32 exec_lo, exec_lo, s29
	v_mov_b32_e32 v18, 0
	s_wait_dscnt 0x0
	s_barrier_signal -1
	s_barrier_wait -1
	s_and_saveexec_b32 s29, s3
	s_cbranch_execnz .LBB411_26
; %bb.20:                               ;   in Loop: Header=BB411_4 Depth=1
	s_or_b32 exec_lo, exec_lo, s29
	s_and_saveexec_b32 s29, s3
	s_cbranch_execnz .LBB411_27
.LBB411_21:                             ;   in Loop: Header=BB411_4 Depth=1
	s_or_b32 exec_lo, exec_lo, s29
                                        ; implicit-def: $vgpr12
	s_and_saveexec_b32 s29, s0
	s_cbranch_execnz .LBB411_28
	s_branch .LBB411_31
.LBB411_22:                             ;   in Loop: Header=BB411_4 Depth=1
	v_mad_nc_u64_u32 v[12:13], s8, s6, v[8:9]
	v_mad_nc_u64_u32 v[14:15], s12, s6, v[10:11]
	v_dual_mov_b32 v18, 0 :: v_dual_mov_b32 v19, v0
	s_mov_b32 s38, 0
	s_delay_alu instid0(VALU_DEP_3) | instskip(NEXT) | instid1(VALU_DEP_3)
	v_mad_u32 v13, s9, s6, v13
	v_mad_u32 v15, s13, s6, v15
.LBB411_23:                             ;   Parent Loop BB411_4 Depth=1
                                        ; =>  This Inner Loop Header: Depth=2
	global_load_u16 v20, v[12:13], off
	global_load_u16 v21, v[14:15], off
	s_wait_xcnt 0x1
	v_add_nc_u64_e32 v[12:13], 0x800, v[12:13]
	s_wait_xcnt 0x0
	v_add_nc_u64_e32 v[14:15], s[20:21], v[14:15]
	s_wait_loadcnt 0x0
	v_mul_f16_e32 v20, v20, v21
	s_delay_alu instid0(VALU_DEP_1) | instskip(NEXT) | instid1(VALU_DEP_1)
	v_cvt_f32_f16_e32 v20, v20
	v_dual_add_f32 v18, v18, v20 :: v_dual_add_nc_u32 v19, 0x400, v19
	s_delay_alu instid0(VALU_DEP_1) | instskip(SKIP_1) | instid1(SALU_CYCLE_1)
	v_cmp_le_i32_e32 vcc_lo, s10, v19
	s_or_b32 s38, vcc_lo, s38
	s_and_not1_b32 exec_lo, exec_lo, s38
	s_cbranch_execnz .LBB411_23
; %bb.24:                               ;   in Loop: Header=BB411_4 Depth=1
	s_or_b32 exec_lo, exec_lo, s38
	s_delay_alu instid0(SALU_CYCLE_1)
	s_or_b32 exec_lo, exec_lo, s29
	s_and_saveexec_b32 s29, s2
	s_cbranch_execz .LBB411_15
.LBB411_25:                             ;   in Loop: Header=BB411_4 Depth=1
	s_mul_u64 s[38:39], s[14:15], s[6:7]
	s_mul_u64 s[40:41], s[22:23], s[6:7]
	v_lshl_add_u64 v[12:13], s[38:39], 1, v[6:7]
	s_lshl_b64 s[38:39], s[40:41], 1
	s_delay_alu instid0(SALU_CYCLE_1) | instskip(NEXT) | instid1(SALU_CYCLE_1)
	s_add_nc_u64 s[38:39], s[16:17], s[38:39]
	v_lshl_add_u64 v[14:15], v[4:5], 1, s[38:39]
	s_delay_alu instid0(VALU_DEP_2)
	v_lshl_add_u64 v[12:13], s[10:11], 1, v[12:13]
	global_load_u16 v19, v[12:13], off
	global_load_u16 v20, v[14:15], off
	s_wait_loadcnt 0x0
	s_wait_xcnt 0x1
	v_mul_f16_e32 v12, v19, v20
	s_delay_alu instid0(VALU_DEP_1) | instskip(NEXT) | instid1(VALU_DEP_1)
	v_cvt_f32_f16_e32 v12, v12
	v_add_f32_e32 v18, v18, v12
	s_wait_xcnt 0x0
	s_or_b32 exec_lo, exec_lo, s29
	s_and_saveexec_b32 s29, s3
	s_cbranch_execnz .LBB411_16
	s_branch .LBB411_17
.LBB411_26:                             ;   in Loop: Header=BB411_4 Depth=1
	ds_load_b32 v18, v1
	s_or_b32 exec_lo, exec_lo, s29
	s_and_saveexec_b32 s29, s3
	s_cbranch_execz .LBB411_21
.LBB411_27:                             ;   in Loop: Header=BB411_4 Depth=1
	s_wait_dscnt 0x0
	ds_bpermute_b32 v19, v17, v18
	s_wait_dscnt 0x0
	v_add_f32_e32 v18, v18, v19
	ds_bpermute_b32 v12, v12, v18
	s_wait_dscnt 0x0
	v_add_f32_e32 v12, v18, v12
	;; [unrolled: 3-line block ×5, first 2 shown]
	s_or_b32 exec_lo, exec_lo, s29
                                        ; implicit-def: $vgpr12
	s_and_saveexec_b32 s29, s0
	s_cbranch_execz .LBB411_31
.LBB411_28:                             ;   in Loop: Header=BB411_4 Depth=1
	s_wait_dscnt 0x0
	v_mul_f32_e32 v12, s33, v18
	s_and_not1_b32 vcc_lo, exec_lo, s37
	s_cbranch_vccnz .LBB411_30
; %bb.29:                               ;   in Loop: Header=BB411_4 Depth=1
	s_add_nc_u64 s[38:39], s[26:27], s[24:25]
	global_load_u16 v13, v3, s[38:39]
	s_wait_loadcnt 0x0
	v_fma_mix_f32 v12, s34, v13, v12 op_sel_hi:[0,1,0]
.LBB411_30:                             ;   in Loop: Header=BB411_4 Depth=1
	s_delay_alu instid0(VALU_DEP_1)
	v_cvt_f16_f32_e32 v12, v12
	s_or_b32 s28, s28, exec_lo
.LBB411_31:                             ;   in Loop: Header=BB411_4 Depth=1
	s_wait_xcnt 0x0
	s_or_b32 exec_lo, exec_lo, s29
.LBB411_32:                             ;   in Loop: Header=BB411_4 Depth=1
	s_and_saveexec_b32 s29, s28
	s_cbranch_execz .LBB411_2
; %bb.33:                               ;   in Loop: Header=BB411_4 Depth=1
	s_add_nc_u64 s[26:27], s[26:27], s[24:25]
	global_store_b16 v3, v12, s[26:27]
	s_branch .LBB411_2
.LBB411_34:
	s_endpgm
	.section	.rodata,"a",@progbits
	.p2align	6, 0x0
	.amdhsa_kernel _ZL32rocblas_gemvt_warp_reduce_kernelILb0ELi1024ElDF16_fDF16_EviiT3_lPKT2_lT1_lS3_lS4_lS0_lPT4_lS4_li
		.amdhsa_group_segment_fixed_size 128
		.amdhsa_private_segment_fixed_size 0
		.amdhsa_kernarg_size 140
		.amdhsa_user_sgpr_count 2
		.amdhsa_user_sgpr_dispatch_ptr 0
		.amdhsa_user_sgpr_queue_ptr 0
		.amdhsa_user_sgpr_kernarg_segment_ptr 1
		.amdhsa_user_sgpr_dispatch_id 0
		.amdhsa_user_sgpr_kernarg_preload_length 0
		.amdhsa_user_sgpr_kernarg_preload_offset 0
		.amdhsa_user_sgpr_private_segment_size 0
		.amdhsa_wavefront_size32 1
		.amdhsa_uses_dynamic_stack 0
		.amdhsa_enable_private_segment 0
		.amdhsa_system_sgpr_workgroup_id_x 1
		.amdhsa_system_sgpr_workgroup_id_y 0
		.amdhsa_system_sgpr_workgroup_id_z 1
		.amdhsa_system_sgpr_workgroup_info 0
		.amdhsa_system_vgpr_workitem_id 0
		.amdhsa_next_free_vgpr 22
		.amdhsa_next_free_sgpr 42
		.amdhsa_named_barrier_count 0
		.amdhsa_reserve_vcc 1
		.amdhsa_float_round_mode_32 0
		.amdhsa_float_round_mode_16_64 0
		.amdhsa_float_denorm_mode_32 3
		.amdhsa_float_denorm_mode_16_64 3
		.amdhsa_fp16_overflow 0
		.amdhsa_memory_ordered 1
		.amdhsa_forward_progress 1
		.amdhsa_inst_pref_size 11
		.amdhsa_round_robin_scheduling 0
		.amdhsa_exception_fp_ieee_invalid_op 0
		.amdhsa_exception_fp_denorm_src 0
		.amdhsa_exception_fp_ieee_div_zero 0
		.amdhsa_exception_fp_ieee_overflow 0
		.amdhsa_exception_fp_ieee_underflow 0
		.amdhsa_exception_fp_ieee_inexact 0
		.amdhsa_exception_int_div_zero 0
	.end_amdhsa_kernel
	.section	.text._ZL32rocblas_gemvt_warp_reduce_kernelILb0ELi1024ElDF16_fDF16_EviiT3_lPKT2_lT1_lS3_lS4_lS0_lPT4_lS4_li,"axG",@progbits,_ZL32rocblas_gemvt_warp_reduce_kernelILb0ELi1024ElDF16_fDF16_EviiT3_lPKT2_lT1_lS3_lS4_lS0_lPT4_lS4_li,comdat
.Lfunc_end411:
	.size	_ZL32rocblas_gemvt_warp_reduce_kernelILb0ELi1024ElDF16_fDF16_EviiT3_lPKT2_lT1_lS3_lS4_lS0_lPT4_lS4_li, .Lfunc_end411-_ZL32rocblas_gemvt_warp_reduce_kernelILb0ELi1024ElDF16_fDF16_EviiT3_lPKT2_lT1_lS3_lS4_lS0_lPT4_lS4_li
                                        ; -- End function
	.set _ZL32rocblas_gemvt_warp_reduce_kernelILb0ELi1024ElDF16_fDF16_EviiT3_lPKT2_lT1_lS3_lS4_lS0_lPT4_lS4_li.num_vgpr, 22
	.set _ZL32rocblas_gemvt_warp_reduce_kernelILb0ELi1024ElDF16_fDF16_EviiT3_lPKT2_lT1_lS3_lS4_lS0_lPT4_lS4_li.num_agpr, 0
	.set _ZL32rocblas_gemvt_warp_reduce_kernelILb0ELi1024ElDF16_fDF16_EviiT3_lPKT2_lT1_lS3_lS4_lS0_lPT4_lS4_li.numbered_sgpr, 42
	.set _ZL32rocblas_gemvt_warp_reduce_kernelILb0ELi1024ElDF16_fDF16_EviiT3_lPKT2_lT1_lS3_lS4_lS0_lPT4_lS4_li.num_named_barrier, 0
	.set _ZL32rocblas_gemvt_warp_reduce_kernelILb0ELi1024ElDF16_fDF16_EviiT3_lPKT2_lT1_lS3_lS4_lS0_lPT4_lS4_li.private_seg_size, 0
	.set _ZL32rocblas_gemvt_warp_reduce_kernelILb0ELi1024ElDF16_fDF16_EviiT3_lPKT2_lT1_lS3_lS4_lS0_lPT4_lS4_li.uses_vcc, 1
	.set _ZL32rocblas_gemvt_warp_reduce_kernelILb0ELi1024ElDF16_fDF16_EviiT3_lPKT2_lT1_lS3_lS4_lS0_lPT4_lS4_li.uses_flat_scratch, 0
	.set _ZL32rocblas_gemvt_warp_reduce_kernelILb0ELi1024ElDF16_fDF16_EviiT3_lPKT2_lT1_lS3_lS4_lS0_lPT4_lS4_li.has_dyn_sized_stack, 0
	.set _ZL32rocblas_gemvt_warp_reduce_kernelILb0ELi1024ElDF16_fDF16_EviiT3_lPKT2_lT1_lS3_lS4_lS0_lPT4_lS4_li.has_recursion, 0
	.set _ZL32rocblas_gemvt_warp_reduce_kernelILb0ELi1024ElDF16_fDF16_EviiT3_lPKT2_lT1_lS3_lS4_lS0_lPT4_lS4_li.has_indirect_call, 0
	.section	.AMDGPU.csdata,"",@progbits
; Kernel info:
; codeLenInByte = 1380
; TotalNumSgprs: 44
; NumVgprs: 22
; ScratchSize: 0
; MemoryBound: 0
; FloatMode: 240
; IeeeMode: 1
; LDSByteSize: 128 bytes/workgroup (compile time only)
; SGPRBlocks: 0
; VGPRBlocks: 1
; NumSGPRsForWavesPerEU: 44
; NumVGPRsForWavesPerEU: 22
; NamedBarCnt: 0
; Occupancy: 16
; WaveLimiterHint : 0
; COMPUTE_PGM_RSRC2:SCRATCH_EN: 0
; COMPUTE_PGM_RSRC2:USER_SGPR: 2
; COMPUTE_PGM_RSRC2:TRAP_HANDLER: 0
; COMPUTE_PGM_RSRC2:TGID_X_EN: 1
; COMPUTE_PGM_RSRC2:TGID_Y_EN: 0
; COMPUTE_PGM_RSRC2:TGID_Z_EN: 1
; COMPUTE_PGM_RSRC2:TIDIG_COMP_CNT: 0
	.section	.text._ZL22rocblas_gemvtsm_kernelILb1ELi256EDF16_PKfDF16_EviiT2_lPKT1_lilS5_lilS2_lPT3_lil,"axG",@progbits,_ZL22rocblas_gemvtsm_kernelILb1ELi256EDF16_PKfDF16_EviiT2_lPKT1_lilS5_lilS2_lPT3_lil,comdat
	.globl	_ZL22rocblas_gemvtsm_kernelILb1ELi256EDF16_PKfDF16_EviiT2_lPKT1_lilS5_lilS2_lPT3_lil ; -- Begin function _ZL22rocblas_gemvtsm_kernelILb1ELi256EDF16_PKfDF16_EviiT2_lPKT1_lilS5_lilS2_lPT3_lil
	.p2align	8
	.type	_ZL22rocblas_gemvtsm_kernelILb1ELi256EDF16_PKfDF16_EviiT2_lPKT1_lilS5_lilS2_lPT3_lil,@function
_ZL22rocblas_gemvtsm_kernelILb1ELi256EDF16_PKfDF16_EviiT2_lPKT1_lilS5_lilS2_lPT3_lil: ; @_ZL22rocblas_gemvtsm_kernelILb1ELi256EDF16_PKfDF16_EviiT2_lPKT1_lilS5_lilS2_lPT3_lil
; %bb.0:
	s_clause 0x1
	s_load_b256 s[4:11], s[0:1], 0x8
	s_load_b256 s[12:19], s[0:1], 0x50
	s_bfe_u32 s2, ttmp6, 0x4000c
	s_and_b32 s3, ttmp6, 15
	s_add_co_i32 s2, s2, 1
	s_getreg_b32 s20, hwreg(HW_REG_IB_STS2, 6, 4)
	s_mul_i32 s2, ttmp9, s2
	s_mov_b32 s25, 0
	s_add_co_i32 s3, s3, s2
	s_cmp_eq_u32 s20, 0
	s_cselect_b32 s24, ttmp9, s3
	s_wait_kmcnt 0x0
	s_mul_u64 s[2:3], s[6:7], s[24:25]
	s_delay_alu instid0(SALU_CYCLE_1) | instskip(NEXT) | instid1(SALU_CYCLE_1)
	s_lshl_b64 s[2:3], s[2:3], 2
	s_add_nc_u64 s[2:3], s[4:5], s[2:3]
	s_mul_u64 s[4:5], s[16:17], s[24:25]
	s_load_b32 s26, s[2:3], 0x0
	s_wait_xcnt 0x0
	s_lshl_b64 s[2:3], s[4:5], 2
	s_delay_alu instid0(SALU_CYCLE_1)
	s_add_nc_u64 s[2:3], s[14:15], s[2:3]
	s_load_b32 s23, s[2:3], 0x0
	s_wait_kmcnt 0x0
	s_cmp_eq_f32 s26, 0
	s_cselect_b32 s2, -1, 0
	s_cmp_eq_f32 s23, 1.0
	s_cselect_b32 s3, -1, 0
	s_delay_alu instid0(SALU_CYCLE_1) | instskip(NEXT) | instid1(SALU_CYCLE_1)
	s_and_b32 s2, s2, s3
	s_and_b32 vcc_lo, exec_lo, s2
	s_cbranch_vccnz .LBB412_34
; %bb.1:
	s_clause 0x2
	s_load_b64 s[4:5], s[0:1], 0x80
	s_load_b96 s[20:22], s[0:1], 0x70
	s_load_b64 s[2:3], s[0:1], 0x0
	s_cmp_neq_f32 s26, 0
	s_wait_kmcnt 0x0
	s_mul_u64 s[14:15], s[4:5], s[24:25]
	s_cbranch_scc1 .LBB412_9
; %bb.2:
	s_cmp_gt_i32 s3, 0
	s_cselect_b32 s6, -1, 0
	s_cmp_neq_f32 s23, 0
	v_cndmask_b32_e64 v1, 0, 1, s6
	s_delay_alu instid0(VALU_DEP_1)
	v_cmp_ne_u32_e32 vcc_lo, 1, v1
	s_cbranch_scc1 .LBB412_10
; %bb.3:
	s_and_b32 vcc_lo, exec_lo, vcc_lo
	s_cbranch_vccnz .LBB412_8
; %bb.4:
	v_mov_b32_e32 v1, 0
	s_ashr_i32 s5, s22, 31
	s_mov_b32 s4, s22
	s_lshl_b64 s[16:17], s[20:21], 1
	s_lshl_b64 s[28:29], s[14:15], 1
	v_mul_u64_e32 v[2:3], s[4:5], v[0:1]
	s_add_nc_u64 s[16:17], s[18:19], s[16:17]
	s_lshl_b64 s[4:5], s[4:5], 9
	s_add_nc_u64 s[16:17], s[16:17], s[28:29]
	s_mov_b32 s7, 0
	s_delay_alu instid0(VALU_DEP_1)
	v_lshl_add_u64 v[2:3], v[2:3], 1, s[16:17]
	s_branch .LBB412_6
.LBB412_5:                              ;   in Loop: Header=BB412_6 Depth=1
	s_wait_xcnt 0x0
	s_or_b32 exec_lo, exec_lo, s16
	v_add_nc_u64_e32 v[2:3], s[4:5], v[2:3]
	s_addk_co_i32 s7, 0x100
	s_delay_alu instid0(SALU_CYCLE_1)
	s_cmp_ge_i32 s7, s3
	s_cbranch_scc1 .LBB412_8
.LBB412_6:                              ; =>This Inner Loop Header: Depth=1
	v_add_nc_u32_e32 v4, s7, v0
	s_mov_b32 s16, exec_lo
	s_delay_alu instid0(VALU_DEP_1)
	v_cmpx_gt_i32_e64 s3, v4
	s_cbranch_execz .LBB412_5
; %bb.7:                                ;   in Loop: Header=BB412_6 Depth=1
	global_store_b16 v[2:3], v1, off
	s_branch .LBB412_5
.LBB412_8:
	s_cbranch_execz .LBB412_11
	s_branch .LBB412_16
.LBB412_9:
	s_branch .LBB412_17
.LBB412_10:
.LBB412_11:
	s_and_not1_b32 vcc_lo, exec_lo, s6
	s_cbranch_vccnz .LBB412_16
; %bb.12:
	v_mov_b32_e32 v1, 0
	s_ashr_i32 s5, s22, 31
	s_mov_b32 s4, s22
	s_lshl_b64 s[6:7], s[20:21], 1
	s_lshl_b64 s[16:17], s[14:15], 1
	v_mul_u64_e32 v[2:3], s[4:5], v[0:1]
	s_add_nc_u64 s[6:7], s[18:19], s[6:7]
	s_lshl_b64 s[4:5], s[4:5], 9
	s_add_nc_u64 s[6:7], s[6:7], s[16:17]
	s_delay_alu instid0(VALU_DEP_1) | instid1(SALU_CYCLE_1)
	v_lshl_add_u64 v[2:3], v[2:3], 1, s[6:7]
	s_mov_b32 s6, 0
	s_branch .LBB412_14
.LBB412_13:                             ;   in Loop: Header=BB412_14 Depth=1
	s_wait_xcnt 0x0
	s_or_b32 exec_lo, exec_lo, s7
	v_add_nc_u64_e32 v[2:3], s[4:5], v[2:3]
	s_addk_co_i32 s6, 0x100
	s_delay_alu instid0(SALU_CYCLE_1)
	s_cmp_ge_i32 s6, s3
	s_cbranch_scc1 .LBB412_16
.LBB412_14:                             ; =>This Inner Loop Header: Depth=1
	v_add_nc_u32_e32 v1, s6, v0
	s_mov_b32 s7, exec_lo
	s_delay_alu instid0(VALU_DEP_1)
	v_cmpx_gt_i32_e64 s3, v1
	s_cbranch_execz .LBB412_13
; %bb.15:                               ;   in Loop: Header=BB412_14 Depth=1
	global_load_u16 v1, v[2:3], off
	s_wait_loadcnt 0x0
	v_fma_mixlo_f16 v1, s23, v1, 0 op_sel_hi:[0,1,0]
	global_store_b16 v[2:3], v1, off
	s_branch .LBB412_13
.LBB412_16:
	s_cbranch_execnz .LBB412_34
.LBB412_17:
	s_clause 0x1
	s_load_b128 s[4:7], s[0:1], 0x30
	s_load_b64 s[16:17], s[0:1], 0x40
	s_mov_b32 s27, exec_lo
	v_cmpx_gt_i32_e64 s2, v0
	s_cbranch_execz .LBB412_19
; %bb.18:
	s_load_b32 s28, s[0:1], 0x48
	v_mov_b32_e32 v1, 0
	s_mul_u64 s[12:13], s[12:13], s[24:25]
	s_wait_kmcnt 0x0
	s_lshl_b64 s[16:17], s[16:17], 1
	s_lshl_b64 s[12:13], s[12:13], 1
	s_delay_alu instid0(SALU_CYCLE_1) | instskip(NEXT) | instid1(SALU_CYCLE_1)
	s_add_nc_u64 s[6:7], s[6:7], s[12:13]
	s_add_nc_u64 s[6:7], s[6:7], s[16:17]
	s_ashr_i32 s29, s28, 31
	s_delay_alu instid0(SALU_CYCLE_1) | instskip(NEXT) | instid1(VALU_DEP_1)
	v_mul_u64_e32 v[2:3], s[28:29], v[0:1]
	v_lshl_add_u64 v[2:3], v[2:3], 1, s[6:7]
	global_load_u16 v1, v[2:3], off
	s_wait_xcnt 0x0
	v_lshlrev_b32_e32 v2, 2, v0
	s_wait_loadcnt 0x0
	v_cvt_f32_f16_e32 v1, v1
	s_delay_alu instid0(VALU_DEP_1)
	v_mul_f32_e32 v1, s26, v1
	ds_store_b32 v2, v1
.LBB412_19:
	s_or_b32 exec_lo, exec_lo, s27
	s_cmp_lt_i32 s3, 1
	s_wait_storecnt_dscnt 0x0
	s_barrier_signal -1
	s_barrier_wait -1
	s_cbranch_scc1 .LBB412_34
; %bb.20:
	s_load_b32 s26, s[0:1], 0x28
	v_mov_b32_e32 v3, 0
	s_wait_kmcnt 0x0
	s_lshl_b64 s[6:7], s[14:15], 1
	s_lshl_b64 s[20:21], s[20:21], 1
	s_ashr_i32 s1, s22, 31
	s_mul_u64 s[4:5], s[4:5], s[24:25]
	v_mov_b32_e32 v1, v3
	s_mov_b32 s0, s22
	s_ashr_i32 s27, s26, 31
	s_cmp_neq_f32 s23, 0
	s_delay_alu instid0(VALU_DEP_1)
	v_mul_u64_e32 v[4:5], s[26:27], v[0:1]
	s_cselect_b32 s12, -1, 0
	s_cmp_gt_i32 s2, 0
	s_cselect_b32 s13, -1, 0
	s_and_b32 s14, s2, 7
	s_cmp_gt_u32 s2, 7
	s_cselect_b32 s15, -1, 0
	s_and_b32 s2, s2, 0x7ffffff8
	s_cmp_lg_u32 s14, 0
	s_cselect_b32 s16, -1, 0
	s_lshl_b64 s[10:11], s[10:11], 1
	s_lshl_b64 s[4:5], s[4:5], 1
	s_add_nc_u64 s[8:9], s[8:9], s[10:11]
	s_mov_b32 s10, 0
	s_add_nc_u64 s[4:5], s[8:9], s[4:5]
	s_lshl_b64 s[8:9], s[26:27], 9
	s_delay_alu instid0(VALU_DEP_1) | instskip(SKIP_3) | instid1(VALU_DEP_1)
	v_lshl_add_u64 v[4:5], v[4:5], 1, s[4:5]
	s_add_nc_u64 s[4:5], s[18:19], s[6:7]
	s_mov_b32 s7, 0
	s_add_nc_u64 s[4:5], s[4:5], s[20:21]
	v_add_nc_u64_e32 v[6:7], 14, v[4:5]
	s_branch .LBB412_23
.LBB412_21:                             ;   in Loop: Header=BB412_23 Depth=1
	s_delay_alu instid0(VALU_DEP_1)
	v_cvt_f16_f32_e32 v1, v1
	global_store_b16 v[8:9], v1, off
.LBB412_22:                             ;   in Loop: Header=BB412_23 Depth=1
	s_wait_xcnt 0x0
	s_or_b32 exec_lo, exec_lo, s11
	v_add_nc_u64_e32 v[6:7], s[8:9], v[6:7]
	v_add_nc_u64_e32 v[4:5], s[8:9], v[4:5]
	s_addk_co_i32 s10, 0x100
	s_delay_alu instid0(SALU_CYCLE_1)
	s_cmp_ge_i32 s10, s3
	s_cbranch_scc1 .LBB412_34
.LBB412_23:                             ; =>This Loop Header: Depth=1
                                        ;     Child Loop BB412_29 Depth 2
                                        ;     Child Loop BB412_33 Depth 2
	v_add_nc_u32_e32 v2, s10, v0
	s_mov_b32 s11, exec_lo
	s_delay_alu instid0(VALU_DEP_1)
	v_cmpx_gt_i32_e64 s3, v2
	s_cbranch_execz .LBB412_22
; %bb.24:                               ;   in Loop: Header=BB412_23 Depth=1
	v_mul_u64_e32 v[8:9], s[0:1], v[2:3]
	s_and_not1_b32 vcc_lo, exec_lo, s12
	s_delay_alu instid0(VALU_DEP_1)
	v_lshl_add_u64 v[8:9], v[8:9], 1, s[4:5]
	s_cbranch_vccnz .LBB412_26
; %bb.25:                               ;   in Loop: Header=BB412_23 Depth=1
	global_load_u16 v1, v[8:9], off
	s_wait_loadcnt 0x0
	v_cvt_f32_f16_e32 v1, v1
	s_delay_alu instid0(VALU_DEP_1)
	v_mul_f32_e32 v1, s23, v1
	s_and_not1_b32 vcc_lo, exec_lo, s13
	s_cbranch_vccz .LBB412_27
	s_branch .LBB412_21
.LBB412_26:                             ;   in Loop: Header=BB412_23 Depth=1
	v_mov_b32_e32 v1, 0
	s_and_not1_b32 vcc_lo, exec_lo, s13
	s_cbranch_vccnz .LBB412_21
.LBB412_27:                             ;   in Loop: Header=BB412_23 Depth=1
	s_and_not1_b32 vcc_lo, exec_lo, s15
	s_mov_b32 s17, 0
	s_cbranch_vccnz .LBB412_31
; %bb.28:                               ;   in Loop: Header=BB412_23 Depth=1
	v_mov_b64_e32 v[10:11], v[6:7]
	s_mov_b32 s6, 0
.LBB412_29:                             ;   Parent Loop BB412_23 Depth=1
                                        ; =>  This Inner Loop Header: Depth=2
	global_load_b128 v[12:15], v[10:11], off offset:-14
	v_mov_b32_e32 v2, s6
	s_wait_xcnt 0x0
	v_add_nc_u64_e32 v[10:11], 16, v[10:11]
	s_add_co_i32 s17, s17, 8
	s_add_co_i32 s6, s6, 32
	ds_load_b128 v[16:19], v2
	ds_load_b128 v[20:23], v2 offset:16
	s_cmp_eq_u32 s2, s17
	s_wait_loadcnt_dscnt 0x1
	v_fma_mix_f32 v1, v16, v12, v1 op_sel_hi:[0,1,0]
	s_delay_alu instid0(VALU_DEP_1) | instskip(NEXT) | instid1(VALU_DEP_1)
	v_fma_mix_f32 v1, v17, v12, v1 op_sel:[0,1,0] op_sel_hi:[0,1,0]
	v_fma_mix_f32 v1, v18, v13, v1 op_sel_hi:[0,1,0]
	s_delay_alu instid0(VALU_DEP_1) | instskip(SKIP_1) | instid1(VALU_DEP_1)
	v_fma_mix_f32 v1, v19, v13, v1 op_sel:[0,1,0] op_sel_hi:[0,1,0]
	s_wait_dscnt 0x0
	v_fma_mix_f32 v1, v20, v14, v1 op_sel_hi:[0,1,0]
	s_delay_alu instid0(VALU_DEP_1) | instskip(NEXT) | instid1(VALU_DEP_1)
	v_fma_mix_f32 v1, v21, v14, v1 op_sel:[0,1,0] op_sel_hi:[0,1,0]
	v_fma_mix_f32 v1, v22, v15, v1 op_sel_hi:[0,1,0]
	s_delay_alu instid0(VALU_DEP_1)
	v_fma_mix_f32 v1, v23, v15, v1 op_sel:[0,1,0] op_sel_hi:[0,1,0]
	s_cbranch_scc0 .LBB412_29
; %bb.30:                               ;   in Loop: Header=BB412_23 Depth=1
	s_mov_b32 s17, s2
.LBB412_31:                             ;   in Loop: Header=BB412_23 Depth=1
	s_and_not1_b32 vcc_lo, exec_lo, s16
	s_cbranch_vccnz .LBB412_21
; %bb.32:                               ;   in Loop: Header=BB412_23 Depth=1
	s_lshl_b32 s6, s17, 1
	s_delay_alu instid0(SALU_CYCLE_1)
	v_add_nc_u64_e32 v[10:11], s[6:7], v[4:5]
	s_lshl_b32 s6, s17, 2
	s_mov_b32 s17, s14
.LBB412_33:                             ;   Parent Loop BB412_23 Depth=1
                                        ; =>  This Inner Loop Header: Depth=2
	global_load_u16 v2, v[10:11], off
	v_mov_b32_e32 v12, s6
	s_wait_xcnt 0x0
	v_add_nc_u64_e32 v[10:11], 2, v[10:11]
	s_add_co_i32 s17, s17, -1
	s_add_co_i32 s6, s6, 4
	s_cmp_lg_u32 s17, 0
	ds_load_b32 v12, v12
	s_wait_loadcnt_dscnt 0x0
	v_fma_mix_f32 v1, v12, v2, v1 op_sel_hi:[0,1,0]
	s_cbranch_scc1 .LBB412_33
	s_branch .LBB412_21
.LBB412_34:
	s_endpgm
	.section	.rodata,"a",@progbits
	.p2align	6, 0x0
	.amdhsa_kernel _ZL22rocblas_gemvtsm_kernelILb1ELi256EDF16_PKfDF16_EviiT2_lPKT1_lilS5_lilS2_lPT3_lil
		.amdhsa_group_segment_fixed_size 256
		.amdhsa_private_segment_fixed_size 0
		.amdhsa_kernarg_size 136
		.amdhsa_user_sgpr_count 2
		.amdhsa_user_sgpr_dispatch_ptr 0
		.amdhsa_user_sgpr_queue_ptr 0
		.amdhsa_user_sgpr_kernarg_segment_ptr 1
		.amdhsa_user_sgpr_dispatch_id 0
		.amdhsa_user_sgpr_kernarg_preload_length 0
		.amdhsa_user_sgpr_kernarg_preload_offset 0
		.amdhsa_user_sgpr_private_segment_size 0
		.amdhsa_wavefront_size32 1
		.amdhsa_uses_dynamic_stack 0
		.amdhsa_enable_private_segment 0
		.amdhsa_system_sgpr_workgroup_id_x 1
		.amdhsa_system_sgpr_workgroup_id_y 0
		.amdhsa_system_sgpr_workgroup_id_z 0
		.amdhsa_system_sgpr_workgroup_info 0
		.amdhsa_system_vgpr_workitem_id 0
		.amdhsa_next_free_vgpr 24
		.amdhsa_next_free_sgpr 30
		.amdhsa_named_barrier_count 0
		.amdhsa_reserve_vcc 1
		.amdhsa_float_round_mode_32 0
		.amdhsa_float_round_mode_16_64 0
		.amdhsa_float_denorm_mode_32 3
		.amdhsa_float_denorm_mode_16_64 3
		.amdhsa_fp16_overflow 0
		.amdhsa_memory_ordered 1
		.amdhsa_forward_progress 1
		.amdhsa_inst_pref_size 10
		.amdhsa_round_robin_scheduling 0
		.amdhsa_exception_fp_ieee_invalid_op 0
		.amdhsa_exception_fp_denorm_src 0
		.amdhsa_exception_fp_ieee_div_zero 0
		.amdhsa_exception_fp_ieee_overflow 0
		.amdhsa_exception_fp_ieee_underflow 0
		.amdhsa_exception_fp_ieee_inexact 0
		.amdhsa_exception_int_div_zero 0
	.end_amdhsa_kernel
	.section	.text._ZL22rocblas_gemvtsm_kernelILb1ELi256EDF16_PKfDF16_EviiT2_lPKT1_lilS5_lilS2_lPT3_lil,"axG",@progbits,_ZL22rocblas_gemvtsm_kernelILb1ELi256EDF16_PKfDF16_EviiT2_lPKT1_lilS5_lilS2_lPT3_lil,comdat
.Lfunc_end412:
	.size	_ZL22rocblas_gemvtsm_kernelILb1ELi256EDF16_PKfDF16_EviiT2_lPKT1_lilS5_lilS2_lPT3_lil, .Lfunc_end412-_ZL22rocblas_gemvtsm_kernelILb1ELi256EDF16_PKfDF16_EviiT2_lPKT1_lilS5_lilS2_lPT3_lil
                                        ; -- End function
	.set _ZL22rocblas_gemvtsm_kernelILb1ELi256EDF16_PKfDF16_EviiT2_lPKT1_lilS5_lilS2_lPT3_lil.num_vgpr, 24
	.set _ZL22rocblas_gemvtsm_kernelILb1ELi256EDF16_PKfDF16_EviiT2_lPKT1_lilS5_lilS2_lPT3_lil.num_agpr, 0
	.set _ZL22rocblas_gemvtsm_kernelILb1ELi256EDF16_PKfDF16_EviiT2_lPKT1_lilS5_lilS2_lPT3_lil.numbered_sgpr, 30
	.set _ZL22rocblas_gemvtsm_kernelILb1ELi256EDF16_PKfDF16_EviiT2_lPKT1_lilS5_lilS2_lPT3_lil.num_named_barrier, 0
	.set _ZL22rocblas_gemvtsm_kernelILb1ELi256EDF16_PKfDF16_EviiT2_lPKT1_lilS5_lilS2_lPT3_lil.private_seg_size, 0
	.set _ZL22rocblas_gemvtsm_kernelILb1ELi256EDF16_PKfDF16_EviiT2_lPKT1_lilS5_lilS2_lPT3_lil.uses_vcc, 1
	.set _ZL22rocblas_gemvtsm_kernelILb1ELi256EDF16_PKfDF16_EviiT2_lPKT1_lilS5_lilS2_lPT3_lil.uses_flat_scratch, 0
	.set _ZL22rocblas_gemvtsm_kernelILb1ELi256EDF16_PKfDF16_EviiT2_lPKT1_lilS5_lilS2_lPT3_lil.has_dyn_sized_stack, 0
	.set _ZL22rocblas_gemvtsm_kernelILb1ELi256EDF16_PKfDF16_EviiT2_lPKT1_lilS5_lilS2_lPT3_lil.has_recursion, 0
	.set _ZL22rocblas_gemvtsm_kernelILb1ELi256EDF16_PKfDF16_EviiT2_lPKT1_lilS5_lilS2_lPT3_lil.has_indirect_call, 0
	.section	.AMDGPU.csdata,"",@progbits
; Kernel info:
; codeLenInByte = 1264
; TotalNumSgprs: 32
; NumVgprs: 24
; ScratchSize: 0
; MemoryBound: 0
; FloatMode: 240
; IeeeMode: 1
; LDSByteSize: 256 bytes/workgroup (compile time only)
; SGPRBlocks: 0
; VGPRBlocks: 1
; NumSGPRsForWavesPerEU: 32
; NumVGPRsForWavesPerEU: 24
; NamedBarCnt: 0
; Occupancy: 16
; WaveLimiterHint : 1
; COMPUTE_PGM_RSRC2:SCRATCH_EN: 0
; COMPUTE_PGM_RSRC2:USER_SGPR: 2
; COMPUTE_PGM_RSRC2:TRAP_HANDLER: 0
; COMPUTE_PGM_RSRC2:TGID_X_EN: 1
; COMPUTE_PGM_RSRC2:TGID_Y_EN: 0
; COMPUTE_PGM_RSRC2:TGID_Z_EN: 0
; COMPUTE_PGM_RSRC2:TIDIG_COMP_CNT: 0
	.section	.text._ZL22rocblas_gemvtsm_kernelILb1ELi256EDF16_fDF16_EviiT2_lPKT1_lilS3_lilS0_lPT3_lil,"axG",@progbits,_ZL22rocblas_gemvtsm_kernelILb1ELi256EDF16_fDF16_EviiT2_lPKT1_lilS3_lilS0_lPT3_lil,comdat
	.globl	_ZL22rocblas_gemvtsm_kernelILb1ELi256EDF16_fDF16_EviiT2_lPKT1_lilS3_lilS0_lPT3_lil ; -- Begin function _ZL22rocblas_gemvtsm_kernelILb1ELi256EDF16_fDF16_EviiT2_lPKT1_lilS3_lilS0_lPT3_lil
	.p2align	8
	.type	_ZL22rocblas_gemvtsm_kernelILb1ELi256EDF16_fDF16_EviiT2_lPKT1_lilS3_lilS0_lPT3_lil,@function
_ZL22rocblas_gemvtsm_kernelILb1ELi256EDF16_fDF16_EviiT2_lPKT1_lilS3_lilS0_lPT3_lil: ; @_ZL22rocblas_gemvtsm_kernelILb1ELi256EDF16_fDF16_EviiT2_lPKT1_lilS3_lilS0_lPT3_lil
; %bb.0:
	s_clause 0x1
	s_load_b96 s[12:14], s[0:1], 0x0
	s_load_b32 s15, s[0:1], 0x58
	s_mov_b32 s17, 0
	s_wait_kmcnt 0x0
	s_cmp_eq_f32 s14, 0
	s_cselect_b32 s2, -1, 0
	s_cmp_eq_f32 s15, 1.0
	s_cselect_b32 s3, -1, 0
	s_delay_alu instid0(SALU_CYCLE_1) | instskip(NEXT) | instid1(SALU_CYCLE_1)
	s_and_b32 s2, s2, s3
	s_and_b32 vcc_lo, exec_lo, s2
	s_cbranch_vccnz .LBB413_34
; %bb.1:
	s_clause 0x2
	s_load_b64 s[8:9], s[0:1], 0x80
	s_load_b128 s[4:7], s[0:1], 0x68
	s_load_b32 s2, s[0:1], 0x78
	s_bfe_u32 s3, ttmp6, 0x4000c
	s_and_b32 s10, ttmp6, 15
	s_add_co_i32 s3, s3, 1
	s_getreg_b32 s11, hwreg(HW_REG_IB_STS2, 6, 4)
	s_mul_i32 s3, ttmp9, s3
	s_delay_alu instid0(SALU_CYCLE_1)
	s_add_co_i32 s10, s10, s3
	s_cmp_eq_u32 s11, 0
	s_cselect_b32 s16, ttmp9, s10
	s_cmp_neq_f32 s14, 0
	s_wait_kmcnt 0x0
	s_mul_u64 s[18:19], s[8:9], s[16:17]
	s_cbranch_scc1 .LBB413_9
; %bb.2:
	s_cmp_gt_i32 s13, 0
	s_cselect_b32 s10, -1, 0
	s_cmp_neq_f32 s15, 0
	v_cndmask_b32_e64 v1, 0, 1, s10
	s_delay_alu instid0(VALU_DEP_1)
	v_cmp_ne_u32_e32 vcc_lo, 1, v1
	s_cbranch_scc1 .LBB413_10
; %bb.3:
	s_and_b32 vcc_lo, exec_lo, vcc_lo
	s_cbranch_vccnz .LBB413_8
; %bb.4:
	v_mov_b32_e32 v1, 0
	s_ashr_i32 s3, s2, 31
	s_lshl_b64 s[8:9], s[6:7], 1
	s_lshl_b64 s[20:21], s[18:19], 1
	s_add_nc_u64 s[8:9], s[4:5], s[8:9]
	v_mul_u64_e32 v[2:3], s[2:3], v[0:1]
	s_add_nc_u64 s[8:9], s[8:9], s[20:21]
	s_delay_alu instid0(VALU_DEP_1) | instid1(SALU_CYCLE_1)
	v_lshl_add_u64 v[2:3], v[2:3], 1, s[8:9]
	s_lshl_b64 s[8:9], s[2:3], 9
	s_mov_b32 s3, 0
	s_branch .LBB413_6
.LBB413_5:                              ;   in Loop: Header=BB413_6 Depth=1
	s_wait_xcnt 0x0
	s_or_b32 exec_lo, exec_lo, s11
	v_add_nc_u64_e32 v[2:3], s[8:9], v[2:3]
	s_addk_co_i32 s3, 0x100
	s_delay_alu instid0(SALU_CYCLE_1)
	s_cmp_ge_i32 s3, s13
	s_cbranch_scc1 .LBB413_8
.LBB413_6:                              ; =>This Inner Loop Header: Depth=1
	v_add_nc_u32_e32 v4, s3, v0
	s_mov_b32 s11, exec_lo
	s_delay_alu instid0(VALU_DEP_1)
	v_cmpx_gt_i32_e64 s13, v4
	s_cbranch_execz .LBB413_5
; %bb.7:                                ;   in Loop: Header=BB413_6 Depth=1
	global_store_b16 v[2:3], v1, off
	s_branch .LBB413_5
.LBB413_8:
	s_cbranch_execz .LBB413_11
	s_branch .LBB413_16
.LBB413_9:
	s_branch .LBB413_17
.LBB413_10:
.LBB413_11:
	s_and_not1_b32 vcc_lo, exec_lo, s10
	s_cbranch_vccnz .LBB413_16
; %bb.12:
	v_mov_b32_e32 v1, 0
	s_ashr_i32 s3, s2, 31
	s_lshl_b64 s[8:9], s[6:7], 1
	s_lshl_b64 s[10:11], s[18:19], 1
	s_add_nc_u64 s[8:9], s[4:5], s[8:9]
	v_mul_u64_e32 v[2:3], s[2:3], v[0:1]
	s_add_nc_u64 s[8:9], s[8:9], s[10:11]
	s_delay_alu instid0(VALU_DEP_1) | instid1(SALU_CYCLE_1)
	v_lshl_add_u64 v[2:3], v[2:3], 1, s[8:9]
	s_lshl_b64 s[8:9], s[2:3], 9
	s_mov_b32 s3, 0
	s_branch .LBB413_14
.LBB413_13:                             ;   in Loop: Header=BB413_14 Depth=1
	s_wait_xcnt 0x0
	s_or_b32 exec_lo, exec_lo, s10
	v_add_nc_u64_e32 v[2:3], s[8:9], v[2:3]
	s_addk_co_i32 s3, 0x100
	s_delay_alu instid0(SALU_CYCLE_1)
	s_cmp_ge_i32 s3, s13
	s_cbranch_scc1 .LBB413_16
.LBB413_14:                             ; =>This Inner Loop Header: Depth=1
	v_add_nc_u32_e32 v1, s3, v0
	s_mov_b32 s10, exec_lo
	s_delay_alu instid0(VALU_DEP_1)
	v_cmpx_gt_i32_e64 s13, v1
	s_cbranch_execz .LBB413_13
; %bb.15:                               ;   in Loop: Header=BB413_14 Depth=1
	global_load_u16 v1, v[2:3], off
	s_wait_loadcnt 0x0
	v_fma_mixlo_f16 v1, s15, v1, 0 op_sel_hi:[0,1,0]
	global_store_b16 v[2:3], v1, off
	s_branch .LBB413_13
.LBB413_16:
	s_cbranch_execnz .LBB413_34
.LBB413_17:
	s_clause 0x1
	s_load_b128 s[8:11], s[0:1], 0x30
	s_load_b64 s[20:21], s[0:1], 0x40
	s_mov_b32 s3, exec_lo
	v_cmpx_gt_i32_e64 s12, v0
	s_cbranch_execz .LBB413_19
; %bb.18:
	s_clause 0x1
	s_load_b32 s22, s[0:1], 0x48
	s_load_b64 s[24:25], s[0:1], 0x50
	v_mov_b32_e32 v1, 0
	s_wait_kmcnt 0x0
	s_lshl_b64 s[20:21], s[20:21], 1
	s_ashr_i32 s23, s22, 31
	s_delay_alu instid0(VALU_DEP_1) | instid1(SALU_CYCLE_1)
	v_mul_u64_e32 v[2:3], s[22:23], v[0:1]
	s_mul_u64 s[22:23], s[24:25], s[16:17]
	s_delay_alu instid0(SALU_CYCLE_1) | instskip(NEXT) | instid1(SALU_CYCLE_1)
	s_lshl_b64 s[22:23], s[22:23], 1
	s_add_nc_u64 s[10:11], s[10:11], s[22:23]
	s_delay_alu instid0(SALU_CYCLE_1)
	s_add_nc_u64 s[10:11], s[10:11], s[20:21]
	s_delay_alu instid0(VALU_DEP_1) | instid1(SALU_CYCLE_1)
	v_lshl_add_u64 v[2:3], v[2:3], 1, s[10:11]
	global_load_u16 v1, v[2:3], off
	s_wait_xcnt 0x0
	v_lshlrev_b32_e32 v2, 2, v0
	s_wait_loadcnt 0x0
	v_cvt_f32_f16_e32 v1, v1
	s_delay_alu instid0(VALU_DEP_1)
	v_mul_f32_e32 v1, s14, v1
	ds_store_b32 v2, v1
.LBB413_19:
	s_or_b32 exec_lo, exec_lo, s3
	s_cmp_lt_i32 s13, 1
	s_wait_storecnt_dscnt 0x0
	s_barrier_signal -1
	s_barrier_wait -1
	s_cbranch_scc1 .LBB413_34
; %bb.20:
	s_load_b32 s24, s[0:1], 0x28
	s_wait_kmcnt 0x0
	s_load_b128 s[20:23], s[0:1], 0x18
	v_mov_b32_e32 v3, 0
	s_wait_xcnt 0x0
	s_lshl_b64 s[0:1], s[18:19], 1
	s_lshl_b64 s[6:7], s[6:7], 1
	s_ashr_i32 s3, s2, 31
	s_mul_u64 s[16:17], s[8:9], s[16:17]
	v_mov_b32_e32 v1, v3
	s_add_nc_u64 s[0:1], s[4:5], s[0:1]
	s_mov_b32 s5, 0
	s_add_nc_u64 s[0:1], s[0:1], s[6:7]
	s_mov_b32 s9, 0
	s_ashr_i32 s25, s24, 31
	s_cmp_neq_f32 s15, 0
	v_mul_u64_e32 v[4:5], s[24:25], v[0:1]
	s_cselect_b32 s10, -1, 0
	s_cmp_gt_i32 s12, 0
	s_cselect_b32 s11, -1, 0
	s_and_b32 s14, s12, 7
	s_cmp_gt_u32 s12, 7
	s_cselect_b32 s18, -1, 0
	s_and_b32 s12, s12, 0x7ffffff8
	s_cmp_lg_u32 s14, 0
	s_cselect_b32 s8, -1, 0
	s_wait_kmcnt 0x0
	s_lshl_b64 s[22:23], s[22:23], 1
	s_lshl_b64 s[16:17], s[16:17], 1
	s_add_nc_u64 s[20:21], s[20:21], s[22:23]
	s_lshl_b64 s[6:7], s[24:25], 9
	s_add_nc_u64 s[16:17], s[20:21], s[16:17]
	s_delay_alu instid0(VALU_DEP_1) | instid1(SALU_CYCLE_1)
	v_lshl_add_u64 v[4:5], v[4:5], 1, s[16:17]
	s_delay_alu instid0(VALU_DEP_1)
	v_add_nc_u64_e32 v[6:7], 14, v[4:5]
	s_branch .LBB413_23
.LBB413_21:                             ;   in Loop: Header=BB413_23 Depth=1
	s_delay_alu instid0(VALU_DEP_1)
	v_cvt_f16_f32_e32 v1, v1
	global_store_b16 v[8:9], v1, off
.LBB413_22:                             ;   in Loop: Header=BB413_23 Depth=1
	s_wait_xcnt 0x0
	s_or_b32 exec_lo, exec_lo, s16
	v_add_nc_u64_e32 v[6:7], s[6:7], v[6:7]
	v_add_nc_u64_e32 v[4:5], s[6:7], v[4:5]
	s_addk_co_i32 s9, 0x100
	s_delay_alu instid0(SALU_CYCLE_1)
	s_cmp_ge_i32 s9, s13
	s_cbranch_scc1 .LBB413_34
.LBB413_23:                             ; =>This Loop Header: Depth=1
                                        ;     Child Loop BB413_29 Depth 2
                                        ;     Child Loop BB413_33 Depth 2
	v_add_nc_u32_e32 v2, s9, v0
	s_mov_b32 s16, exec_lo
	s_delay_alu instid0(VALU_DEP_1)
	v_cmpx_gt_i32_e64 s13, v2
	s_cbranch_execz .LBB413_22
; %bb.24:                               ;   in Loop: Header=BB413_23 Depth=1
	v_mul_u64_e32 v[8:9], s[2:3], v[2:3]
	s_and_not1_b32 vcc_lo, exec_lo, s10
	s_delay_alu instid0(VALU_DEP_1)
	v_lshl_add_u64 v[8:9], v[8:9], 1, s[0:1]
	s_cbranch_vccnz .LBB413_26
; %bb.25:                               ;   in Loop: Header=BB413_23 Depth=1
	global_load_u16 v1, v[8:9], off
	s_wait_loadcnt 0x0
	v_cvt_f32_f16_e32 v1, v1
	s_delay_alu instid0(VALU_DEP_1)
	v_mul_f32_e32 v1, s15, v1
	s_and_not1_b32 vcc_lo, exec_lo, s11
	s_cbranch_vccz .LBB413_27
	s_branch .LBB413_21
.LBB413_26:                             ;   in Loop: Header=BB413_23 Depth=1
	v_mov_b32_e32 v1, 0
	s_and_not1_b32 vcc_lo, exec_lo, s11
	s_cbranch_vccnz .LBB413_21
.LBB413_27:                             ;   in Loop: Header=BB413_23 Depth=1
	s_and_not1_b32 vcc_lo, exec_lo, s18
	s_mov_b32 s17, 0
	s_cbranch_vccnz .LBB413_31
; %bb.28:                               ;   in Loop: Header=BB413_23 Depth=1
	v_mov_b64_e32 v[10:11], v[6:7]
	s_mov_b32 s4, 0
.LBB413_29:                             ;   Parent Loop BB413_23 Depth=1
                                        ; =>  This Inner Loop Header: Depth=2
	global_load_b128 v[12:15], v[10:11], off offset:-14
	v_mov_b32_e32 v2, s4
	s_wait_xcnt 0x0
	v_add_nc_u64_e32 v[10:11], 16, v[10:11]
	s_add_co_i32 s17, s17, 8
	s_add_co_i32 s4, s4, 32
	ds_load_b128 v[16:19], v2
	ds_load_b128 v[20:23], v2 offset:16
	s_cmp_eq_u32 s12, s17
	s_wait_loadcnt_dscnt 0x1
	v_fma_mix_f32 v1, v16, v12, v1 op_sel_hi:[0,1,0]
	s_delay_alu instid0(VALU_DEP_1) | instskip(NEXT) | instid1(VALU_DEP_1)
	v_fma_mix_f32 v1, v17, v12, v1 op_sel:[0,1,0] op_sel_hi:[0,1,0]
	v_fma_mix_f32 v1, v18, v13, v1 op_sel_hi:[0,1,0]
	s_delay_alu instid0(VALU_DEP_1) | instskip(SKIP_1) | instid1(VALU_DEP_1)
	v_fma_mix_f32 v1, v19, v13, v1 op_sel:[0,1,0] op_sel_hi:[0,1,0]
	s_wait_dscnt 0x0
	v_fma_mix_f32 v1, v20, v14, v1 op_sel_hi:[0,1,0]
	s_delay_alu instid0(VALU_DEP_1) | instskip(NEXT) | instid1(VALU_DEP_1)
	v_fma_mix_f32 v1, v21, v14, v1 op_sel:[0,1,0] op_sel_hi:[0,1,0]
	v_fma_mix_f32 v1, v22, v15, v1 op_sel_hi:[0,1,0]
	s_delay_alu instid0(VALU_DEP_1)
	v_fma_mix_f32 v1, v23, v15, v1 op_sel:[0,1,0] op_sel_hi:[0,1,0]
	s_cbranch_scc0 .LBB413_29
; %bb.30:                               ;   in Loop: Header=BB413_23 Depth=1
	s_mov_b32 s17, s12
.LBB413_31:                             ;   in Loop: Header=BB413_23 Depth=1
	s_and_not1_b32 vcc_lo, exec_lo, s8
	s_cbranch_vccnz .LBB413_21
; %bb.32:                               ;   in Loop: Header=BB413_23 Depth=1
	s_lshl_b32 s4, s17, 1
	s_delay_alu instid0(SALU_CYCLE_1)
	v_add_nc_u64_e32 v[10:11], s[4:5], v[4:5]
	s_lshl_b32 s4, s17, 2
	s_mov_b32 s17, s14
.LBB413_33:                             ;   Parent Loop BB413_23 Depth=1
                                        ; =>  This Inner Loop Header: Depth=2
	global_load_u16 v2, v[10:11], off
	v_mov_b32_e32 v12, s4
	s_wait_xcnt 0x0
	v_add_nc_u64_e32 v[10:11], 2, v[10:11]
	s_add_co_i32 s17, s17, -1
	s_add_co_i32 s4, s4, 4
	s_cmp_lg_u32 s17, 0
	ds_load_b32 v12, v12
	s_wait_loadcnt_dscnt 0x0
	v_fma_mix_f32 v1, v12, v2, v1 op_sel_hi:[0,1,0]
	s_cbranch_scc1 .LBB413_33
	s_branch .LBB413_21
.LBB413_34:
	s_endpgm
	.section	.rodata,"a",@progbits
	.p2align	6, 0x0
	.amdhsa_kernel _ZL22rocblas_gemvtsm_kernelILb1ELi256EDF16_fDF16_EviiT2_lPKT1_lilS3_lilS0_lPT3_lil
		.amdhsa_group_segment_fixed_size 256
		.amdhsa_private_segment_fixed_size 0
		.amdhsa_kernarg_size 136
		.amdhsa_user_sgpr_count 2
		.amdhsa_user_sgpr_dispatch_ptr 0
		.amdhsa_user_sgpr_queue_ptr 0
		.amdhsa_user_sgpr_kernarg_segment_ptr 1
		.amdhsa_user_sgpr_dispatch_id 0
		.amdhsa_user_sgpr_kernarg_preload_length 0
		.amdhsa_user_sgpr_kernarg_preload_offset 0
		.amdhsa_user_sgpr_private_segment_size 0
		.amdhsa_wavefront_size32 1
		.amdhsa_uses_dynamic_stack 0
		.amdhsa_enable_private_segment 0
		.amdhsa_system_sgpr_workgroup_id_x 1
		.amdhsa_system_sgpr_workgroup_id_y 0
		.amdhsa_system_sgpr_workgroup_id_z 0
		.amdhsa_system_sgpr_workgroup_info 0
		.amdhsa_system_vgpr_workitem_id 0
		.amdhsa_next_free_vgpr 24
		.amdhsa_next_free_sgpr 26
		.amdhsa_named_barrier_count 0
		.amdhsa_reserve_vcc 1
		.amdhsa_float_round_mode_32 0
		.amdhsa_float_round_mode_16_64 0
		.amdhsa_float_denorm_mode_32 3
		.amdhsa_float_denorm_mode_16_64 3
		.amdhsa_fp16_overflow 0
		.amdhsa_memory_ordered 1
		.amdhsa_forward_progress 1
		.amdhsa_inst_pref_size 10
		.amdhsa_round_robin_scheduling 0
		.amdhsa_exception_fp_ieee_invalid_op 0
		.amdhsa_exception_fp_denorm_src 0
		.amdhsa_exception_fp_ieee_div_zero 0
		.amdhsa_exception_fp_ieee_overflow 0
		.amdhsa_exception_fp_ieee_underflow 0
		.amdhsa_exception_fp_ieee_inexact 0
		.amdhsa_exception_int_div_zero 0
	.end_amdhsa_kernel
	.section	.text._ZL22rocblas_gemvtsm_kernelILb1ELi256EDF16_fDF16_EviiT2_lPKT1_lilS3_lilS0_lPT3_lil,"axG",@progbits,_ZL22rocblas_gemvtsm_kernelILb1ELi256EDF16_fDF16_EviiT2_lPKT1_lilS3_lilS0_lPT3_lil,comdat
.Lfunc_end413:
	.size	_ZL22rocblas_gemvtsm_kernelILb1ELi256EDF16_fDF16_EviiT2_lPKT1_lilS3_lilS0_lPT3_lil, .Lfunc_end413-_ZL22rocblas_gemvtsm_kernelILb1ELi256EDF16_fDF16_EviiT2_lPKT1_lilS3_lilS0_lPT3_lil
                                        ; -- End function
	.set _ZL22rocblas_gemvtsm_kernelILb1ELi256EDF16_fDF16_EviiT2_lPKT1_lilS3_lilS0_lPT3_lil.num_vgpr, 24
	.set _ZL22rocblas_gemvtsm_kernelILb1ELi256EDF16_fDF16_EviiT2_lPKT1_lilS3_lilS0_lPT3_lil.num_agpr, 0
	.set _ZL22rocblas_gemvtsm_kernelILb1ELi256EDF16_fDF16_EviiT2_lPKT1_lilS3_lilS0_lPT3_lil.numbered_sgpr, 26
	.set _ZL22rocblas_gemvtsm_kernelILb1ELi256EDF16_fDF16_EviiT2_lPKT1_lilS3_lilS0_lPT3_lil.num_named_barrier, 0
	.set _ZL22rocblas_gemvtsm_kernelILb1ELi256EDF16_fDF16_EviiT2_lPKT1_lilS3_lilS0_lPT3_lil.private_seg_size, 0
	.set _ZL22rocblas_gemvtsm_kernelILb1ELi256EDF16_fDF16_EviiT2_lPKT1_lilS3_lilS0_lPT3_lil.uses_vcc, 1
	.set _ZL22rocblas_gemvtsm_kernelILb1ELi256EDF16_fDF16_EviiT2_lPKT1_lilS3_lilS0_lPT3_lil.uses_flat_scratch, 0
	.set _ZL22rocblas_gemvtsm_kernelILb1ELi256EDF16_fDF16_EviiT2_lPKT1_lilS3_lilS0_lPT3_lil.has_dyn_sized_stack, 0
	.set _ZL22rocblas_gemvtsm_kernelILb1ELi256EDF16_fDF16_EviiT2_lPKT1_lilS3_lilS0_lPT3_lil.has_recursion, 0
	.set _ZL22rocblas_gemvtsm_kernelILb1ELi256EDF16_fDF16_EviiT2_lPKT1_lilS3_lilS0_lPT3_lil.has_indirect_call, 0
	.section	.AMDGPU.csdata,"",@progbits
; Kernel info:
; codeLenInByte = 1236
; TotalNumSgprs: 28
; NumVgprs: 24
; ScratchSize: 0
; MemoryBound: 0
; FloatMode: 240
; IeeeMode: 1
; LDSByteSize: 256 bytes/workgroup (compile time only)
; SGPRBlocks: 0
; VGPRBlocks: 1
; NumSGPRsForWavesPerEU: 28
; NumVGPRsForWavesPerEU: 24
; NamedBarCnt: 0
; Occupancy: 16
; WaveLimiterHint : 1
; COMPUTE_PGM_RSRC2:SCRATCH_EN: 0
; COMPUTE_PGM_RSRC2:USER_SGPR: 2
; COMPUTE_PGM_RSRC2:TRAP_HANDLER: 0
; COMPUTE_PGM_RSRC2:TGID_X_EN: 1
; COMPUTE_PGM_RSRC2:TGID_Y_EN: 0
; COMPUTE_PGM_RSRC2:TGID_Z_EN: 0
; COMPUTE_PGM_RSRC2:TIDIG_COMP_CNT: 0
	.section	.text._ZL23rocblas_gemvt_sn_kernelILb1ELi256ELi4EiDF16_PKffEviiT4_lPKT3_lilS5_lilPT5_i,"axG",@progbits,_ZL23rocblas_gemvt_sn_kernelILb1ELi256ELi4EiDF16_PKffEviiT4_lPKT3_lilS5_lilPT5_i,comdat
	.globl	_ZL23rocblas_gemvt_sn_kernelILb1ELi256ELi4EiDF16_PKffEviiT4_lPKT3_lilS5_lilPT5_i ; -- Begin function _ZL23rocblas_gemvt_sn_kernelILb1ELi256ELi4EiDF16_PKffEviiT4_lPKT3_lilS5_lilPT5_i
	.p2align	8
	.type	_ZL23rocblas_gemvt_sn_kernelILb1ELi256ELi4EiDF16_PKffEviiT4_lPKT3_lilS5_lilPT5_i,@function
_ZL23rocblas_gemvt_sn_kernelILb1ELi256ELi4EiDF16_PKffEviiT4_lPKT3_lilS5_lilPT5_i: ; @_ZL23rocblas_gemvt_sn_kernelILb1ELi256ELi4EiDF16_PKffEviiT4_lPKT3_lilS5_lilPT5_i
; %bb.0:
	s_load_b32 s11, s[0:1], 0x60
	s_bfe_u32 s2, ttmp6, 0x40014
	s_lshr_b32 s3, ttmp7, 16
	s_add_co_i32 s2, s2, 1
	s_bfe_u32 s5, ttmp6, 0x40008
	s_mul_i32 s2, s3, s2
	s_getreg_b32 s4, hwreg(HW_REG_IB_STS2, 6, 4)
	s_add_co_i32 s5, s5, s2
	s_cmp_eq_u32 s4, 0
	s_mov_b32 s31, 0
	s_cselect_b32 s28, s3, s5
	s_wait_kmcnt 0x0
	s_cmp_ge_u32 s28, s11
	s_cbranch_scc1 .LBB414_88
; %bb.1:
	s_clause 0x6
	s_load_b96 s[8:10], s[0:1], 0x40
	s_load_b256 s[12:19], s[0:1], 0x8
	s_load_b64 s[34:35], s[0:1], 0x0
	s_load_b32 s36, s[0:1], 0x28
	s_load_b128 s[20:23], s[0:1], 0x30
	s_load_b128 s[24:27], s[0:1], 0x50
	s_load_b32 s38, s[0:1], 0x68
	s_wait_xcnt 0x0
	v_cmp_eq_u32_e64 s0, 0, v0
	v_dual_lshrrev_b32 v2, 3, v0 :: v_dual_bitop2_b32 v1, 31, v0 bitop3:0x40
	v_cmp_gt_u32_e64 s1, 32, v0
	v_cmp_gt_u32_e64 s2, 8, v0
	v_mbcnt_lo_u32_b32 v38, -1, 0
	s_delay_alu instid0(VALU_DEP_4)
	v_cmp_eq_u32_e64 s3, 0, v1
	v_dual_lshlrev_b32 v36, 2, v1 :: v_dual_bitop2_b32 v37, 28, v2 bitop3:0x40
	v_mov_b64_e32 v[18:19], 0
	s_mov_b32 s39, s31
	s_mov_b32 s41, s31
	v_lshl_or_b32 v39, v38, 2, 64
	s_wait_kmcnt 0x0
	s_lshl_b64 s[6:7], s[8:9], 1
	s_lshl_b64 s[8:9], s[18:19], 1
	s_ashr_i32 s47, s35, 31
	s_cmp_gt_i32 s35, 0
	s_add_nc_u64 s[18:19], s[22:23], s[6:7]
	s_cselect_b32 s5, -1, 0
	s_bfe_u32 s29, ttmp6, 0x4000c
	s_and_b32 s6, ttmp6, 15
	s_add_co_i32 s29, s29, 1
	s_and_b32 s33, s0, s5
	s_mul_i32 s7, ttmp9, s29
	s_mov_b32 s46, s35
	s_add_co_i32 s6, s6, s7
	s_cmp_eq_u32 s4, 0
	s_add_nc_u64 s[4:5], s[16:17], s[8:9]
	s_cselect_b32 s40, ttmp9, s6
	s_ashr_i32 s7, s34, 31
	s_lshl_b32 s6, s40, 10
	s_lshr_b32 s7, s7, 30
	v_lshl_or_b32 v0, v0, 2, s6
	s_lshr_b32 s6, s47, 30
	s_add_co_i32 s7, s34, s7
	s_add_co_i32 s6, s35, s6
	s_and_b32 s7, s7, -4
	v_mul_lo_u32 v8, s10, v0
	s_and_b32 s70, s6, -4
	s_sub_co_i32 s71, s34, s7
	s_cmp_gt_i32 s70, 0
	v_dual_ashrrev_i32 v1, 31, v0 :: v_dual_add_nc_u32 v2, 4, v0
	s_cselect_b32 s72, -1, 0
	s_cmp_gt_i32 s71, 0
	s_mul_u64 s[16:17], s[46:47], s[38:39]
	s_cselect_b32 s73, -1, 0
	s_cmp_gt_u32 s35, 1
	s_delay_alu instid0(VALU_DEP_2) | instskip(SKIP_3) | instid1(VALU_DEP_2)
	v_dual_add_nc_u32 v10, s10, v8 :: v_dual_ashrrev_i32 v9, 31, v8
	v_add_nc_u32_e32 v3, s71, v0
	s_cselect_b32 s6, -1, 0
	s_cmp_eq_u32 s38, 1
	v_add_nc_u32_e32 v14, s10, v10
	s_cselect_b32 s7, -1, 0
	v_lshl_add_u64 v[12:13], v[0:1], 1, s[4:5]
	v_cmp_ge_i32_e64 s4, s34, v2
	v_cmp_ge_i32_e64 s5, s34, v3
	v_dual_add_nc_u32 v16, s10, v14 :: v_dual_ashrrev_i32 v15, 31, v14
	s_and_b32 s34, s35, 0x7ffffffe
	s_and_b32 s74, s6, s7
	s_cmp_lg_u32 s35, s34
	s_delay_alu instid0(VALU_DEP_1)
	v_dual_ashrrev_i32 v11, 31, v10 :: v_dual_ashrrev_i32 v17, 31, v16
	s_cselect_b32 s75, -1, 0
	s_lshl_b32 s30, s36, 1
	v_mov_b32_e32 v0, 0
	s_lshl_b64 s[22:23], s[40:41], 2
	s_mov_b64 s[52:53], s[30:31]
	s_mul_i32 s30, s36, 3
	s_add_nc_u64 s[42:43], s[26:27], s[22:23]
	s_lshl_b64 s[44:45], s[16:17], 2
	s_lshl_b64 s[46:47], s[46:47], 2
	;; [unrolled: 1-line block ×3, first 2 shown]
	s_mov_b32 s37, s31
	s_lshl_b32 s50, s36, 2
	s_mov_b32 s51, s31
	s_mov_b64 s[54:55], s[30:31]
	s_lshl_b64 s[56:57], s[20:21], 1
	s_branch .LBB414_3
.LBB414_2:                              ;   in Loop: Header=BB414_3 Depth=1
	s_add_co_i32 s28, s28, 0x10000
	s_delay_alu instid0(SALU_CYCLE_1)
	s_cmp_lt_u32 s28, s11
	s_cbranch_scc0 .LBB414_88
.LBB414_3:                              ; =>This Loop Header: Depth=1
                                        ;     Child Loop BB414_7 Depth 2
                                        ;     Child Loop BB414_11 Depth 2
	;; [unrolled: 1-line block ×3, first 2 shown]
                                        ;       Child Loop BB414_48 Depth 3
                                        ;       Child Loop BB414_51 Depth 3
                                        ;     Child Loop BB414_67 Depth 2
                                        ;       Child Loop BB414_80 Depth 3
                                        ;       Child Loop BB414_83 Depth 3
	s_mov_b32 s29, s31
	s_delay_alu instid0(SALU_CYCLE_1) | instskip(NEXT) | instid1(SALU_CYCLE_1)
	s_mul_u64 s[6:7], s[14:15], s[28:29]
	s_lshl_b64 s[6:7], s[6:7], 2
	s_delay_alu instid0(SALU_CYCLE_1)
	s_add_nc_u64 s[6:7], s[12:13], s[6:7]
	global_load_b32 v40, v0, s[6:7]
	s_wait_xcnt 0x0
	s_mov_b32 s6, -1
	s_wait_loadcnt 0x0
	v_cmp_neq_f32_e32 vcc_lo, 0, v40
	s_cbranch_vccnz .LBB414_13
; %bb.4:                                ;   in Loop: Header=BB414_3 Depth=1
	s_and_saveexec_b32 s8, s33
	s_cbranch_execz .LBB414_12
; %bb.5:                                ;   in Loop: Header=BB414_3 Depth=1
	s_and_not1_b32 vcc_lo, exec_lo, s74
	s_cbranch_vccnz .LBB414_9
; %bb.6:                                ;   in Loop: Header=BB414_3 Depth=1
	s_mul_u64 s[6:7], s[44:45], s[28:29]
	s_mov_b32 s9, s34
	s_add_nc_u64 s[6:7], s[42:43], s[6:7]
.LBB414_7:                              ;   Parent Loop BB414_3 Depth=1
                                        ; =>  This Inner Loop Header: Depth=2
	s_add_co_i32 s9, s9, -2
	global_store_b64 v0, v[18:19], s[6:7]
	s_wait_xcnt 0x0
	s_add_nc_u64 s[6:7], s[6:7], 8
	s_mov_b32 s30, s34
	s_cmp_lg_u32 s9, 0
	s_mov_b32 s41, s75
	s_cbranch_scc1 .LBB414_7
; %bb.8:                                ;   in Loop: Header=BB414_3 Depth=1
	s_and_b32 vcc_lo, exec_lo, s41
	s_cbranch_vccnz .LBB414_10
	s_branch .LBB414_12
.LBB414_9:                              ;   in Loop: Header=BB414_3 Depth=1
	s_mov_b32 s30, 0
	s_cbranch_execz .LBB414_12
.LBB414_10:                             ;   in Loop: Header=BB414_3 Depth=1
	s_mul_u64 s[6:7], s[46:47], s[28:29]
	s_lshl_b64 s[58:59], s[30:31], 2
	s_sub_co_i32 s9, s35, s30
	s_add_nc_u64 s[6:7], s[6:7], s[58:59]
	s_delay_alu instid0(SALU_CYCLE_1) | instskip(NEXT) | instid1(SALU_CYCLE_1)
	s_mul_u64 s[6:7], s[38:39], s[6:7]
	s_add_nc_u64 s[6:7], s[42:43], s[6:7]
.LBB414_11:                             ;   Parent Loop BB414_3 Depth=1
                                        ; =>  This Inner Loop Header: Depth=2
	s_add_co_i32 s9, s9, -1
	global_store_b32 v0, v0, s[6:7]
	s_cmp_eq_u32 s9, 0
	s_wait_xcnt 0x0
	s_add_nc_u64 s[6:7], s[6:7], s[48:49]
	s_cbranch_scc0 .LBB414_11
.LBB414_12:                             ;   in Loop: Header=BB414_3 Depth=1
	s_or_b32 exec_lo, exec_lo, s8
	s_mov_b32 s6, 0
.LBB414_13:                             ;   in Loop: Header=BB414_3 Depth=1
	s_delay_alu instid0(SALU_CYCLE_1)
	s_and_not1_b32 vcc_lo, exec_lo, s6
	s_cbranch_vccnz .LBB414_2
; %bb.14:                               ;   in Loop: Header=BB414_3 Depth=1
	s_mul_u64 s[6:7], s[24:25], s[28:29]
	s_mul_u64 s[8:9], s[56:57], s[28:29]
	s_lshl_b64 s[6:7], s[6:7], 1
	s_mul_u64 s[60:61], s[20:21], s[28:29]
	s_add_nc_u64 s[58:59], s[18:19], s[6:7]
	v_add_nc_u64_e32 v[30:31], s[8:9], v[12:13]
	s_mul_u64 s[62:63], s[16:17], s[28:29]
	v_lshl_add_u64 v[20:21], s[60:61], 1, v[12:13]
	v_lshl_add_u64 v[22:23], v[8:9], 1, s[58:59]
	;; [unrolled: 1-line block ×5, first 2 shown]
	v_cmp_gt_u32_e64 s9, 24, v38
	v_cmp_gt_u32_e64 s8, 28, v38
	;; [unrolled: 1-line block ×3, first 2 shown]
	v_cmp_ne_u32_e64 s6, 31, v38
	s_lshl_b64 s[60:61], s[62:63], 2
	s_and_not1_b32 vcc_lo, exec_lo, s72
	s_add_nc_u64 s[60:61], s[26:27], s[60:61]
	s_cbranch_vccnz .LBB414_63
; %bb.15:                               ;   in Loop: Header=BB414_3 Depth=1
	v_cndmask_b32_e64 v1, 0, 8, s9
	v_cndmask_b32_e64 v4, 0, 4, s8
	;; [unrolled: 1-line block ×3, first 2 shown]
	s_wait_dscnt 0x0
	v_add_co_ci_u32_e64 v6, null, 0, v38, s6
	v_add_lshl_u32 v41, v1, v38, 2
	v_dual_mov_b32 v1, v0 :: v_dual_mov_b32 v2, v0
	s_delay_alu instid0(VALU_DEP_3) | instskip(SKIP_3) | instid1(VALU_DEP_3)
	v_dual_mov_b32 v3, v0 :: v_dual_lshlrev_b32 v44, 2, v6
	v_add_lshl_u32 v42, v4, v38, 2
	v_add_lshl_u32 v43, v5, v38, 2
	s_mov_b32 s62, 0
	v_mov_b64_e32 v[4:5], v[2:3]
	v_mov_b64_e32 v[2:3], v[0:1]
	s_mov_b64 s[8:9], s[54:55]
	s_mov_b64 s[64:65], s[52:53]
	;; [unrolled: 1-line block ×3, first 2 shown]
	s_mov_b32 s30, s62
	s_branch .LBB414_17
.LBB414_16:                             ;   in Loop: Header=BB414_17 Depth=2
	s_wait_xcnt 0x0
	s_or_b32 exec_lo, exec_lo, s6
	s_add_co_i32 s30, s30, 4
	s_add_co_i32 s62, s62, s50
	s_add_nc_u64 s[66:67], s[66:67], s[50:51]
	s_add_nc_u64 s[64:65], s[64:65], s[50:51]
	s_cmp_ge_i32 s30, s70
	s_add_nc_u64 s[8:9], s[8:9], s[50:51]
	s_cbranch_scc1 .LBB414_64
.LBB414_17:                             ;   Parent Loop BB414_3 Depth=1
                                        ; =>  This Loop Header: Depth=2
                                        ;       Child Loop BB414_48 Depth 3
                                        ;       Child Loop BB414_51 Depth 3
                                        ; implicit-def: $vgpr7
                                        ; implicit-def: $vgpr33
	s_and_saveexec_b32 s6, s4
	s_delay_alu instid0(SALU_CYCLE_1)
	s_xor_b32 s6, exec_lo, s6
	s_cbranch_execnz .LBB414_44
; %bb.18:                               ;   in Loop: Header=BB414_17 Depth=2
	s_and_not1_saveexec_b32 s29, s6
	s_cbranch_execnz .LBB414_45
.LBB414_19:                             ;   in Loop: Header=BB414_17 Depth=2
	s_or_b32 exec_lo, exec_lo, s29
	s_and_saveexec_b32 s6, s1
.LBB414_20:                             ;   in Loop: Header=BB414_17 Depth=2
	ds_store_b32 v36, v0
.LBB414_21:                             ;   in Loop: Header=BB414_17 Depth=2
	s_or_b32 exec_lo, exec_lo, s6
	ds_bpermute_b32 v1, v39, v32
	s_wait_storecnt_dscnt 0x0
	s_barrier_signal -1
	s_barrier_wait -1
	v_add_f32_e32 v1, v32, v1
	ds_bpermute_b32 v32, v41, v1
	s_wait_dscnt 0x0
	v_add_f32_e32 v1, v1, v32
	ds_bpermute_b32 v32, v42, v1
	s_wait_dscnt 0x0
	;; [unrolled: 3-line block ×3, first 2 shown]
	v_add_f32_e32 v1, v1, v32
	ds_bpermute_b32 v32, v44, v1
	s_and_saveexec_b32 s6, s3
	s_cbranch_execz .LBB414_23
; %bb.22:                               ;   in Loop: Header=BB414_17 Depth=2
	s_wait_dscnt 0x0
	v_add_f32_e32 v1, v1, v32
	ds_store_b32 v37, v1
.LBB414_23:                             ;   in Loop: Header=BB414_17 Depth=2
	s_or_b32 exec_lo, exec_lo, s6
	v_mov_b32_e32 v1, 0
	s_wait_dscnt 0x0
	s_barrier_signal -1
	s_barrier_wait -1
	s_and_saveexec_b32 s6, s2
	s_cbranch_execnz .LBB414_52
; %bb.24:                               ;   in Loop: Header=BB414_17 Depth=2
	s_or_b32 exec_lo, exec_lo, s6
	s_and_saveexec_b32 s6, s1
	s_cbranch_execnz .LBB414_53
.LBB414_25:                             ;   in Loop: Header=BB414_17 Depth=2
	s_or_b32 exec_lo, exec_lo, s6
	s_and_saveexec_b32 s6, s1
.LBB414_26:                             ;   in Loop: Header=BB414_17 Depth=2
	ds_store_b32 v36, v0
.LBB414_27:                             ;   in Loop: Header=BB414_17 Depth=2
	s_or_b32 exec_lo, exec_lo, s6
	ds_bpermute_b32 v32, v39, v33
	s_wait_dscnt 0x0
	s_barrier_signal -1
	s_barrier_wait -1
	v_add_f32_e32 v32, v33, v32
	ds_bpermute_b32 v33, v41, v32
	s_wait_dscnt 0x0
	v_add_f32_e32 v32, v32, v33
	ds_bpermute_b32 v33, v42, v32
	s_wait_dscnt 0x0
	;; [unrolled: 3-line block ×3, first 2 shown]
	v_add_f32_e32 v32, v32, v33
	ds_bpermute_b32 v33, v44, v32
	s_and_saveexec_b32 s6, s3
	s_cbranch_execz .LBB414_29
; %bb.28:                               ;   in Loop: Header=BB414_17 Depth=2
	s_wait_dscnt 0x0
	v_add_f32_e32 v32, v32, v33
	ds_store_b32 v37, v32
.LBB414_29:                             ;   in Loop: Header=BB414_17 Depth=2
	s_or_b32 exec_lo, exec_lo, s6
	v_mov_b32_e32 v32, 0
	s_wait_dscnt 0x0
	s_barrier_signal -1
	s_barrier_wait -1
	s_and_saveexec_b32 s6, s2
	s_cbranch_execnz .LBB414_54
; %bb.30:                               ;   in Loop: Header=BB414_17 Depth=2
	s_or_b32 exec_lo, exec_lo, s6
	s_and_saveexec_b32 s6, s1
	s_cbranch_execnz .LBB414_55
.LBB414_31:                             ;   in Loop: Header=BB414_17 Depth=2
	s_or_b32 exec_lo, exec_lo, s6
	s_and_saveexec_b32 s6, s1
.LBB414_32:                             ;   in Loop: Header=BB414_17 Depth=2
	ds_store_b32 v36, v0
.LBB414_33:                             ;   in Loop: Header=BB414_17 Depth=2
	s_or_b32 exec_lo, exec_lo, s6
	ds_bpermute_b32 v33, v39, v6
	s_wait_dscnt 0x0
	s_barrier_signal -1
	s_barrier_wait -1
	v_add_f32_e32 v6, v6, v33
	ds_bpermute_b32 v33, v41, v6
	s_wait_dscnt 0x0
	v_add_f32_e32 v6, v6, v33
	ds_bpermute_b32 v33, v42, v6
	s_wait_dscnt 0x0
	;; [unrolled: 3-line block ×3, first 2 shown]
	v_add_f32_e32 v6, v6, v33
	ds_bpermute_b32 v33, v44, v6
	s_and_saveexec_b32 s6, s3
	s_cbranch_execz .LBB414_35
; %bb.34:                               ;   in Loop: Header=BB414_17 Depth=2
	s_wait_dscnt 0x0
	v_add_f32_e32 v6, v6, v33
	ds_store_b32 v37, v6
.LBB414_35:                             ;   in Loop: Header=BB414_17 Depth=2
	s_or_b32 exec_lo, exec_lo, s6
	v_mov_b32_e32 v6, 0
	s_wait_dscnt 0x0
	s_barrier_signal -1
	s_barrier_wait -1
	s_and_saveexec_b32 s6, s2
	s_cbranch_execnz .LBB414_56
; %bb.36:                               ;   in Loop: Header=BB414_17 Depth=2
	s_or_b32 exec_lo, exec_lo, s6
	s_and_saveexec_b32 s6, s1
	s_cbranch_execnz .LBB414_57
.LBB414_37:                             ;   in Loop: Header=BB414_17 Depth=2
	s_or_b32 exec_lo, exec_lo, s6
	s_and_saveexec_b32 s6, s1
.LBB414_38:                             ;   in Loop: Header=BB414_17 Depth=2
	ds_store_b32 v36, v0
.LBB414_39:                             ;   in Loop: Header=BB414_17 Depth=2
	s_or_b32 exec_lo, exec_lo, s6
	ds_bpermute_b32 v33, v39, v7
	s_wait_dscnt 0x0
	s_barrier_signal -1
	s_barrier_wait -1
	v_add_f32_e32 v7, v7, v33
	ds_bpermute_b32 v33, v41, v7
	s_wait_dscnt 0x0
	v_add_f32_e32 v7, v7, v33
	ds_bpermute_b32 v33, v42, v7
	s_wait_dscnt 0x0
	;; [unrolled: 3-line block ×3, first 2 shown]
	v_add_f32_e32 v7, v7, v33
	ds_bpermute_b32 v33, v44, v7
	s_and_saveexec_b32 s6, s3
	s_cbranch_execz .LBB414_41
; %bb.40:                               ;   in Loop: Header=BB414_17 Depth=2
	s_wait_dscnt 0x0
	v_add_f32_e32 v7, v7, v33
	ds_store_b32 v37, v7
.LBB414_41:                             ;   in Loop: Header=BB414_17 Depth=2
	s_or_b32 exec_lo, exec_lo, s6
	v_mov_b32_e32 v7, 0
	s_wait_dscnt 0x0
	s_barrier_signal -1
	s_barrier_wait -1
	s_and_saveexec_b32 s6, s2
	s_cbranch_execnz .LBB414_58
; %bb.42:                               ;   in Loop: Header=BB414_17 Depth=2
	s_or_b32 exec_lo, exec_lo, s6
	s_and_saveexec_b32 s6, s1
	s_cbranch_execnz .LBB414_59
.LBB414_43:                             ;   in Loop: Header=BB414_17 Depth=2
	s_or_b32 exec_lo, exec_lo, s6
	s_and_saveexec_b32 s6, s0
	s_cbranch_execz .LBB414_16
	s_branch .LBB414_60
.LBB414_44:                             ;   in Loop: Header=BB414_17 Depth=2
	s_mul_i32 s68, s30, s36
	s_clause 0x1
	global_load_u16 v1, v[24:25], off
	global_load_u16 v45, v[28:29], off
	s_add_co_i32 s76, s68, s36
	s_ashr_i32 s69, s68, 31
	s_add_co_i32 s78, s76, s36
	v_lshl_add_u64 v[2:3], s[68:69], 1, v[20:21]
	s_ashr_i32 s79, s78, 31
	s_add_co_i32 s68, s78, s36
	v_lshl_add_u64 v[4:5], s[78:79], 1, v[20:21]
	s_ashr_i32 s69, s68, 31
	s_clause 0x1
	global_load_u16 v46, v[22:23], off
	global_load_u16 v48, v[26:27], off
	s_wait_dscnt 0x0
	global_load_b64 v[6:7], v[2:3], off
	s_ashr_i32 s77, s76, 31
	global_load_b64 v[4:5], v[4:5], off
	s_wait_xcnt 0x1
	v_lshl_add_u64 v[2:3], s[68:69], 1, v[20:21]
	global_load_b64 v[32:33], v[2:3], off
	s_wait_xcnt 0x0
	v_lshl_add_u64 v[2:3], s[76:77], 1, v[20:21]
	global_load_b64 v[34:35], v[2:3], off
	s_wait_loadcnt 0x7
	v_cvt_f32_f16_e32 v47, v1
	s_wait_loadcnt 0x6
	v_cvt_f32_f16_e32 v49, v45
	s_delay_alu instid0(VALU_DEP_1)
	v_dual_mov_b32 v52, v47 :: v_dual_mov_b32 v54, v49
	s_wait_loadcnt 0x5
	s_wait_xcnt 0x0
	v_cvt_f32_f16_e32 v2, v46
	s_wait_loadcnt 0x4
	v_cvt_f32_f16_e32 v50, v48
	s_wait_loadcnt 0x3
	v_dual_lshrrev_b32 v1, 16, v6 :: v_dual_lshrrev_b32 v3, 16, v7
	s_wait_loadcnt 0x2
	v_dual_lshrrev_b32 v45, 16, v4 :: v_dual_lshrrev_b32 v53, 16, v5
	v_cvt_f32_f16_e32 v51, v4
	s_delay_alu instid0(VALU_DEP_3)
	v_cvt_f32_f16_e32 v4, v1
	v_cvt_f32_f16_e32 v55, v5
	;; [unrolled: 1-line block ×3, first 2 shown]
	s_wait_loadcnt 0x1
	v_dual_lshrrev_b32 v1, 16, v32 :: v_dual_lshrrev_b32 v5, 16, v33
	v_cvt_f32_f16_e32 v46, v32
	v_cvt_f32_f16_e32 v48, v33
	;; [unrolled: 1-line block ×3, first 2 shown]
	s_delay_alu instid0(VALU_DEP_4)
	v_cvt_f32_f16_e32 v3, v1
	v_cvt_f32_f16_e32 v6, v7
	s_wait_loadcnt 0x0
	v_cvt_f32_f16_e32 v57, v34
	v_dual_lshrrev_b32 v1, 16, v34 :: v_dual_lshrrev_b32 v59, 16, v35
	v_pk_mul_f32 v[32:33], v[46:47], v[2:3]
	v_cvt_f32_f16_e32 v7, v35
	v_cvt_f32_f16_e32 v45, v45
	v_mul_f32_e32 v34, v2, v51
	v_cvt_f32_f16_e32 v51, v5
	v_dual_mov_b32 v35, v32 :: v_dual_mov_b32 v3, v47
	s_delay_alu instid0(VALU_DEP_4) | instskip(SKIP_1) | instid1(VALU_DEP_4)
	v_mul_f32_e32 v32, v47, v45
	v_cvt_f32_f16_e32 v5, v1
	v_pk_mul_f32 v[46:47], v[48:49], v[50:51]
	s_delay_alu instid0(VALU_DEP_4)
	v_pk_add_f32 v[34:35], v[34:35], 0 op_sel_hi:[1,0]
	v_pk_fma_f32 v[56:57], v[2:3], v[56:57], 0 op_sel_hi:[0,1,0]
	v_cvt_f32_f16_e32 v1, v53
	v_mul_f32_e32 v60, v50, v55
	v_mov_b32_e32 v61, v46
	v_pk_add_f32 v[32:33], v[34:35], v[32:33]
	v_pk_fma_f32 v[4:5], v[52:53], v[4:5], v[56:57] op_sel_hi:[0,1,1]
	v_cvt_f32_f16_e32 v59, v59
	v_mul_f32_e32 v46, v49, v1
	s_delay_alu instid0(VALU_DEP_3) | instskip(SKIP_3) | instid1(VALU_DEP_2)
	v_pk_fma_f32 v[34:35], v[50:51], v[6:7], v[4:5] op_sel_hi:[0,1,1]
	v_mov_b32_e32 v4, v50
	v_pk_add_f32 v[32:33], v[32:33], v[60:61]
	v_mov_b32_e32 v5, v49
	v_pk_add_f32 v[6:7], v[32:33], v[46:47]
	v_pk_fma_f32 v[32:33], v[54:55], v[58:59], v[34:35] op_sel_hi:[0,1,1]
	s_and_not1_saveexec_b32 s29, s6
	s_cbranch_execz .LBB414_19
.LBB414_45:                             ;   in Loop: Header=BB414_17 Depth=2
	s_wait_dscnt 0x0
	v_dual_mov_b32 v7, 0 :: v_dual_mov_b32 v6, 0
	v_dual_mov_b32 v33, 0 :: v_dual_mov_b32 v32, 0
	s_and_saveexec_b32 s41, s5
	s_cbranch_execz .LBB414_62
; %bb.46:                               ;   in Loop: Header=BB414_17 Depth=2
	s_and_not1_b32 vcc_lo, exec_lo, s73
	s_cbranch_vccnz .LBB414_49
; %bb.47:                               ;   in Loop: Header=BB414_17 Depth=2
	v_mov_b32_e32 v1, v8
	s_mov_b64 s[68:69], 0
.LBB414_48:                             ;   Parent Loop BB414_3 Depth=1
                                        ;     Parent Loop BB414_17 Depth=2
                                        ; =>    This Inner Loop Header: Depth=3
	global_load_u16 v6, v1, s[58:59] scale_offset
	s_cmp_eq_u32 s68, 3
	s_cselect_b32 vcc_lo, -1, 0
	s_cmp_eq_u32 s68, 2
	s_cselect_b32 s6, -1, 0
	s_cmp_eq_u32 s68, 1
	s_cselect_b32 s7, -1, 0
	s_cmp_eq_u32 s68, 0
	s_add_nc_u64 s[68:69], s[68:69], 1
	s_wait_loadcnt 0x0
	v_cvt_f32_f16_e32 v6, v6
	s_wait_xcnt 0x0
	s_delay_alu instid0(VALU_DEP_1)
	v_dual_add_nc_u32 v1, s10, v1 :: v_dual_cndmask_b32 v5, v5, v6, vcc_lo
	s_cselect_b32 vcc_lo, -1, 0
	v_dual_cndmask_b32 v4, v4, v6, s6 :: v_dual_cndmask_b32 v3, v3, v6, s7
	v_cndmask_b32_e32 v2, v2, v6, vcc_lo
	s_cmp_eq_u32 s71, s68
	s_cbranch_scc0 .LBB414_48
.LBB414_49:                             ;   in Loop: Header=BB414_17 Depth=2
	s_and_not1_b32 vcc_lo, exec_lo, s73
	s_cbranch_vccnz .LBB414_61
; %bb.50:                               ;   in Loop: Header=BB414_17 Depth=2
	v_mov_b32_e32 v32, 0
	s_ashr_i32 s63, s62, 31
	s_mov_b64 s[6:7], 0
	v_lshl_add_u64 v[34:35], s[62:63], 1, v[30:31]
	s_delay_alu instid0(VALU_DEP_2)
	v_dual_mov_b32 v33, v32 :: v_dual_mov_b32 v6, v32
	v_mov_b32_e32 v7, v32
.LBB414_51:                             ;   Parent Loop BB414_3 Depth=1
                                        ;     Parent Loop BB414_17 Depth=2
                                        ; =>    This Inner Loop Header: Depth=3
	s_cmp_eq_u32 s6, 1
	s_cselect_b32 vcc_lo, -1, 0
	s_cmp_eq_u32 s6, 2
	v_cndmask_b32_e32 v1, v2, v3, vcc_lo
	s_cselect_b32 vcc_lo, -1, 0
	s_cmp_eq_u32 s6, 3
	s_delay_alu instid0(VALU_DEP_1)
	v_cndmask_b32_e32 v1, v1, v4, vcc_lo
	s_cselect_b32 vcc_lo, -1, 0
	s_add_co_i32 s78, s8, s6
	s_add_co_i32 s76, s64, s6
	;; [unrolled: 1-line block ×3, first 2 shown]
	s_ashr_i32 s79, s78, 31
	s_ashr_i32 s77, s76, 31
	;; [unrolled: 1-line block ×3, first 2 shown]
	v_lshl_add_u64 v[46:47], s[78:79], 1, v[20:21]
	v_lshl_add_u64 v[48:49], s[76:77], 1, v[20:21]
	;; [unrolled: 1-line block ×3, first 2 shown]
	global_load_u16 v45, v[34:35], off
	s_clause 0x2
	global_load_u16 v47, v[46:47], off
	global_load_u16 v49, v[48:49], off
	;; [unrolled: 1-line block ×3, first 2 shown]
	s_wait_xcnt 0x2
	v_cndmask_b32_e32 v46, v1, v5, vcc_lo
	v_add_nc_u64_e32 v[34:35], 2, v[34:35]
	s_add_nc_u64 s[6:7], s[6:7], 1
	s_delay_alu instid0(SALU_CYCLE_1)
	s_cmp_lg_u32 s71, s6
	s_wait_loadcnt 0x3
	s_wait_xcnt 0x1
	v_cvt_f32_f16_e32 v48, v45
	s_wait_loadcnt 0x2
	s_wait_xcnt 0x0
	v_cvt_f32_f16_e32 v51, v47
	s_wait_loadcnt 0x1
	v_cvt_f32_f16_e32 v50, v49
	s_wait_loadcnt 0x0
	v_cvt_f32_f16_e32 v49, v52
	s_delay_alu instid0(VALU_DEP_2) | instskip(NEXT) | instid1(VALU_DEP_2)
	v_pk_fma_f32 v[6:7], v[46:47], v[50:51], v[6:7] op_sel_hi:[0,1,1]
	v_pk_fma_f32 v[32:33], v[46:47], v[48:49], v[32:33] op_sel_hi:[0,1,1]
	s_cbranch_scc1 .LBB414_51
	s_branch .LBB414_62
.LBB414_52:                             ;   in Loop: Header=BB414_17 Depth=2
	ds_load_b32 v1, v36
	s_or_b32 exec_lo, exec_lo, s6
	s_and_saveexec_b32 s6, s1
	s_cbranch_execz .LBB414_25
.LBB414_53:                             ;   in Loop: Header=BB414_17 Depth=2
	s_wait_dscnt 0x0
	ds_bpermute_b32 v32, v42, v1
	s_wait_dscnt 0x0
	v_add_f32_e32 v1, v1, v32
	ds_bpermute_b32 v32, v43, v1
	s_wait_dscnt 0x0
	v_add_f32_e32 v1, v1, v32
	;; [unrolled: 3-line block ×3, first 2 shown]
	s_or_b32 exec_lo, exec_lo, s6
	s_and_saveexec_b32 s6, s1
	s_cbranch_execnz .LBB414_26
	s_branch .LBB414_27
.LBB414_54:                             ;   in Loop: Header=BB414_17 Depth=2
	ds_load_b32 v32, v36
	s_or_b32 exec_lo, exec_lo, s6
	s_and_saveexec_b32 s6, s1
	s_cbranch_execz .LBB414_31
.LBB414_55:                             ;   in Loop: Header=BB414_17 Depth=2
	s_wait_dscnt 0x0
	ds_bpermute_b32 v33, v42, v32
	s_wait_dscnt 0x0
	v_add_f32_e32 v32, v32, v33
	ds_bpermute_b32 v33, v43, v32
	s_wait_dscnt 0x0
	v_add_f32_e32 v32, v32, v33
	ds_bpermute_b32 v33, v44, v32
	s_wait_dscnt 0x0
	v_add_f32_e32 v32, v32, v33
	s_or_b32 exec_lo, exec_lo, s6
	s_and_saveexec_b32 s6, s1
	s_cbranch_execnz .LBB414_32
	s_branch .LBB414_33
.LBB414_56:                             ;   in Loop: Header=BB414_17 Depth=2
	ds_load_b32 v6, v36
	s_or_b32 exec_lo, exec_lo, s6
	s_and_saveexec_b32 s6, s1
	s_cbranch_execz .LBB414_37
.LBB414_57:                             ;   in Loop: Header=BB414_17 Depth=2
	s_wait_dscnt 0x0
	ds_bpermute_b32 v33, v42, v6
	s_wait_dscnt 0x0
	v_add_f32_e32 v6, v6, v33
	ds_bpermute_b32 v33, v43, v6
	s_wait_dscnt 0x0
	v_add_f32_e32 v6, v6, v33
	ds_bpermute_b32 v33, v44, v6
	s_wait_dscnt 0x0
	v_add_f32_e32 v6, v6, v33
	s_or_b32 exec_lo, exec_lo, s6
	s_and_saveexec_b32 s6, s1
	s_cbranch_execnz .LBB414_38
	s_branch .LBB414_39
.LBB414_58:                             ;   in Loop: Header=BB414_17 Depth=2
	ds_load_b32 v7, v36
	s_or_b32 exec_lo, exec_lo, s6
	s_and_saveexec_b32 s6, s1
	s_cbranch_execz .LBB414_43
.LBB414_59:                             ;   in Loop: Header=BB414_17 Depth=2
	s_wait_dscnt 0x0
	ds_bpermute_b32 v33, v42, v7
	s_wait_dscnt 0x0
	v_add_f32_e32 v7, v7, v33
	ds_bpermute_b32 v33, v43, v7
	s_wait_dscnt 0x0
	v_add_f32_e32 v7, v7, v33
	;; [unrolled: 3-line block ×3, first 2 shown]
	s_or_b32 exec_lo, exec_lo, s6
	s_and_saveexec_b32 s6, s0
	s_cbranch_execz .LBB414_16
.LBB414_60:                             ;   in Loop: Header=BB414_17 Depth=2
	s_mul_i32 s7, s30, s38
	v_dual_mul_f32 v1, v40, v1 :: v_dual_mul_f32 v32, v40, v32
	s_add_co_i32 s7, s7, s40
	s_delay_alu instid0(SALU_CYCLE_1) | instskip(NEXT) | instid1(SALU_CYCLE_1)
	s_add_co_i32 s29, s7, s38
	v_dual_mov_b32 v33, s7 :: v_dual_mov_b32 v34, s29
	s_add_co_i32 s7, s29, s38
	s_delay_alu instid0(SALU_CYCLE_1)
	v_dual_mul_f32 v6, v40, v6 :: v_dual_mov_b32 v35, s7
	s_add_co_i32 s7, s7, s38
	s_wait_dscnt 0x0
	v_dual_mul_f32 v7, v40, v7 :: v_dual_mov_b32 v45, s7
	s_clause 0x3
	global_store_b32 v33, v1, s[60:61] scale_offset
	global_store_b32 v34, v32, s[60:61] scale_offset
	;; [unrolled: 1-line block ×4, first 2 shown]
	s_branch .LBB414_16
.LBB414_61:                             ;   in Loop: Header=BB414_17 Depth=2
	v_mov_b32_e32 v7, 0
	s_delay_alu instid0(VALU_DEP_1)
	v_dual_mov_b32 v6, v7 :: v_dual_mov_b32 v33, v7
	v_mov_b32_e32 v32, v7
.LBB414_62:                             ;   in Loop: Header=BB414_17 Depth=2
	s_or_b32 exec_lo, exec_lo, s41
	s_delay_alu instid0(SALU_CYCLE_1)
	s_or_b32 exec_lo, exec_lo, s29
	s_and_saveexec_b32 s6, s1
	s_cbranch_execnz .LBB414_20
	s_branch .LBB414_21
.LBB414_63:                             ;   in Loop: Header=BB414_3 Depth=1
	v_dual_mov_b32 v1, v0 :: v_dual_mov_b32 v2, v0
	v_mov_b32_e32 v3, v0
	s_mov_b32 s30, 0
	s_delay_alu instid0(VALU_DEP_1) | instskip(NEXT) | instid1(VALU_DEP_3)
	v_mov_b64_e32 v[4:5], v[2:3]
	v_mov_b64_e32 v[2:3], v[0:1]
.LBB414_64:                             ;   in Loop: Header=BB414_3 Depth=1
	s_cmp_ge_i32 s30, s35
	s_cbranch_scc1 .LBB414_2
; %bb.65:                               ;   in Loop: Header=BB414_3 Depth=1
	v_cmp_gt_u32_e32 vcc_lo, 24, v38
	s_add_nc_u64 s[8:9], s[60:61], s[22:23]
	s_mul_i32 s60, s36, s30
	v_cndmask_b32_e64 v1, 0, 8, vcc_lo
	v_cmp_gt_u32_e32 vcc_lo, 28, v38
	s_delay_alu instid0(VALU_DEP_2) | instskip(SKIP_4) | instid1(VALU_DEP_2)
	v_add_lshl_u32 v1, v1, v38, 2
	s_wait_dscnt 0x0
	v_cndmask_b32_e64 v6, 0, 4, vcc_lo
	v_cmp_gt_u32_e32 vcc_lo, 30, v38
	s_wait_dscnt 0x0
	v_add_lshl_u32 v7, v6, v38, 2
	v_cndmask_b32_e64 v32, 0, 2, vcc_lo
	v_cmp_ne_u32_e32 vcc_lo, 31, v38
	s_delay_alu instid0(VALU_DEP_2) | instskip(SKIP_1) | instid1(VALU_DEP_1)
	v_add_lshl_u32 v34, v32, v38, 2
	v_add_co_ci_u32_e64 v33, null, 0, v38, vcc_lo
	v_lshlrev_b32_e32 v35, 2, v33
	s_branch .LBB414_67
.LBB414_66:                             ;   in Loop: Header=BB414_67 Depth=2
	s_wait_xcnt 0x0
	s_or_b32 exec_lo, exec_lo, s6
	s_add_co_i32 s30, s30, 1
	s_add_co_i32 s60, s60, s36
	s_cmp_ge_i32 s30, s35
	s_cbranch_scc1 .LBB414_2
.LBB414_67:                             ;   Parent Loop BB414_3 Depth=1
                                        ; =>  This Loop Header: Depth=2
                                        ;       Child Loop BB414_80 Depth 3
                                        ;       Child Loop BB414_83 Depth 3
	s_wait_dscnt 0x0
	v_mov_b32_e32 v6, s31
	s_and_saveexec_b32 s6, s4
	s_delay_alu instid0(SALU_CYCLE_1)
	s_xor_b32 s6, exec_lo, s6
	s_cbranch_execnz .LBB414_76
; %bb.68:                               ;   in Loop: Header=BB414_67 Depth=2
	s_and_not1_saveexec_b32 s29, s6
	s_cbranch_execnz .LBB414_77
.LBB414_69:                             ;   in Loop: Header=BB414_67 Depth=2
	s_or_b32 exec_lo, exec_lo, s29
	s_and_saveexec_b32 s6, s1
.LBB414_70:                             ;   in Loop: Header=BB414_67 Depth=2
	ds_store_b32 v36, v0
.LBB414_71:                             ;   in Loop: Header=BB414_67 Depth=2
	s_or_b32 exec_lo, exec_lo, s6
	ds_bpermute_b32 v32, v39, v6
	s_wait_storecnt_dscnt 0x0
	s_barrier_signal -1
	s_barrier_wait -1
	v_add_f32_e32 v6, v6, v32
	ds_bpermute_b32 v32, v1, v6
	s_wait_dscnt 0x0
	v_add_f32_e32 v6, v6, v32
	ds_bpermute_b32 v32, v7, v6
	s_wait_dscnt 0x0
	;; [unrolled: 3-line block ×3, first 2 shown]
	v_add_f32_e32 v6, v6, v32
	ds_bpermute_b32 v32, v35, v6
	s_and_saveexec_b32 s6, s3
	s_cbranch_execz .LBB414_73
; %bb.72:                               ;   in Loop: Header=BB414_67 Depth=2
	s_wait_dscnt 0x0
	v_add_f32_e32 v6, v6, v32
	ds_store_b32 v37, v6
.LBB414_73:                             ;   in Loop: Header=BB414_67 Depth=2
	s_or_b32 exec_lo, exec_lo, s6
	v_mov_b32_e32 v6, 0
	s_wait_dscnt 0x0
	s_barrier_signal -1
	s_barrier_wait -1
	s_and_saveexec_b32 s6, s2
	s_cbranch_execnz .LBB414_85
; %bb.74:                               ;   in Loop: Header=BB414_67 Depth=2
	s_or_b32 exec_lo, exec_lo, s6
	s_and_saveexec_b32 s6, s1
	s_cbranch_execnz .LBB414_86
.LBB414_75:                             ;   in Loop: Header=BB414_67 Depth=2
	s_or_b32 exec_lo, exec_lo, s6
	s_and_saveexec_b32 s6, s0
	s_cbranch_execz .LBB414_66
	s_branch .LBB414_87
.LBB414_76:                             ;   in Loop: Header=BB414_67 Depth=2
	s_mul_i32 s62, s30, s36
	s_delay_alu instid0(SALU_CYCLE_1) | instskip(NEXT) | instid1(SALU_CYCLE_1)
	s_ashr_i32 s63, s62, 31
	v_lshl_add_u64 v[2:3], s[62:63], 1, v[20:21]
	global_load_b64 v[32:33], v[2:3], off
	s_clause 0x3
	global_load_u16 v2, v[24:25], off
	global_load_u16 v4, v[22:23], off
	global_load_u16 v6, v[28:29], off
	global_load_u16 v41, v[26:27], off
	s_wait_loadcnt 0x4
	v_dual_lshrrev_b32 v5, 16, v32 :: v_dual_lshrrev_b32 v44, 16, v33
	s_wait_loadcnt 0x3
	v_cvt_f32_f16_e32 v3, v2
	s_wait_loadcnt 0x2
	v_cvt_f32_f16_e32 v2, v4
	v_cvt_f32_f16_e32 v4, v32
	;; [unrolled: 1-line block ×5, first 2 shown]
	s_delay_alu instid0(VALU_DEP_3)
	v_pk_mul_f32 v[42:43], v[2:3], v[4:5]
	s_wait_loadcnt 0x1
	v_cvt_f32_f16_e32 v5, v6
	s_wait_loadcnt 0x0
	v_cvt_f32_f16_e32 v4, v41
	v_add_f32_e32 v6, 0, v42
	s_delay_alu instid0(VALU_DEP_2) | instskip(NEXT) | instid1(VALU_DEP_2)
	v_pk_mul_f32 v[32:33], v[4:5], v[32:33]
	v_add_f32_e32 v6, v6, v43
	s_delay_alu instid0(VALU_DEP_1) | instskip(NEXT) | instid1(VALU_DEP_1)
	v_add_f32_e32 v6, v6, v32
	v_add_f32_e32 v6, v6, v33
	s_wait_xcnt 0x0
	s_and_not1_saveexec_b32 s29, s6
	s_cbranch_execz .LBB414_69
.LBB414_77:                             ;   in Loop: Header=BB414_67 Depth=2
	s_and_saveexec_b32 s41, s5
	s_cbranch_execz .LBB414_84
; %bb.78:                               ;   in Loop: Header=BB414_67 Depth=2
	s_and_not1_b32 vcc_lo, exec_lo, s73
	s_cbranch_vccnz .LBB414_81
; %bb.79:                               ;   in Loop: Header=BB414_67 Depth=2
	v_mov_b32_e32 v32, v8
	s_mov_b64 s[62:63], 0
.LBB414_80:                             ;   Parent Loop BB414_3 Depth=1
                                        ;     Parent Loop BB414_67 Depth=2
                                        ; =>    This Inner Loop Header: Depth=3
	global_load_u16 v33, v32, s[58:59] scale_offset
	s_cmp_eq_u32 s62, 3
	s_cselect_b32 vcc_lo, -1, 0
	s_cmp_eq_u32 s62, 2
	s_cselect_b32 s6, -1, 0
	s_cmp_eq_u32 s62, 1
	s_cselect_b32 s7, -1, 0
	s_cmp_eq_u32 s62, 0
	s_add_nc_u64 s[62:63], s[62:63], 1
	s_wait_loadcnt 0x0
	v_cvt_f32_f16_e32 v33, v33
	s_wait_xcnt 0x0
	s_delay_alu instid0(VALU_DEP_1)
	v_dual_cndmask_b32 v5, v5, v33 :: v_dual_add_nc_u32 v32, s10, v32
	s_cselect_b32 vcc_lo, -1, 0
	v_dual_cndmask_b32 v4, v4, v33, s6 :: v_dual_cndmask_b32 v3, v3, v33, s7
	v_cndmask_b32_e32 v2, v2, v33, vcc_lo
	s_cmp_eq_u32 s71, s62
	s_cbranch_scc0 .LBB414_80
.LBB414_81:                             ;   in Loop: Header=BB414_67 Depth=2
	s_and_not1_b32 vcc_lo, exec_lo, s73
	s_cbranch_vccnz .LBB414_84
; %bb.82:                               ;   in Loop: Header=BB414_67 Depth=2
	s_ashr_i32 s61, s60, 31
	s_mov_b64 s[6:7], 0
	v_lshl_add_u64 v[32:33], s[60:61], 1, v[30:31]
.LBB414_83:                             ;   Parent Loop BB414_3 Depth=1
                                        ;     Parent Loop BB414_67 Depth=2
                                        ; =>    This Inner Loop Header: Depth=3
	global_load_u16 v41, v[32:33], off
	s_cmp_eq_u32 s6, 1
	s_wait_xcnt 0x0
	v_add_nc_u64_e32 v[32:33], 2, v[32:33]
	s_cselect_b32 vcc_lo, -1, 0
	s_cmp_eq_u32 s6, 2
	v_cndmask_b32_e32 v42, v2, v3, vcc_lo
	s_cselect_b32 vcc_lo, -1, 0
	s_cmp_eq_u32 s6, 3
	s_add_nc_u64 s[6:7], s[6:7], 1
	s_delay_alu instid0(VALU_DEP_1) | instskip(SKIP_2) | instid1(VALU_DEP_1)
	v_cndmask_b32_e32 v42, v42, v4, vcc_lo
	s_cselect_b32 vcc_lo, -1, 0
	s_cmp_lg_u32 s71, s6
	v_cndmask_b32_e32 v42, v42, v5, vcc_lo
	s_wait_loadcnt 0x0
	s_delay_alu instid0(VALU_DEP_1)
	v_fma_mix_f32 v6, v42, v41, v6 op_sel_hi:[0,1,0]
	s_cbranch_scc1 .LBB414_83
.LBB414_84:                             ;   in Loop: Header=BB414_67 Depth=2
	s_or_b32 exec_lo, exec_lo, s41
	s_delay_alu instid0(SALU_CYCLE_1)
	s_or_b32 exec_lo, exec_lo, s29
	s_and_saveexec_b32 s6, s1
	s_cbranch_execnz .LBB414_70
	s_branch .LBB414_71
.LBB414_85:                             ;   in Loop: Header=BB414_67 Depth=2
	ds_load_b32 v6, v36
	s_or_b32 exec_lo, exec_lo, s6
	s_and_saveexec_b32 s6, s1
	s_cbranch_execz .LBB414_75
.LBB414_86:                             ;   in Loop: Header=BB414_67 Depth=2
	s_wait_dscnt 0x0
	ds_bpermute_b32 v32, v7, v6
	s_wait_dscnt 0x0
	v_add_f32_e32 v6, v6, v32
	ds_bpermute_b32 v32, v34, v6
	s_wait_dscnt 0x0
	v_add_f32_e32 v6, v6, v32
	;; [unrolled: 3-line block ×3, first 2 shown]
	s_or_b32 exec_lo, exec_lo, s6
	s_and_saveexec_b32 s6, s0
	s_cbranch_execz .LBB414_66
.LBB414_87:                             ;   in Loop: Header=BB414_67 Depth=2
	s_mul_u64 s[62:63], s[30:31], s[38:39]
	s_wait_dscnt 0x0
	v_mul_f32_e32 v6, v40, v6
	s_lshl_b64 s[62:63], s[62:63], 2
	s_delay_alu instid0(SALU_CYCLE_1)
	s_add_nc_u64 s[62:63], s[8:9], s[62:63]
	global_store_b32 v0, v6, s[62:63]
	s_branch .LBB414_66
.LBB414_88:
	s_endpgm
	.section	.rodata,"a",@progbits
	.p2align	6, 0x0
	.amdhsa_kernel _ZL23rocblas_gemvt_sn_kernelILb1ELi256ELi4EiDF16_PKffEviiT4_lPKT3_lilS5_lilPT5_i
		.amdhsa_group_segment_fixed_size 128
		.amdhsa_private_segment_fixed_size 0
		.amdhsa_kernarg_size 360
		.amdhsa_user_sgpr_count 2
		.amdhsa_user_sgpr_dispatch_ptr 0
		.amdhsa_user_sgpr_queue_ptr 0
		.amdhsa_user_sgpr_kernarg_segment_ptr 1
		.amdhsa_user_sgpr_dispatch_id 0
		.amdhsa_user_sgpr_kernarg_preload_length 0
		.amdhsa_user_sgpr_kernarg_preload_offset 0
		.amdhsa_user_sgpr_private_segment_size 0
		.amdhsa_wavefront_size32 1
		.amdhsa_uses_dynamic_stack 0
		.amdhsa_enable_private_segment 0
		.amdhsa_system_sgpr_workgroup_id_x 1
		.amdhsa_system_sgpr_workgroup_id_y 0
		.amdhsa_system_sgpr_workgroup_id_z 1
		.amdhsa_system_sgpr_workgroup_info 0
		.amdhsa_system_vgpr_workitem_id 0
		.amdhsa_next_free_vgpr 62
		.amdhsa_next_free_sgpr 80
		.amdhsa_named_barrier_count 0
		.amdhsa_reserve_vcc 1
		.amdhsa_float_round_mode_32 0
		.amdhsa_float_round_mode_16_64 0
		.amdhsa_float_denorm_mode_32 3
		.amdhsa_float_denorm_mode_16_64 3
		.amdhsa_fp16_overflow 0
		.amdhsa_memory_ordered 1
		.amdhsa_forward_progress 1
		.amdhsa_inst_pref_size 33
		.amdhsa_round_robin_scheduling 0
		.amdhsa_exception_fp_ieee_invalid_op 0
		.amdhsa_exception_fp_denorm_src 0
		.amdhsa_exception_fp_ieee_div_zero 0
		.amdhsa_exception_fp_ieee_overflow 0
		.amdhsa_exception_fp_ieee_underflow 0
		.amdhsa_exception_fp_ieee_inexact 0
		.amdhsa_exception_int_div_zero 0
	.end_amdhsa_kernel
	.section	.text._ZL23rocblas_gemvt_sn_kernelILb1ELi256ELi4EiDF16_PKffEviiT4_lPKT3_lilS5_lilPT5_i,"axG",@progbits,_ZL23rocblas_gemvt_sn_kernelILb1ELi256ELi4EiDF16_PKffEviiT4_lPKT3_lilS5_lilPT5_i,comdat
.Lfunc_end414:
	.size	_ZL23rocblas_gemvt_sn_kernelILb1ELi256ELi4EiDF16_PKffEviiT4_lPKT3_lilS5_lilPT5_i, .Lfunc_end414-_ZL23rocblas_gemvt_sn_kernelILb1ELi256ELi4EiDF16_PKffEviiT4_lPKT3_lilS5_lilPT5_i
                                        ; -- End function
	.set _ZL23rocblas_gemvt_sn_kernelILb1ELi256ELi4EiDF16_PKffEviiT4_lPKT3_lilS5_lilPT5_i.num_vgpr, 62
	.set _ZL23rocblas_gemvt_sn_kernelILb1ELi256ELi4EiDF16_PKffEviiT4_lPKT3_lilS5_lilPT5_i.num_agpr, 0
	.set _ZL23rocblas_gemvt_sn_kernelILb1ELi256ELi4EiDF16_PKffEviiT4_lPKT3_lilS5_lilPT5_i.numbered_sgpr, 80
	.set _ZL23rocblas_gemvt_sn_kernelILb1ELi256ELi4EiDF16_PKffEviiT4_lPKT3_lilS5_lilPT5_i.num_named_barrier, 0
	.set _ZL23rocblas_gemvt_sn_kernelILb1ELi256ELi4EiDF16_PKffEviiT4_lPKT3_lilS5_lilPT5_i.private_seg_size, 0
	.set _ZL23rocblas_gemvt_sn_kernelILb1ELi256ELi4EiDF16_PKffEviiT4_lPKT3_lilS5_lilPT5_i.uses_vcc, 1
	.set _ZL23rocblas_gemvt_sn_kernelILb1ELi256ELi4EiDF16_PKffEviiT4_lPKT3_lilS5_lilPT5_i.uses_flat_scratch, 0
	.set _ZL23rocblas_gemvt_sn_kernelILb1ELi256ELi4EiDF16_PKffEviiT4_lPKT3_lilS5_lilPT5_i.has_dyn_sized_stack, 0
	.set _ZL23rocblas_gemvt_sn_kernelILb1ELi256ELi4EiDF16_PKffEviiT4_lPKT3_lilS5_lilPT5_i.has_recursion, 0
	.set _ZL23rocblas_gemvt_sn_kernelILb1ELi256ELi4EiDF16_PKffEviiT4_lPKT3_lilS5_lilPT5_i.has_indirect_call, 0
	.section	.AMDGPU.csdata,"",@progbits
; Kernel info:
; codeLenInByte = 4156
; TotalNumSgprs: 82
; NumVgprs: 62
; ScratchSize: 0
; MemoryBound: 0
; FloatMode: 240
; IeeeMode: 1
; LDSByteSize: 128 bytes/workgroup (compile time only)
; SGPRBlocks: 0
; VGPRBlocks: 3
; NumSGPRsForWavesPerEU: 82
; NumVGPRsForWavesPerEU: 62
; NamedBarCnt: 0
; Occupancy: 16
; WaveLimiterHint : 0
; COMPUTE_PGM_RSRC2:SCRATCH_EN: 0
; COMPUTE_PGM_RSRC2:USER_SGPR: 2
; COMPUTE_PGM_RSRC2:TRAP_HANDLER: 0
; COMPUTE_PGM_RSRC2:TGID_X_EN: 1
; COMPUTE_PGM_RSRC2:TGID_Y_EN: 0
; COMPUTE_PGM_RSRC2:TGID_Z_EN: 1
; COMPUTE_PGM_RSRC2:TIDIG_COMP_CNT: 0
	.section	.text._ZL23rocblas_gemvt_sn_kernelILb1ELi256ELi4ElDF16_PKffEviiT4_lPKT3_lilS5_lilPT5_i,"axG",@progbits,_ZL23rocblas_gemvt_sn_kernelILb1ELi256ELi4ElDF16_PKffEviiT4_lPKT3_lilS5_lilPT5_i,comdat
	.globl	_ZL23rocblas_gemvt_sn_kernelILb1ELi256ELi4ElDF16_PKffEviiT4_lPKT3_lilS5_lilPT5_i ; -- Begin function _ZL23rocblas_gemvt_sn_kernelILb1ELi256ELi4ElDF16_PKffEviiT4_lPKT3_lilS5_lilPT5_i
	.p2align	8
	.type	_ZL23rocblas_gemvt_sn_kernelILb1ELi256ELi4ElDF16_PKffEviiT4_lPKT3_lilS5_lilPT5_i,@function
_ZL23rocblas_gemvt_sn_kernelILb1ELi256ELi4ElDF16_PKffEviiT4_lPKT3_lilS5_lilPT5_i: ; @_ZL23rocblas_gemvt_sn_kernelILb1ELi256ELi4ElDF16_PKffEviiT4_lPKT3_lilS5_lilPT5_i
; %bb.0:
	s_load_b32 s33, s[0:1], 0x60
	s_bfe_u32 s2, ttmp6, 0x40014
	s_lshr_b32 s3, ttmp7, 16
	s_add_co_i32 s2, s2, 1
	s_bfe_u32 s5, ttmp6, 0x40008
	s_mul_i32 s4, s3, s2
	s_getreg_b32 s2, hwreg(HW_REG_IB_STS2, 6, 4)
	s_add_co_i32 s5, s5, s4
	s_cmp_eq_u32 s2, 0
	s_mov_b32 s29, 0
	s_cselect_b32 s10, s3, s5
	s_wait_kmcnt 0x0
	s_cmp_ge_u32 s10, s33
	s_cbranch_scc1 .LBB415_88
; %bb.1:
	s_clause 0x6
	s_load_b32 s30, s[0:1], 0x28
	s_load_b96 s[4:6], s[0:1], 0x40
	s_load_b256 s[12:19], s[0:1], 0x8
	s_load_b64 s[34:35], s[0:1], 0x0
	s_load_b128 s[20:23], s[0:1], 0x30
	s_load_b128 s[24:27], s[0:1], 0x50
	s_load_b32 s36, s[0:1], 0x68
	s_wait_xcnt 0x0
	v_cmp_eq_u32_e64 s0, 0, v0
	v_mbcnt_lo_u32_b32 v42, -1, 0
	v_mov_b64_e32 v[20:21], 0
	s_mov_b32 s37, s29
	s_delay_alu instid0(VALU_DEP_2)
	v_lshl_or_b32 v43, v42, 2, 64
	s_wait_kmcnt 0x0
	s_ashr_i32 s31, s30, 31
	s_ashr_i32 s7, s6, 31
	s_lshl_b64 s[4:5], s[4:5], 1
	s_lshl_b64 s[8:9], s[18:19], 1
	s_ashr_i32 s43, s35, 31
	s_cmp_gt_i32 s35, 0
	s_add_nc_u64 s[18:19], s[22:23], s[4:5]
	s_cselect_b32 s1, -1, 0
	s_bfe_u32 s3, ttmp6, 0x4000c
	s_add_nc_u64 s[4:5], s[16:17], s[8:9]
	s_add_co_i32 s3, s3, 1
	s_and_b32 s8, ttmp6, 15
	s_mul_i32 s3, ttmp9, s3
	s_and_b32 s64, s0, s1
	s_add_co_i32 s8, s8, s3
	s_cmp_eq_u32 s2, 0
	s_mov_b32 s42, s35
	s_cselect_b32 s28, ttmp9, s8
	s_ashr_i32 s2, s34, 31
	s_lshl_b32 s3, s28, 10
	s_lshr_b32 s2, s2, 30
	v_lshl_or_b32 v2, v0, 2, s3
	s_add_co_i32 s2, s34, s2
	s_lshr_b32 s1, s43, 30
	s_and_b32 s2, s2, -4
	s_add_co_i32 s1, s35, s1
	s_sub_co_i32 s66, s34, s2
	v_dual_ashrrev_i32 v3, 31, v2 :: v_dual_add_nc_u32 v1, 4, v2
	v_dual_add_nc_u32 v4, s66, v2 :: v_dual_bitop2_b32 v6, 2, v2 bitop3:0x54
	s_and_b32 s65, s1, -4
	s_delay_alu instid0(VALU_DEP_2) | instskip(SKIP_1) | instid1(VALU_DEP_3)
	v_lshl_add_u64 v[8:9], v[2:3], 1, s[4:5]
	v_mul_u64_e32 v[10:11], s[6:7], v[2:3]
	v_cmp_ge_i32_e64 s2, s34, v4
	v_or_b32_e32 v4, 1, v2
	v_or_b32_e32 v2, 3, v2
	v_cmp_ge_i32_e64 s1, s34, v1
	v_dual_ashrrev_i32 v7, 31, v6 :: v_dual_bitop2_b32 v1, 31, v0 bitop3:0x40
	s_cmp_gt_i32 s65, 0
	v_dual_ashrrev_i32 v3, 31, v2 :: v_dual_ashrrev_i32 v5, 31, v4
	s_cselect_b32 s67, -1, 0
	s_delay_alu instid0(VALU_DEP_2) | instskip(SKIP_1) | instid1(VALU_DEP_2)
	v_mul_u64_e32 v[14:15], s[6:7], v[6:7]
	s_cmp_gt_i32 s66, 0
	v_mul_u64_e32 v[16:17], s[6:7], v[2:3]
	v_mul_u64_e32 v[12:13], s[6:7], v[4:5]
	s_cselect_b32 s34, -1, 0
	s_cmp_gt_u32 s35, 1
	v_cmp_gt_u32_e64 s3, 32, v0
	s_cselect_b32 s8, -1, 0
	s_cmp_eq_u32 s36, 1
	v_cmp_gt_u32_e64 s5, 8, v0
	v_dual_lshrrev_b32 v0, 3, v0 :: v_dual_lshlrev_b32 v40, 2, v1
	s_cselect_b32 s9, -1, 0
	s_and_b32 s68, s35, 0x7ffffffe
	s_and_b32 s69, s8, s9
	s_cmp_lg_u32 s35, s68
	v_cmp_eq_u32_e64 s4, 0, v1
	v_dual_mov_b32 v0, 0 :: v_dual_bitop2_b32 v41, 28, v0 bitop3:0x40
	s_mul_u64 s[16:17], s[42:43], s[36:37]
	s_cselect_b32 s70, -1, 0
	v_lshl_add_u64 v[18:19], v[10:11], 1, s[18:19]
	s_lshl_b64 s[22:23], s[28:29], 2
	s_lshl_b64 s[40:41], s[16:17], 2
	s_add_nc_u64 s[38:39], s[26:27], s[22:23]
	s_lshl_b64 s[42:43], s[42:43], 2
	s_lshl_b64 s[44:45], s[36:37], 2
	;; [unrolled: 1-line block ×8, first 2 shown]
	s_mul_u64 s[58:59], s[30:31], 6
	s_branch .LBB415_3
.LBB415_2:                              ;   in Loop: Header=BB415_3 Depth=1
	s_add_co_i32 s10, s10, 0x10000
	s_delay_alu instid0(SALU_CYCLE_1)
	s_cmp_lt_u32 s10, s33
	s_cbranch_scc0 .LBB415_88
.LBB415_3:                              ; =>This Loop Header: Depth=1
                                        ;     Child Loop BB415_7 Depth 2
                                        ;     Child Loop BB415_11 Depth 2
	;; [unrolled: 1-line block ×3, first 2 shown]
                                        ;       Child Loop BB415_48 Depth 3
                                        ;       Child Loop BB415_51 Depth 3
                                        ;     Child Loop BB415_67 Depth 2
                                        ;       Child Loop BB415_80 Depth 3
                                        ;       Child Loop BB415_83 Depth 3
	s_mov_b32 s11, s29
	s_delay_alu instid0(SALU_CYCLE_1) | instskip(NEXT) | instid1(SALU_CYCLE_1)
	s_mul_u64 s[6:7], s[14:15], s[10:11]
	s_lshl_b64 s[6:7], s[6:7], 2
	s_delay_alu instid0(SALU_CYCLE_1)
	s_add_nc_u64 s[6:7], s[12:13], s[6:7]
	global_load_b32 v44, v0, s[6:7]
	s_wait_xcnt 0x0
	s_mov_b32 s6, -1
	s_wait_loadcnt 0x0
	v_cmp_neq_f32_e32 vcc_lo, 0, v44
	s_cbranch_vccnz .LBB415_13
; %bb.4:                                ;   in Loop: Header=BB415_3 Depth=1
	s_and_saveexec_b32 s8, s64
	s_cbranch_execz .LBB415_12
; %bb.5:                                ;   in Loop: Header=BB415_3 Depth=1
	s_and_not1_b32 vcc_lo, exec_lo, s69
	s_cbranch_vccnz .LBB415_9
; %bb.6:                                ;   in Loop: Header=BB415_3 Depth=1
	s_mul_u64 s[6:7], s[40:41], s[10:11]
	s_mov_b32 s9, s68
	s_add_nc_u64 s[6:7], s[38:39], s[6:7]
.LBB415_7:                              ;   Parent Loop BB415_3 Depth=1
                                        ; =>  This Inner Loop Header: Depth=2
	s_add_co_i32 s9, s9, -2
	global_store_b64 v0, v[20:21], s[6:7]
	s_wait_xcnt 0x0
	s_add_nc_u64 s[6:7], s[6:7], 8
	s_mov_b32 s28, s68
	s_cmp_lg_u32 s9, 0
	s_mov_b32 s60, s70
	s_cbranch_scc1 .LBB415_7
; %bb.8:                                ;   in Loop: Header=BB415_3 Depth=1
	s_and_b32 vcc_lo, exec_lo, s60
	s_cbranch_vccnz .LBB415_10
	s_branch .LBB415_12
.LBB415_9:                              ;   in Loop: Header=BB415_3 Depth=1
	s_mov_b32 s28, 0
	s_cbranch_execz .LBB415_12
.LBB415_10:                             ;   in Loop: Header=BB415_3 Depth=1
	s_mul_u64 s[6:7], s[42:43], s[10:11]
	s_lshl_b64 s[60:61], s[28:29], 2
	s_sub_co_i32 s9, s35, s28
	s_add_nc_u64 s[6:7], s[6:7], s[60:61]
	s_delay_alu instid0(SALU_CYCLE_1) | instskip(NEXT) | instid1(SALU_CYCLE_1)
	s_mul_u64 s[6:7], s[36:37], s[6:7]
	s_add_nc_u64 s[6:7], s[38:39], s[6:7]
.LBB415_11:                             ;   Parent Loop BB415_3 Depth=1
                                        ; =>  This Inner Loop Header: Depth=2
	s_add_co_i32 s9, s9, -1
	global_store_b32 v0, v0, s[6:7]
	s_cmp_eq_u32 s9, 0
	s_wait_xcnt 0x0
	s_add_nc_u64 s[6:7], s[6:7], s[44:45]
	s_cbranch_scc0 .LBB415_11
.LBB415_12:                             ;   in Loop: Header=BB415_3 Depth=1
	s_or_b32 exec_lo, exec_lo, s8
	s_mov_b32 s6, 0
.LBB415_13:                             ;   in Loop: Header=BB415_3 Depth=1
	s_delay_alu instid0(SALU_CYCLE_1)
	s_and_not1_b32 vcc_lo, exec_lo, s6
	s_cbranch_vccnz .LBB415_2
; %bb.14:                               ;   in Loop: Header=BB415_3 Depth=1
	v_mad_nc_u64_u32 v[22:23], s46, s10, v[18:19]
	s_mul_u64 s[6:7], s[24:25], s[10:11]
	s_mul_u64 s[8:9], s[16:17], s[10:11]
	s_lshl_b64 s[6:7], s[6:7], 1
	s_mul_u64 s[60:61], s[20:21], s[10:11]
	s_add_nc_u64 s[6:7], s[18:19], s[6:7]
	s_lshl_b64 s[72:73], s[8:9], 2
	v_lshl_add_u64 v[24:25], s[60:61], 1, v[8:9]
	v_lshl_add_u64 v[26:27], v[10:11], 1, s[6:7]
	;; [unrolled: 1-line block ×4, first 2 shown]
	v_mad_u32 v23, s47, s10, v23
	v_lshl_add_u64 v[32:33], v[16:17], 1, s[6:7]
	v_cmp_gt_u32_e64 s9, 24, v42
	v_cmp_gt_u32_e64 s8, 28, v42
	;; [unrolled: 1-line block ×3, first 2 shown]
	v_cmp_ne_u32_e64 s6, 31, v42
	s_add_nc_u64 s[60:61], s[26:27], s[72:73]
	s_mul_u64 s[62:63], s[50:51], s[10:11]
	s_and_not1_b32 vcc_lo, exec_lo, s67
	s_add_nc_u64 s[60:61], s[60:61], s[22:23]
	s_cbranch_vccnz .LBB415_63
; %bb.15:                               ;   in Loop: Header=BB415_3 Depth=1
	v_cndmask_b32_e64 v4, 0, 8, s9
	v_cndmask_b32_e64 v5, 0, 4, s8
	s_wait_dscnt 0x0
	v_add_co_ci_u32_e64 v35, null, 0, v42, s6
	v_dual_mov_b32 v1, v0 :: v_dual_mov_b32 v2, v0
	s_delay_alu instid0(VALU_DEP_2) | instskip(SKIP_3) | instid1(VALU_DEP_4)
	v_dual_mov_b32 v3, v0 :: v_dual_lshlrev_b32 v48, 2, v35
	v_cndmask_b32_e64 v34, 0, 2, s7
	v_add_lshl_u32 v45, v4, v42, 2
	v_add_lshl_u32 v46, v5, v42, 2
	v_mov_b64_e32 v[4:5], v[2:3]
	v_add_nc_u64_e32 v[6:7], s[62:63], v[8:9]
	v_mov_b64_e32 v[2:3], v[0:1]
	v_add_lshl_u32 v47, v34, v42, 2
	s_mov_b32 s28, 0
	s_branch .LBB415_17
.LBB415_16:                             ;   in Loop: Header=BB415_17 Depth=2
	s_wait_xcnt 0x0
	s_or_b32 exec_lo, exec_lo, s6
	v_add_nc_u64_e32 v[6:7], s[52:53], v[6:7]
	s_add_co_i32 s28, s28, 4
	s_delay_alu instid0(SALU_CYCLE_1)
	s_cmp_ge_i32 s28, s65
	s_cbranch_scc1 .LBB415_64
.LBB415_17:                             ;   Parent Loop BB415_3 Depth=1
                                        ; =>  This Loop Header: Depth=2
                                        ;       Child Loop BB415_48 Depth 3
                                        ;       Child Loop BB415_51 Depth 3
                                        ; implicit-def: $vgpr35
                                        ; implicit-def: $vgpr37
	s_and_saveexec_b32 s6, s1
	s_delay_alu instid0(SALU_CYCLE_1)
	s_xor_b32 s6, exec_lo, s6
	s_cbranch_execnz .LBB415_44
; %bb.18:                               ;   in Loop: Header=BB415_17 Depth=2
	s_and_not1_saveexec_b32 s11, s6
	s_cbranch_execnz .LBB415_45
.LBB415_19:                             ;   in Loop: Header=BB415_17 Depth=2
	s_or_b32 exec_lo, exec_lo, s11
	s_and_saveexec_b32 s6, s3
.LBB415_20:                             ;   in Loop: Header=BB415_17 Depth=2
	ds_store_b32 v40, v0
.LBB415_21:                             ;   in Loop: Header=BB415_17 Depth=2
	s_or_b32 exec_lo, exec_lo, s6
	ds_bpermute_b32 v1, v43, v36
	s_wait_storecnt_dscnt 0x0
	s_barrier_signal -1
	s_barrier_wait -1
	v_add_f32_e32 v1, v36, v1
	ds_bpermute_b32 v36, v45, v1
	s_wait_dscnt 0x0
	v_add_f32_e32 v1, v1, v36
	ds_bpermute_b32 v36, v46, v1
	s_wait_dscnt 0x0
	;; [unrolled: 3-line block ×3, first 2 shown]
	v_add_f32_e32 v1, v1, v36
	ds_bpermute_b32 v36, v48, v1
	s_and_saveexec_b32 s6, s4
	s_cbranch_execz .LBB415_23
; %bb.22:                               ;   in Loop: Header=BB415_17 Depth=2
	s_wait_dscnt 0x0
	v_add_f32_e32 v1, v1, v36
	ds_store_b32 v41, v1
.LBB415_23:                             ;   in Loop: Header=BB415_17 Depth=2
	s_or_b32 exec_lo, exec_lo, s6
	v_mov_b32_e32 v1, 0
	s_wait_dscnt 0x0
	s_barrier_signal -1
	s_barrier_wait -1
	s_and_saveexec_b32 s6, s5
	s_cbranch_execnz .LBB415_52
; %bb.24:                               ;   in Loop: Header=BB415_17 Depth=2
	s_or_b32 exec_lo, exec_lo, s6
	s_and_saveexec_b32 s6, s3
	s_cbranch_execnz .LBB415_53
.LBB415_25:                             ;   in Loop: Header=BB415_17 Depth=2
	s_or_b32 exec_lo, exec_lo, s6
	s_and_saveexec_b32 s6, s3
.LBB415_26:                             ;   in Loop: Header=BB415_17 Depth=2
	ds_store_b32 v40, v0
.LBB415_27:                             ;   in Loop: Header=BB415_17 Depth=2
	s_or_b32 exec_lo, exec_lo, s6
	ds_bpermute_b32 v36, v43, v37
	s_wait_dscnt 0x0
	s_barrier_signal -1
	s_barrier_wait -1
	v_add_f32_e32 v36, v37, v36
	ds_bpermute_b32 v37, v45, v36
	s_wait_dscnt 0x0
	v_add_f32_e32 v36, v36, v37
	ds_bpermute_b32 v37, v46, v36
	s_wait_dscnt 0x0
	;; [unrolled: 3-line block ×3, first 2 shown]
	v_add_f32_e32 v36, v36, v37
	ds_bpermute_b32 v37, v48, v36
	s_and_saveexec_b32 s6, s4
	s_cbranch_execz .LBB415_29
; %bb.28:                               ;   in Loop: Header=BB415_17 Depth=2
	s_wait_dscnt 0x0
	v_add_f32_e32 v36, v36, v37
	ds_store_b32 v41, v36
.LBB415_29:                             ;   in Loop: Header=BB415_17 Depth=2
	s_or_b32 exec_lo, exec_lo, s6
	v_mov_b32_e32 v36, 0
	s_wait_dscnt 0x0
	s_barrier_signal -1
	s_barrier_wait -1
	s_and_saveexec_b32 s6, s5
	s_cbranch_execnz .LBB415_54
; %bb.30:                               ;   in Loop: Header=BB415_17 Depth=2
	s_or_b32 exec_lo, exec_lo, s6
	s_and_saveexec_b32 s6, s3
	s_cbranch_execnz .LBB415_55
.LBB415_31:                             ;   in Loop: Header=BB415_17 Depth=2
	s_or_b32 exec_lo, exec_lo, s6
	s_and_saveexec_b32 s6, s3
.LBB415_32:                             ;   in Loop: Header=BB415_17 Depth=2
	ds_store_b32 v40, v0
.LBB415_33:                             ;   in Loop: Header=BB415_17 Depth=2
	s_or_b32 exec_lo, exec_lo, s6
	ds_bpermute_b32 v37, v43, v34
	s_wait_dscnt 0x0
	s_barrier_signal -1
	s_barrier_wait -1
	v_add_f32_e32 v34, v34, v37
	ds_bpermute_b32 v37, v45, v34
	s_wait_dscnt 0x0
	v_add_f32_e32 v34, v34, v37
	ds_bpermute_b32 v37, v46, v34
	s_wait_dscnt 0x0
	;; [unrolled: 3-line block ×3, first 2 shown]
	v_add_f32_e32 v34, v34, v37
	ds_bpermute_b32 v37, v48, v34
	s_and_saveexec_b32 s6, s4
	s_cbranch_execz .LBB415_35
; %bb.34:                               ;   in Loop: Header=BB415_17 Depth=2
	s_wait_dscnt 0x0
	v_add_f32_e32 v34, v34, v37
	ds_store_b32 v41, v34
.LBB415_35:                             ;   in Loop: Header=BB415_17 Depth=2
	s_or_b32 exec_lo, exec_lo, s6
	v_mov_b32_e32 v34, 0
	s_wait_dscnt 0x0
	s_barrier_signal -1
	s_barrier_wait -1
	s_and_saveexec_b32 s6, s5
	s_cbranch_execnz .LBB415_56
; %bb.36:                               ;   in Loop: Header=BB415_17 Depth=2
	s_or_b32 exec_lo, exec_lo, s6
	s_and_saveexec_b32 s6, s3
	s_cbranch_execnz .LBB415_57
.LBB415_37:                             ;   in Loop: Header=BB415_17 Depth=2
	s_or_b32 exec_lo, exec_lo, s6
	s_and_saveexec_b32 s6, s3
.LBB415_38:                             ;   in Loop: Header=BB415_17 Depth=2
	ds_store_b32 v40, v0
.LBB415_39:                             ;   in Loop: Header=BB415_17 Depth=2
	s_or_b32 exec_lo, exec_lo, s6
	ds_bpermute_b32 v37, v43, v35
	s_wait_dscnt 0x0
	s_barrier_signal -1
	s_barrier_wait -1
	v_add_f32_e32 v35, v35, v37
	ds_bpermute_b32 v37, v45, v35
	s_wait_dscnt 0x0
	v_add_f32_e32 v35, v35, v37
	ds_bpermute_b32 v37, v46, v35
	s_wait_dscnt 0x0
	;; [unrolled: 3-line block ×3, first 2 shown]
	v_add_f32_e32 v35, v35, v37
	ds_bpermute_b32 v37, v48, v35
	s_and_saveexec_b32 s6, s4
	s_cbranch_execz .LBB415_41
; %bb.40:                               ;   in Loop: Header=BB415_17 Depth=2
	s_wait_dscnt 0x0
	v_add_f32_e32 v35, v35, v37
	ds_store_b32 v41, v35
.LBB415_41:                             ;   in Loop: Header=BB415_17 Depth=2
	s_or_b32 exec_lo, exec_lo, s6
	v_mov_b32_e32 v35, 0
	s_wait_dscnt 0x0
	s_barrier_signal -1
	s_barrier_wait -1
	s_and_saveexec_b32 s6, s5
	s_cbranch_execnz .LBB415_58
; %bb.42:                               ;   in Loop: Header=BB415_17 Depth=2
	s_or_b32 exec_lo, exec_lo, s6
	s_and_saveexec_b32 s6, s3
	s_cbranch_execnz .LBB415_59
.LBB415_43:                             ;   in Loop: Header=BB415_17 Depth=2
	s_or_b32 exec_lo, exec_lo, s6
	s_and_saveexec_b32 s6, s0
	s_cbranch_execz .LBB415_16
	s_branch .LBB415_60
.LBB415_44:                             ;   in Loop: Header=BB415_17 Depth=2
	s_mul_u64 s[8:9], s[28:29], s[30:31]
	s_or_b32 s74, s28, 3
	v_lshl_add_u64 v[2:3], s[8:9], 1, v[24:25]
	s_or_b32 s8, s28, 2
	s_mov_b32 s9, s29
	s_mov_b32 s75, s29
	s_mul_u64 s[8:9], s[8:9], s[30:31]
	s_or_b32 s72, s28, 1
	v_lshl_add_u64 v[4:5], s[8:9], 1, v[24:25]
	s_mul_u64 s[8:9], s[74:75], s[30:31]
	s_mov_b32 s73, s29
	s_clause 0x3
	global_load_u16 v1, v[26:27], off
	global_load_u16 v49, v[28:29], off
	global_load_u16 v50, v[30:31], off
	global_load_u16 v52, v[32:33], off
	s_wait_dscnt 0x0
	s_clause 0x1
	global_load_b64 v[34:35], v[2:3], off
	global_load_b64 v[4:5], v[4:5], off
	s_wait_xcnt 0x1
	v_lshl_add_u64 v[2:3], s[8:9], 1, v[24:25]
	s_mul_u64 s[8:9], s[72:73], s[30:31]
	s_delay_alu instid0(SALU_CYCLE_1)
	v_lshl_add_u64 v[36:37], s[8:9], 1, v[24:25]
	s_clause 0x1
	global_load_b64 v[38:39], v[2:3], off
	global_load_b64 v[36:37], v[36:37], off
	s_wait_loadcnt 0x7
	s_wait_xcnt 0x1
	v_cvt_f32_f16_e32 v2, v1
	s_wait_loadcnt 0x6
	v_cvt_f32_f16_e32 v51, v49
	s_wait_loadcnt 0x5
	;; [unrolled: 2-line block ×4, first 2 shown]
	v_dual_lshrrev_b32 v1, 16, v34 :: v_dual_lshrrev_b32 v49, 16, v35
	s_wait_loadcnt 0x2
	v_dual_lshrrev_b32 v55, 16, v4 :: v_dual_lshrrev_b32 v57, 16, v5
	v_cvt_f32_f16_e32 v64, v5
	v_cvt_f32_f16_e32 v59, v4
	;; [unrolled: 1-line block ×4, first 2 shown]
	s_wait_loadcnt 0x1
	v_dual_lshrrev_b32 v3, 16, v38 :: v_dual_lshrrev_b32 v5, 16, v39
	v_cvt_f32_f16_e32 v50, v38
	v_cvt_f32_f16_e32 v52, v39
	s_wait_loadcnt 0x0
	v_lshrrev_b32_e32 v63, 16, v36
	v_cvt_f32_f16_e32 v3, v3
	v_cvt_f32_f16_e32 v61, v36
	;; [unrolled: 1-line block ×3, first 2 shown]
	s_wait_xcnt 0x0
	v_lshrrev_b32_e32 v37, 16, v37
	v_cvt_f32_f16_e32 v4, v1
	v_pk_mul_f32 v[38:39], v[50:51], v[2:3]
	v_cvt_f32_f16_e32 v1, v55
	v_dual_mul_f32 v62, v2, v59 :: v_dual_mov_b32 v3, v51
	v_cvt_f32_f16_e32 v55, v5
	v_cvt_f32_f16_e32 v5, v63
	s_delay_alu instid0(VALU_DEP_4) | instskip(SKIP_1) | instid1(VALU_DEP_4)
	v_dual_mov_b32 v63, v38 :: v_dual_mul_f32 v38, v51, v1
	v_dual_mov_b32 v56, v51 :: v_dual_mov_b32 v58, v53
	v_pk_mul_f32 v[50:51], v[52:53], v[54:55]
	s_delay_alu instid0(VALU_DEP_3)
	v_pk_add_f32 v[62:63], v[62:63], 0 op_sel_hi:[1,0]
	v_pk_fma_f32 v[60:61], v[2:3], v[60:61], 0 op_sel_hi:[0,1,0]
	v_cvt_f32_f16_e32 v1, v57
	v_mul_f32_e32 v64, v54, v64
	v_mov_b32_e32 v65, v50
	v_pk_add_f32 v[38:39], v[62:63], v[38:39]
	v_pk_fma_f32 v[4:5], v[56:57], v[4:5], v[60:61] op_sel_hi:[0,1,1]
	v_cvt_f32_f16_e32 v36, v49
	v_cvt_f32_f16_e32 v37, v37
	v_mul_f32_e32 v50, v53, v1
	s_delay_alu instid0(VALU_DEP_4) | instskip(SKIP_3) | instid1(VALU_DEP_4)
	v_pk_fma_f32 v[56:57], v[54:55], v[34:35], v[4:5] op_sel_hi:[0,1,1]
	v_mov_b32_e32 v4, v54
	v_pk_add_f32 v[38:39], v[38:39], v[64:65]
	v_mov_b32_e32 v5, v53
	v_pk_fma_f32 v[36:37], v[58:59], v[36:37], v[56:57] op_sel_hi:[0,1,1]
	s_delay_alu instid0(VALU_DEP_3)
	v_pk_add_f32 v[34:35], v[38:39], v[50:51]
	s_and_not1_saveexec_b32 s11, s6
	s_cbranch_execz .LBB415_19
.LBB415_45:                             ;   in Loop: Header=BB415_17 Depth=2
	s_wait_dscnt 0x0
	v_dual_mov_b32 v35, 0 :: v_dual_mov_b32 v34, 0
	v_dual_mov_b32 v37, 0 :: v_dual_mov_b32 v36, 0
	s_and_saveexec_b32 s71, s2
	s_cbranch_execz .LBB415_62
; %bb.46:                               ;   in Loop: Header=BB415_17 Depth=2
	s_and_not1_b32 vcc_lo, exec_lo, s34
	s_cbranch_vccnz .LBB415_49
; %bb.47:                               ;   in Loop: Header=BB415_17 Depth=2
	v_mov_b64_e32 v[34:35], v[22:23]
	s_mov_b64 s[8:9], 0
.LBB415_48:                             ;   Parent Loop BB415_3 Depth=1
                                        ;     Parent Loop BB415_17 Depth=2
                                        ; =>    This Inner Loop Header: Depth=3
	global_load_u16 v1, v[34:35], off
	s_cmp_eq_u32 s8, 3
	s_wait_xcnt 0x0
	v_add_nc_u64_e32 v[34:35], s[48:49], v[34:35]
	s_cselect_b32 vcc_lo, -1, 0
	s_cmp_eq_u32 s8, 2
	s_cselect_b32 s6, -1, 0
	s_cmp_eq_u32 s8, 1
	s_cselect_b32 s7, -1, 0
	s_cmp_eq_u32 s8, 0
	s_add_nc_u64 s[8:9], s[8:9], 1
	s_wait_loadcnt 0x0
	v_cvt_f32_f16_e32 v1, v1
	s_delay_alu instid0(VALU_DEP_1) | instskip(SKIP_1) | instid1(SALU_CYCLE_1)
	v_dual_cndmask_b32 v5, v5, v1, vcc_lo :: v_dual_cndmask_b32 v4, v4, v1, s6
	s_cselect_b32 vcc_lo, -1, 0
	v_dual_cndmask_b32 v3, v3, v1, s7 :: v_dual_cndmask_b32 v2, v2, v1, vcc_lo
	s_cmp_eq_u32 s66, s8
	s_cbranch_scc0 .LBB415_48
.LBB415_49:                             ;   in Loop: Header=BB415_17 Depth=2
	s_and_not1_b32 vcc_lo, exec_lo, s34
	s_cbranch_vccnz .LBB415_61
; %bb.50:                               ;   in Loop: Header=BB415_17 Depth=2
	v_mov_b32_e32 v36, 0
	v_mov_b64_e32 v[38:39], v[6:7]
	s_mov_b64 s[6:7], 0
	s_delay_alu instid0(VALU_DEP_2)
	v_dual_mov_b32 v37, v36 :: v_dual_mov_b32 v34, v36
	v_mov_b32_e32 v35, v36
.LBB415_51:                             ;   Parent Loop BB415_3 Depth=1
                                        ;     Parent Loop BB415_17 Depth=2
                                        ; =>    This Inner Loop Header: Depth=3
	s_delay_alu instid0(VALU_DEP_3)
	v_add_nc_u64_e32 v[50:51], s[58:59], v[38:39]
	v_add_nc_u64_e32 v[52:53], s[56:57], v[38:39]
	;; [unrolled: 1-line block ×3, first 2 shown]
	s_cmp_eq_u32 s6, 1
	s_clause 0x3
	global_load_u16 v1, v[38:39], off
	global_load_u16 v49, v[50:51], off
	;; [unrolled: 1-line block ×4, first 2 shown]
	s_cselect_b32 vcc_lo, -1, 0
	s_cmp_eq_u32 s6, 2
	v_cndmask_b32_e32 v50, v2, v3, vcc_lo
	s_cselect_b32 vcc_lo, -1, 0
	s_cmp_eq_u32 s6, 3
	v_add_nc_u64_e32 v[38:39], 2, v[38:39]
	s_add_nc_u64 s[6:7], s[6:7], 1
	v_cndmask_b32_e32 v50, v50, v4, vcc_lo
	s_cselect_b32 vcc_lo, -1, 0
	s_cmp_lg_u32 s66, s6
	s_delay_alu instid0(VALU_DEP_1)
	v_cndmask_b32_e32 v50, v50, v5, vcc_lo
	s_wait_loadcnt 0x3
	v_cvt_f32_f16_e32 v52, v1
	s_wait_loadcnt 0x2
	s_wait_xcnt 0x0
	v_cvt_f32_f16_e32 v55, v49
	s_wait_loadcnt 0x1
	v_cvt_f32_f16_e32 v54, v51
	s_wait_loadcnt 0x0
	v_cvt_f32_f16_e32 v53, v53
	s_delay_alu instid0(VALU_DEP_2) | instskip(NEXT) | instid1(VALU_DEP_2)
	v_pk_fma_f32 v[34:35], v[50:51], v[54:55], v[34:35] op_sel_hi:[0,1,1]
	v_pk_fma_f32 v[36:37], v[50:51], v[52:53], v[36:37] op_sel_hi:[0,1,1]
	s_cbranch_scc1 .LBB415_51
	s_branch .LBB415_62
.LBB415_52:                             ;   in Loop: Header=BB415_17 Depth=2
	ds_load_b32 v1, v40
	s_or_b32 exec_lo, exec_lo, s6
	s_and_saveexec_b32 s6, s3
	s_cbranch_execz .LBB415_25
.LBB415_53:                             ;   in Loop: Header=BB415_17 Depth=2
	s_wait_dscnt 0x0
	ds_bpermute_b32 v36, v46, v1
	s_wait_dscnt 0x0
	v_add_f32_e32 v1, v1, v36
	ds_bpermute_b32 v36, v47, v1
	s_wait_dscnt 0x0
	v_add_f32_e32 v1, v1, v36
	;; [unrolled: 3-line block ×3, first 2 shown]
	s_or_b32 exec_lo, exec_lo, s6
	s_and_saveexec_b32 s6, s3
	s_cbranch_execnz .LBB415_26
	s_branch .LBB415_27
.LBB415_54:                             ;   in Loop: Header=BB415_17 Depth=2
	ds_load_b32 v36, v40
	s_or_b32 exec_lo, exec_lo, s6
	s_and_saveexec_b32 s6, s3
	s_cbranch_execz .LBB415_31
.LBB415_55:                             ;   in Loop: Header=BB415_17 Depth=2
	s_wait_dscnt 0x0
	ds_bpermute_b32 v37, v46, v36
	s_wait_dscnt 0x0
	v_add_f32_e32 v36, v36, v37
	ds_bpermute_b32 v37, v47, v36
	s_wait_dscnt 0x0
	v_add_f32_e32 v36, v36, v37
	;; [unrolled: 3-line block ×3, first 2 shown]
	s_or_b32 exec_lo, exec_lo, s6
	s_and_saveexec_b32 s6, s3
	s_cbranch_execnz .LBB415_32
	s_branch .LBB415_33
.LBB415_56:                             ;   in Loop: Header=BB415_17 Depth=2
	ds_load_b32 v34, v40
	s_or_b32 exec_lo, exec_lo, s6
	s_and_saveexec_b32 s6, s3
	s_cbranch_execz .LBB415_37
.LBB415_57:                             ;   in Loop: Header=BB415_17 Depth=2
	s_wait_dscnt 0x0
	ds_bpermute_b32 v37, v46, v34
	s_wait_dscnt 0x0
	v_add_f32_e32 v34, v34, v37
	ds_bpermute_b32 v37, v47, v34
	s_wait_dscnt 0x0
	v_add_f32_e32 v34, v34, v37
	;; [unrolled: 3-line block ×3, first 2 shown]
	s_or_b32 exec_lo, exec_lo, s6
	s_and_saveexec_b32 s6, s3
	s_cbranch_execnz .LBB415_38
	s_branch .LBB415_39
.LBB415_58:                             ;   in Loop: Header=BB415_17 Depth=2
	ds_load_b32 v35, v40
	s_or_b32 exec_lo, exec_lo, s6
	s_and_saveexec_b32 s6, s3
	s_cbranch_execz .LBB415_43
.LBB415_59:                             ;   in Loop: Header=BB415_17 Depth=2
	s_wait_dscnt 0x0
	ds_bpermute_b32 v37, v46, v35
	s_wait_dscnt 0x0
	v_add_f32_e32 v35, v35, v37
	ds_bpermute_b32 v37, v47, v35
	s_wait_dscnt 0x0
	v_add_f32_e32 v35, v35, v37
	;; [unrolled: 3-line block ×3, first 2 shown]
	s_or_b32 exec_lo, exec_lo, s6
	s_and_saveexec_b32 s6, s0
	s_cbranch_execz .LBB415_16
.LBB415_60:                             ;   in Loop: Header=BB415_17 Depth=2
	s_or_b32 s72, s28, 1
	s_mov_b32 s73, s29
	s_mul_u64 s[8:9], s[28:29], s[36:37]
	v_dual_mul_f32 v1, v44, v1 :: v_dual_mul_f32 v36, v44, v36
	s_mul_u64 s[72:73], s[72:73], s[36:37]
	s_lshl_b64 s[8:9], s[8:9], 2
	s_lshl_b64 s[72:73], s[72:73], 2
	s_add_nc_u64 s[8:9], s[60:61], s[8:9]
	s_add_nc_u64 s[72:73], s[60:61], s[72:73]
	s_clause 0x1
	global_store_b32 v0, v1, s[8:9]
	global_store_b32 v0, v36, s[72:73]
	s_wait_xcnt 0x1
	s_or_b32 s8, s28, 2
	s_mov_b32 s9, s29
	s_wait_xcnt 0x0
	s_or_b32 s72, s28, 3
	s_mov_b32 s73, s29
	s_mul_u64 s[8:9], s[8:9], s[36:37]
	s_wait_dscnt 0x0
	v_dual_mul_f32 v1, v44, v34 :: v_dual_mul_f32 v34, v44, v35
	s_mul_u64 s[72:73], s[72:73], s[36:37]
	s_lshl_b64 s[8:9], s[8:9], 2
	s_lshl_b64 s[72:73], s[72:73], 2
	s_add_nc_u64 s[8:9], s[60:61], s[8:9]
	s_add_nc_u64 s[72:73], s[60:61], s[72:73]
	s_clause 0x1
	global_store_b32 v0, v1, s[8:9]
	global_store_b32 v0, v34, s[72:73]
	s_branch .LBB415_16
.LBB415_61:                             ;   in Loop: Header=BB415_17 Depth=2
	v_mov_b32_e32 v35, 0
	s_delay_alu instid0(VALU_DEP_1)
	v_dual_mov_b32 v34, v35 :: v_dual_mov_b32 v37, v35
	v_mov_b32_e32 v36, v35
.LBB415_62:                             ;   in Loop: Header=BB415_17 Depth=2
	s_or_b32 exec_lo, exec_lo, s71
	s_delay_alu instid0(SALU_CYCLE_1)
	s_or_b32 exec_lo, exec_lo, s11
	s_and_saveexec_b32 s6, s3
	s_cbranch_execnz .LBB415_20
	s_branch .LBB415_21
.LBB415_63:                             ;   in Loop: Header=BB415_3 Depth=1
	v_dual_mov_b32 v1, v0 :: v_dual_mov_b32 v2, v0
	v_mov_b32_e32 v3, v0
	s_mov_b32 s28, 0
	s_delay_alu instid0(VALU_DEP_1) | instskip(NEXT) | instid1(VALU_DEP_3)
	v_mov_b64_e32 v[4:5], v[2:3]
	v_mov_b64_e32 v[2:3], v[0:1]
.LBB415_64:                             ;   in Loop: Header=BB415_3 Depth=1
	s_cmp_ge_i32 s28, s35
	s_cbranch_scc1 .LBB415_2
; %bb.65:                               ;   in Loop: Header=BB415_3 Depth=1
	v_cmp_gt_u32_e32 vcc_lo, 24, v42
	s_mul_u64 s[6:7], s[54:55], s[28:29]
	s_delay_alu instid0(SALU_CYCLE_1) | instskip(SKIP_4) | instid1(VALU_DEP_2)
	s_add_nc_u64 s[6:7], s[6:7], s[62:63]
	s_wait_dscnt 0x0
	v_add_nc_u64_e32 v[34:35], s[6:7], v[8:9]
	v_cndmask_b32_e64 v1, 0, 8, vcc_lo
	v_cmp_gt_u32_e32 vcc_lo, 28, v42
	v_add_lshl_u32 v1, v1, v42, 2
	v_cndmask_b32_e64 v6, 0, 4, vcc_lo
	v_cmp_gt_u32_e32 vcc_lo, 30, v42
	s_delay_alu instid0(VALU_DEP_2) | instskip(SKIP_2) | instid1(VALU_DEP_2)
	v_add_lshl_u32 v7, v6, v42, 2
	v_cndmask_b32_e64 v36, 0, 2, vcc_lo
	v_cmp_ne_u32_e32 vcc_lo, 31, v42
	v_add_lshl_u32 v38, v36, v42, 2
	v_add_co_ci_u32_e64 v37, null, 0, v42, vcc_lo
	s_delay_alu instid0(VALU_DEP_1)
	v_lshlrev_b32_e32 v39, 2, v37
	s_branch .LBB415_67
.LBB415_66:                             ;   in Loop: Header=BB415_67 Depth=2
	s_wait_xcnt 0x0
	s_or_b32 exec_lo, exec_lo, s6
	v_add_nc_u64_e32 v[34:35], s[54:55], v[34:35]
	s_add_co_i32 s28, s28, 1
	s_delay_alu instid0(SALU_CYCLE_1)
	s_cmp_ge_i32 s28, s35
	s_cbranch_scc1 .LBB415_2
.LBB415_67:                             ;   Parent Loop BB415_3 Depth=1
                                        ; =>  This Loop Header: Depth=2
                                        ;       Child Loop BB415_80 Depth 3
                                        ;       Child Loop BB415_83 Depth 3
	s_wait_dscnt 0x0
	v_mov_b32_e32 v6, s29
	s_and_saveexec_b32 s6, s1
	s_delay_alu instid0(SALU_CYCLE_1)
	s_xor_b32 s6, exec_lo, s6
	s_cbranch_execnz .LBB415_76
; %bb.68:                               ;   in Loop: Header=BB415_67 Depth=2
	s_and_not1_saveexec_b32 s11, s6
	s_cbranch_execnz .LBB415_77
.LBB415_69:                             ;   in Loop: Header=BB415_67 Depth=2
	s_or_b32 exec_lo, exec_lo, s11
	s_and_saveexec_b32 s6, s3
.LBB415_70:                             ;   in Loop: Header=BB415_67 Depth=2
	ds_store_b32 v40, v0
.LBB415_71:                             ;   in Loop: Header=BB415_67 Depth=2
	s_or_b32 exec_lo, exec_lo, s6
	ds_bpermute_b32 v36, v43, v6
	s_wait_storecnt_dscnt 0x0
	s_barrier_signal -1
	s_barrier_wait -1
	v_add_f32_e32 v6, v6, v36
	ds_bpermute_b32 v36, v1, v6
	s_wait_dscnt 0x0
	v_add_f32_e32 v6, v6, v36
	ds_bpermute_b32 v36, v7, v6
	s_wait_dscnt 0x0
	;; [unrolled: 3-line block ×3, first 2 shown]
	v_add_f32_e32 v6, v6, v36
	ds_bpermute_b32 v36, v39, v6
	s_and_saveexec_b32 s6, s4
	s_cbranch_execz .LBB415_73
; %bb.72:                               ;   in Loop: Header=BB415_67 Depth=2
	s_wait_dscnt 0x0
	v_add_f32_e32 v6, v6, v36
	ds_store_b32 v41, v6
.LBB415_73:                             ;   in Loop: Header=BB415_67 Depth=2
	s_or_b32 exec_lo, exec_lo, s6
	v_mov_b32_e32 v6, 0
	s_wait_dscnt 0x0
	s_barrier_signal -1
	s_barrier_wait -1
	s_and_saveexec_b32 s6, s5
	s_cbranch_execnz .LBB415_85
; %bb.74:                               ;   in Loop: Header=BB415_67 Depth=2
	s_or_b32 exec_lo, exec_lo, s6
	s_and_saveexec_b32 s6, s3
	s_cbranch_execnz .LBB415_86
.LBB415_75:                             ;   in Loop: Header=BB415_67 Depth=2
	s_or_b32 exec_lo, exec_lo, s6
	s_and_saveexec_b32 s6, s0
	s_cbranch_execz .LBB415_66
	s_branch .LBB415_87
.LBB415_76:                             ;   in Loop: Header=BB415_67 Depth=2
	s_mul_u64 s[8:9], s[28:29], s[30:31]
	s_delay_alu instid0(SALU_CYCLE_1)
	v_lshl_add_u64 v[2:3], s[8:9], 1, v[24:25]
	global_load_b64 v[36:37], v[2:3], off
	s_clause 0x3
	global_load_u16 v2, v[28:29], off
	global_load_u16 v4, v[26:27], off
	;; [unrolled: 1-line block ×4, first 2 shown]
	s_wait_loadcnt 0x4
	v_dual_lshrrev_b32 v5, 16, v36 :: v_dual_lshrrev_b32 v48, 16, v37
	s_wait_loadcnt 0x3
	v_cvt_f32_f16_e32 v3, v2
	s_wait_loadcnt 0x2
	v_cvt_f32_f16_e32 v2, v4
	v_cvt_f32_f16_e32 v4, v36
	;; [unrolled: 1-line block ×5, first 2 shown]
	s_delay_alu instid0(VALU_DEP_3)
	v_pk_mul_f32 v[46:47], v[2:3], v[4:5]
	s_wait_loadcnt 0x1
	v_cvt_f32_f16_e32 v5, v6
	s_wait_loadcnt 0x0
	v_cvt_f32_f16_e32 v4, v45
	v_add_f32_e32 v6, 0, v46
	s_delay_alu instid0(VALU_DEP_2) | instskip(NEXT) | instid1(VALU_DEP_2)
	v_pk_mul_f32 v[36:37], v[4:5], v[36:37]
	v_add_f32_e32 v6, v6, v47
	s_delay_alu instid0(VALU_DEP_1) | instskip(NEXT) | instid1(VALU_DEP_1)
	v_add_f32_e32 v6, v6, v36
	v_add_f32_e32 v6, v6, v37
	s_wait_xcnt 0x0
	s_and_not1_saveexec_b32 s11, s6
	s_cbranch_execz .LBB415_69
.LBB415_77:                             ;   in Loop: Header=BB415_67 Depth=2
	s_and_saveexec_b32 s62, s2
	s_cbranch_execz .LBB415_84
; %bb.78:                               ;   in Loop: Header=BB415_67 Depth=2
	s_and_not1_b32 vcc_lo, exec_lo, s34
	s_cbranch_vccnz .LBB415_81
; %bb.79:                               ;   in Loop: Header=BB415_67 Depth=2
	v_mov_b64_e32 v[36:37], v[22:23]
	s_mov_b64 s[8:9], 0
.LBB415_80:                             ;   Parent Loop BB415_3 Depth=1
                                        ;     Parent Loop BB415_67 Depth=2
                                        ; =>    This Inner Loop Header: Depth=3
	global_load_u16 v45, v[36:37], off
	s_cmp_eq_u32 s8, 3
	s_wait_xcnt 0x0
	v_add_nc_u64_e32 v[36:37], s[48:49], v[36:37]
	s_cselect_b32 vcc_lo, -1, 0
	s_cmp_eq_u32 s8, 2
	s_cselect_b32 s6, -1, 0
	s_cmp_eq_u32 s8, 1
	s_cselect_b32 s7, -1, 0
	s_cmp_eq_u32 s8, 0
	s_add_nc_u64 s[8:9], s[8:9], 1
	s_wait_loadcnt 0x0
	v_cvt_f32_f16_e32 v45, v45
	s_delay_alu instid0(VALU_DEP_1) | instskip(SKIP_1) | instid1(SALU_CYCLE_1)
	v_dual_cndmask_b32 v5, v5, v45, vcc_lo :: v_dual_cndmask_b32 v4, v4, v45, s6
	s_cselect_b32 vcc_lo, -1, 0
	v_dual_cndmask_b32 v3, v3, v45, s7 :: v_dual_cndmask_b32 v2, v2, v45, vcc_lo
	s_cmp_eq_u32 s66, s8
	s_cbranch_scc0 .LBB415_80
.LBB415_81:                             ;   in Loop: Header=BB415_67 Depth=2
	s_and_not1_b32 vcc_lo, exec_lo, s34
	s_cbranch_vccnz .LBB415_84
; %bb.82:                               ;   in Loop: Header=BB415_67 Depth=2
	v_mov_b64_e32 v[36:37], v[34:35]
	s_mov_b64 s[6:7], 0
.LBB415_83:                             ;   Parent Loop BB415_3 Depth=1
                                        ;     Parent Loop BB415_67 Depth=2
                                        ; =>    This Inner Loop Header: Depth=3
	global_load_u16 v45, v[36:37], off
	s_cmp_eq_u32 s6, 1
	s_wait_xcnt 0x0
	v_add_nc_u64_e32 v[36:37], 2, v[36:37]
	s_cselect_b32 vcc_lo, -1, 0
	s_cmp_eq_u32 s6, 2
	v_cndmask_b32_e32 v46, v2, v3, vcc_lo
	s_cselect_b32 vcc_lo, -1, 0
	s_cmp_eq_u32 s6, 3
	s_add_nc_u64 s[6:7], s[6:7], 1
	s_delay_alu instid0(VALU_DEP_1) | instskip(SKIP_2) | instid1(VALU_DEP_1)
	v_cndmask_b32_e32 v46, v46, v4, vcc_lo
	s_cselect_b32 vcc_lo, -1, 0
	s_cmp_lg_u32 s66, s6
	v_cndmask_b32_e32 v46, v46, v5, vcc_lo
	s_wait_loadcnt 0x0
	s_delay_alu instid0(VALU_DEP_1)
	v_fma_mix_f32 v6, v46, v45, v6 op_sel_hi:[0,1,0]
	s_cbranch_scc1 .LBB415_83
.LBB415_84:                             ;   in Loop: Header=BB415_67 Depth=2
	s_or_b32 exec_lo, exec_lo, s62
	s_delay_alu instid0(SALU_CYCLE_1)
	s_or_b32 exec_lo, exec_lo, s11
	s_and_saveexec_b32 s6, s3
	s_cbranch_execnz .LBB415_70
	s_branch .LBB415_71
.LBB415_85:                             ;   in Loop: Header=BB415_67 Depth=2
	ds_load_b32 v6, v40
	s_or_b32 exec_lo, exec_lo, s6
	s_and_saveexec_b32 s6, s3
	s_cbranch_execz .LBB415_75
.LBB415_86:                             ;   in Loop: Header=BB415_67 Depth=2
	s_wait_dscnt 0x0
	ds_bpermute_b32 v36, v7, v6
	s_wait_dscnt 0x0
	v_add_f32_e32 v6, v6, v36
	ds_bpermute_b32 v36, v38, v6
	s_wait_dscnt 0x0
	v_add_f32_e32 v6, v6, v36
	;; [unrolled: 3-line block ×3, first 2 shown]
	s_or_b32 exec_lo, exec_lo, s6
	s_and_saveexec_b32 s6, s0
	s_cbranch_execz .LBB415_66
.LBB415_87:                             ;   in Loop: Header=BB415_67 Depth=2
	s_mul_u64 s[8:9], s[28:29], s[36:37]
	s_wait_dscnt 0x0
	v_mul_f32_e32 v6, v44, v6
	s_lshl_b64 s[8:9], s[8:9], 2
	s_delay_alu instid0(SALU_CYCLE_1)
	s_add_nc_u64 s[8:9], s[60:61], s[8:9]
	global_store_b32 v0, v6, s[8:9]
	s_branch .LBB415_66
.LBB415_88:
	s_sendmsg sendmsg(MSG_DEALLOC_VGPRS)
	s_endpgm
	.section	.rodata,"a",@progbits
	.p2align	6, 0x0
	.amdhsa_kernel _ZL23rocblas_gemvt_sn_kernelILb1ELi256ELi4ElDF16_PKffEviiT4_lPKT3_lilS5_lilPT5_i
		.amdhsa_group_segment_fixed_size 128
		.amdhsa_private_segment_fixed_size 0
		.amdhsa_kernarg_size 360
		.amdhsa_user_sgpr_count 2
		.amdhsa_user_sgpr_dispatch_ptr 0
		.amdhsa_user_sgpr_queue_ptr 0
		.amdhsa_user_sgpr_kernarg_segment_ptr 1
		.amdhsa_user_sgpr_dispatch_id 0
		.amdhsa_user_sgpr_kernarg_preload_length 0
		.amdhsa_user_sgpr_kernarg_preload_offset 0
		.amdhsa_user_sgpr_private_segment_size 0
		.amdhsa_wavefront_size32 1
		.amdhsa_uses_dynamic_stack 0
		.amdhsa_enable_private_segment 0
		.amdhsa_system_sgpr_workgroup_id_x 1
		.amdhsa_system_sgpr_workgroup_id_y 0
		.amdhsa_system_sgpr_workgroup_id_z 1
		.amdhsa_system_sgpr_workgroup_info 0
		.amdhsa_system_vgpr_workitem_id 0
		.amdhsa_next_free_vgpr 66
		.amdhsa_next_free_sgpr 76
		.amdhsa_named_barrier_count 0
		.amdhsa_reserve_vcc 1
		.amdhsa_float_round_mode_32 0
		.amdhsa_float_round_mode_16_64 0
		.amdhsa_float_denorm_mode_32 3
		.amdhsa_float_denorm_mode_16_64 3
		.amdhsa_fp16_overflow 0
		.amdhsa_memory_ordered 1
		.amdhsa_forward_progress 1
		.amdhsa_inst_pref_size 33
		.amdhsa_round_robin_scheduling 0
		.amdhsa_exception_fp_ieee_invalid_op 0
		.amdhsa_exception_fp_denorm_src 0
		.amdhsa_exception_fp_ieee_div_zero 0
		.amdhsa_exception_fp_ieee_overflow 0
		.amdhsa_exception_fp_ieee_underflow 0
		.amdhsa_exception_fp_ieee_inexact 0
		.amdhsa_exception_int_div_zero 0
	.end_amdhsa_kernel
	.section	.text._ZL23rocblas_gemvt_sn_kernelILb1ELi256ELi4ElDF16_PKffEviiT4_lPKT3_lilS5_lilPT5_i,"axG",@progbits,_ZL23rocblas_gemvt_sn_kernelILb1ELi256ELi4ElDF16_PKffEviiT4_lPKT3_lilS5_lilPT5_i,comdat
.Lfunc_end415:
	.size	_ZL23rocblas_gemvt_sn_kernelILb1ELi256ELi4ElDF16_PKffEviiT4_lPKT3_lilS5_lilPT5_i, .Lfunc_end415-_ZL23rocblas_gemvt_sn_kernelILb1ELi256ELi4ElDF16_PKffEviiT4_lPKT3_lilS5_lilPT5_i
                                        ; -- End function
	.set _ZL23rocblas_gemvt_sn_kernelILb1ELi256ELi4ElDF16_PKffEviiT4_lPKT3_lilS5_lilPT5_i.num_vgpr, 66
	.set _ZL23rocblas_gemvt_sn_kernelILb1ELi256ELi4ElDF16_PKffEviiT4_lPKT3_lilS5_lilPT5_i.num_agpr, 0
	.set _ZL23rocblas_gemvt_sn_kernelILb1ELi256ELi4ElDF16_PKffEviiT4_lPKT3_lilS5_lilPT5_i.numbered_sgpr, 76
	.set _ZL23rocblas_gemvt_sn_kernelILb1ELi256ELi4ElDF16_PKffEviiT4_lPKT3_lilS5_lilPT5_i.num_named_barrier, 0
	.set _ZL23rocblas_gemvt_sn_kernelILb1ELi256ELi4ElDF16_PKffEviiT4_lPKT3_lilS5_lilPT5_i.private_seg_size, 0
	.set _ZL23rocblas_gemvt_sn_kernelILb1ELi256ELi4ElDF16_PKffEviiT4_lPKT3_lilS5_lilPT5_i.uses_vcc, 1
	.set _ZL23rocblas_gemvt_sn_kernelILb1ELi256ELi4ElDF16_PKffEviiT4_lPKT3_lilS5_lilPT5_i.uses_flat_scratch, 0
	.set _ZL23rocblas_gemvt_sn_kernelILb1ELi256ELi4ElDF16_PKffEviiT4_lPKT3_lilS5_lilPT5_i.has_dyn_sized_stack, 0
	.set _ZL23rocblas_gemvt_sn_kernelILb1ELi256ELi4ElDF16_PKffEviiT4_lPKT3_lilS5_lilPT5_i.has_recursion, 0
	.set _ZL23rocblas_gemvt_sn_kernelILb1ELi256ELi4ElDF16_PKffEviiT4_lPKT3_lilS5_lilPT5_i.has_indirect_call, 0
	.section	.AMDGPU.csdata,"",@progbits
; Kernel info:
; codeLenInByte = 4152
; TotalNumSgprs: 78
; NumVgprs: 66
; ScratchSize: 0
; MemoryBound: 0
; FloatMode: 240
; IeeeMode: 1
; LDSByteSize: 128 bytes/workgroup (compile time only)
; SGPRBlocks: 0
; VGPRBlocks: 4
; NumSGPRsForWavesPerEU: 78
; NumVGPRsForWavesPerEU: 66
; NamedBarCnt: 0
; Occupancy: 12
; WaveLimiterHint : 0
; COMPUTE_PGM_RSRC2:SCRATCH_EN: 0
; COMPUTE_PGM_RSRC2:USER_SGPR: 2
; COMPUTE_PGM_RSRC2:TRAP_HANDLER: 0
; COMPUTE_PGM_RSRC2:TGID_X_EN: 1
; COMPUTE_PGM_RSRC2:TGID_Y_EN: 0
; COMPUTE_PGM_RSRC2:TGID_Z_EN: 1
; COMPUTE_PGM_RSRC2:TIDIG_COMP_CNT: 0
	.section	.text._ZL23rocblas_gemvt_sn_kernelILb1ELi256ELi4EiDF16_ffEviiT4_lPKT3_lilS3_lilPT5_i,"axG",@progbits,_ZL23rocblas_gemvt_sn_kernelILb1ELi256ELi4EiDF16_ffEviiT4_lPKT3_lilS3_lilPT5_i,comdat
	.globl	_ZL23rocblas_gemvt_sn_kernelILb1ELi256ELi4EiDF16_ffEviiT4_lPKT3_lilS3_lilPT5_i ; -- Begin function _ZL23rocblas_gemvt_sn_kernelILb1ELi256ELi4EiDF16_ffEviiT4_lPKT3_lilS3_lilPT5_i
	.p2align	8
	.type	_ZL23rocblas_gemvt_sn_kernelILb1ELi256ELi4EiDF16_ffEviiT4_lPKT3_lilS3_lilPT5_i,@function
_ZL23rocblas_gemvt_sn_kernelILb1ELi256ELi4EiDF16_ffEviiT4_lPKT3_lilS3_lilPT5_i: ; @_ZL23rocblas_gemvt_sn_kernelILb1ELi256ELi4EiDF16_ffEviiT4_lPKT3_lilS3_lilPT5_i
; %bb.0:
	s_load_b32 s11, s[0:1], 0x60
	s_bfe_u32 s2, ttmp6, 0x40014
	s_lshr_b32 s3, ttmp7, 16
	s_add_co_i32 s2, s2, 1
	s_bfe_u32 s4, ttmp6, 0x40008
	s_mul_i32 s2, s3, s2
	s_getreg_b32 s25, hwreg(HW_REG_IB_STS2, 6, 4)
	s_add_co_i32 s4, s4, s2
	s_cmp_eq_u32 s25, 0
	s_mov_b32 s27, 0
	s_cselect_b32 s24, s3, s4
	s_wait_kmcnt 0x0
	s_cmp_ge_u32 s24, s11
	s_cbranch_scc1 .LBB416_88
; %bb.1:
	s_clause 0x6
	s_load_b96 s[8:10], s[0:1], 0x40
	s_load_b128 s[4:7], s[0:1], 0x18
	s_load_b96 s[20:22], s[0:1], 0x0
	s_load_b32 s28, s[0:1], 0x28
	s_load_b128 s[12:15], s[0:1], 0x30
	s_load_b128 s[16:19], s[0:1], 0x50
	s_load_b32 s30, s[0:1], 0x68
	s_wait_xcnt 0x0
	v_cmp_eq_u32_e64 s0, 0, v0
	v_dual_lshrrev_b32 v2, 3, v0 :: v_dual_bitop2_b32 v1, 31, v0 bitop3:0x40
	v_cmp_gt_u32_e64 s1, 32, v0
	v_cmp_gt_u32_e64 s2, 8, v0
	v_mbcnt_lo_u32_b32 v38, -1, 0
	s_delay_alu instid0(VALU_DEP_4)
	v_cmp_eq_u32_e64 s3, 0, v1
	v_dual_lshlrev_b32 v36, 2, v1 :: v_dual_bitop2_b32 v37, 28, v2 bitop3:0x40
	v_mov_b64_e32 v[18:19], 0
	s_mov_b32 s31, s27
	s_mov_b32 s35, s27
	v_lshl_or_b32 v39, v38, 2, 64
	s_wait_kmcnt 0x0
	s_lshl_b64 s[8:9], s[8:9], 1
	s_lshl_b64 s[6:7], s[6:7], 1
	s_ashr_i32 s45, s21, 31
	s_cmp_eq_f32 s22, 0
	s_add_nc_u64 s[14:15], s[14:15], s[8:9]
	s_add_nc_u64 s[4:5], s[4:5], s[6:7]
	s_mov_b32 s44, s21
	s_cselect_b32 s23, -1, 0
	s_cmp_gt_i32 s21, 0
	s_mul_u64 s[36:37], s[44:45], s[30:31]
	s_cselect_b32 s8, -1, 0
	s_bfe_u32 s9, ttmp6, 0x4000c
	s_and_b32 s6, ttmp6, 15
	s_add_co_i32 s9, s9, 1
	s_and_b32 s33, s0, s8
	s_mul_i32 s7, ttmp9, s9
	s_mov_b32 s29, s27
	s_add_co_i32 s6, s6, s7
	s_cmp_eq_u32 s25, 0
	s_mov_b32 s49, s27
	s_cselect_b32 s34, ttmp9, s6
	s_ashr_i32 s7, s20, 31
	s_lshl_b32 s8, s34, 10
	s_lshr_b32 s6, s45, 30
	v_lshl_or_b32 v0, v0, 2, s8
	s_lshr_b32 s7, s7, 30
	s_add_co_i32 s6, s21, s6
	s_add_co_i32 s7, s20, s7
	s_and_b32 s68, s6, -4
	v_mul_lo_u32 v8, s10, v0
	s_and_b32 s6, s7, -4
	v_dual_ashrrev_i32 v1, 31, v0 :: v_dual_add_nc_u32 v2, 4, v0
	s_sub_co_i32 s69, s20, s6
	s_cmp_gt_i32 s68, 0
	s_cselect_b32 s70, -1, 0
	s_cmp_gt_i32 s69, 0
	v_lshl_add_u64 v[10:11], v[0:1], 1, s[4:5]
	s_cselect_b32 s71, -1, 0
	s_delay_alu instid0(VALU_DEP_3)
	v_dual_add_nc_u32 v12, s10, v8 :: v_dual_ashrrev_i32 v9, 31, v8
	s_cmp_gt_u32 s21, 1
	v_cmp_ge_i32_e64 s4, s20, v2
	s_cselect_b32 s6, -1, 0
	v_dual_add_nc_u32 v14, s10, v12 :: v_dual_ashrrev_i32 v13, 31, v12
	v_add_nc_u32_e32 v3, s69, v0
	s_cmp_eq_u32 s30, 1
	v_mov_b32_e32 v0, 0
	s_cselect_b32 s7, -1, 0
	v_add_nc_u32_e32 v16, s10, v14
	v_cmp_ge_i32_e64 s5, s20, v3
	s_and_b32 s20, s21, 0x7ffffffe
	s_and_b32 s72, s6, s7
	s_cmp_lg_u32 s21, s20
	v_dual_ashrrev_i32 v15, 31, v14 :: v_dual_ashrrev_i32 v17, 31, v16
	s_cselect_b32 s73, -1, 0
	s_lshl_b32 s26, s28, 1
	s_lshl_b64 s[38:39], s[34:35], 2
	s_mov_b64 s[50:51], s[26:27]
	s_mul_i32 s26, s28, 3
	s_add_nc_u64 s[40:41], s[18:19], s[38:39]
	s_lshl_b64 s[42:43], s[36:37], 2
	s_lshl_b64 s[44:45], s[44:45], 2
	;; [unrolled: 1-line block ×3, first 2 shown]
	s_lshl_b32 s48, s28, 2
	s_mov_b64 s[52:53], s[26:27]
	s_lshl_b64 s[54:55], s[12:13], 1
	s_branch .LBB416_3
.LBB416_2:                              ;   in Loop: Header=BB416_3 Depth=1
	s_add_co_i32 s24, s24, 0x10000
	s_delay_alu instid0(SALU_CYCLE_1)
	s_cmp_lt_u32 s24, s11
	s_cbranch_scc0 .LBB416_88
.LBB416_3:                              ; =>This Loop Header: Depth=1
                                        ;     Child Loop BB416_7 Depth 2
                                        ;     Child Loop BB416_11 Depth 2
	;; [unrolled: 1-line block ×3, first 2 shown]
                                        ;       Child Loop BB416_48 Depth 3
                                        ;       Child Loop BB416_51 Depth 3
                                        ;     Child Loop BB416_67 Depth 2
                                        ;       Child Loop BB416_80 Depth 3
                                        ;       Child Loop BB416_83 Depth 3
	s_mov_b32 s25, s27
	s_and_not1_b32 vcc_lo, exec_lo, s23
	s_mov_b32 s6, -1
	s_cbranch_vccnz .LBB416_13
; %bb.4:                                ;   in Loop: Header=BB416_3 Depth=1
	s_and_saveexec_b32 s8, s33
	s_cbranch_execz .LBB416_12
; %bb.5:                                ;   in Loop: Header=BB416_3 Depth=1
	s_and_not1_b32 vcc_lo, exec_lo, s72
	s_cbranch_vccnz .LBB416_9
; %bb.6:                                ;   in Loop: Header=BB416_3 Depth=1
	s_mul_u64 s[6:7], s[42:43], s[24:25]
	s_mov_b32 s9, s20
	s_add_nc_u64 s[6:7], s[40:41], s[6:7]
.LBB416_7:                              ;   Parent Loop BB416_3 Depth=1
                                        ; =>  This Inner Loop Header: Depth=2
	s_add_co_i32 s9, s9, -2
	global_store_b64 v0, v[18:19], s[6:7]
	s_wait_xcnt 0x0
	s_add_nc_u64 s[6:7], s[6:7], 8
	s_mov_b32 s26, s20
	s_cmp_lg_u32 s9, 0
	s_mov_b32 s35, s73
	s_cbranch_scc1 .LBB416_7
; %bb.8:                                ;   in Loop: Header=BB416_3 Depth=1
	s_and_b32 vcc_lo, exec_lo, s35
	s_cbranch_vccnz .LBB416_10
	s_branch .LBB416_12
.LBB416_9:                              ;   in Loop: Header=BB416_3 Depth=1
	s_mov_b32 s26, 0
	s_cbranch_execz .LBB416_12
.LBB416_10:                             ;   in Loop: Header=BB416_3 Depth=1
	s_mul_u64 s[6:7], s[44:45], s[24:25]
	s_lshl_b64 s[56:57], s[26:27], 2
	s_sub_co_i32 s9, s21, s26
	s_add_nc_u64 s[6:7], s[6:7], s[56:57]
	s_delay_alu instid0(SALU_CYCLE_1) | instskip(NEXT) | instid1(SALU_CYCLE_1)
	s_mul_u64 s[6:7], s[30:31], s[6:7]
	s_add_nc_u64 s[6:7], s[40:41], s[6:7]
.LBB416_11:                             ;   Parent Loop BB416_3 Depth=1
                                        ; =>  This Inner Loop Header: Depth=2
	s_add_co_i32 s9, s9, -1
	global_store_b32 v0, v0, s[6:7]
	s_cmp_eq_u32 s9, 0
	s_wait_xcnt 0x0
	s_add_nc_u64 s[6:7], s[6:7], s[46:47]
	s_cbranch_scc0 .LBB416_11
.LBB416_12:                             ;   in Loop: Header=BB416_3 Depth=1
	s_or_b32 exec_lo, exec_lo, s8
	s_mov_b32 s6, 0
.LBB416_13:                             ;   in Loop: Header=BB416_3 Depth=1
	s_delay_alu instid0(SALU_CYCLE_1)
	s_and_not1_b32 vcc_lo, exec_lo, s6
	s_cbranch_vccnz .LBB416_2
; %bb.14:                               ;   in Loop: Header=BB416_3 Depth=1
	s_mul_u64 s[6:7], s[16:17], s[24:25]
	s_mul_u64 s[8:9], s[54:55], s[24:25]
	s_lshl_b64 s[6:7], s[6:7], 1
	s_mul_u64 s[58:59], s[12:13], s[24:25]
	s_add_nc_u64 s[56:57], s[14:15], s[6:7]
	v_add_nc_u64_e32 v[30:31], s[8:9], v[10:11]
	s_mul_u64 s[60:61], s[36:37], s[24:25]
	v_lshl_add_u64 v[20:21], s[58:59], 1, v[10:11]
	v_lshl_add_u64 v[22:23], v[8:9], 1, s[56:57]
	;; [unrolled: 1-line block ×5, first 2 shown]
	v_cmp_gt_u32_e64 s9, 24, v38
	v_cmp_gt_u32_e64 s8, 28, v38
	;; [unrolled: 1-line block ×3, first 2 shown]
	v_cmp_ne_u32_e64 s6, 31, v38
	s_lshl_b64 s[58:59], s[60:61], 2
	s_and_not1_b32 vcc_lo, exec_lo, s70
	s_add_nc_u64 s[58:59], s[18:19], s[58:59]
	s_cbranch_vccnz .LBB416_63
; %bb.15:                               ;   in Loop: Header=BB416_3 Depth=1
	v_cndmask_b32_e64 v1, 0, 8, s9
	v_cndmask_b32_e64 v4, 0, 4, s8
	;; [unrolled: 1-line block ×3, first 2 shown]
	s_wait_dscnt 0x0
	v_add_co_ci_u32_e64 v6, null, 0, v38, s6
	v_add_lshl_u32 v40, v1, v38, 2
	v_dual_mov_b32 v1, v0 :: v_dual_mov_b32 v2, v0
	s_delay_alu instid0(VALU_DEP_3) | instskip(SKIP_3) | instid1(VALU_DEP_3)
	v_dual_mov_b32 v3, v0 :: v_dual_lshlrev_b32 v43, 2, v6
	v_add_lshl_u32 v41, v4, v38, 2
	v_add_lshl_u32 v42, v5, v38, 2
	s_mov_b32 s60, 0
	v_mov_b64_e32 v[4:5], v[2:3]
	v_mov_b64_e32 v[2:3], v[0:1]
	s_mov_b64 s[8:9], s[52:53]
	s_mov_b64 s[62:63], s[50:51]
	;; [unrolled: 1-line block ×3, first 2 shown]
	s_mov_b32 s26, s60
	s_branch .LBB416_17
.LBB416_16:                             ;   in Loop: Header=BB416_17 Depth=2
	s_wait_xcnt 0x0
	s_or_b32 exec_lo, exec_lo, s6
	s_add_co_i32 s26, s26, 4
	s_add_co_i32 s60, s60, s48
	s_add_nc_u64 s[64:65], s[64:65], s[48:49]
	s_add_nc_u64 s[62:63], s[62:63], s[48:49]
	s_cmp_ge_i32 s26, s68
	s_add_nc_u64 s[8:9], s[8:9], s[48:49]
	s_cbranch_scc1 .LBB416_64
.LBB416_17:                             ;   Parent Loop BB416_3 Depth=1
                                        ; =>  This Loop Header: Depth=2
                                        ;       Child Loop BB416_48 Depth 3
                                        ;       Child Loop BB416_51 Depth 3
                                        ; implicit-def: $vgpr7
                                        ; implicit-def: $vgpr33
	s_and_saveexec_b32 s6, s4
	s_delay_alu instid0(SALU_CYCLE_1)
	s_xor_b32 s6, exec_lo, s6
	s_cbranch_execnz .LBB416_44
; %bb.18:                               ;   in Loop: Header=BB416_17 Depth=2
	s_and_not1_saveexec_b32 s25, s6
	s_cbranch_execnz .LBB416_45
.LBB416_19:                             ;   in Loop: Header=BB416_17 Depth=2
	s_or_b32 exec_lo, exec_lo, s25
	s_and_saveexec_b32 s6, s1
.LBB416_20:                             ;   in Loop: Header=BB416_17 Depth=2
	ds_store_b32 v36, v0
.LBB416_21:                             ;   in Loop: Header=BB416_17 Depth=2
	s_or_b32 exec_lo, exec_lo, s6
	ds_bpermute_b32 v1, v39, v32
	s_wait_storecnt_dscnt 0x0
	s_barrier_signal -1
	s_barrier_wait -1
	v_add_f32_e32 v1, v32, v1
	ds_bpermute_b32 v32, v40, v1
	s_wait_dscnt 0x0
	v_add_f32_e32 v1, v1, v32
	ds_bpermute_b32 v32, v41, v1
	s_wait_dscnt 0x0
	;; [unrolled: 3-line block ×3, first 2 shown]
	v_add_f32_e32 v1, v1, v32
	ds_bpermute_b32 v32, v43, v1
	s_and_saveexec_b32 s6, s3
	s_cbranch_execz .LBB416_23
; %bb.22:                               ;   in Loop: Header=BB416_17 Depth=2
	s_wait_dscnt 0x0
	v_add_f32_e32 v1, v1, v32
	ds_store_b32 v37, v1
.LBB416_23:                             ;   in Loop: Header=BB416_17 Depth=2
	s_or_b32 exec_lo, exec_lo, s6
	v_mov_b32_e32 v1, 0
	s_wait_dscnt 0x0
	s_barrier_signal -1
	s_barrier_wait -1
	s_and_saveexec_b32 s6, s2
	s_cbranch_execnz .LBB416_52
; %bb.24:                               ;   in Loop: Header=BB416_17 Depth=2
	s_or_b32 exec_lo, exec_lo, s6
	s_and_saveexec_b32 s6, s1
	s_cbranch_execnz .LBB416_53
.LBB416_25:                             ;   in Loop: Header=BB416_17 Depth=2
	s_or_b32 exec_lo, exec_lo, s6
	s_and_saveexec_b32 s6, s1
.LBB416_26:                             ;   in Loop: Header=BB416_17 Depth=2
	ds_store_b32 v36, v0
.LBB416_27:                             ;   in Loop: Header=BB416_17 Depth=2
	s_or_b32 exec_lo, exec_lo, s6
	ds_bpermute_b32 v32, v39, v33
	s_wait_dscnt 0x0
	s_barrier_signal -1
	s_barrier_wait -1
	v_add_f32_e32 v32, v33, v32
	ds_bpermute_b32 v33, v40, v32
	s_wait_dscnt 0x0
	v_add_f32_e32 v32, v32, v33
	ds_bpermute_b32 v33, v41, v32
	s_wait_dscnt 0x0
	;; [unrolled: 3-line block ×3, first 2 shown]
	v_add_f32_e32 v32, v32, v33
	ds_bpermute_b32 v33, v43, v32
	s_and_saveexec_b32 s6, s3
	s_cbranch_execz .LBB416_29
; %bb.28:                               ;   in Loop: Header=BB416_17 Depth=2
	s_wait_dscnt 0x0
	v_add_f32_e32 v32, v32, v33
	ds_store_b32 v37, v32
.LBB416_29:                             ;   in Loop: Header=BB416_17 Depth=2
	s_or_b32 exec_lo, exec_lo, s6
	v_mov_b32_e32 v32, 0
	s_wait_dscnt 0x0
	s_barrier_signal -1
	s_barrier_wait -1
	s_and_saveexec_b32 s6, s2
	s_cbranch_execnz .LBB416_54
; %bb.30:                               ;   in Loop: Header=BB416_17 Depth=2
	s_or_b32 exec_lo, exec_lo, s6
	s_and_saveexec_b32 s6, s1
	s_cbranch_execnz .LBB416_55
.LBB416_31:                             ;   in Loop: Header=BB416_17 Depth=2
	s_or_b32 exec_lo, exec_lo, s6
	s_and_saveexec_b32 s6, s1
.LBB416_32:                             ;   in Loop: Header=BB416_17 Depth=2
	ds_store_b32 v36, v0
.LBB416_33:                             ;   in Loop: Header=BB416_17 Depth=2
	s_or_b32 exec_lo, exec_lo, s6
	ds_bpermute_b32 v33, v39, v6
	s_wait_dscnt 0x0
	s_barrier_signal -1
	s_barrier_wait -1
	v_add_f32_e32 v6, v6, v33
	ds_bpermute_b32 v33, v40, v6
	s_wait_dscnt 0x0
	v_add_f32_e32 v6, v6, v33
	ds_bpermute_b32 v33, v41, v6
	s_wait_dscnt 0x0
	;; [unrolled: 3-line block ×3, first 2 shown]
	v_add_f32_e32 v6, v6, v33
	ds_bpermute_b32 v33, v43, v6
	s_and_saveexec_b32 s6, s3
	s_cbranch_execz .LBB416_35
; %bb.34:                               ;   in Loop: Header=BB416_17 Depth=2
	s_wait_dscnt 0x0
	v_add_f32_e32 v6, v6, v33
	ds_store_b32 v37, v6
.LBB416_35:                             ;   in Loop: Header=BB416_17 Depth=2
	s_or_b32 exec_lo, exec_lo, s6
	v_mov_b32_e32 v6, 0
	s_wait_dscnt 0x0
	s_barrier_signal -1
	s_barrier_wait -1
	s_and_saveexec_b32 s6, s2
	s_cbranch_execnz .LBB416_56
; %bb.36:                               ;   in Loop: Header=BB416_17 Depth=2
	s_or_b32 exec_lo, exec_lo, s6
	s_and_saveexec_b32 s6, s1
	s_cbranch_execnz .LBB416_57
.LBB416_37:                             ;   in Loop: Header=BB416_17 Depth=2
	s_or_b32 exec_lo, exec_lo, s6
	s_and_saveexec_b32 s6, s1
.LBB416_38:                             ;   in Loop: Header=BB416_17 Depth=2
	ds_store_b32 v36, v0
.LBB416_39:                             ;   in Loop: Header=BB416_17 Depth=2
	s_or_b32 exec_lo, exec_lo, s6
	ds_bpermute_b32 v33, v39, v7
	s_wait_dscnt 0x0
	s_barrier_signal -1
	s_barrier_wait -1
	v_add_f32_e32 v7, v7, v33
	ds_bpermute_b32 v33, v40, v7
	s_wait_dscnt 0x0
	v_add_f32_e32 v7, v7, v33
	ds_bpermute_b32 v33, v41, v7
	s_wait_dscnt 0x0
	;; [unrolled: 3-line block ×3, first 2 shown]
	v_add_f32_e32 v7, v7, v33
	ds_bpermute_b32 v33, v43, v7
	s_and_saveexec_b32 s6, s3
	s_cbranch_execz .LBB416_41
; %bb.40:                               ;   in Loop: Header=BB416_17 Depth=2
	s_wait_dscnt 0x0
	v_add_f32_e32 v7, v7, v33
	ds_store_b32 v37, v7
.LBB416_41:                             ;   in Loop: Header=BB416_17 Depth=2
	s_or_b32 exec_lo, exec_lo, s6
	v_mov_b32_e32 v7, 0
	s_wait_dscnt 0x0
	s_barrier_signal -1
	s_barrier_wait -1
	s_and_saveexec_b32 s6, s2
	s_cbranch_execnz .LBB416_58
; %bb.42:                               ;   in Loop: Header=BB416_17 Depth=2
	s_or_b32 exec_lo, exec_lo, s6
	s_and_saveexec_b32 s6, s1
	s_cbranch_execnz .LBB416_59
.LBB416_43:                             ;   in Loop: Header=BB416_17 Depth=2
	s_or_b32 exec_lo, exec_lo, s6
	s_and_saveexec_b32 s6, s0
	s_cbranch_execz .LBB416_16
	s_branch .LBB416_60
.LBB416_44:                             ;   in Loop: Header=BB416_17 Depth=2
	s_mul_i32 s66, s26, s28
	s_clause 0x1
	global_load_u16 v1, v[24:25], off
	global_load_u16 v44, v[28:29], off
	s_add_co_i32 s74, s66, s28
	s_ashr_i32 s67, s66, 31
	s_add_co_i32 s76, s74, s28
	v_lshl_add_u64 v[2:3], s[66:67], 1, v[20:21]
	s_ashr_i32 s77, s76, 31
	s_add_co_i32 s66, s76, s28
	v_lshl_add_u64 v[4:5], s[76:77], 1, v[20:21]
	s_ashr_i32 s67, s66, 31
	s_clause 0x1
	global_load_u16 v46, v[22:23], off
	global_load_u16 v48, v[26:27], off
	s_wait_dscnt 0x0
	global_load_b64 v[6:7], v[2:3], off
	s_ashr_i32 s75, s74, 31
	global_load_b64 v[4:5], v[4:5], off
	s_wait_xcnt 0x1
	v_lshl_add_u64 v[2:3], s[66:67], 1, v[20:21]
	global_load_b64 v[32:33], v[2:3], off
	s_wait_xcnt 0x0
	v_lshl_add_u64 v[2:3], s[74:75], 1, v[20:21]
	global_load_b64 v[34:35], v[2:3], off
	s_wait_loadcnt 0x7
	v_cvt_f32_f16_e32 v45, v1
	s_wait_loadcnt 0x6
	v_cvt_f32_f16_e32 v47, v44
	s_delay_alu instid0(VALU_DEP_1)
	v_dual_mov_b32 v50, v45 :: v_dual_mov_b32 v52, v47
	s_wait_loadcnt 0x5
	s_wait_xcnt 0x0
	v_cvt_f32_f16_e32 v2, v46
	s_wait_loadcnt 0x4
	v_cvt_f32_f16_e32 v48, v48
	s_wait_loadcnt 0x3
	v_dual_lshrrev_b32 v1, 16, v6 :: v_dual_lshrrev_b32 v3, 16, v7
	s_wait_loadcnt 0x2
	v_dual_lshrrev_b32 v49, 16, v4 :: v_dual_lshrrev_b32 v51, 16, v5
	v_cvt_f32_f16_e32 v53, v4
	s_delay_alu instid0(VALU_DEP_3)
	v_cvt_f32_f16_e32 v4, v1
	v_cvt_f32_f16_e32 v57, v5
	;; [unrolled: 1-line block ×3, first 2 shown]
	s_wait_loadcnt 0x1
	v_dual_lshrrev_b32 v1, 16, v32 :: v_dual_lshrrev_b32 v5, 16, v33
	v_cvt_f32_f16_e32 v44, v32
	v_cvt_f32_f16_e32 v46, v33
	;; [unrolled: 1-line block ×3, first 2 shown]
	s_delay_alu instid0(VALU_DEP_4)
	v_cvt_f32_f16_e32 v3, v1
	v_cvt_f32_f16_e32 v6, v7
	s_wait_loadcnt 0x0
	v_cvt_f32_f16_e32 v55, v34
	v_dual_lshrrev_b32 v1, 16, v34 :: v_dual_lshrrev_b32 v60, 16, v35
	v_pk_mul_f32 v[32:33], v[44:45], v[2:3]
	v_cvt_f32_f16_e32 v7, v35
	v_cvt_f32_f16_e32 v44, v49
	v_mul_f32_e32 v34, v2, v53
	v_cvt_f32_f16_e32 v49, v5
	v_dual_mov_b32 v35, v32 :: v_dual_mov_b32 v3, v45
	s_delay_alu instid0(VALU_DEP_4) | instskip(SKIP_1) | instid1(VALU_DEP_4)
	v_mul_f32_e32 v32, v45, v44
	v_cvt_f32_f16_e32 v5, v1
	v_pk_mul_f32 v[44:45], v[46:47], v[48:49]
	s_delay_alu instid0(VALU_DEP_4)
	v_pk_add_f32 v[34:35], v[34:35], 0 op_sel_hi:[1,0]
	v_pk_fma_f32 v[54:55], v[2:3], v[54:55], 0 op_sel_hi:[0,1,0]
	v_cvt_f32_f16_e32 v1, v51
	v_mul_f32_e32 v58, v48, v57
	v_mov_b32_e32 v59, v44
	v_pk_add_f32 v[32:33], v[34:35], v[32:33]
	v_pk_fma_f32 v[4:5], v[50:51], v[4:5], v[54:55] op_sel_hi:[0,1,1]
	v_cvt_f32_f16_e32 v57, v60
	v_mul_f32_e32 v44, v47, v1
	s_delay_alu instid0(VALU_DEP_3) | instskip(SKIP_3) | instid1(VALU_DEP_2)
	v_pk_fma_f32 v[34:35], v[48:49], v[6:7], v[4:5] op_sel_hi:[0,1,1]
	v_mov_b32_e32 v4, v48
	v_pk_add_f32 v[32:33], v[32:33], v[58:59]
	v_mov_b32_e32 v5, v47
	v_pk_add_f32 v[6:7], v[32:33], v[44:45]
	v_pk_fma_f32 v[32:33], v[52:53], v[56:57], v[34:35] op_sel_hi:[0,1,1]
	s_and_not1_saveexec_b32 s25, s6
	s_cbranch_execz .LBB416_19
.LBB416_45:                             ;   in Loop: Header=BB416_17 Depth=2
	s_wait_dscnt 0x0
	v_dual_mov_b32 v7, 0 :: v_dual_mov_b32 v6, 0
	v_dual_mov_b32 v33, 0 :: v_dual_mov_b32 v32, 0
	s_and_saveexec_b32 s35, s5
	s_cbranch_execz .LBB416_62
; %bb.46:                               ;   in Loop: Header=BB416_17 Depth=2
	s_and_not1_b32 vcc_lo, exec_lo, s71
	s_cbranch_vccnz .LBB416_49
; %bb.47:                               ;   in Loop: Header=BB416_17 Depth=2
	v_mov_b32_e32 v1, v8
	s_mov_b64 s[66:67], 0
.LBB416_48:                             ;   Parent Loop BB416_3 Depth=1
                                        ;     Parent Loop BB416_17 Depth=2
                                        ; =>    This Inner Loop Header: Depth=3
	global_load_u16 v6, v1, s[56:57] scale_offset
	s_cmp_eq_u32 s66, 3
	s_cselect_b32 vcc_lo, -1, 0
	s_cmp_eq_u32 s66, 2
	s_cselect_b32 s6, -1, 0
	s_cmp_eq_u32 s66, 1
	s_cselect_b32 s7, -1, 0
	s_cmp_eq_u32 s66, 0
	s_add_nc_u64 s[66:67], s[66:67], 1
	s_wait_loadcnt 0x0
	v_cvt_f32_f16_e32 v6, v6
	s_wait_xcnt 0x0
	s_delay_alu instid0(VALU_DEP_1)
	v_dual_add_nc_u32 v1, s10, v1 :: v_dual_cndmask_b32 v5, v5, v6, vcc_lo
	s_cselect_b32 vcc_lo, -1, 0
	v_dual_cndmask_b32 v4, v4, v6, s6 :: v_dual_cndmask_b32 v3, v3, v6, s7
	v_cndmask_b32_e32 v2, v2, v6, vcc_lo
	s_cmp_eq_u32 s69, s66
	s_cbranch_scc0 .LBB416_48
.LBB416_49:                             ;   in Loop: Header=BB416_17 Depth=2
	s_and_not1_b32 vcc_lo, exec_lo, s71
	s_cbranch_vccnz .LBB416_61
; %bb.50:                               ;   in Loop: Header=BB416_17 Depth=2
	v_mov_b32_e32 v32, 0
	s_ashr_i32 s61, s60, 31
	s_mov_b64 s[6:7], 0
	v_lshl_add_u64 v[34:35], s[60:61], 1, v[30:31]
	s_delay_alu instid0(VALU_DEP_2)
	v_dual_mov_b32 v33, v32 :: v_dual_mov_b32 v6, v32
	v_mov_b32_e32 v7, v32
.LBB416_51:                             ;   Parent Loop BB416_3 Depth=1
                                        ;     Parent Loop BB416_17 Depth=2
                                        ; =>    This Inner Loop Header: Depth=3
	s_cmp_eq_u32 s6, 1
	s_cselect_b32 vcc_lo, -1, 0
	s_cmp_eq_u32 s6, 2
	v_cndmask_b32_e32 v1, v2, v3, vcc_lo
	s_cselect_b32 vcc_lo, -1, 0
	s_cmp_eq_u32 s6, 3
	s_delay_alu instid0(VALU_DEP_1)
	v_cndmask_b32_e32 v1, v1, v4, vcc_lo
	s_cselect_b32 vcc_lo, -1, 0
	s_add_co_i32 s76, s8, s6
	s_add_co_i32 s74, s62, s6
	;; [unrolled: 1-line block ×3, first 2 shown]
	s_ashr_i32 s77, s76, 31
	s_ashr_i32 s75, s74, 31
	;; [unrolled: 1-line block ×3, first 2 shown]
	v_lshl_add_u64 v[44:45], s[76:77], 1, v[20:21]
	v_lshl_add_u64 v[46:47], s[74:75], 1, v[20:21]
	;; [unrolled: 1-line block ×3, first 2 shown]
	global_load_u16 v50, v[34:35], off
	s_clause 0x2
	global_load_u16 v45, v[44:45], off
	global_load_u16 v47, v[46:47], off
	;; [unrolled: 1-line block ×3, first 2 shown]
	s_wait_xcnt 0x2
	v_cndmask_b32_e32 v44, v1, v5, vcc_lo
	v_add_nc_u64_e32 v[34:35], 2, v[34:35]
	s_add_nc_u64 s[6:7], s[6:7], 1
	s_delay_alu instid0(SALU_CYCLE_1)
	s_cmp_lg_u32 s69, s6
	s_wait_loadcnt 0x3
	s_wait_xcnt 0x1
	v_cvt_f32_f16_e32 v46, v50
	s_wait_loadcnt 0x2
	s_wait_xcnt 0x0
	v_cvt_f32_f16_e32 v49, v45
	s_wait_loadcnt 0x1
	v_cvt_f32_f16_e32 v48, v47
	s_wait_loadcnt 0x0
	v_cvt_f32_f16_e32 v47, v51
	s_delay_alu instid0(VALU_DEP_2) | instskip(NEXT) | instid1(VALU_DEP_2)
	v_pk_fma_f32 v[6:7], v[44:45], v[48:49], v[6:7] op_sel_hi:[0,1,1]
	v_pk_fma_f32 v[32:33], v[44:45], v[46:47], v[32:33] op_sel_hi:[0,1,1]
	s_cbranch_scc1 .LBB416_51
	s_branch .LBB416_62
.LBB416_52:                             ;   in Loop: Header=BB416_17 Depth=2
	ds_load_b32 v1, v36
	s_or_b32 exec_lo, exec_lo, s6
	s_and_saveexec_b32 s6, s1
	s_cbranch_execz .LBB416_25
.LBB416_53:                             ;   in Loop: Header=BB416_17 Depth=2
	s_wait_dscnt 0x0
	ds_bpermute_b32 v32, v41, v1
	s_wait_dscnt 0x0
	v_add_f32_e32 v1, v1, v32
	ds_bpermute_b32 v32, v42, v1
	s_wait_dscnt 0x0
	v_add_f32_e32 v1, v1, v32
	;; [unrolled: 3-line block ×3, first 2 shown]
	s_or_b32 exec_lo, exec_lo, s6
	s_and_saveexec_b32 s6, s1
	s_cbranch_execnz .LBB416_26
	s_branch .LBB416_27
.LBB416_54:                             ;   in Loop: Header=BB416_17 Depth=2
	ds_load_b32 v32, v36
	s_or_b32 exec_lo, exec_lo, s6
	s_and_saveexec_b32 s6, s1
	s_cbranch_execz .LBB416_31
.LBB416_55:                             ;   in Loop: Header=BB416_17 Depth=2
	s_wait_dscnt 0x0
	ds_bpermute_b32 v33, v41, v32
	s_wait_dscnt 0x0
	v_add_f32_e32 v32, v32, v33
	ds_bpermute_b32 v33, v42, v32
	s_wait_dscnt 0x0
	v_add_f32_e32 v32, v32, v33
	;; [unrolled: 3-line block ×3, first 2 shown]
	s_or_b32 exec_lo, exec_lo, s6
	s_and_saveexec_b32 s6, s1
	s_cbranch_execnz .LBB416_32
	s_branch .LBB416_33
.LBB416_56:                             ;   in Loop: Header=BB416_17 Depth=2
	ds_load_b32 v6, v36
	s_or_b32 exec_lo, exec_lo, s6
	s_and_saveexec_b32 s6, s1
	s_cbranch_execz .LBB416_37
.LBB416_57:                             ;   in Loop: Header=BB416_17 Depth=2
	s_wait_dscnt 0x0
	ds_bpermute_b32 v33, v41, v6
	s_wait_dscnt 0x0
	v_add_f32_e32 v6, v6, v33
	ds_bpermute_b32 v33, v42, v6
	s_wait_dscnt 0x0
	v_add_f32_e32 v6, v6, v33
	;; [unrolled: 3-line block ×3, first 2 shown]
	s_or_b32 exec_lo, exec_lo, s6
	s_and_saveexec_b32 s6, s1
	s_cbranch_execnz .LBB416_38
	s_branch .LBB416_39
.LBB416_58:                             ;   in Loop: Header=BB416_17 Depth=2
	ds_load_b32 v7, v36
	s_or_b32 exec_lo, exec_lo, s6
	s_and_saveexec_b32 s6, s1
	s_cbranch_execz .LBB416_43
.LBB416_59:                             ;   in Loop: Header=BB416_17 Depth=2
	s_wait_dscnt 0x0
	ds_bpermute_b32 v33, v41, v7
	s_wait_dscnt 0x0
	v_add_f32_e32 v7, v7, v33
	ds_bpermute_b32 v33, v42, v7
	s_wait_dscnt 0x0
	v_add_f32_e32 v7, v7, v33
	;; [unrolled: 3-line block ×3, first 2 shown]
	s_or_b32 exec_lo, exec_lo, s6
	s_and_saveexec_b32 s6, s0
	s_cbranch_execz .LBB416_16
.LBB416_60:                             ;   in Loop: Header=BB416_17 Depth=2
	s_mul_i32 s7, s26, s30
	v_dual_mul_f32 v1, s22, v1 :: v_dual_mul_f32 v32, s22, v32
	s_add_co_i32 s7, s7, s34
	s_delay_alu instid0(SALU_CYCLE_1) | instskip(NEXT) | instid1(SALU_CYCLE_1)
	s_add_co_i32 s25, s7, s30
	v_dual_mov_b32 v33, s7 :: v_dual_mov_b32 v34, s25
	s_add_co_i32 s7, s25, s30
	s_delay_alu instid0(SALU_CYCLE_1)
	v_dual_mul_f32 v6, s22, v6 :: v_dual_mov_b32 v35, s7
	s_add_co_i32 s7, s7, s30
	s_wait_dscnt 0x0
	v_dual_mul_f32 v7, s22, v7 :: v_dual_mov_b32 v44, s7
	s_clause 0x3
	global_store_b32 v33, v1, s[58:59] scale_offset
	global_store_b32 v34, v32, s[58:59] scale_offset
	;; [unrolled: 1-line block ×4, first 2 shown]
	s_branch .LBB416_16
.LBB416_61:                             ;   in Loop: Header=BB416_17 Depth=2
	v_mov_b32_e32 v7, 0
	s_delay_alu instid0(VALU_DEP_1)
	v_dual_mov_b32 v6, v7 :: v_dual_mov_b32 v33, v7
	v_mov_b32_e32 v32, v7
.LBB416_62:                             ;   in Loop: Header=BB416_17 Depth=2
	s_or_b32 exec_lo, exec_lo, s35
	s_delay_alu instid0(SALU_CYCLE_1)
	s_or_b32 exec_lo, exec_lo, s25
	s_and_saveexec_b32 s6, s1
	s_cbranch_execnz .LBB416_20
	s_branch .LBB416_21
.LBB416_63:                             ;   in Loop: Header=BB416_3 Depth=1
	v_dual_mov_b32 v1, v0 :: v_dual_mov_b32 v2, v0
	v_mov_b32_e32 v3, v0
	s_mov_b32 s26, 0
	s_delay_alu instid0(VALU_DEP_1) | instskip(NEXT) | instid1(VALU_DEP_3)
	v_mov_b64_e32 v[4:5], v[2:3]
	v_mov_b64_e32 v[2:3], v[0:1]
.LBB416_64:                             ;   in Loop: Header=BB416_3 Depth=1
	s_cmp_ge_i32 s26, s21
	s_cbranch_scc1 .LBB416_2
; %bb.65:                               ;   in Loop: Header=BB416_3 Depth=1
	v_cmp_gt_u32_e32 vcc_lo, 24, v38
	s_add_nc_u64 s[8:9], s[58:59], s[38:39]
	s_mul_i32 s58, s28, s26
	v_cndmask_b32_e64 v1, 0, 8, vcc_lo
	v_cmp_gt_u32_e32 vcc_lo, 28, v38
	s_delay_alu instid0(VALU_DEP_2) | instskip(SKIP_4) | instid1(VALU_DEP_2)
	v_add_lshl_u32 v1, v1, v38, 2
	s_wait_dscnt 0x0
	v_cndmask_b32_e64 v6, 0, 4, vcc_lo
	v_cmp_gt_u32_e32 vcc_lo, 30, v38
	s_wait_dscnt 0x0
	v_add_lshl_u32 v7, v6, v38, 2
	v_cndmask_b32_e64 v32, 0, 2, vcc_lo
	v_cmp_ne_u32_e32 vcc_lo, 31, v38
	s_delay_alu instid0(VALU_DEP_2) | instskip(SKIP_1) | instid1(VALU_DEP_1)
	v_add_lshl_u32 v34, v32, v38, 2
	v_add_co_ci_u32_e64 v33, null, 0, v38, vcc_lo
	v_lshlrev_b32_e32 v35, 2, v33
	s_branch .LBB416_67
.LBB416_66:                             ;   in Loop: Header=BB416_67 Depth=2
	s_wait_xcnt 0x0
	s_or_b32 exec_lo, exec_lo, s6
	s_add_co_i32 s26, s26, 1
	s_add_co_i32 s58, s58, s28
	s_cmp_ge_i32 s26, s21
	s_cbranch_scc1 .LBB416_2
.LBB416_67:                             ;   Parent Loop BB416_3 Depth=1
                                        ; =>  This Loop Header: Depth=2
                                        ;       Child Loop BB416_80 Depth 3
                                        ;       Child Loop BB416_83 Depth 3
	s_wait_dscnt 0x0
	v_mov_b32_e32 v6, s27
	s_and_saveexec_b32 s6, s4
	s_delay_alu instid0(SALU_CYCLE_1)
	s_xor_b32 s6, exec_lo, s6
	s_cbranch_execnz .LBB416_76
; %bb.68:                               ;   in Loop: Header=BB416_67 Depth=2
	s_and_not1_saveexec_b32 s25, s6
	s_cbranch_execnz .LBB416_77
.LBB416_69:                             ;   in Loop: Header=BB416_67 Depth=2
	s_or_b32 exec_lo, exec_lo, s25
	s_and_saveexec_b32 s6, s1
.LBB416_70:                             ;   in Loop: Header=BB416_67 Depth=2
	ds_store_b32 v36, v0
.LBB416_71:                             ;   in Loop: Header=BB416_67 Depth=2
	s_or_b32 exec_lo, exec_lo, s6
	ds_bpermute_b32 v32, v39, v6
	s_wait_storecnt_dscnt 0x0
	s_barrier_signal -1
	s_barrier_wait -1
	v_add_f32_e32 v6, v6, v32
	ds_bpermute_b32 v32, v1, v6
	s_wait_dscnt 0x0
	v_add_f32_e32 v6, v6, v32
	ds_bpermute_b32 v32, v7, v6
	s_wait_dscnt 0x0
	;; [unrolled: 3-line block ×3, first 2 shown]
	v_add_f32_e32 v6, v6, v32
	ds_bpermute_b32 v32, v35, v6
	s_and_saveexec_b32 s6, s3
	s_cbranch_execz .LBB416_73
; %bb.72:                               ;   in Loop: Header=BB416_67 Depth=2
	s_wait_dscnt 0x0
	v_add_f32_e32 v6, v6, v32
	ds_store_b32 v37, v6
.LBB416_73:                             ;   in Loop: Header=BB416_67 Depth=2
	s_or_b32 exec_lo, exec_lo, s6
	v_mov_b32_e32 v6, 0
	s_wait_dscnt 0x0
	s_barrier_signal -1
	s_barrier_wait -1
	s_and_saveexec_b32 s6, s2
	s_cbranch_execnz .LBB416_85
; %bb.74:                               ;   in Loop: Header=BB416_67 Depth=2
	s_or_b32 exec_lo, exec_lo, s6
	s_and_saveexec_b32 s6, s1
	s_cbranch_execnz .LBB416_86
.LBB416_75:                             ;   in Loop: Header=BB416_67 Depth=2
	s_or_b32 exec_lo, exec_lo, s6
	s_and_saveexec_b32 s6, s0
	s_cbranch_execz .LBB416_66
	s_branch .LBB416_87
.LBB416_76:                             ;   in Loop: Header=BB416_67 Depth=2
	s_mul_i32 s60, s26, s28
	s_delay_alu instid0(SALU_CYCLE_1) | instskip(NEXT) | instid1(SALU_CYCLE_1)
	s_ashr_i32 s61, s60, 31
	v_lshl_add_u64 v[2:3], s[60:61], 1, v[20:21]
	global_load_b64 v[32:33], v[2:3], off
	s_clause 0x3
	global_load_u16 v2, v[24:25], off
	global_load_u16 v4, v[22:23], off
	;; [unrolled: 1-line block ×4, first 2 shown]
	s_wait_loadcnt 0x4
	v_dual_lshrrev_b32 v5, 16, v32 :: v_dual_lshrrev_b32 v43, 16, v33
	s_wait_loadcnt 0x3
	v_cvt_f32_f16_e32 v3, v2
	s_wait_loadcnt 0x2
	v_cvt_f32_f16_e32 v2, v4
	v_cvt_f32_f16_e32 v4, v32
	;; [unrolled: 1-line block ×5, first 2 shown]
	s_delay_alu instid0(VALU_DEP_3)
	v_pk_mul_f32 v[40:41], v[2:3], v[4:5]
	s_wait_loadcnt 0x1
	v_cvt_f32_f16_e32 v5, v6
	s_wait_loadcnt 0x0
	v_cvt_f32_f16_e32 v4, v42
	v_add_f32_e32 v6, 0, v40
	s_delay_alu instid0(VALU_DEP_2) | instskip(NEXT) | instid1(VALU_DEP_2)
	v_pk_mul_f32 v[32:33], v[4:5], v[32:33]
	v_add_f32_e32 v6, v6, v41
	s_delay_alu instid0(VALU_DEP_1) | instskip(NEXT) | instid1(VALU_DEP_1)
	v_add_f32_e32 v6, v6, v32
	v_add_f32_e32 v6, v6, v33
	s_wait_xcnt 0x0
	s_and_not1_saveexec_b32 s25, s6
	s_cbranch_execz .LBB416_69
.LBB416_77:                             ;   in Loop: Header=BB416_67 Depth=2
	s_and_saveexec_b32 s35, s5
	s_cbranch_execz .LBB416_84
; %bb.78:                               ;   in Loop: Header=BB416_67 Depth=2
	s_and_not1_b32 vcc_lo, exec_lo, s71
	s_cbranch_vccnz .LBB416_81
; %bb.79:                               ;   in Loop: Header=BB416_67 Depth=2
	v_mov_b32_e32 v32, v8
	s_mov_b64 s[60:61], 0
.LBB416_80:                             ;   Parent Loop BB416_3 Depth=1
                                        ;     Parent Loop BB416_67 Depth=2
                                        ; =>    This Inner Loop Header: Depth=3
	global_load_u16 v33, v32, s[56:57] scale_offset
	s_cmp_eq_u32 s60, 3
	s_cselect_b32 vcc_lo, -1, 0
	s_cmp_eq_u32 s60, 2
	s_cselect_b32 s6, -1, 0
	s_cmp_eq_u32 s60, 1
	s_cselect_b32 s7, -1, 0
	s_cmp_eq_u32 s60, 0
	s_add_nc_u64 s[60:61], s[60:61], 1
	s_wait_loadcnt 0x0
	v_cvt_f32_f16_e32 v33, v33
	s_wait_xcnt 0x0
	s_delay_alu instid0(VALU_DEP_1)
	v_dual_cndmask_b32 v5, v5, v33 :: v_dual_add_nc_u32 v32, s10, v32
	s_cselect_b32 vcc_lo, -1, 0
	v_dual_cndmask_b32 v4, v4, v33, s6 :: v_dual_cndmask_b32 v3, v3, v33, s7
	v_cndmask_b32_e32 v2, v2, v33, vcc_lo
	s_cmp_eq_u32 s69, s60
	s_cbranch_scc0 .LBB416_80
.LBB416_81:                             ;   in Loop: Header=BB416_67 Depth=2
	s_and_not1_b32 vcc_lo, exec_lo, s71
	s_cbranch_vccnz .LBB416_84
; %bb.82:                               ;   in Loop: Header=BB416_67 Depth=2
	s_ashr_i32 s59, s58, 31
	s_mov_b64 s[6:7], 0
	v_lshl_add_u64 v[32:33], s[58:59], 1, v[30:31]
.LBB416_83:                             ;   Parent Loop BB416_3 Depth=1
                                        ;     Parent Loop BB416_67 Depth=2
                                        ; =>    This Inner Loop Header: Depth=3
	global_load_u16 v40, v[32:33], off
	s_cmp_eq_u32 s6, 1
	s_wait_xcnt 0x0
	v_add_nc_u64_e32 v[32:33], 2, v[32:33]
	s_cselect_b32 vcc_lo, -1, 0
	s_cmp_eq_u32 s6, 2
	v_cndmask_b32_e32 v41, v2, v3, vcc_lo
	s_cselect_b32 vcc_lo, -1, 0
	s_cmp_eq_u32 s6, 3
	s_add_nc_u64 s[6:7], s[6:7], 1
	s_delay_alu instid0(VALU_DEP_1) | instskip(SKIP_2) | instid1(VALU_DEP_1)
	v_cndmask_b32_e32 v41, v41, v4, vcc_lo
	s_cselect_b32 vcc_lo, -1, 0
	s_cmp_lg_u32 s69, s6
	v_cndmask_b32_e32 v41, v41, v5, vcc_lo
	s_wait_loadcnt 0x0
	s_delay_alu instid0(VALU_DEP_1)
	v_fma_mix_f32 v6, v41, v40, v6 op_sel_hi:[0,1,0]
	s_cbranch_scc1 .LBB416_83
.LBB416_84:                             ;   in Loop: Header=BB416_67 Depth=2
	s_or_b32 exec_lo, exec_lo, s35
	s_delay_alu instid0(SALU_CYCLE_1)
	s_or_b32 exec_lo, exec_lo, s25
	s_and_saveexec_b32 s6, s1
	s_cbranch_execnz .LBB416_70
	s_branch .LBB416_71
.LBB416_85:                             ;   in Loop: Header=BB416_67 Depth=2
	ds_load_b32 v6, v36
	s_or_b32 exec_lo, exec_lo, s6
	s_and_saveexec_b32 s6, s1
	s_cbranch_execz .LBB416_75
.LBB416_86:                             ;   in Loop: Header=BB416_67 Depth=2
	s_wait_dscnt 0x0
	ds_bpermute_b32 v32, v7, v6
	s_wait_dscnt 0x0
	v_add_f32_e32 v6, v6, v32
	ds_bpermute_b32 v32, v34, v6
	s_wait_dscnt 0x0
	v_add_f32_e32 v6, v6, v32
	;; [unrolled: 3-line block ×3, first 2 shown]
	s_or_b32 exec_lo, exec_lo, s6
	s_and_saveexec_b32 s6, s0
	s_cbranch_execz .LBB416_66
.LBB416_87:                             ;   in Loop: Header=BB416_67 Depth=2
	s_mul_u64 s[60:61], s[26:27], s[30:31]
	s_wait_dscnt 0x0
	v_mul_f32_e32 v6, s22, v6
	s_lshl_b64 s[60:61], s[60:61], 2
	s_delay_alu instid0(SALU_CYCLE_1)
	s_add_nc_u64 s[60:61], s[8:9], s[60:61]
	global_store_b32 v0, v6, s[60:61]
	s_branch .LBB416_66
.LBB416_88:
	s_endpgm
	.section	.rodata,"a",@progbits
	.p2align	6, 0x0
	.amdhsa_kernel _ZL23rocblas_gemvt_sn_kernelILb1ELi256ELi4EiDF16_ffEviiT4_lPKT3_lilS3_lilPT5_i
		.amdhsa_group_segment_fixed_size 128
		.amdhsa_private_segment_fixed_size 0
		.amdhsa_kernarg_size 360
		.amdhsa_user_sgpr_count 2
		.amdhsa_user_sgpr_dispatch_ptr 0
		.amdhsa_user_sgpr_queue_ptr 0
		.amdhsa_user_sgpr_kernarg_segment_ptr 1
		.amdhsa_user_sgpr_dispatch_id 0
		.amdhsa_user_sgpr_kernarg_preload_length 0
		.amdhsa_user_sgpr_kernarg_preload_offset 0
		.amdhsa_user_sgpr_private_segment_size 0
		.amdhsa_wavefront_size32 1
		.amdhsa_uses_dynamic_stack 0
		.amdhsa_enable_private_segment 0
		.amdhsa_system_sgpr_workgroup_id_x 1
		.amdhsa_system_sgpr_workgroup_id_y 0
		.amdhsa_system_sgpr_workgroup_id_z 1
		.amdhsa_system_sgpr_workgroup_info 0
		.amdhsa_system_vgpr_workitem_id 0
		.amdhsa_next_free_vgpr 61
		.amdhsa_next_free_sgpr 78
		.amdhsa_named_barrier_count 0
		.amdhsa_reserve_vcc 1
		.amdhsa_float_round_mode_32 0
		.amdhsa_float_round_mode_16_64 0
		.amdhsa_float_denorm_mode_32 3
		.amdhsa_float_denorm_mode_16_64 3
		.amdhsa_fp16_overflow 0
		.amdhsa_memory_ordered 1
		.amdhsa_forward_progress 1
		.amdhsa_inst_pref_size 33
		.amdhsa_round_robin_scheduling 0
		.amdhsa_exception_fp_ieee_invalid_op 0
		.amdhsa_exception_fp_denorm_src 0
		.amdhsa_exception_fp_ieee_div_zero 0
		.amdhsa_exception_fp_ieee_overflow 0
		.amdhsa_exception_fp_ieee_underflow 0
		.amdhsa_exception_fp_ieee_inexact 0
		.amdhsa_exception_int_div_zero 0
	.end_amdhsa_kernel
	.section	.text._ZL23rocblas_gemvt_sn_kernelILb1ELi256ELi4EiDF16_ffEviiT4_lPKT3_lilS3_lilPT5_i,"axG",@progbits,_ZL23rocblas_gemvt_sn_kernelILb1ELi256ELi4EiDF16_ffEviiT4_lPKT3_lilS3_lilPT5_i,comdat
.Lfunc_end416:
	.size	_ZL23rocblas_gemvt_sn_kernelILb1ELi256ELi4EiDF16_ffEviiT4_lPKT3_lilS3_lilPT5_i, .Lfunc_end416-_ZL23rocblas_gemvt_sn_kernelILb1ELi256ELi4EiDF16_ffEviiT4_lPKT3_lilS3_lilPT5_i
                                        ; -- End function
	.set _ZL23rocblas_gemvt_sn_kernelILb1ELi256ELi4EiDF16_ffEviiT4_lPKT3_lilS3_lilPT5_i.num_vgpr, 61
	.set _ZL23rocblas_gemvt_sn_kernelILb1ELi256ELi4EiDF16_ffEviiT4_lPKT3_lilS3_lilPT5_i.num_agpr, 0
	.set _ZL23rocblas_gemvt_sn_kernelILb1ELi256ELi4EiDF16_ffEviiT4_lPKT3_lilS3_lilPT5_i.numbered_sgpr, 78
	.set _ZL23rocblas_gemvt_sn_kernelILb1ELi256ELi4EiDF16_ffEviiT4_lPKT3_lilS3_lilPT5_i.num_named_barrier, 0
	.set _ZL23rocblas_gemvt_sn_kernelILb1ELi256ELi4EiDF16_ffEviiT4_lPKT3_lilS3_lilPT5_i.private_seg_size, 0
	.set _ZL23rocblas_gemvt_sn_kernelILb1ELi256ELi4EiDF16_ffEviiT4_lPKT3_lilS3_lilPT5_i.uses_vcc, 1
	.set _ZL23rocblas_gemvt_sn_kernelILb1ELi256ELi4EiDF16_ffEviiT4_lPKT3_lilS3_lilPT5_i.uses_flat_scratch, 0
	.set _ZL23rocblas_gemvt_sn_kernelILb1ELi256ELi4EiDF16_ffEviiT4_lPKT3_lilS3_lilPT5_i.has_dyn_sized_stack, 0
	.set _ZL23rocblas_gemvt_sn_kernelILb1ELi256ELi4EiDF16_ffEviiT4_lPKT3_lilS3_lilPT5_i.has_recursion, 0
	.set _ZL23rocblas_gemvt_sn_kernelILb1ELi256ELi4EiDF16_ffEviiT4_lPKT3_lilS3_lilPT5_i.has_indirect_call, 0
	.section	.AMDGPU.csdata,"",@progbits
; Kernel info:
; codeLenInByte = 4120
; TotalNumSgprs: 80
; NumVgprs: 61
; ScratchSize: 0
; MemoryBound: 0
; FloatMode: 240
; IeeeMode: 1
; LDSByteSize: 128 bytes/workgroup (compile time only)
; SGPRBlocks: 0
; VGPRBlocks: 3
; NumSGPRsForWavesPerEU: 80
; NumVGPRsForWavesPerEU: 61
; NamedBarCnt: 0
; Occupancy: 16
; WaveLimiterHint : 0
; COMPUTE_PGM_RSRC2:SCRATCH_EN: 0
; COMPUTE_PGM_RSRC2:USER_SGPR: 2
; COMPUTE_PGM_RSRC2:TRAP_HANDLER: 0
; COMPUTE_PGM_RSRC2:TGID_X_EN: 1
; COMPUTE_PGM_RSRC2:TGID_Y_EN: 0
; COMPUTE_PGM_RSRC2:TGID_Z_EN: 1
; COMPUTE_PGM_RSRC2:TIDIG_COMP_CNT: 0
	.section	.text._ZL23rocblas_gemvt_sn_kernelILb1ELi256ELi4ElDF16_ffEviiT4_lPKT3_lilS3_lilPT5_i,"axG",@progbits,_ZL23rocblas_gemvt_sn_kernelILb1ELi256ELi4ElDF16_ffEviiT4_lPKT3_lilS3_lilPT5_i,comdat
	.globl	_ZL23rocblas_gemvt_sn_kernelILb1ELi256ELi4ElDF16_ffEviiT4_lPKT3_lilS3_lilPT5_i ; -- Begin function _ZL23rocblas_gemvt_sn_kernelILb1ELi256ELi4ElDF16_ffEviiT4_lPKT3_lilS3_lilPT5_i
	.p2align	8
	.type	_ZL23rocblas_gemvt_sn_kernelILb1ELi256ELi4ElDF16_ffEviiT4_lPKT3_lilS3_lilPT5_i,@function
_ZL23rocblas_gemvt_sn_kernelILb1ELi256ELi4ElDF16_ffEviiT4_lPKT3_lilS3_lilPT5_i: ; @_ZL23rocblas_gemvt_sn_kernelILb1ELi256ELi4ElDF16_ffEviiT4_lPKT3_lilS3_lilPT5_i
; %bb.0:
	s_load_b32 s23, s[0:1], 0x60
	s_bfe_u32 s2, ttmp6, 0x40014
	s_lshr_b32 s3, ttmp7, 16
	s_add_co_i32 s2, s2, 1
	s_bfe_u32 s4, ttmp6, 0x40008
	s_mul_i32 s2, s3, s2
	s_getreg_b32 s25, hwreg(HW_REG_IB_STS2, 6, 4)
	s_add_co_i32 s4, s4, s2
	s_cmp_eq_u32 s25, 0
	s_mov_b32 s11, 0
	s_cselect_b32 s24, s3, s4
	s_wait_kmcnt 0x0
	s_cmp_ge_u32 s24, s23
	s_cbranch_scc1 .LBB417_88
; %bb.1:
	s_clause 0x6
	s_load_b32 s26, s[0:1], 0x28
	s_load_b96 s[8:10], s[0:1], 0x40
	s_load_b128 s[4:7], s[0:1], 0x18
	s_load_b96 s[20:22], s[0:1], 0x0
	s_load_b128 s[12:15], s[0:1], 0x30
	s_load_b128 s[16:19], s[0:1], 0x50
	s_load_b32 s28, s[0:1], 0x68
	s_wait_xcnt 0x0
	v_cmp_eq_u32_e64 s0, 0, v0
	v_dual_lshrrev_b32 v2, 3, v0 :: v_dual_bitop2_b32 v1, 31, v0 bitop3:0x40
	v_cmp_gt_u32_e64 s1, 32, v0
	v_cmp_gt_u32_e64 s2, 8, v0
	v_mbcnt_lo_u32_b32 v42, -1, 0
	s_delay_alu instid0(VALU_DEP_4)
	v_cmp_eq_u32_e64 s3, 0, v1
	v_dual_lshlrev_b32 v40, 2, v1 :: v_dual_bitop2_b32 v41, 28, v2 bitop3:0x40
	v_mov_b64_e32 v[20:21], 0
	s_mov_b32 s29, s11
	v_lshl_or_b32 v43, v42, 2, 64
	s_wait_kmcnt 0x0
	s_ashr_i32 s27, s26, 31
	s_ashr_i32 s47, s10, 31
	s_lshl_b64 s[8:9], s[8:9], 1
	s_lshl_b64 s[6:7], s[6:7], 1
	s_ashr_i32 s39, s21, 31
	s_cmp_eq_f32 s22, 0
	s_mov_b32 s46, s10
	s_add_nc_u64 s[14:15], s[14:15], s[8:9]
	s_add_nc_u64 s[4:5], s[4:5], s[6:7]
	s_cselect_b32 s33, -1, 0
	s_cmp_gt_i32 s21, 0
	s_mov_b32 s38, s21
	s_cselect_b32 s10, -1, 0
	s_bfe_u32 s30, ttmp6, 0x4000c
	s_and_b32 s8, ttmp6, 15
	s_add_co_i32 s30, s30, 1
	s_and_b32 s62, s0, s10
	s_mul_i32 s9, ttmp9, s30
	s_mul_u64 s[30:31], s[38:39], s[28:29]
	s_add_co_i32 s8, s8, s9
	s_cmp_eq_u32 s25, 0
	s_mul_u64 s[56:57], s[26:27], 6
	s_cselect_b32 s10, ttmp9, s8
	s_ashr_i32 s7, s20, 31
	s_lshl_b32 s6, s10, 10
	s_lshr_b32 s7, s7, 30
	v_lshl_or_b32 v0, v0, 2, s6
	s_add_co_i32 s7, s20, s7
	s_lshr_b32 s6, s39, 30
	s_and_b32 s7, s7, -4
	s_add_co_i32 s6, s21, s6
	s_sub_co_i32 s64, s20, s7
	v_dual_ashrrev_i32 v1, 31, v0 :: v_dual_add_nc_u32 v18, 4, v0
	v_dual_add_nc_u32 v19, s64, v0 :: v_dual_bitop2_b32 v2, 1, v0 bitop3:0x54
	v_or_b32_e32 v4, 2, v0
	v_or_b32_e32 v6, 3, v0
	s_delay_alu instid0(VALU_DEP_4) | instskip(NEXT) | instid1(VALU_DEP_4)
	v_mul_u64_e32 v[8:9], s[46:47], v[0:1]
	v_ashrrev_i32_e32 v3, 31, v2
	v_lshl_add_u64 v[16:17], v[0:1], 1, s[4:5]
	v_dual_mov_b32 v0, 0 :: v_dual_ashrrev_i32 v5, 31, v4
	v_ashrrev_i32_e32 v7, 31, v6
	s_delay_alu instid0(VALU_DEP_4)
	v_mul_u64_e32 v[10:11], s[46:47], v[2:3]
	s_and_b32 s63, s6, -4
	v_cmp_ge_i32_e64 s4, s20, v18
	v_mul_u64_e32 v[12:13], s[46:47], v[4:5]
	v_mul_u64_e32 v[14:15], s[46:47], v[6:7]
	s_cmp_gt_i32 s63, 0
	s_cselect_b32 s65, -1, 0
	s_cmp_gt_i32 s64, 0
	s_cselect_b32 s66, -1, 0
	s_cmp_gt_u32 s21, 1
	s_cselect_b32 s5, -1, 0
	s_cmp_eq_u32 s28, 1
	s_cselect_b32 s6, -1, 0
	s_and_b32 s67, s21, 0x7ffffffe
	s_and_b32 s68, s5, s6
	s_cmp_lg_u32 s21, s67
	v_cmp_ge_i32_e64 s5, s20, v19
	s_cselect_b32 s20, -1, 0
	s_lshl_b64 s[34:35], s[10:11], 2
	s_lshl_b64 s[36:37], s[30:31], 2
	;; [unrolled: 1-line block ×4, first 2 shown]
	v_lshl_add_u64 v[18:19], v[8:9], 1, s[14:15]
	s_lshl_b64 s[42:43], s[16:17], 1
	s_add_nc_u64 s[44:45], s[18:19], s[34:35]
	s_lshl_b64 s[46:47], s[46:47], 1
	s_lshl_b64 s[48:49], s[12:13], 1
	;; [unrolled: 1-line block ×5, first 2 shown]
	s_branch .LBB417_3
.LBB417_2:                              ;   in Loop: Header=BB417_3 Depth=1
	s_add_co_i32 s24, s24, 0x10000
	s_delay_alu instid0(SALU_CYCLE_1)
	s_cmp_lt_u32 s24, s23
	s_cbranch_scc0 .LBB417_88
.LBB417_3:                              ; =>This Loop Header: Depth=1
                                        ;     Child Loop BB417_7 Depth 2
                                        ;     Child Loop BB417_11 Depth 2
                                        ;     Child Loop BB417_17 Depth 2
                                        ;       Child Loop BB417_48 Depth 3
                                        ;       Child Loop BB417_51 Depth 3
                                        ;     Child Loop BB417_67 Depth 2
                                        ;       Child Loop BB417_80 Depth 3
                                        ;       Child Loop BB417_83 Depth 3
	s_mov_b32 s25, s11
	s_and_not1_b32 vcc_lo, exec_lo, s33
	s_mov_b32 s6, -1
	s_cbranch_vccnz .LBB417_13
; %bb.4:                                ;   in Loop: Header=BB417_3 Depth=1
	s_and_saveexec_b32 s8, s62
	s_cbranch_execz .LBB417_12
; %bb.5:                                ;   in Loop: Header=BB417_3 Depth=1
	s_and_not1_b32 vcc_lo, exec_lo, s68
	s_cbranch_vccnz .LBB417_9
; %bb.6:                                ;   in Loop: Header=BB417_3 Depth=1
	s_mul_u64 s[6:7], s[36:37], s[24:25]
	s_mov_b32 s9, s67
	s_add_nc_u64 s[6:7], s[44:45], s[6:7]
.LBB417_7:                              ;   Parent Loop BB417_3 Depth=1
                                        ; =>  This Inner Loop Header: Depth=2
	s_add_co_i32 s9, s9, -2
	global_store_b64 v0, v[20:21], s[6:7]
	s_wait_xcnt 0x0
	s_add_nc_u64 s[6:7], s[6:7], 8
	s_mov_b32 s10, s67
	s_cmp_lg_u32 s9, 0
	s_mov_b32 s58, s20
	s_cbranch_scc1 .LBB417_7
; %bb.8:                                ;   in Loop: Header=BB417_3 Depth=1
	s_and_b32 vcc_lo, exec_lo, s58
	s_cbranch_vccnz .LBB417_10
	s_branch .LBB417_12
.LBB417_9:                              ;   in Loop: Header=BB417_3 Depth=1
	s_mov_b32 s10, 0
	s_cbranch_execz .LBB417_12
.LBB417_10:                             ;   in Loop: Header=BB417_3 Depth=1
	s_mul_u64 s[6:7], s[38:39], s[24:25]
	s_lshl_b64 s[58:59], s[10:11], 2
	s_sub_co_i32 s9, s21, s10
	s_add_nc_u64 s[6:7], s[6:7], s[58:59]
	s_delay_alu instid0(SALU_CYCLE_1) | instskip(NEXT) | instid1(SALU_CYCLE_1)
	s_mul_u64 s[6:7], s[28:29], s[6:7]
	s_add_nc_u64 s[6:7], s[44:45], s[6:7]
.LBB417_11:                             ;   Parent Loop BB417_3 Depth=1
                                        ; =>  This Inner Loop Header: Depth=2
	s_add_co_i32 s9, s9, -1
	global_store_b32 v0, v0, s[6:7]
	s_cmp_eq_u32 s9, 0
	s_wait_xcnt 0x0
	s_add_nc_u64 s[6:7], s[6:7], s[40:41]
	s_cbranch_scc0 .LBB417_11
.LBB417_12:                             ;   in Loop: Header=BB417_3 Depth=1
	s_or_b32 exec_lo, exec_lo, s8
	s_mov_b32 s6, 0
.LBB417_13:                             ;   in Loop: Header=BB417_3 Depth=1
	s_delay_alu instid0(SALU_CYCLE_1)
	s_and_not1_b32 vcc_lo, exec_lo, s6
	s_cbranch_vccnz .LBB417_2
; %bb.14:                               ;   in Loop: Header=BB417_3 Depth=1
	v_mad_nc_u64_u32 v[22:23], s42, s24, v[18:19]
	s_mul_u64 s[6:7], s[16:17], s[24:25]
	s_mul_u64 s[8:9], s[30:31], s[24:25]
	s_lshl_b64 s[6:7], s[6:7], 1
	s_mul_u64 s[58:59], s[12:13], s[24:25]
	s_add_nc_u64 s[6:7], s[14:15], s[6:7]
	s_lshl_b64 s[70:71], s[8:9], 2
	v_lshl_add_u64 v[24:25], s[58:59], 1, v[16:17]
	v_lshl_add_u64 v[26:27], v[8:9], 1, s[6:7]
	;; [unrolled: 1-line block ×4, first 2 shown]
	v_mad_u32 v23, s43, s24, v23
	v_lshl_add_u64 v[32:33], v[14:15], 1, s[6:7]
	v_cmp_gt_u32_e64 s9, 24, v42
	v_cmp_gt_u32_e64 s8, 28, v42
	;; [unrolled: 1-line block ×3, first 2 shown]
	v_cmp_ne_u32_e64 s6, 31, v42
	s_add_nc_u64 s[58:59], s[18:19], s[70:71]
	s_mul_u64 s[60:61], s[48:49], s[24:25]
	s_and_not1_b32 vcc_lo, exec_lo, s65
	s_add_nc_u64 s[58:59], s[58:59], s[34:35]
	s_cbranch_vccnz .LBB417_63
; %bb.15:                               ;   in Loop: Header=BB417_3 Depth=1
	v_cndmask_b32_e64 v4, 0, 8, s9
	v_cndmask_b32_e64 v5, 0, 4, s8
	s_wait_dscnt 0x0
	v_add_co_ci_u32_e64 v35, null, 0, v42, s6
	v_dual_mov_b32 v1, v0 :: v_dual_mov_b32 v2, v0
	s_delay_alu instid0(VALU_DEP_2) | instskip(SKIP_3) | instid1(VALU_DEP_4)
	v_dual_mov_b32 v3, v0 :: v_dual_lshlrev_b32 v47, 2, v35
	v_cndmask_b32_e64 v34, 0, 2, s7
	v_add_lshl_u32 v44, v4, v42, 2
	v_add_lshl_u32 v45, v5, v42, 2
	v_mov_b64_e32 v[4:5], v[2:3]
	v_add_nc_u64_e32 v[6:7], s[60:61], v[16:17]
	v_mov_b64_e32 v[2:3], v[0:1]
	v_add_lshl_u32 v46, v34, v42, 2
	s_mov_b32 s10, 0
	s_branch .LBB417_17
.LBB417_16:                             ;   in Loop: Header=BB417_17 Depth=2
	s_wait_xcnt 0x0
	s_or_b32 exec_lo, exec_lo, s6
	v_add_nc_u64_e32 v[6:7], s[50:51], v[6:7]
	s_add_co_i32 s10, s10, 4
	s_delay_alu instid0(SALU_CYCLE_1)
	s_cmp_ge_i32 s10, s63
	s_cbranch_scc1 .LBB417_64
.LBB417_17:                             ;   Parent Loop BB417_3 Depth=1
                                        ; =>  This Loop Header: Depth=2
                                        ;       Child Loop BB417_48 Depth 3
                                        ;       Child Loop BB417_51 Depth 3
                                        ; implicit-def: $vgpr35
                                        ; implicit-def: $vgpr37
	s_and_saveexec_b32 s6, s4
	s_delay_alu instid0(SALU_CYCLE_1)
	s_xor_b32 s6, exec_lo, s6
	s_cbranch_execnz .LBB417_44
; %bb.18:                               ;   in Loop: Header=BB417_17 Depth=2
	s_and_not1_saveexec_b32 s25, s6
	s_cbranch_execnz .LBB417_45
.LBB417_19:                             ;   in Loop: Header=BB417_17 Depth=2
	s_or_b32 exec_lo, exec_lo, s25
	s_and_saveexec_b32 s6, s1
.LBB417_20:                             ;   in Loop: Header=BB417_17 Depth=2
	ds_store_b32 v40, v0
.LBB417_21:                             ;   in Loop: Header=BB417_17 Depth=2
	s_or_b32 exec_lo, exec_lo, s6
	ds_bpermute_b32 v1, v43, v36
	s_wait_storecnt_dscnt 0x0
	s_barrier_signal -1
	s_barrier_wait -1
	v_add_f32_e32 v1, v36, v1
	ds_bpermute_b32 v36, v44, v1
	s_wait_dscnt 0x0
	v_add_f32_e32 v1, v1, v36
	ds_bpermute_b32 v36, v45, v1
	s_wait_dscnt 0x0
	;; [unrolled: 3-line block ×3, first 2 shown]
	v_add_f32_e32 v1, v1, v36
	ds_bpermute_b32 v36, v47, v1
	s_and_saveexec_b32 s6, s3
	s_cbranch_execz .LBB417_23
; %bb.22:                               ;   in Loop: Header=BB417_17 Depth=2
	s_wait_dscnt 0x0
	v_add_f32_e32 v1, v1, v36
	ds_store_b32 v41, v1
.LBB417_23:                             ;   in Loop: Header=BB417_17 Depth=2
	s_or_b32 exec_lo, exec_lo, s6
	v_mov_b32_e32 v1, 0
	s_wait_dscnt 0x0
	s_barrier_signal -1
	s_barrier_wait -1
	s_and_saveexec_b32 s6, s2
	s_cbranch_execnz .LBB417_52
; %bb.24:                               ;   in Loop: Header=BB417_17 Depth=2
	s_or_b32 exec_lo, exec_lo, s6
	s_and_saveexec_b32 s6, s1
	s_cbranch_execnz .LBB417_53
.LBB417_25:                             ;   in Loop: Header=BB417_17 Depth=2
	s_or_b32 exec_lo, exec_lo, s6
	s_and_saveexec_b32 s6, s1
.LBB417_26:                             ;   in Loop: Header=BB417_17 Depth=2
	ds_store_b32 v40, v0
.LBB417_27:                             ;   in Loop: Header=BB417_17 Depth=2
	s_or_b32 exec_lo, exec_lo, s6
	ds_bpermute_b32 v36, v43, v37
	s_wait_dscnt 0x0
	s_barrier_signal -1
	s_barrier_wait -1
	v_add_f32_e32 v36, v37, v36
	ds_bpermute_b32 v37, v44, v36
	s_wait_dscnt 0x0
	v_add_f32_e32 v36, v36, v37
	ds_bpermute_b32 v37, v45, v36
	s_wait_dscnt 0x0
	;; [unrolled: 3-line block ×3, first 2 shown]
	v_add_f32_e32 v36, v36, v37
	ds_bpermute_b32 v37, v47, v36
	s_and_saveexec_b32 s6, s3
	s_cbranch_execz .LBB417_29
; %bb.28:                               ;   in Loop: Header=BB417_17 Depth=2
	s_wait_dscnt 0x0
	v_add_f32_e32 v36, v36, v37
	ds_store_b32 v41, v36
.LBB417_29:                             ;   in Loop: Header=BB417_17 Depth=2
	s_or_b32 exec_lo, exec_lo, s6
	v_mov_b32_e32 v36, 0
	s_wait_dscnt 0x0
	s_barrier_signal -1
	s_barrier_wait -1
	s_and_saveexec_b32 s6, s2
	s_cbranch_execnz .LBB417_54
; %bb.30:                               ;   in Loop: Header=BB417_17 Depth=2
	s_or_b32 exec_lo, exec_lo, s6
	s_and_saveexec_b32 s6, s1
	s_cbranch_execnz .LBB417_55
.LBB417_31:                             ;   in Loop: Header=BB417_17 Depth=2
	s_or_b32 exec_lo, exec_lo, s6
	s_and_saveexec_b32 s6, s1
.LBB417_32:                             ;   in Loop: Header=BB417_17 Depth=2
	ds_store_b32 v40, v0
.LBB417_33:                             ;   in Loop: Header=BB417_17 Depth=2
	s_or_b32 exec_lo, exec_lo, s6
	ds_bpermute_b32 v37, v43, v34
	s_wait_dscnt 0x0
	s_barrier_signal -1
	s_barrier_wait -1
	v_add_f32_e32 v34, v34, v37
	ds_bpermute_b32 v37, v44, v34
	s_wait_dscnt 0x0
	v_add_f32_e32 v34, v34, v37
	ds_bpermute_b32 v37, v45, v34
	s_wait_dscnt 0x0
	;; [unrolled: 3-line block ×3, first 2 shown]
	v_add_f32_e32 v34, v34, v37
	ds_bpermute_b32 v37, v47, v34
	s_and_saveexec_b32 s6, s3
	s_cbranch_execz .LBB417_35
; %bb.34:                               ;   in Loop: Header=BB417_17 Depth=2
	s_wait_dscnt 0x0
	v_add_f32_e32 v34, v34, v37
	ds_store_b32 v41, v34
.LBB417_35:                             ;   in Loop: Header=BB417_17 Depth=2
	s_or_b32 exec_lo, exec_lo, s6
	v_mov_b32_e32 v34, 0
	s_wait_dscnt 0x0
	s_barrier_signal -1
	s_barrier_wait -1
	s_and_saveexec_b32 s6, s2
	s_cbranch_execnz .LBB417_56
; %bb.36:                               ;   in Loop: Header=BB417_17 Depth=2
	s_or_b32 exec_lo, exec_lo, s6
	s_and_saveexec_b32 s6, s1
	s_cbranch_execnz .LBB417_57
.LBB417_37:                             ;   in Loop: Header=BB417_17 Depth=2
	s_or_b32 exec_lo, exec_lo, s6
	s_and_saveexec_b32 s6, s1
.LBB417_38:                             ;   in Loop: Header=BB417_17 Depth=2
	ds_store_b32 v40, v0
.LBB417_39:                             ;   in Loop: Header=BB417_17 Depth=2
	s_or_b32 exec_lo, exec_lo, s6
	ds_bpermute_b32 v37, v43, v35
	s_wait_dscnt 0x0
	s_barrier_signal -1
	s_barrier_wait -1
	v_add_f32_e32 v35, v35, v37
	ds_bpermute_b32 v37, v44, v35
	s_wait_dscnt 0x0
	v_add_f32_e32 v35, v35, v37
	ds_bpermute_b32 v37, v45, v35
	s_wait_dscnt 0x0
	;; [unrolled: 3-line block ×3, first 2 shown]
	v_add_f32_e32 v35, v35, v37
	ds_bpermute_b32 v37, v47, v35
	s_and_saveexec_b32 s6, s3
	s_cbranch_execz .LBB417_41
; %bb.40:                               ;   in Loop: Header=BB417_17 Depth=2
	s_wait_dscnt 0x0
	v_add_f32_e32 v35, v35, v37
	ds_store_b32 v41, v35
.LBB417_41:                             ;   in Loop: Header=BB417_17 Depth=2
	s_or_b32 exec_lo, exec_lo, s6
	v_mov_b32_e32 v35, 0
	s_wait_dscnt 0x0
	s_barrier_signal -1
	s_barrier_wait -1
	s_and_saveexec_b32 s6, s2
	s_cbranch_execnz .LBB417_58
; %bb.42:                               ;   in Loop: Header=BB417_17 Depth=2
	s_or_b32 exec_lo, exec_lo, s6
	s_and_saveexec_b32 s6, s1
	s_cbranch_execnz .LBB417_59
.LBB417_43:                             ;   in Loop: Header=BB417_17 Depth=2
	s_or_b32 exec_lo, exec_lo, s6
	s_and_saveexec_b32 s6, s0
	s_cbranch_execz .LBB417_16
	s_branch .LBB417_60
.LBB417_44:                             ;   in Loop: Header=BB417_17 Depth=2
	s_mul_u64 s[8:9], s[10:11], s[26:27]
	s_or_b32 s72, s10, 3
	v_lshl_add_u64 v[2:3], s[8:9], 1, v[24:25]
	s_or_b32 s8, s10, 2
	s_mov_b32 s9, s11
	s_mov_b32 s73, s11
	s_mul_u64 s[8:9], s[8:9], s[26:27]
	s_or_b32 s70, s10, 1
	v_lshl_add_u64 v[4:5], s[8:9], 1, v[24:25]
	s_mul_u64 s[8:9], s[72:73], s[26:27]
	s_mov_b32 s71, s11
	s_clause 0x3
	global_load_u16 v1, v[26:27], off
	global_load_u16 v48, v[28:29], off
	;; [unrolled: 1-line block ×4, first 2 shown]
	s_wait_dscnt 0x0
	s_clause 0x1
	global_load_b64 v[34:35], v[2:3], off
	global_load_b64 v[4:5], v[4:5], off
	s_wait_xcnt 0x1
	v_lshl_add_u64 v[2:3], s[8:9], 1, v[24:25]
	s_mul_u64 s[8:9], s[70:71], s[26:27]
	s_delay_alu instid0(SALU_CYCLE_1)
	v_lshl_add_u64 v[36:37], s[8:9], 1, v[24:25]
	s_clause 0x1
	global_load_b64 v[38:39], v[2:3], off
	global_load_b64 v[36:37], v[36:37], off
	s_wait_loadcnt 0x7
	s_wait_xcnt 0x1
	v_cvt_f32_f16_e32 v2, v1
	s_wait_loadcnt 0x6
	v_cvt_f32_f16_e32 v49, v48
	s_wait_loadcnt 0x5
	v_cvt_f32_f16_e32 v52, v50
	s_wait_loadcnt 0x4
	v_cvt_f32_f16_e32 v51, v51
	s_wait_loadcnt 0x3
	v_dual_lshrrev_b32 v1, 16, v34 :: v_dual_lshrrev_b32 v53, 16, v35
	s_wait_loadcnt 0x2
	v_dual_lshrrev_b32 v55, 16, v4 :: v_dual_lshrrev_b32 v57, 16, v5
	v_cvt_f32_f16_e32 v62, v5
	v_cvt_f32_f16_e32 v60, v4
	v_cvt_f32_f16_e32 v58, v34
	v_cvt_f32_f16_e32 v34, v35
	s_wait_loadcnt 0x1
	v_dual_lshrrev_b32 v3, 16, v38 :: v_dual_lshrrev_b32 v5, 16, v39
	v_cvt_f32_f16_e32 v48, v38
	v_cvt_f32_f16_e32 v50, v39
	s_wait_loadcnt 0x0
	v_lshrrev_b32_e32 v61, 16, v36
	v_cvt_f32_f16_e32 v3, v3
	v_cvt_f32_f16_e32 v59, v36
	;; [unrolled: 1-line block ×3, first 2 shown]
	s_wait_xcnt 0x0
	v_lshrrev_b32_e32 v37, 16, v37
	v_cvt_f32_f16_e32 v4, v1
	v_pk_mul_f32 v[38:39], v[48:49], v[2:3]
	v_cvt_f32_f16_e32 v36, v53
	v_cvt_f32_f16_e32 v1, v55
	v_dual_mul_f32 v60, v2, v60 :: v_dual_mov_b32 v3, v49
	v_cvt_f32_f16_e32 v53, v5
	v_cvt_f32_f16_e32 v5, v61
	s_delay_alu instid0(VALU_DEP_4) | instskip(SKIP_1) | instid1(VALU_DEP_4)
	v_dual_mov_b32 v61, v38 :: v_dual_mul_f32 v38, v49, v1
	v_dual_mov_b32 v54, v49 :: v_dual_mov_b32 v56, v51
	v_pk_mul_f32 v[48:49], v[50:51], v[52:53]
	s_delay_alu instid0(VALU_DEP_3)
	v_pk_add_f32 v[60:61], v[60:61], 0 op_sel_hi:[1,0]
	v_pk_fma_f32 v[58:59], v[2:3], v[58:59], 0 op_sel_hi:[0,1,0]
	v_cvt_f32_f16_e32 v1, v57
	v_mul_f32_e32 v62, v52, v62
	v_mov_b32_e32 v63, v48
	v_pk_add_f32 v[38:39], v[60:61], v[38:39]
	v_pk_fma_f32 v[4:5], v[54:55], v[4:5], v[58:59] op_sel_hi:[0,1,1]
	v_cvt_f32_f16_e32 v37, v37
	v_mul_f32_e32 v48, v51, v1
	s_delay_alu instid0(VALU_DEP_3) | instskip(SKIP_3) | instid1(VALU_DEP_4)
	v_pk_fma_f32 v[54:55], v[52:53], v[34:35], v[4:5] op_sel_hi:[0,1,1]
	v_mov_b32_e32 v4, v52
	v_pk_add_f32 v[38:39], v[38:39], v[62:63]
	v_mov_b32_e32 v5, v51
	v_pk_fma_f32 v[36:37], v[56:57], v[36:37], v[54:55] op_sel_hi:[0,1,1]
	s_delay_alu instid0(VALU_DEP_3)
	v_pk_add_f32 v[34:35], v[38:39], v[48:49]
	s_and_not1_saveexec_b32 s25, s6
	s_cbranch_execz .LBB417_19
.LBB417_45:                             ;   in Loop: Header=BB417_17 Depth=2
	s_wait_dscnt 0x0
	v_dual_mov_b32 v35, 0 :: v_dual_mov_b32 v34, 0
	v_dual_mov_b32 v37, 0 :: v_dual_mov_b32 v36, 0
	s_and_saveexec_b32 s69, s5
	s_cbranch_execz .LBB417_62
; %bb.46:                               ;   in Loop: Header=BB417_17 Depth=2
	s_and_not1_b32 vcc_lo, exec_lo, s66
	s_cbranch_vccnz .LBB417_49
; %bb.47:                               ;   in Loop: Header=BB417_17 Depth=2
	v_mov_b64_e32 v[34:35], v[22:23]
	s_mov_b64 s[8:9], 0
.LBB417_48:                             ;   Parent Loop BB417_3 Depth=1
                                        ;     Parent Loop BB417_17 Depth=2
                                        ; =>    This Inner Loop Header: Depth=3
	global_load_u16 v1, v[34:35], off
	s_cmp_eq_u32 s8, 3
	s_wait_xcnt 0x0
	v_add_nc_u64_e32 v[34:35], s[46:47], v[34:35]
	s_cselect_b32 vcc_lo, -1, 0
	s_cmp_eq_u32 s8, 2
	s_cselect_b32 s6, -1, 0
	s_cmp_eq_u32 s8, 1
	s_cselect_b32 s7, -1, 0
	s_cmp_eq_u32 s8, 0
	s_add_nc_u64 s[8:9], s[8:9], 1
	s_wait_loadcnt 0x0
	v_cvt_f32_f16_e32 v1, v1
	s_delay_alu instid0(VALU_DEP_1) | instskip(SKIP_1) | instid1(SALU_CYCLE_1)
	v_dual_cndmask_b32 v5, v5, v1, vcc_lo :: v_dual_cndmask_b32 v4, v4, v1, s6
	s_cselect_b32 vcc_lo, -1, 0
	v_dual_cndmask_b32 v3, v3, v1, s7 :: v_dual_cndmask_b32 v2, v2, v1, vcc_lo
	s_cmp_eq_u32 s64, s8
	s_cbranch_scc0 .LBB417_48
.LBB417_49:                             ;   in Loop: Header=BB417_17 Depth=2
	s_and_not1_b32 vcc_lo, exec_lo, s66
	s_cbranch_vccnz .LBB417_61
; %bb.50:                               ;   in Loop: Header=BB417_17 Depth=2
	v_mov_b32_e32 v36, 0
	v_mov_b64_e32 v[38:39], v[6:7]
	s_mov_b64 s[6:7], 0
	s_delay_alu instid0(VALU_DEP_2)
	v_dual_mov_b32 v37, v36 :: v_dual_mov_b32 v34, v36
	v_mov_b32_e32 v35, v36
.LBB417_51:                             ;   Parent Loop BB417_3 Depth=1
                                        ;     Parent Loop BB417_17 Depth=2
                                        ; =>    This Inner Loop Header: Depth=3
	s_delay_alu instid0(VALU_DEP_3)
	v_add_nc_u64_e32 v[48:49], s[56:57], v[38:39]
	v_add_nc_u64_e32 v[50:51], s[54:55], v[38:39]
	;; [unrolled: 1-line block ×3, first 2 shown]
	s_cmp_eq_u32 s6, 1
	s_clause 0x3
	global_load_u16 v1, v[38:39], off
	global_load_u16 v49, v[48:49], off
	;; [unrolled: 1-line block ×4, first 2 shown]
	s_cselect_b32 vcc_lo, -1, 0
	s_cmp_eq_u32 s6, 2
	s_wait_xcnt 0x2
	v_cndmask_b32_e32 v48, v2, v3, vcc_lo
	s_cselect_b32 vcc_lo, -1, 0
	s_cmp_eq_u32 s6, 3
	v_add_nc_u64_e32 v[38:39], 2, v[38:39]
	s_add_nc_u64 s[6:7], s[6:7], 1
	v_cndmask_b32_e32 v48, v48, v4, vcc_lo
	s_cselect_b32 vcc_lo, -1, 0
	s_cmp_lg_u32 s64, s6
	s_delay_alu instid0(VALU_DEP_1)
	v_cndmask_b32_e32 v48, v48, v5, vcc_lo
	s_wait_loadcnt 0x3
	s_wait_xcnt 0x1
	v_cvt_f32_f16_e32 v50, v1
	s_wait_loadcnt 0x2
	s_wait_xcnt 0x0
	v_cvt_f32_f16_e32 v53, v49
	s_wait_loadcnt 0x1
	v_cvt_f32_f16_e32 v52, v51
	s_wait_loadcnt 0x0
	v_cvt_f32_f16_e32 v51, v54
	s_delay_alu instid0(VALU_DEP_2) | instskip(NEXT) | instid1(VALU_DEP_2)
	v_pk_fma_f32 v[34:35], v[48:49], v[52:53], v[34:35] op_sel_hi:[0,1,1]
	v_pk_fma_f32 v[36:37], v[48:49], v[50:51], v[36:37] op_sel_hi:[0,1,1]
	s_cbranch_scc1 .LBB417_51
	s_branch .LBB417_62
.LBB417_52:                             ;   in Loop: Header=BB417_17 Depth=2
	ds_load_b32 v1, v40
	s_or_b32 exec_lo, exec_lo, s6
	s_and_saveexec_b32 s6, s1
	s_cbranch_execz .LBB417_25
.LBB417_53:                             ;   in Loop: Header=BB417_17 Depth=2
	s_wait_dscnt 0x0
	ds_bpermute_b32 v36, v45, v1
	s_wait_dscnt 0x0
	v_add_f32_e32 v1, v1, v36
	ds_bpermute_b32 v36, v46, v1
	s_wait_dscnt 0x0
	v_add_f32_e32 v1, v1, v36
	;; [unrolled: 3-line block ×3, first 2 shown]
	s_or_b32 exec_lo, exec_lo, s6
	s_and_saveexec_b32 s6, s1
	s_cbranch_execnz .LBB417_26
	s_branch .LBB417_27
.LBB417_54:                             ;   in Loop: Header=BB417_17 Depth=2
	ds_load_b32 v36, v40
	s_or_b32 exec_lo, exec_lo, s6
	s_and_saveexec_b32 s6, s1
	s_cbranch_execz .LBB417_31
.LBB417_55:                             ;   in Loop: Header=BB417_17 Depth=2
	s_wait_dscnt 0x0
	ds_bpermute_b32 v37, v45, v36
	s_wait_dscnt 0x0
	v_add_f32_e32 v36, v36, v37
	ds_bpermute_b32 v37, v46, v36
	s_wait_dscnt 0x0
	v_add_f32_e32 v36, v36, v37
	;; [unrolled: 3-line block ×3, first 2 shown]
	s_or_b32 exec_lo, exec_lo, s6
	s_and_saveexec_b32 s6, s1
	s_cbranch_execnz .LBB417_32
	s_branch .LBB417_33
.LBB417_56:                             ;   in Loop: Header=BB417_17 Depth=2
	ds_load_b32 v34, v40
	s_or_b32 exec_lo, exec_lo, s6
	s_and_saveexec_b32 s6, s1
	s_cbranch_execz .LBB417_37
.LBB417_57:                             ;   in Loop: Header=BB417_17 Depth=2
	s_wait_dscnt 0x0
	ds_bpermute_b32 v37, v45, v34
	s_wait_dscnt 0x0
	v_add_f32_e32 v34, v34, v37
	ds_bpermute_b32 v37, v46, v34
	s_wait_dscnt 0x0
	v_add_f32_e32 v34, v34, v37
	;; [unrolled: 3-line block ×3, first 2 shown]
	s_or_b32 exec_lo, exec_lo, s6
	s_and_saveexec_b32 s6, s1
	s_cbranch_execnz .LBB417_38
	s_branch .LBB417_39
.LBB417_58:                             ;   in Loop: Header=BB417_17 Depth=2
	ds_load_b32 v35, v40
	s_or_b32 exec_lo, exec_lo, s6
	s_and_saveexec_b32 s6, s1
	s_cbranch_execz .LBB417_43
.LBB417_59:                             ;   in Loop: Header=BB417_17 Depth=2
	s_wait_dscnt 0x0
	ds_bpermute_b32 v37, v45, v35
	s_wait_dscnt 0x0
	v_add_f32_e32 v35, v35, v37
	ds_bpermute_b32 v37, v46, v35
	s_wait_dscnt 0x0
	v_add_f32_e32 v35, v35, v37
	;; [unrolled: 3-line block ×3, first 2 shown]
	s_or_b32 exec_lo, exec_lo, s6
	s_and_saveexec_b32 s6, s0
	s_cbranch_execz .LBB417_16
.LBB417_60:                             ;   in Loop: Header=BB417_17 Depth=2
	s_or_b32 s70, s10, 1
	s_mov_b32 s71, s11
	s_mul_u64 s[8:9], s[10:11], s[28:29]
	v_dual_mul_f32 v1, s22, v1 :: v_dual_mul_f32 v36, s22, v36
	s_mul_u64 s[70:71], s[70:71], s[28:29]
	s_lshl_b64 s[8:9], s[8:9], 2
	s_lshl_b64 s[70:71], s[70:71], 2
	s_add_nc_u64 s[8:9], s[58:59], s[8:9]
	s_add_nc_u64 s[70:71], s[58:59], s[70:71]
	s_clause 0x1
	global_store_b32 v0, v1, s[8:9]
	global_store_b32 v0, v36, s[70:71]
	s_wait_xcnt 0x1
	s_or_b32 s8, s10, 2
	s_mov_b32 s9, s11
	s_wait_xcnt 0x0
	s_or_b32 s70, s10, 3
	s_mov_b32 s71, s11
	s_mul_u64 s[8:9], s[8:9], s[28:29]
	s_wait_dscnt 0x0
	v_dual_mul_f32 v1, s22, v34 :: v_dual_mul_f32 v34, s22, v35
	s_mul_u64 s[70:71], s[70:71], s[28:29]
	s_lshl_b64 s[8:9], s[8:9], 2
	s_lshl_b64 s[70:71], s[70:71], 2
	s_add_nc_u64 s[8:9], s[58:59], s[8:9]
	s_add_nc_u64 s[70:71], s[58:59], s[70:71]
	s_clause 0x1
	global_store_b32 v0, v1, s[8:9]
	global_store_b32 v0, v34, s[70:71]
	s_branch .LBB417_16
.LBB417_61:                             ;   in Loop: Header=BB417_17 Depth=2
	v_mov_b32_e32 v35, 0
	s_delay_alu instid0(VALU_DEP_1)
	v_dual_mov_b32 v34, v35 :: v_dual_mov_b32 v37, v35
	v_mov_b32_e32 v36, v35
.LBB417_62:                             ;   in Loop: Header=BB417_17 Depth=2
	s_or_b32 exec_lo, exec_lo, s69
	s_delay_alu instid0(SALU_CYCLE_1)
	s_or_b32 exec_lo, exec_lo, s25
	s_and_saveexec_b32 s6, s1
	s_cbranch_execnz .LBB417_20
	s_branch .LBB417_21
.LBB417_63:                             ;   in Loop: Header=BB417_3 Depth=1
	v_dual_mov_b32 v1, v0 :: v_dual_mov_b32 v2, v0
	v_mov_b32_e32 v3, v0
	s_mov_b32 s10, 0
	s_delay_alu instid0(VALU_DEP_1) | instskip(NEXT) | instid1(VALU_DEP_3)
	v_mov_b64_e32 v[4:5], v[2:3]
	v_mov_b64_e32 v[2:3], v[0:1]
.LBB417_64:                             ;   in Loop: Header=BB417_3 Depth=1
	s_cmp_ge_i32 s10, s21
	s_cbranch_scc1 .LBB417_2
; %bb.65:                               ;   in Loop: Header=BB417_3 Depth=1
	v_cmp_gt_u32_e32 vcc_lo, 24, v42
	s_mul_u64 s[6:7], s[52:53], s[10:11]
	s_delay_alu instid0(SALU_CYCLE_1) | instskip(SKIP_4) | instid1(VALU_DEP_2)
	s_add_nc_u64 s[6:7], s[6:7], s[60:61]
	s_wait_dscnt 0x0
	v_add_nc_u64_e32 v[34:35], s[6:7], v[16:17]
	v_cndmask_b32_e64 v1, 0, 8, vcc_lo
	v_cmp_gt_u32_e32 vcc_lo, 28, v42
	v_add_lshl_u32 v1, v1, v42, 2
	v_cndmask_b32_e64 v6, 0, 4, vcc_lo
	v_cmp_gt_u32_e32 vcc_lo, 30, v42
	s_delay_alu instid0(VALU_DEP_2) | instskip(SKIP_2) | instid1(VALU_DEP_2)
	v_add_lshl_u32 v7, v6, v42, 2
	v_cndmask_b32_e64 v36, 0, 2, vcc_lo
	v_cmp_ne_u32_e32 vcc_lo, 31, v42
	v_add_lshl_u32 v38, v36, v42, 2
	v_add_co_ci_u32_e64 v37, null, 0, v42, vcc_lo
	s_delay_alu instid0(VALU_DEP_1)
	v_lshlrev_b32_e32 v39, 2, v37
	s_branch .LBB417_67
.LBB417_66:                             ;   in Loop: Header=BB417_67 Depth=2
	s_wait_xcnt 0x0
	s_or_b32 exec_lo, exec_lo, s6
	v_add_nc_u64_e32 v[34:35], s[52:53], v[34:35]
	s_add_co_i32 s10, s10, 1
	s_delay_alu instid0(SALU_CYCLE_1)
	s_cmp_ge_i32 s10, s21
	s_cbranch_scc1 .LBB417_2
.LBB417_67:                             ;   Parent Loop BB417_3 Depth=1
                                        ; =>  This Loop Header: Depth=2
                                        ;       Child Loop BB417_80 Depth 3
                                        ;       Child Loop BB417_83 Depth 3
	s_wait_dscnt 0x0
	v_mov_b32_e32 v6, s11
	s_and_saveexec_b32 s6, s4
	s_delay_alu instid0(SALU_CYCLE_1)
	s_xor_b32 s6, exec_lo, s6
	s_cbranch_execnz .LBB417_76
; %bb.68:                               ;   in Loop: Header=BB417_67 Depth=2
	s_and_not1_saveexec_b32 s25, s6
	s_cbranch_execnz .LBB417_77
.LBB417_69:                             ;   in Loop: Header=BB417_67 Depth=2
	s_or_b32 exec_lo, exec_lo, s25
	s_and_saveexec_b32 s6, s1
.LBB417_70:                             ;   in Loop: Header=BB417_67 Depth=2
	ds_store_b32 v40, v0
.LBB417_71:                             ;   in Loop: Header=BB417_67 Depth=2
	s_or_b32 exec_lo, exec_lo, s6
	ds_bpermute_b32 v36, v43, v6
	s_wait_storecnt_dscnt 0x0
	s_barrier_signal -1
	s_barrier_wait -1
	v_add_f32_e32 v6, v6, v36
	ds_bpermute_b32 v36, v1, v6
	s_wait_dscnt 0x0
	v_add_f32_e32 v6, v6, v36
	ds_bpermute_b32 v36, v7, v6
	s_wait_dscnt 0x0
	;; [unrolled: 3-line block ×3, first 2 shown]
	v_add_f32_e32 v6, v6, v36
	ds_bpermute_b32 v36, v39, v6
	s_and_saveexec_b32 s6, s3
	s_cbranch_execz .LBB417_73
; %bb.72:                               ;   in Loop: Header=BB417_67 Depth=2
	s_wait_dscnt 0x0
	v_add_f32_e32 v6, v6, v36
	ds_store_b32 v41, v6
.LBB417_73:                             ;   in Loop: Header=BB417_67 Depth=2
	s_or_b32 exec_lo, exec_lo, s6
	v_mov_b32_e32 v6, 0
	s_wait_dscnt 0x0
	s_barrier_signal -1
	s_barrier_wait -1
	s_and_saveexec_b32 s6, s2
	s_cbranch_execnz .LBB417_85
; %bb.74:                               ;   in Loop: Header=BB417_67 Depth=2
	s_or_b32 exec_lo, exec_lo, s6
	s_and_saveexec_b32 s6, s1
	s_cbranch_execnz .LBB417_86
.LBB417_75:                             ;   in Loop: Header=BB417_67 Depth=2
	s_or_b32 exec_lo, exec_lo, s6
	s_and_saveexec_b32 s6, s0
	s_cbranch_execz .LBB417_66
	s_branch .LBB417_87
.LBB417_76:                             ;   in Loop: Header=BB417_67 Depth=2
	s_mul_u64 s[8:9], s[10:11], s[26:27]
	s_delay_alu instid0(SALU_CYCLE_1)
	v_lshl_add_u64 v[2:3], s[8:9], 1, v[24:25]
	global_load_b64 v[36:37], v[2:3], off
	s_clause 0x3
	global_load_u16 v2, v[28:29], off
	global_load_u16 v4, v[26:27], off
	;; [unrolled: 1-line block ×4, first 2 shown]
	s_wait_loadcnt 0x4
	v_dual_lshrrev_b32 v5, 16, v36 :: v_dual_lshrrev_b32 v47, 16, v37
	s_wait_loadcnt 0x3
	v_cvt_f32_f16_e32 v3, v2
	s_wait_loadcnt 0x2
	v_cvt_f32_f16_e32 v2, v4
	v_cvt_f32_f16_e32 v4, v36
	;; [unrolled: 1-line block ×5, first 2 shown]
	s_delay_alu instid0(VALU_DEP_3)
	v_pk_mul_f32 v[44:45], v[2:3], v[4:5]
	s_wait_loadcnt 0x1
	v_cvt_f32_f16_e32 v5, v6
	s_wait_loadcnt 0x0
	v_cvt_f32_f16_e32 v4, v46
	v_add_f32_e32 v6, 0, v44
	s_delay_alu instid0(VALU_DEP_2) | instskip(NEXT) | instid1(VALU_DEP_2)
	v_pk_mul_f32 v[36:37], v[4:5], v[36:37]
	v_add_f32_e32 v6, v6, v45
	s_delay_alu instid0(VALU_DEP_1) | instskip(NEXT) | instid1(VALU_DEP_1)
	v_add_f32_e32 v6, v6, v36
	v_add_f32_e32 v6, v6, v37
	s_wait_xcnt 0x0
	s_and_not1_saveexec_b32 s25, s6
	s_cbranch_execz .LBB417_69
.LBB417_77:                             ;   in Loop: Header=BB417_67 Depth=2
	s_and_saveexec_b32 s60, s5
	s_cbranch_execz .LBB417_84
; %bb.78:                               ;   in Loop: Header=BB417_67 Depth=2
	s_and_not1_b32 vcc_lo, exec_lo, s66
	s_cbranch_vccnz .LBB417_81
; %bb.79:                               ;   in Loop: Header=BB417_67 Depth=2
	v_mov_b64_e32 v[36:37], v[22:23]
	s_mov_b64 s[8:9], 0
.LBB417_80:                             ;   Parent Loop BB417_3 Depth=1
                                        ;     Parent Loop BB417_67 Depth=2
                                        ; =>    This Inner Loop Header: Depth=3
	global_load_u16 v44, v[36:37], off
	s_cmp_eq_u32 s8, 3
	s_wait_xcnt 0x0
	v_add_nc_u64_e32 v[36:37], s[46:47], v[36:37]
	s_cselect_b32 vcc_lo, -1, 0
	s_cmp_eq_u32 s8, 2
	s_cselect_b32 s6, -1, 0
	s_cmp_eq_u32 s8, 1
	s_cselect_b32 s7, -1, 0
	s_cmp_eq_u32 s8, 0
	s_add_nc_u64 s[8:9], s[8:9], 1
	s_wait_loadcnt 0x0
	v_cvt_f32_f16_e32 v44, v44
	s_delay_alu instid0(VALU_DEP_1) | instskip(SKIP_1) | instid1(SALU_CYCLE_1)
	v_dual_cndmask_b32 v5, v5, v44, vcc_lo :: v_dual_cndmask_b32 v4, v4, v44, s6
	s_cselect_b32 vcc_lo, -1, 0
	v_dual_cndmask_b32 v3, v3, v44, s7 :: v_dual_cndmask_b32 v2, v2, v44, vcc_lo
	s_cmp_eq_u32 s64, s8
	s_cbranch_scc0 .LBB417_80
.LBB417_81:                             ;   in Loop: Header=BB417_67 Depth=2
	s_and_not1_b32 vcc_lo, exec_lo, s66
	s_cbranch_vccnz .LBB417_84
; %bb.82:                               ;   in Loop: Header=BB417_67 Depth=2
	v_mov_b64_e32 v[36:37], v[34:35]
	s_mov_b64 s[6:7], 0
.LBB417_83:                             ;   Parent Loop BB417_3 Depth=1
                                        ;     Parent Loop BB417_67 Depth=2
                                        ; =>    This Inner Loop Header: Depth=3
	global_load_u16 v44, v[36:37], off
	s_cmp_eq_u32 s6, 1
	s_wait_xcnt 0x0
	v_add_nc_u64_e32 v[36:37], 2, v[36:37]
	s_cselect_b32 vcc_lo, -1, 0
	s_cmp_eq_u32 s6, 2
	v_cndmask_b32_e32 v45, v2, v3, vcc_lo
	s_cselect_b32 vcc_lo, -1, 0
	s_cmp_eq_u32 s6, 3
	s_add_nc_u64 s[6:7], s[6:7], 1
	s_delay_alu instid0(VALU_DEP_1) | instskip(SKIP_2) | instid1(VALU_DEP_1)
	v_cndmask_b32_e32 v45, v45, v4, vcc_lo
	s_cselect_b32 vcc_lo, -1, 0
	s_cmp_lg_u32 s64, s6
	v_cndmask_b32_e32 v45, v45, v5, vcc_lo
	s_wait_loadcnt 0x0
	s_delay_alu instid0(VALU_DEP_1)
	v_fma_mix_f32 v6, v45, v44, v6 op_sel_hi:[0,1,0]
	s_cbranch_scc1 .LBB417_83
.LBB417_84:                             ;   in Loop: Header=BB417_67 Depth=2
	s_or_b32 exec_lo, exec_lo, s60
	s_delay_alu instid0(SALU_CYCLE_1)
	s_or_b32 exec_lo, exec_lo, s25
	s_and_saveexec_b32 s6, s1
	s_cbranch_execnz .LBB417_70
	s_branch .LBB417_71
.LBB417_85:                             ;   in Loop: Header=BB417_67 Depth=2
	ds_load_b32 v6, v40
	s_or_b32 exec_lo, exec_lo, s6
	s_and_saveexec_b32 s6, s1
	s_cbranch_execz .LBB417_75
.LBB417_86:                             ;   in Loop: Header=BB417_67 Depth=2
	s_wait_dscnt 0x0
	ds_bpermute_b32 v36, v7, v6
	s_wait_dscnt 0x0
	v_add_f32_e32 v6, v6, v36
	ds_bpermute_b32 v36, v38, v6
	s_wait_dscnt 0x0
	v_add_f32_e32 v6, v6, v36
	;; [unrolled: 3-line block ×3, first 2 shown]
	s_or_b32 exec_lo, exec_lo, s6
	s_and_saveexec_b32 s6, s0
	s_cbranch_execz .LBB417_66
.LBB417_87:                             ;   in Loop: Header=BB417_67 Depth=2
	s_mul_u64 s[8:9], s[10:11], s[28:29]
	s_wait_dscnt 0x0
	v_mul_f32_e32 v6, s22, v6
	s_lshl_b64 s[8:9], s[8:9], 2
	s_delay_alu instid0(SALU_CYCLE_1)
	s_add_nc_u64 s[8:9], s[58:59], s[8:9]
	global_store_b32 v0, v6, s[8:9]
	s_branch .LBB417_66
.LBB417_88:
	s_endpgm
	.section	.rodata,"a",@progbits
	.p2align	6, 0x0
	.amdhsa_kernel _ZL23rocblas_gemvt_sn_kernelILb1ELi256ELi4ElDF16_ffEviiT4_lPKT3_lilS3_lilPT5_i
		.amdhsa_group_segment_fixed_size 128
		.amdhsa_private_segment_fixed_size 0
		.amdhsa_kernarg_size 360
		.amdhsa_user_sgpr_count 2
		.amdhsa_user_sgpr_dispatch_ptr 0
		.amdhsa_user_sgpr_queue_ptr 0
		.amdhsa_user_sgpr_kernarg_segment_ptr 1
		.amdhsa_user_sgpr_dispatch_id 0
		.amdhsa_user_sgpr_kernarg_preload_length 0
		.amdhsa_user_sgpr_kernarg_preload_offset 0
		.amdhsa_user_sgpr_private_segment_size 0
		.amdhsa_wavefront_size32 1
		.amdhsa_uses_dynamic_stack 0
		.amdhsa_enable_private_segment 0
		.amdhsa_system_sgpr_workgroup_id_x 1
		.amdhsa_system_sgpr_workgroup_id_y 0
		.amdhsa_system_sgpr_workgroup_id_z 1
		.amdhsa_system_sgpr_workgroup_info 0
		.amdhsa_system_vgpr_workitem_id 0
		.amdhsa_next_free_vgpr 64
		.amdhsa_next_free_sgpr 74
		.amdhsa_named_barrier_count 0
		.amdhsa_reserve_vcc 1
		.amdhsa_float_round_mode_32 0
		.amdhsa_float_round_mode_16_64 0
		.amdhsa_float_denorm_mode_32 3
		.amdhsa_float_denorm_mode_16_64 3
		.amdhsa_fp16_overflow 0
		.amdhsa_memory_ordered 1
		.amdhsa_forward_progress 1
		.amdhsa_inst_pref_size 33
		.amdhsa_round_robin_scheduling 0
		.amdhsa_exception_fp_ieee_invalid_op 0
		.amdhsa_exception_fp_denorm_src 0
		.amdhsa_exception_fp_ieee_div_zero 0
		.amdhsa_exception_fp_ieee_overflow 0
		.amdhsa_exception_fp_ieee_underflow 0
		.amdhsa_exception_fp_ieee_inexact 0
		.amdhsa_exception_int_div_zero 0
	.end_amdhsa_kernel
	.section	.text._ZL23rocblas_gemvt_sn_kernelILb1ELi256ELi4ElDF16_ffEviiT4_lPKT3_lilS3_lilPT5_i,"axG",@progbits,_ZL23rocblas_gemvt_sn_kernelILb1ELi256ELi4ElDF16_ffEviiT4_lPKT3_lilS3_lilPT5_i,comdat
.Lfunc_end417:
	.size	_ZL23rocblas_gemvt_sn_kernelILb1ELi256ELi4ElDF16_ffEviiT4_lPKT3_lilS3_lilPT5_i, .Lfunc_end417-_ZL23rocblas_gemvt_sn_kernelILb1ELi256ELi4ElDF16_ffEviiT4_lPKT3_lilS3_lilPT5_i
                                        ; -- End function
	.set _ZL23rocblas_gemvt_sn_kernelILb1ELi256ELi4ElDF16_ffEviiT4_lPKT3_lilS3_lilPT5_i.num_vgpr, 64
	.set _ZL23rocblas_gemvt_sn_kernelILb1ELi256ELi4ElDF16_ffEviiT4_lPKT3_lilS3_lilPT5_i.num_agpr, 0
	.set _ZL23rocblas_gemvt_sn_kernelILb1ELi256ELi4ElDF16_ffEviiT4_lPKT3_lilS3_lilPT5_i.numbered_sgpr, 74
	.set _ZL23rocblas_gemvt_sn_kernelILb1ELi256ELi4ElDF16_ffEviiT4_lPKT3_lilS3_lilPT5_i.num_named_barrier, 0
	.set _ZL23rocblas_gemvt_sn_kernelILb1ELi256ELi4ElDF16_ffEviiT4_lPKT3_lilS3_lilPT5_i.private_seg_size, 0
	.set _ZL23rocblas_gemvt_sn_kernelILb1ELi256ELi4ElDF16_ffEviiT4_lPKT3_lilS3_lilPT5_i.uses_vcc, 1
	.set _ZL23rocblas_gemvt_sn_kernelILb1ELi256ELi4ElDF16_ffEviiT4_lPKT3_lilS3_lilPT5_i.uses_flat_scratch, 0
	.set _ZL23rocblas_gemvt_sn_kernelILb1ELi256ELi4ElDF16_ffEviiT4_lPKT3_lilS3_lilPT5_i.has_dyn_sized_stack, 0
	.set _ZL23rocblas_gemvt_sn_kernelILb1ELi256ELi4ElDF16_ffEviiT4_lPKT3_lilS3_lilPT5_i.has_recursion, 0
	.set _ZL23rocblas_gemvt_sn_kernelILb1ELi256ELi4ElDF16_ffEviiT4_lPKT3_lilS3_lilPT5_i.has_indirect_call, 0
	.section	.AMDGPU.csdata,"",@progbits
; Kernel info:
; codeLenInByte = 4124
; TotalNumSgprs: 76
; NumVgprs: 64
; ScratchSize: 0
; MemoryBound: 0
; FloatMode: 240
; IeeeMode: 1
; LDSByteSize: 128 bytes/workgroup (compile time only)
; SGPRBlocks: 0
; VGPRBlocks: 3
; NumSGPRsForWavesPerEU: 76
; NumVGPRsForWavesPerEU: 64
; NamedBarCnt: 0
; Occupancy: 16
; WaveLimiterHint : 0
; COMPUTE_PGM_RSRC2:SCRATCH_EN: 0
; COMPUTE_PGM_RSRC2:USER_SGPR: 2
; COMPUTE_PGM_RSRC2:TRAP_HANDLER: 0
; COMPUTE_PGM_RSRC2:TGID_X_EN: 1
; COMPUTE_PGM_RSRC2:TGID_Y_EN: 0
; COMPUTE_PGM_RSRC2:TGID_Z_EN: 1
; COMPUTE_PGM_RSRC2:TIDIG_COMP_CNT: 0
	.section	.text._ZL20rocblas_gemvt_kernelILb1ELi256EDF16_PKfDF16_EviiT2_lPKT1_lilS5_lilS2_lPT3_lili,"axG",@progbits,_ZL20rocblas_gemvt_kernelILb1ELi256EDF16_PKfDF16_EviiT2_lPKT1_lilS5_lilS2_lPT3_lili,comdat
	.globl	_ZL20rocblas_gemvt_kernelILb1ELi256EDF16_PKfDF16_EviiT2_lPKT1_lilS5_lilS2_lPT3_lili ; -- Begin function _ZL20rocblas_gemvt_kernelILb1ELi256EDF16_PKfDF16_EviiT2_lPKT1_lilS5_lilS2_lPT3_lili
	.p2align	8
	.type	_ZL20rocblas_gemvt_kernelILb1ELi256EDF16_PKfDF16_EviiT2_lPKT1_lilS5_lilS2_lPT3_lili,@function
_ZL20rocblas_gemvt_kernelILb1ELi256EDF16_PKfDF16_EviiT2_lPKT1_lilS5_lilS2_lPT3_lili: ; @_ZL20rocblas_gemvt_kernelILb1ELi256EDF16_PKfDF16_EviiT2_lPKT1_lilS5_lilS2_lPT3_lili
; %bb.0:
	s_load_b32 s33, s[0:1], 0x88
	s_bfe_u32 s2, ttmp6, 0x40014
	s_lshr_b32 s3, ttmp7, 16
	s_add_co_i32 s2, s2, 1
	s_bfe_u32 s4, ttmp6, 0x40008
	s_mul_i32 s2, s3, s2
	s_getreg_b32 s7, hwreg(HW_REG_IB_STS2, 6, 4)
	s_add_co_i32 s4, s4, s2
	s_cmp_eq_u32 s7, 0
	s_mov_b32 s35, 0
	s_cselect_b32 s34, s3, s4
	s_wait_kmcnt 0x0
	s_cmp_ge_u32 s34, s33
	s_cbranch_scc1 .LBB418_41
; %bb.1:
	s_clause 0x4
	s_load_b32 s2, s[0:1], 0x28
	s_load_b96 s[4:6], s[0:1], 0x40
	s_load_b96 s[8:10], s[0:1], 0x70
	s_load_b256 s[12:19], s[0:1], 0x8
	s_load_b32 s46, s[0:1], 0x0
	s_bfe_u32 s3, ttmp6, 0x4000c
	s_and_b32 s11, ttmp6, 15
	s_add_co_i32 s3, s3, 1
	s_load_b128 s[28:31], s[0:1], 0x30
	s_mul_i32 s3, ttmp9, s3
	s_load_b64 s[36:37], s[0:1], 0x80
	s_add_co_i32 s11, s11, s3
	s_load_b256 s[20:27], s[0:1], 0x50
	v_lshlrev_b32_e32 v14, 2, v0
	s_wait_kmcnt 0x0
	s_ashr_i32 s3, s2, 31
	s_ashr_i32 s39, s6, 31
	;; [unrolled: 1-line block ×3, first 2 shown]
	s_lshl_b64 s[4:5], s[4:5], 1
	s_lshl_b64 s[8:9], s[8:9], 1
	;; [unrolled: 1-line block ×3, first 2 shown]
	s_cmp_eq_u32 s7, 0
	s_mov_b32 s38, s6
	s_cselect_b32 s44, ttmp9, s11
	s_ashr_i32 s7, s46, 31
	v_cmp_gt_i32_e32 vcc_lo, s46, v0
	s_lshr_b32 s0, s7, 24
	s_ashr_i32 s45, s44, 31
	s_add_co_i32 s0, s46, s0
	s_mul_u64 s[2:3], s[2:3], s[44:45]
	s_and_b32 s18, s0, 0xffffff00
	s_delay_alu instid0(SALU_CYCLE_1) | instskip(SKIP_3) | instid1(VALU_DEP_1)
	v_dual_mov_b32 v3, 0 :: v_dual_bitop2_b32 v8, s18, v0 bitop3:0x54
	s_add_nc_u64 s[0:1], s[16:17], s[42:43]
	s_add_nc_u64 s[26:27], s[26:27], s[8:9]
	s_lshl_b64 s[8:9], s[2:3], 1
	v_dual_mov_b32 v1, v3 :: v_dual_ashrrev_i32 v9, 31, v8
	s_mov_b32 s40, s10
	s_add_nc_u64 s[10:11], s[30:31], s[4:5]
	s_add_nc_u64 s[30:31], s[8:9], s[42:43]
	s_delay_alu instid0(VALU_DEP_1)
	v_mul_u64_e32 v[10:11], s[38:39], v[0:1]
	v_mul_u64_e32 v[4:5], s[38:39], v[8:9]
	v_cndmask_b32_e32 v1, 0, v0, vcc_lo
	s_add_nc_u64 s[16:17], s[16:17], s[30:31]
	v_cmp_gt_u32_e64 s2, 0x80, v0
	v_cmp_gt_u32_e64 s3, 64, v0
	;; [unrolled: 1-line block ×3, first 2 shown]
	v_lshlrev_b32_e32 v2, 1, v1
	v_cmp_gt_u32_e64 s5, 16, v0
	v_cmp_gt_u32_e64 s6, 8, v0
	v_cmp_gt_u32_e64 s7, 4, v0
	s_mul_u64 s[40:41], s[40:41], s[44:45]
	v_add_nc_u64_e32 v[6:7], s[0:1], v[2:3]
	v_cmp_gt_i32_e64 s1, s46, v8
	v_add_nc_u64_e32 v[8:9], s[16:17], v[2:3]
	v_cmp_eq_u32_e64 s0, 0, v0
	s_cmp_gt_i32 s46, 0xff
	s_cselect_b32 s44, -1, 0
	v_add_nc_u64_e32 v[6:7], s[8:9], v[6:7]
	v_cmp_gt_u32_e64 s8, 2, v0
	s_ashr_i32 s19, s18, 31
	s_lshl_b64 s[16:17], s[20:21], 1
	s_lshl_b64 s[30:31], s[38:39], 9
	;; [unrolled: 1-line block ×4, first 2 shown]
	v_lshl_add_u64 v[0:1], v[10:11], 1, s[10:11]
	s_branch .LBB418_4
.LBB418_2:                              ;   in Loop: Header=BB418_4 Depth=1
	s_wait_xcnt 0x0
	s_or_b32 exec_lo, exec_lo, s9
.LBB418_3:                              ;   in Loop: Header=BB418_4 Depth=1
	s_add_co_i32 s34, s34, 0x10000
	s_delay_alu instid0(SALU_CYCLE_1)
	s_cmp_lt_u32 s34, s33
	s_cbranch_scc0 .LBB418_41
.LBB418_4:                              ; =>This Loop Header: Depth=1
                                        ;     Child Loop BB418_15 Depth 2
	s_mul_u64 s[42:43], s[14:15], s[34:35]
	s_wait_xcnt 0x0
	s_mul_u64 s[46:47], s[24:25], s[34:35]
	s_lshl_b64 s[42:43], s[42:43], 2
	s_lshl_b64 s[46:47], s[46:47], 2
	s_add_nc_u64 s[42:43], s[12:13], s[42:43]
	s_add_nc_u64 s[46:47], s[22:23], s[46:47]
	s_clause 0x1
	global_load_b32 v2, v3, s[42:43]
	global_load_b32 v10, v3, s[46:47]
	s_wait_loadcnt 0x1
	v_cmp_eq_f32_e32 vcc_lo, 0, v2
	s_wait_loadcnt 0x0
	v_cmp_eq_f32_e64 s9, 1.0, v10
	s_wait_xcnt 0x1
	s_and_b32 s42, vcc_lo, s9
	v_readfirstlane_b32 s9, v10
	s_and_b32 vcc_lo, exec_lo, s42
	s_cbranch_vccnz .LBB418_3
; %bb.5:                                ;   in Loop: Header=BB418_4 Depth=1
	v_cmp_neq_f32_e32 vcc_lo, 0, v2
	s_mul_u64 s[42:43], s[36:37], s[34:35]
	s_delay_alu instid0(SALU_CYCLE_1) | instskip(NEXT) | instid1(SALU_CYCLE_1)
	s_lshl_b64 s[42:43], s[42:43], 1
	s_add_nc_u64 s[42:43], s[26:27], s[42:43]
	s_cbranch_vccnz .LBB418_9
; %bb.6:                                ;   in Loop: Header=BB418_4 Depth=1
	s_wait_xcnt 0x0
	s_mov_b32 s46, 0
	s_mov_b32 s45, 0
                                        ; implicit-def: $vgpr10
	s_and_saveexec_b32 s47, s0
	s_cbranch_execz .LBB418_10
; %bb.7:                                ;   in Loop: Header=BB418_4 Depth=1
	s_cmp_eq_f32 s9, 0
	s_cbranch_scc1 .LBB418_11
; %bb.8:                                ;   in Loop: Header=BB418_4 Depth=1
	s_add_nc_u64 s[48:49], s[42:43], s[40:41]
	global_load_u16 v10, v3, s[48:49]
	s_wait_loadcnt 0x0
	v_fma_mixlo_f16 v10, s9, v10, 0 op_sel_hi:[0,1,0]
	s_branch .LBB418_12
.LBB418_9:                              ;   in Loop: Header=BB418_4 Depth=1
	s_wait_xcnt 0x0
	s_mov_b32 s45, 0
                                        ; implicit-def: $vgpr10
	s_cbranch_execnz .LBB418_13
	s_branch .LBB418_39
.LBB418_10:                             ;   in Loop: Header=BB418_4 Depth=1
	s_or_b32 exec_lo, exec_lo, s47
	s_delay_alu instid0(SALU_CYCLE_1)
	s_and_b32 vcc_lo, exec_lo, s46
	s_cbranch_vccnz .LBB418_13
	s_branch .LBB418_39
.LBB418_11:                             ;   in Loop: Header=BB418_4 Depth=1
	v_mov_b32_e32 v10, 0
.LBB418_12:                             ;   in Loop: Header=BB418_4 Depth=1
	s_mov_b32 s45, exec_lo
	s_wait_xcnt 0x0
	s_or_b32 exec_lo, exec_lo, s47
	s_delay_alu instid0(SALU_CYCLE_1)
	s_and_b32 vcc_lo, exec_lo, s46
	s_cbranch_vccz .LBB418_39
.LBB418_13:                             ;   in Loop: Header=BB418_4 Depth=1
	v_mov_b32_e32 v15, 0
	s_and_not1_b32 vcc_lo, exec_lo, s44
	s_cbranch_vccnz .LBB418_16
; %bb.14:                               ;   in Loop: Header=BB418_4 Depth=1
	v_mad_nc_u64_u32 v[10:11], s16, s34, v[0:1]
	v_mad_nc_u64_u32 v[12:13], s38, s34, v[8:9]
	v_mov_b32_e32 v15, 0
	s_mov_b32 s46, 0
	s_delay_alu instid0(VALU_DEP_3) | instskip(NEXT) | instid1(VALU_DEP_3)
	v_mad_u32 v11, s17, s34, v11
	v_mad_u32 v13, s39, s34, v13
.LBB418_15:                             ;   Parent Loop BB418_4 Depth=1
                                        ; =>  This Inner Loop Header: Depth=2
	global_load_u16 v16, v[12:13], off
	global_load_u16 v17, v[10:11], off
	s_wait_xcnt 0x0
	v_add_nc_u64_e32 v[10:11], s[30:31], v[10:11]
	v_add_nc_u64_e32 v[12:13], 0x200, v[12:13]
	s_addk_co_i32 s46, 0x100
	s_delay_alu instid0(SALU_CYCLE_1) | instskip(SKIP_2) | instid1(VALU_DEP_1)
	s_cmp_ge_i32 s46, s18
	s_wait_loadcnt 0x0
	v_mul_f16_e32 v16, v16, v17
	v_cvt_f32_f16_e32 v16, v16
	s_delay_alu instid0(VALU_DEP_1)
	v_add_f32_e32 v15, v15, v16
	s_cbranch_scc0 .LBB418_15
.LBB418_16:                             ;   in Loop: Header=BB418_4 Depth=1
	s_and_saveexec_b32 s46, s1
	s_cbranch_execz .LBB418_18
; %bb.17:                               ;   in Loop: Header=BB418_4 Depth=1
	s_mul_u64 s[48:49], s[28:29], s[34:35]
	s_mul_u64 s[50:51], s[20:21], s[34:35]
	v_lshl_add_u64 v[10:11], s[48:49], 1, v[6:7]
	s_lshl_b64 s[48:49], s[50:51], 1
	s_delay_alu instid0(SALU_CYCLE_1) | instskip(NEXT) | instid1(SALU_CYCLE_1)
	s_add_nc_u64 s[48:49], s[10:11], s[48:49]
	v_lshl_add_u64 v[12:13], v[4:5], 1, s[48:49]
	s_delay_alu instid0(VALU_DEP_2)
	v_lshl_add_u64 v[10:11], s[18:19], 1, v[10:11]
	global_load_u16 v16, v[10:11], off
	global_load_u16 v17, v[12:13], off
	s_wait_loadcnt 0x0
	s_wait_xcnt 0x1
	v_mul_f16_e32 v10, v16, v17
	s_delay_alu instid0(VALU_DEP_1) | instskip(NEXT) | instid1(VALU_DEP_1)
	v_cvt_f32_f16_e32 v10, v10
	v_add_f32_e32 v15, v15, v10
.LBB418_18:                             ;   in Loop: Header=BB418_4 Depth=1
	s_wait_xcnt 0x0
	s_or_b32 exec_lo, exec_lo, s46
	ds_store_b32 v14, v15
	s_wait_dscnt 0x0
	s_barrier_signal -1
	s_barrier_wait -1
	s_and_saveexec_b32 s46, s2
	s_cbranch_execz .LBB418_20
; %bb.19:                               ;   in Loop: Header=BB418_4 Depth=1
	ds_load_2addr_stride64_b32 v[10:11], v14 offset1:2
	s_wait_dscnt 0x0
	v_add_f32_e32 v10, v11, v10
	ds_store_b32 v14, v10
.LBB418_20:                             ;   in Loop: Header=BB418_4 Depth=1
	s_or_b32 exec_lo, exec_lo, s46
	s_wait_dscnt 0x0
	s_barrier_signal -1
	s_barrier_wait -1
	s_and_saveexec_b32 s46, s3
	s_cbranch_execz .LBB418_22
; %bb.21:                               ;   in Loop: Header=BB418_4 Depth=1
	ds_load_2addr_stride64_b32 v[10:11], v14 offset1:1
	s_wait_dscnt 0x0
	v_add_f32_e32 v10, v11, v10
	ds_store_b32 v14, v10
.LBB418_22:                             ;   in Loop: Header=BB418_4 Depth=1
	s_or_b32 exec_lo, exec_lo, s46
	s_wait_dscnt 0x0
	s_barrier_signal -1
	s_barrier_wait -1
	s_and_saveexec_b32 s46, s4
	s_cbranch_execz .LBB418_24
; %bb.23:                               ;   in Loop: Header=BB418_4 Depth=1
	ds_load_2addr_b32 v[10:11], v14 offset1:32
	s_wait_dscnt 0x0
	v_add_f32_e32 v10, v11, v10
	ds_store_b32 v14, v10
.LBB418_24:                             ;   in Loop: Header=BB418_4 Depth=1
	s_or_b32 exec_lo, exec_lo, s46
	s_wait_dscnt 0x0
	s_barrier_signal -1
	s_barrier_wait -1
	s_and_saveexec_b32 s46, s5
	s_cbranch_execz .LBB418_26
; %bb.25:                               ;   in Loop: Header=BB418_4 Depth=1
	ds_load_2addr_b32 v[10:11], v14 offset1:16
	s_wait_dscnt 0x0
	v_add_f32_e32 v10, v11, v10
	ds_store_b32 v14, v10
.LBB418_26:                             ;   in Loop: Header=BB418_4 Depth=1
	;; [unrolled: 12-line block ×5, first 2 shown]
	s_or_b32 exec_lo, exec_lo, s46
	s_wait_dscnt 0x0
	s_barrier_signal -1
	s_barrier_wait -1
	s_and_saveexec_b32 s46, s0
	s_cbranch_execz .LBB418_34
; %bb.33:                               ;   in Loop: Header=BB418_4 Depth=1
	ds_load_b64 v[10:11], v3
	s_wait_dscnt 0x0
	v_add_f32_e32 v10, v11, v10
	ds_store_b32 v3, v10
.LBB418_34:                             ;   in Loop: Header=BB418_4 Depth=1
	s_or_b32 exec_lo, exec_lo, s46
	s_wait_dscnt 0x0
	s_barrier_signal -1
	s_barrier_wait -1
                                        ; implicit-def: $vgpr10
	s_and_saveexec_b32 s46, s0
	s_cbranch_execz .LBB418_38
; %bb.35:                               ;   in Loop: Header=BB418_4 Depth=1
	ds_load_b32 v10, v3
	s_cmp_eq_f32 s9, 0
	s_wait_dscnt 0x0
	v_mul_f32_e32 v2, v2, v10
	s_cbranch_scc1 .LBB418_37
; %bb.36:                               ;   in Loop: Header=BB418_4 Depth=1
	s_add_nc_u64 s[48:49], s[42:43], s[40:41]
	global_load_u16 v10, v3, s[48:49]
	s_wait_loadcnt 0x0
	v_fma_mix_f32 v2, s9, v10, v2 op_sel_hi:[0,1,0]
.LBB418_37:                             ;   in Loop: Header=BB418_4 Depth=1
	s_delay_alu instid0(VALU_DEP_1)
	v_cvt_f16_f32_e32 v10, v2
	s_or_b32 s45, s45, exec_lo
.LBB418_38:                             ;   in Loop: Header=BB418_4 Depth=1
	s_wait_xcnt 0x0
	s_or_b32 exec_lo, exec_lo, s46
.LBB418_39:                             ;   in Loop: Header=BB418_4 Depth=1
	s_and_saveexec_b32 s9, s45
	s_cbranch_execz .LBB418_2
; %bb.40:                               ;   in Loop: Header=BB418_4 Depth=1
	s_add_nc_u64 s[42:43], s[42:43], s[40:41]
	global_store_b16 v3, v10, s[42:43]
	s_branch .LBB418_2
.LBB418_41:
	s_endpgm
	.section	.rodata,"a",@progbits
	.p2align	6, 0x0
	.amdhsa_kernel _ZL20rocblas_gemvt_kernelILb1ELi256EDF16_PKfDF16_EviiT2_lPKT1_lilS5_lilS2_lPT3_lili
		.amdhsa_group_segment_fixed_size 1024
		.amdhsa_private_segment_fixed_size 0
		.amdhsa_kernarg_size 140
		.amdhsa_user_sgpr_count 2
		.amdhsa_user_sgpr_dispatch_ptr 0
		.amdhsa_user_sgpr_queue_ptr 0
		.amdhsa_user_sgpr_kernarg_segment_ptr 1
		.amdhsa_user_sgpr_dispatch_id 0
		.amdhsa_user_sgpr_kernarg_preload_length 0
		.amdhsa_user_sgpr_kernarg_preload_offset 0
		.amdhsa_user_sgpr_private_segment_size 0
		.amdhsa_wavefront_size32 1
		.amdhsa_uses_dynamic_stack 0
		.amdhsa_enable_private_segment 0
		.amdhsa_system_sgpr_workgroup_id_x 1
		.amdhsa_system_sgpr_workgroup_id_y 0
		.amdhsa_system_sgpr_workgroup_id_z 1
		.amdhsa_system_sgpr_workgroup_info 0
		.amdhsa_system_vgpr_workitem_id 0
		.amdhsa_next_free_vgpr 18
		.amdhsa_next_free_sgpr 52
		.amdhsa_named_barrier_count 0
		.amdhsa_reserve_vcc 1
		.amdhsa_float_round_mode_32 0
		.amdhsa_float_round_mode_16_64 0
		.amdhsa_float_denorm_mode_32 3
		.amdhsa_float_denorm_mode_16_64 3
		.amdhsa_fp16_overflow 0
		.amdhsa_memory_ordered 1
		.amdhsa_forward_progress 1
		.amdhsa_inst_pref_size 12
		.amdhsa_round_robin_scheduling 0
		.amdhsa_exception_fp_ieee_invalid_op 0
		.amdhsa_exception_fp_denorm_src 0
		.amdhsa_exception_fp_ieee_div_zero 0
		.amdhsa_exception_fp_ieee_overflow 0
		.amdhsa_exception_fp_ieee_underflow 0
		.amdhsa_exception_fp_ieee_inexact 0
		.amdhsa_exception_int_div_zero 0
	.end_amdhsa_kernel
	.section	.text._ZL20rocblas_gemvt_kernelILb1ELi256EDF16_PKfDF16_EviiT2_lPKT1_lilS5_lilS2_lPT3_lili,"axG",@progbits,_ZL20rocblas_gemvt_kernelILb1ELi256EDF16_PKfDF16_EviiT2_lPKT1_lilS5_lilS2_lPT3_lili,comdat
.Lfunc_end418:
	.size	_ZL20rocblas_gemvt_kernelILb1ELi256EDF16_PKfDF16_EviiT2_lPKT1_lilS5_lilS2_lPT3_lili, .Lfunc_end418-_ZL20rocblas_gemvt_kernelILb1ELi256EDF16_PKfDF16_EviiT2_lPKT1_lilS5_lilS2_lPT3_lili
                                        ; -- End function
	.set _ZL20rocblas_gemvt_kernelILb1ELi256EDF16_PKfDF16_EviiT2_lPKT1_lilS5_lilS2_lPT3_lili.num_vgpr, 18
	.set _ZL20rocblas_gemvt_kernelILb1ELi256EDF16_PKfDF16_EviiT2_lPKT1_lilS5_lilS2_lPT3_lili.num_agpr, 0
	.set _ZL20rocblas_gemvt_kernelILb1ELi256EDF16_PKfDF16_EviiT2_lPKT1_lilS5_lilS2_lPT3_lili.numbered_sgpr, 52
	.set _ZL20rocblas_gemvt_kernelILb1ELi256EDF16_PKfDF16_EviiT2_lPKT1_lilS5_lilS2_lPT3_lili.num_named_barrier, 0
	.set _ZL20rocblas_gemvt_kernelILb1ELi256EDF16_PKfDF16_EviiT2_lPKT1_lilS5_lilS2_lPT3_lili.private_seg_size, 0
	.set _ZL20rocblas_gemvt_kernelILb1ELi256EDF16_PKfDF16_EviiT2_lPKT1_lilS5_lilS2_lPT3_lili.uses_vcc, 1
	.set _ZL20rocblas_gemvt_kernelILb1ELi256EDF16_PKfDF16_EviiT2_lPKT1_lilS5_lilS2_lPT3_lili.uses_flat_scratch, 0
	.set _ZL20rocblas_gemvt_kernelILb1ELi256EDF16_PKfDF16_EviiT2_lPKT1_lilS5_lilS2_lPT3_lili.has_dyn_sized_stack, 0
	.set _ZL20rocblas_gemvt_kernelILb1ELi256EDF16_PKfDF16_EviiT2_lPKT1_lilS5_lilS2_lPT3_lili.has_recursion, 0
	.set _ZL20rocblas_gemvt_kernelILb1ELi256EDF16_PKfDF16_EviiT2_lPKT1_lilS5_lilS2_lPT3_lili.has_indirect_call, 0
	.section	.AMDGPU.csdata,"",@progbits
; Kernel info:
; codeLenInByte = 1480
; TotalNumSgprs: 54
; NumVgprs: 18
; ScratchSize: 0
; MemoryBound: 0
; FloatMode: 240
; IeeeMode: 1
; LDSByteSize: 1024 bytes/workgroup (compile time only)
; SGPRBlocks: 0
; VGPRBlocks: 1
; NumSGPRsForWavesPerEU: 54
; NumVGPRsForWavesPerEU: 18
; NamedBarCnt: 0
; Occupancy: 16
; WaveLimiterHint : 0
; COMPUTE_PGM_RSRC2:SCRATCH_EN: 0
; COMPUTE_PGM_RSRC2:USER_SGPR: 2
; COMPUTE_PGM_RSRC2:TRAP_HANDLER: 0
; COMPUTE_PGM_RSRC2:TGID_X_EN: 1
; COMPUTE_PGM_RSRC2:TGID_Y_EN: 0
; COMPUTE_PGM_RSRC2:TGID_Z_EN: 1
; COMPUTE_PGM_RSRC2:TIDIG_COMP_CNT: 0
	.section	.text._ZL20rocblas_gemvt_kernelILb1ELi256EDF16_fDF16_EviiT2_lPKT1_lilS3_lilS0_lPT3_lili,"axG",@progbits,_ZL20rocblas_gemvt_kernelILb1ELi256EDF16_fDF16_EviiT2_lPKT1_lilS3_lilS0_lPT3_lili,comdat
	.globl	_ZL20rocblas_gemvt_kernelILb1ELi256EDF16_fDF16_EviiT2_lPKT1_lilS3_lilS0_lPT3_lili ; -- Begin function _ZL20rocblas_gemvt_kernelILb1ELi256EDF16_fDF16_EviiT2_lPKT1_lilS3_lilS0_lPT3_lili
	.p2align	8
	.type	_ZL20rocblas_gemvt_kernelILb1ELi256EDF16_fDF16_EviiT2_lPKT1_lilS3_lilS0_lPT3_lili,@function
_ZL20rocblas_gemvt_kernelILb1ELi256EDF16_fDF16_EviiT2_lPKT1_lilS3_lilS0_lPT3_lili: ; @_ZL20rocblas_gemvt_kernelILb1ELi256EDF16_fDF16_EviiT2_lPKT1_lilS3_lilS0_lPT3_lili
; %bb.0:
	s_load_b32 s23, s[0:1], 0x88
	s_bfe_u32 s2, ttmp6, 0x40014
	s_lshr_b32 s3, ttmp7, 16
	s_add_co_i32 s2, s2, 1
	s_bfe_u32 s4, ttmp6, 0x40008
	s_mul_i32 s2, s3, s2
	s_getreg_b32 s11, hwreg(HW_REG_IB_STS2, 6, 4)
	s_add_co_i32 s4, s4, s2
	s_cmp_eq_u32 s11, 0
	s_mov_b32 s25, 0
	s_cselect_b32 s24, s3, s4
	s_wait_kmcnt 0x0
	s_cmp_ge_u32 s24, s23
	s_cbranch_scc1 .LBB419_41
; %bb.1:
	s_clause 0x8
	s_load_b32 s2, s[0:1], 0x28
	s_load_b96 s[8:10], s[0:1], 0x40
	s_load_b32 s30, s[0:1], 0x78
	s_load_b128 s[4:7], s[0:1], 0x68
	s_load_b128 s[16:19], s[0:1], 0x18
	s_load_b32 s33, s[0:1], 0x8
	s_load_b96 s[20:22], s[0:1], 0x50
	s_load_b64 s[26:27], s[0:1], 0x80
	s_load_b32 s42, s[0:1], 0x0
	v_lshlrev_b32_e32 v14, 2, v0
	s_wait_kmcnt 0x0
	s_ashr_i32 s3, s2, 31
	s_ashr_i32 s29, s10, 31
	;; [unrolled: 1-line block ×3, first 2 shown]
	s_lshl_b64 s[34:35], s[8:9], 1
	s_lshl_b64 s[6:7], s[6:7], 1
	;; [unrolled: 1-line block ×3, first 2 shown]
	s_cmp_eq_f32 s33, 0
	s_mov_b32 s28, s10
	s_cselect_b32 s9, -1, 0
	s_cmp_neq_f32 s33, 0
	s_cselect_b32 s8, -1, 0
	s_cmp_neq_f32 s22, 1.0
	s_cselect_b32 s12, -1, 0
	s_delay_alu instid0(SALU_CYCLE_1)
	s_or_b32 s38, s8, s12
	s_cmp_neq_f32 s22, 0
	s_load_b128 s[12:15], s[0:1], 0x30
	v_cmp_gt_i32_e32 vcc_lo, s42, v0
	v_mov_b32_e32 v3, 0
	s_cselect_b32 s39, -1, 0
	s_bfe_u32 s8, ttmp6, 0x4000c
	s_and_b32 s18, ttmp6, 15
	s_add_co_i32 s8, s8, 1
	s_delay_alu instid0(SALU_CYCLE_1) | instskip(NEXT) | instid1(SALU_CYCLE_1)
	s_mul_i32 s8, ttmp9, s8
	s_add_co_i32 s18, s18, s8
	s_cmp_eq_u32 s11, 0
	v_cmp_gt_u32_e64 s8, 2, v0
	s_cselect_b32 s40, ttmp9, s18
	s_wait_xcnt 0x0
	s_ashr_i32 s0, s42, 31
	s_ashr_i32 s41, s40, 31
	s_lshr_b32 s0, s0, 24
	s_mul_u64 s[2:3], s[2:3], s[40:41]
	s_add_co_i32 s0, s42, s0
	s_add_nc_u64 s[18:19], s[4:5], s[6:7]
	s_and_b32 s10, s0, 0xffffff00
	s_delay_alu instid0(SALU_CYCLE_1)
	v_dual_mov_b32 v1, v3 :: v_dual_bitop2_b32 v10, s10, v0 bitop3:0x54
	s_add_nc_u64 s[0:1], s[16:17], s[36:37]
	s_wait_kmcnt 0x0
	s_add_nc_u64 s[14:15], s[14:15], s[34:35]
	s_mul_u64 s[34:35], s[30:31], s[40:41]
	v_mul_u64_e32 v[8:9], s[28:29], v[0:1]
	v_dual_cndmask_b32 v1, 0, v0, vcc_lo :: v_dual_ashrrev_i32 v11, 31, v10
	s_lshl_b64 s[30:31], s[2:3], 1
	v_cmp_gt_u32_e64 s2, 0x80, v0
	v_cmp_gt_u32_e64 s3, 64, v0
	s_delay_alu instid0(VALU_DEP_3)
	v_lshlrev_b32_e32 v2, 1, v1
	v_mul_u64_e32 v[4:5], s[28:29], v[10:11]
	v_cmp_gt_u32_e64 s4, 32, v0
	v_cmp_gt_u32_e64 s5, 16, v0
	;; [unrolled: 1-line block ×3, first 2 shown]
	v_add_nc_u64_e32 v[6:7], s[0:1], v[2:3]
	v_cmp_eq_u32_e64 s0, 0, v0
	v_cmp_gt_u32_e64 s7, 4, v0
	v_cmp_gt_i32_e64 s1, s42, v10
	s_cmp_gt_i32 s42, 0xff
	s_cselect_b32 s40, -1, 0
	v_add_nc_u64_e32 v[6:7], s[30:31], v[6:7]
	s_add_nc_u64 s[30:31], s[30:31], s[36:37]
	s_ashr_i32 s11, s10, 31
	s_add_nc_u64 s[30:31], s[16:17], s[30:31]
	s_lshl_b64 s[16:17], s[20:21], 1
	s_lshl_b64 s[28:29], s[28:29], 9
	;; [unrolled: 1-line block ×3, first 2 shown]
	v_lshl_add_u64 v[0:1], v[8:9], 1, s[14:15]
	v_add_nc_u64_e32 v[8:9], s[30:31], v[2:3]
	s_lshl_b64 s[30:31], s[12:13], 1
	s_branch .LBB419_4
.LBB419_2:                              ;   in Loop: Header=BB419_4 Depth=1
	s_wait_xcnt 0x0
	s_or_b32 exec_lo, exec_lo, s42
.LBB419_3:                              ;   in Loop: Header=BB419_4 Depth=1
	s_add_co_i32 s24, s24, 0x10000
	s_delay_alu instid0(SALU_CYCLE_1)
	s_cmp_lt_u32 s24, s23
	s_cbranch_scc0 .LBB419_41
.LBB419_4:                              ; =>This Loop Header: Depth=1
                                        ;     Child Loop BB419_15 Depth 2
	s_and_not1_b32 vcc_lo, exec_lo, s38
	s_cbranch_vccnz .LBB419_3
; %bb.5:                                ;   in Loop: Header=BB419_4 Depth=1
	s_mul_u64 s[36:37], s[26:27], s[24:25]
	s_and_not1_b32 vcc_lo, exec_lo, s9
	s_lshl_b64 s[36:37], s[36:37], 1
	s_delay_alu instid0(SALU_CYCLE_1)
	s_add_nc_u64 s[36:37], s[18:19], s[36:37]
	s_cbranch_vccnz .LBB419_9
; %bb.6:                                ;   in Loop: Header=BB419_4 Depth=1
	s_mov_b32 s42, 0
	s_mov_b32 s41, 0
                                        ; implicit-def: $vgpr2
	s_and_saveexec_b32 s43, s0
	s_cbranch_execz .LBB419_10
; %bb.7:                                ;   in Loop: Header=BB419_4 Depth=1
	s_and_not1_b32 vcc_lo, exec_lo, s39
	s_cbranch_vccnz .LBB419_11
; %bb.8:                                ;   in Loop: Header=BB419_4 Depth=1
	s_add_nc_u64 s[44:45], s[36:37], s[34:35]
	global_load_u16 v2, v3, s[44:45]
	s_wait_loadcnt 0x0
	v_fma_mixlo_f16 v2, s22, v2, 0 op_sel_hi:[0,1,0]
	s_branch .LBB419_12
.LBB419_9:                              ;   in Loop: Header=BB419_4 Depth=1
	s_mov_b32 s41, 0
                                        ; implicit-def: $vgpr2
	s_cbranch_execnz .LBB419_13
	s_branch .LBB419_39
.LBB419_10:                             ;   in Loop: Header=BB419_4 Depth=1
	s_or_b32 exec_lo, exec_lo, s43
	s_delay_alu instid0(SALU_CYCLE_1)
	s_and_b32 vcc_lo, exec_lo, s42
	s_cbranch_vccnz .LBB419_13
	s_branch .LBB419_39
.LBB419_11:                             ;   in Loop: Header=BB419_4 Depth=1
	v_mov_b32_e32 v2, 0
.LBB419_12:                             ;   in Loop: Header=BB419_4 Depth=1
	s_mov_b32 s41, exec_lo
	s_wait_xcnt 0x0
	s_or_b32 exec_lo, exec_lo, s43
	s_delay_alu instid0(SALU_CYCLE_1)
	s_and_b32 vcc_lo, exec_lo, s42
	s_cbranch_vccz .LBB419_39
.LBB419_13:                             ;   in Loop: Header=BB419_4 Depth=1
	v_mov_b32_e32 v2, 0
	s_and_not1_b32 vcc_lo, exec_lo, s40
	s_cbranch_vccnz .LBB419_16
; %bb.14:                               ;   in Loop: Header=BB419_4 Depth=1
	v_mad_nc_u64_u32 v[10:11], s16, s24, v[0:1]
	v_mad_nc_u64_u32 v[12:13], s30, s24, v[8:9]
	v_mov_b32_e32 v2, 0
	s_mov_b32 s42, 0
	s_delay_alu instid0(VALU_DEP_3) | instskip(NEXT) | instid1(VALU_DEP_3)
	v_mad_u32 v11, s17, s24, v11
	v_mad_u32 v13, s31, s24, v13
.LBB419_15:                             ;   Parent Loop BB419_4 Depth=1
                                        ; =>  This Inner Loop Header: Depth=2
	global_load_u16 v15, v[12:13], off
	global_load_u16 v16, v[10:11], off
	s_wait_xcnt 0x0
	v_add_nc_u64_e32 v[10:11], s[28:29], v[10:11]
	v_add_nc_u64_e32 v[12:13], 0x200, v[12:13]
	s_addk_co_i32 s42, 0x100
	s_delay_alu instid0(SALU_CYCLE_1) | instskip(SKIP_2) | instid1(VALU_DEP_1)
	s_cmp_ge_i32 s42, s10
	s_wait_loadcnt 0x0
	v_mul_f16_e32 v15, v15, v16
	v_cvt_f32_f16_e32 v15, v15
	s_delay_alu instid0(VALU_DEP_1)
	v_add_f32_e32 v2, v2, v15
	s_cbranch_scc0 .LBB419_15
.LBB419_16:                             ;   in Loop: Header=BB419_4 Depth=1
	s_and_saveexec_b32 s42, s1
	s_cbranch_execz .LBB419_18
; %bb.17:                               ;   in Loop: Header=BB419_4 Depth=1
	s_mul_u64 s[44:45], s[12:13], s[24:25]
	s_mul_u64 s[46:47], s[20:21], s[24:25]
	v_lshl_add_u64 v[10:11], s[44:45], 1, v[6:7]
	s_lshl_b64 s[44:45], s[46:47], 1
	s_delay_alu instid0(SALU_CYCLE_1) | instskip(NEXT) | instid1(SALU_CYCLE_1)
	s_add_nc_u64 s[44:45], s[14:15], s[44:45]
	v_lshl_add_u64 v[12:13], v[4:5], 1, s[44:45]
	s_delay_alu instid0(VALU_DEP_2)
	v_lshl_add_u64 v[10:11], s[10:11], 1, v[10:11]
	global_load_u16 v15, v[10:11], off
	global_load_u16 v16, v[12:13], off
	s_wait_loadcnt 0x0
	s_wait_xcnt 0x1
	v_mul_f16_e32 v10, v15, v16
	s_delay_alu instid0(VALU_DEP_1) | instskip(NEXT) | instid1(VALU_DEP_1)
	v_cvt_f32_f16_e32 v10, v10
	v_add_f32_e32 v2, v2, v10
.LBB419_18:                             ;   in Loop: Header=BB419_4 Depth=1
	s_wait_xcnt 0x0
	s_or_b32 exec_lo, exec_lo, s42
	ds_store_b32 v14, v2
	s_wait_dscnt 0x0
	s_barrier_signal -1
	s_barrier_wait -1
	s_and_saveexec_b32 s42, s2
	s_cbranch_execz .LBB419_20
; %bb.19:                               ;   in Loop: Header=BB419_4 Depth=1
	ds_load_2addr_stride64_b32 v[10:11], v14 offset1:2
	s_wait_dscnt 0x0
	v_add_f32_e32 v2, v11, v10
	ds_store_b32 v14, v2
.LBB419_20:                             ;   in Loop: Header=BB419_4 Depth=1
	s_or_b32 exec_lo, exec_lo, s42
	s_wait_dscnt 0x0
	s_barrier_signal -1
	s_barrier_wait -1
	s_and_saveexec_b32 s42, s3
	s_cbranch_execz .LBB419_22
; %bb.21:                               ;   in Loop: Header=BB419_4 Depth=1
	ds_load_2addr_stride64_b32 v[10:11], v14 offset1:1
	s_wait_dscnt 0x0
	v_add_f32_e32 v2, v11, v10
	ds_store_b32 v14, v2
.LBB419_22:                             ;   in Loop: Header=BB419_4 Depth=1
	s_or_b32 exec_lo, exec_lo, s42
	s_wait_dscnt 0x0
	s_barrier_signal -1
	s_barrier_wait -1
	s_and_saveexec_b32 s42, s4
	s_cbranch_execz .LBB419_24
; %bb.23:                               ;   in Loop: Header=BB419_4 Depth=1
	ds_load_2addr_b32 v[10:11], v14 offset1:32
	s_wait_dscnt 0x0
	v_add_f32_e32 v2, v11, v10
	ds_store_b32 v14, v2
.LBB419_24:                             ;   in Loop: Header=BB419_4 Depth=1
	s_or_b32 exec_lo, exec_lo, s42
	s_wait_dscnt 0x0
	s_barrier_signal -1
	s_barrier_wait -1
	s_and_saveexec_b32 s42, s5
	s_cbranch_execz .LBB419_26
; %bb.25:                               ;   in Loop: Header=BB419_4 Depth=1
	ds_load_2addr_b32 v[10:11], v14 offset1:16
	s_wait_dscnt 0x0
	v_add_f32_e32 v2, v11, v10
	ds_store_b32 v14, v2
.LBB419_26:                             ;   in Loop: Header=BB419_4 Depth=1
	;; [unrolled: 12-line block ×5, first 2 shown]
	s_or_b32 exec_lo, exec_lo, s42
	s_wait_dscnt 0x0
	s_barrier_signal -1
	s_barrier_wait -1
	s_and_saveexec_b32 s42, s0
	s_cbranch_execz .LBB419_34
; %bb.33:                               ;   in Loop: Header=BB419_4 Depth=1
	ds_load_b64 v[10:11], v3
	s_wait_dscnt 0x0
	v_add_f32_e32 v2, v11, v10
	ds_store_b32 v3, v2
.LBB419_34:                             ;   in Loop: Header=BB419_4 Depth=1
	s_or_b32 exec_lo, exec_lo, s42
	s_wait_dscnt 0x0
	s_barrier_signal -1
	s_barrier_wait -1
                                        ; implicit-def: $vgpr2
	s_and_saveexec_b32 s42, s0
	s_cbranch_execz .LBB419_38
; %bb.35:                               ;   in Loop: Header=BB419_4 Depth=1
	ds_load_b32 v2, v3
	s_and_not1_b32 vcc_lo, exec_lo, s39
	s_wait_dscnt 0x0
	v_mul_f32_e32 v2, s33, v2
	s_cbranch_vccnz .LBB419_37
; %bb.36:                               ;   in Loop: Header=BB419_4 Depth=1
	s_add_nc_u64 s[44:45], s[36:37], s[34:35]
	global_load_u16 v10, v3, s[44:45]
	s_wait_loadcnt 0x0
	v_fma_mix_f32 v2, s22, v10, v2 op_sel_hi:[0,1,0]
.LBB419_37:                             ;   in Loop: Header=BB419_4 Depth=1
	s_delay_alu instid0(VALU_DEP_1)
	v_cvt_f16_f32_e32 v2, v2
	s_or_b32 s41, s41, exec_lo
.LBB419_38:                             ;   in Loop: Header=BB419_4 Depth=1
	s_wait_xcnt 0x0
	s_or_b32 exec_lo, exec_lo, s42
.LBB419_39:                             ;   in Loop: Header=BB419_4 Depth=1
	s_and_saveexec_b32 s42, s41
	s_cbranch_execz .LBB419_2
; %bb.40:                               ;   in Loop: Header=BB419_4 Depth=1
	s_add_nc_u64 s[36:37], s[36:37], s[34:35]
	global_store_b16 v3, v2, s[36:37]
	s_branch .LBB419_2
.LBB419_41:
	s_endpgm
	.section	.rodata,"a",@progbits
	.p2align	6, 0x0
	.amdhsa_kernel _ZL20rocblas_gemvt_kernelILb1ELi256EDF16_fDF16_EviiT2_lPKT1_lilS3_lilS0_lPT3_lili
		.amdhsa_group_segment_fixed_size 1024
		.amdhsa_private_segment_fixed_size 0
		.amdhsa_kernarg_size 140
		.amdhsa_user_sgpr_count 2
		.amdhsa_user_sgpr_dispatch_ptr 0
		.amdhsa_user_sgpr_queue_ptr 0
		.amdhsa_user_sgpr_kernarg_segment_ptr 1
		.amdhsa_user_sgpr_dispatch_id 0
		.amdhsa_user_sgpr_kernarg_preload_length 0
		.amdhsa_user_sgpr_kernarg_preload_offset 0
		.amdhsa_user_sgpr_private_segment_size 0
		.amdhsa_wavefront_size32 1
		.amdhsa_uses_dynamic_stack 0
		.amdhsa_enable_private_segment 0
		.amdhsa_system_sgpr_workgroup_id_x 1
		.amdhsa_system_sgpr_workgroup_id_y 0
		.amdhsa_system_sgpr_workgroup_id_z 1
		.amdhsa_system_sgpr_workgroup_info 0
		.amdhsa_system_vgpr_workitem_id 0
		.amdhsa_next_free_vgpr 17
		.amdhsa_next_free_sgpr 48
		.amdhsa_named_barrier_count 0
		.amdhsa_reserve_vcc 1
		.amdhsa_float_round_mode_32 0
		.amdhsa_float_round_mode_16_64 0
		.amdhsa_float_denorm_mode_32 3
		.amdhsa_float_denorm_mode_16_64 3
		.amdhsa_fp16_overflow 0
		.amdhsa_memory_ordered 1
		.amdhsa_forward_progress 1
		.amdhsa_inst_pref_size 12
		.amdhsa_round_robin_scheduling 0
		.amdhsa_exception_fp_ieee_invalid_op 0
		.amdhsa_exception_fp_denorm_src 0
		.amdhsa_exception_fp_ieee_div_zero 0
		.amdhsa_exception_fp_ieee_overflow 0
		.amdhsa_exception_fp_ieee_underflow 0
		.amdhsa_exception_fp_ieee_inexact 0
		.amdhsa_exception_int_div_zero 0
	.end_amdhsa_kernel
	.section	.text._ZL20rocblas_gemvt_kernelILb1ELi256EDF16_fDF16_EviiT2_lPKT1_lilS3_lilS0_lPT3_lili,"axG",@progbits,_ZL20rocblas_gemvt_kernelILb1ELi256EDF16_fDF16_EviiT2_lPKT1_lilS3_lilS0_lPT3_lili,comdat
.Lfunc_end419:
	.size	_ZL20rocblas_gemvt_kernelILb1ELi256EDF16_fDF16_EviiT2_lPKT1_lilS3_lilS0_lPT3_lili, .Lfunc_end419-_ZL20rocblas_gemvt_kernelILb1ELi256EDF16_fDF16_EviiT2_lPKT1_lilS3_lilS0_lPT3_lili
                                        ; -- End function
	.set _ZL20rocblas_gemvt_kernelILb1ELi256EDF16_fDF16_EviiT2_lPKT1_lilS3_lilS0_lPT3_lili.num_vgpr, 17
	.set _ZL20rocblas_gemvt_kernelILb1ELi256EDF16_fDF16_EviiT2_lPKT1_lilS3_lilS0_lPT3_lili.num_agpr, 0
	.set _ZL20rocblas_gemvt_kernelILb1ELi256EDF16_fDF16_EviiT2_lPKT1_lilS3_lilS0_lPT3_lili.numbered_sgpr, 48
	.set _ZL20rocblas_gemvt_kernelILb1ELi256EDF16_fDF16_EviiT2_lPKT1_lilS3_lilS0_lPT3_lili.num_named_barrier, 0
	.set _ZL20rocblas_gemvt_kernelILb1ELi256EDF16_fDF16_EviiT2_lPKT1_lilS3_lilS0_lPT3_lili.private_seg_size, 0
	.set _ZL20rocblas_gemvt_kernelILb1ELi256EDF16_fDF16_EviiT2_lPKT1_lilS3_lilS0_lPT3_lili.uses_vcc, 1
	.set _ZL20rocblas_gemvt_kernelILb1ELi256EDF16_fDF16_EviiT2_lPKT1_lilS3_lilS0_lPT3_lili.uses_flat_scratch, 0
	.set _ZL20rocblas_gemvt_kernelILb1ELi256EDF16_fDF16_EviiT2_lPKT1_lilS3_lilS0_lPT3_lili.has_dyn_sized_stack, 0
	.set _ZL20rocblas_gemvt_kernelILb1ELi256EDF16_fDF16_EviiT2_lPKT1_lilS3_lilS0_lPT3_lili.has_recursion, 0
	.set _ZL20rocblas_gemvt_kernelILb1ELi256EDF16_fDF16_EviiT2_lPKT1_lilS3_lilS0_lPT3_lili.has_indirect_call, 0
	.section	.AMDGPU.csdata,"",@progbits
; Kernel info:
; codeLenInByte = 1448
; TotalNumSgprs: 50
; NumVgprs: 17
; ScratchSize: 0
; MemoryBound: 0
; FloatMode: 240
; IeeeMode: 1
; LDSByteSize: 1024 bytes/workgroup (compile time only)
; SGPRBlocks: 0
; VGPRBlocks: 1
; NumSGPRsForWavesPerEU: 50
; NumVGPRsForWavesPerEU: 17
; NamedBarCnt: 0
; Occupancy: 16
; WaveLimiterHint : 0
; COMPUTE_PGM_RSRC2:SCRATCH_EN: 0
; COMPUTE_PGM_RSRC2:USER_SGPR: 2
; COMPUTE_PGM_RSRC2:TRAP_HANDLER: 0
; COMPUTE_PGM_RSRC2:TGID_X_EN: 1
; COMPUTE_PGM_RSRC2:TGID_Y_EN: 0
; COMPUTE_PGM_RSRC2:TGID_Z_EN: 1
; COMPUTE_PGM_RSRC2:TIDIG_COMP_CNT: 0
	.section	.text._ZL32rocblas_gemvt_warp_reduce_kernelILb1ELi1024EiDF16_PKfDF16_EviiT3_lPKT2_lT1_lS5_lS6_lS2_lPT4_lS6_li,"axG",@progbits,_ZL32rocblas_gemvt_warp_reduce_kernelILb1ELi1024EiDF16_PKfDF16_EviiT3_lPKT2_lT1_lS5_lS6_lS2_lPT4_lS6_li,comdat
	.globl	_ZL32rocblas_gemvt_warp_reduce_kernelILb1ELi1024EiDF16_PKfDF16_EviiT3_lPKT2_lT1_lS5_lS6_lS2_lPT4_lS6_li ; -- Begin function _ZL32rocblas_gemvt_warp_reduce_kernelILb1ELi1024EiDF16_PKfDF16_EviiT3_lPKT2_lT1_lS5_lS6_lS2_lPT4_lS6_li
	.p2align	8
	.type	_ZL32rocblas_gemvt_warp_reduce_kernelILb1ELi1024EiDF16_PKfDF16_EviiT3_lPKT2_lT1_lS5_lS6_lS2_lPT4_lS6_li,@function
_ZL32rocblas_gemvt_warp_reduce_kernelILb1ELi1024EiDF16_PKfDF16_EviiT3_lPKT2_lT1_lS5_lS6_lS2_lPT4_lS6_li: ; @_ZL32rocblas_gemvt_warp_reduce_kernelILb1ELi1024EiDF16_PKfDF16_EviiT3_lPKT2_lT1_lS5_lS6_lS2_lPT4_lS6_li
; %bb.0:
	s_load_b32 s33, s[0:1], 0x88
	s_bfe_u32 s2, ttmp6, 0x40014
	s_lshr_b32 s3, ttmp7, 16
	s_add_co_i32 s2, s2, 1
	s_bfe_u32 s5, ttmp6, 0x40008
	s_mul_i32 s4, s3, s2
	s_getreg_b32 s2, hwreg(HW_REG_IB_STS2, 6, 4)
	s_add_co_i32 s5, s5, s4
	s_cmp_eq_u32 s2, 0
	s_mov_b32 s35, 0
	s_cselect_b32 s34, s3, s5
	s_wait_kmcnt 0x0
	s_cmp_ge_u32 s34, s33
	s_cbranch_scc1 .LBB420_34
; %bb.1:
	s_clause 0x7
	s_load_b96 s[4:6], s[0:1], 0x40
	s_load_b96 s[28:30], s[0:1], 0x70
	s_load_b256 s[8:15], s[0:1], 0x8
	s_load_b32 s7, s[0:1], 0x0
	s_load_b32 s31, s[0:1], 0x28
	s_load_b128 s[24:27], s[0:1], 0x30
	s_load_b256 s[16:23], s[0:1], 0x50
	s_load_b64 s[36:37], s[0:1], 0x80
	s_wait_xcnt 0x0
	s_bfe_u32 s1, ttmp6, 0x4000c
	s_and_b32 s3, ttmp6, 15
	s_add_co_i32 s1, s1, 1
	v_dual_mov_b32 v3, 0 :: v_dual_bitop2_b32 v8, 31, v0 bitop3:0x40
	s_mul_i32 s1, ttmp9, s1
	v_mbcnt_lo_u32_b32 v13, -1, 0
	s_add_co_i32 s3, s3, s1
	v_cmp_eq_u32_e64 s0, 0, v0
	v_cmp_gt_u32_e64 s1, 32, v0
	s_delay_alu instid0(VALU_DEP_3)
	v_lshl_or_b32 v14, v13, 2, 64
	s_wait_kmcnt 0x0
	s_lshl_b64 s[4:5], s[4:5], 1
	s_lshl_b64 s[28:29], s[28:29], 1
	;; [unrolled: 1-line block ×3, first 2 shown]
	v_cmp_gt_i32_e32 vcc_lo, s7, v0
	s_cmp_eq_u32 s2, 0
	v_lshrrev_b32_e32 v10, 3, v0
	s_cselect_b32 s15, ttmp9, s3
	s_ashr_i32 s2, s7, 31
	v_cndmask_b32_e32 v2, 0, v0, vcc_lo
	s_lshr_b32 s2, s2, 22
	v_lshlrev_b32_e32 v1, 2, v8
	s_add_co_i32 s2, s7, s2
	s_add_nc_u64 s[26:27], s[26:27], s[4:5]
	s_and_b32 s14, s2, 0xfffffc00
	s_delay_alu instid0(SALU_CYCLE_1) | instskip(SKIP_3) | instid1(VALU_DEP_2)
	v_dual_lshlrev_b32 v2, 1, v2 :: v_dual_bitop2_b32 v5, s14, v0 bitop3:0x54
	s_add_nc_u64 s[2:3], s[12:13], s[38:39]
	s_mul_i32 s4, s31, s15
	v_mul_lo_u32 v12, v0, s6
	v_add_nc_u64_e32 v[6:7], s[2:3], v[2:3]
	v_mul_lo_u32 v4, s6, v5
	s_ashr_i32 s5, s4, 31
	s_add_nc_u64 s[22:23], s[22:23], s[28:29]
	s_lshl_b64 s[4:5], s[4:5], 1
	s_mul_i32 s28, s30, s15
	v_cmp_gt_i32_e64 s2, s14, v0
	v_add_nc_u64_e32 v[6:7], s[4:5], v[6:7]
	s_add_nc_u64 s[4:5], s[38:39], s[4:5]
	v_cmp_gt_i32_e64 s3, s7, v5
	s_add_nc_u64 s[12:13], s[12:13], s[4:5]
	v_cmp_eq_u32_e64 s4, 0, v8
	v_add_nc_u64_e32 v[8:9], s[12:13], v[2:3]
	v_ashrrev_i32_e32 v5, 31, v4
	v_and_b32_e32 v2, 0x7c, v10
	s_ashr_i32 s29, s28, 31
	s_ashr_i32 s15, s14, 31
	s_lshl_b32 s38, s6, 10
	s_lshl_b64 s[6:7], s[24:25], 1
	s_lshl_b64 s[12:13], s[28:29], 1
	s_branch .LBB420_4
.LBB420_2:                              ;   in Loop: Header=BB420_4 Depth=1
	s_wait_xcnt 0x0
	s_or_b32 exec_lo, exec_lo, s5
.LBB420_3:                              ;   in Loop: Header=BB420_4 Depth=1
	s_add_co_i32 s34, s34, 0x10000
	s_delay_alu instid0(SALU_CYCLE_1)
	s_cmp_lt_u32 s34, s33
	s_cbranch_scc0 .LBB420_34
.LBB420_4:                              ; =>This Loop Header: Depth=1
                                        ;     Child Loop BB420_23 Depth 2
	s_mul_u64 s[28:29], s[10:11], s[34:35]
	s_wait_xcnt 0x0
	s_mul_u64 s[30:31], s[20:21], s[34:35]
	s_lshl_b64 s[28:29], s[28:29], 2
	s_lshl_b64 s[30:31], s[30:31], 2
	s_add_nc_u64 s[28:29], s[8:9], s[28:29]
	s_add_nc_u64 s[30:31], s[18:19], s[30:31]
	s_clause 0x1
	global_load_b32 v15, v3, s[28:29]
	global_load_b32 v10, v3, s[30:31]
	s_wait_loadcnt 0x1
	v_cmp_eq_f32_e32 vcc_lo, 0, v15
	s_wait_loadcnt 0x0
	v_cmp_eq_f32_e64 s5, 1.0, v10
	s_wait_xcnt 0x1
	s_and_b32 s28, vcc_lo, s5
	v_readfirstlane_b32 s5, v10
	s_and_b32 vcc_lo, exec_lo, s28
	s_cbranch_vccnz .LBB420_3
; %bb.5:                                ;   in Loop: Header=BB420_4 Depth=1
	v_cmp_neq_f32_e32 vcc_lo, 0, v15
	s_mul_u64 s[28:29], s[36:37], s[34:35]
	s_delay_alu instid0(SALU_CYCLE_1) | instskip(NEXT) | instid1(SALU_CYCLE_1)
	s_lshl_b64 s[28:29], s[28:29], 1
	s_add_nc_u64 s[28:29], s[22:23], s[28:29]
	s_cbranch_vccnz .LBB420_9
; %bb.6:                                ;   in Loop: Header=BB420_4 Depth=1
	s_wait_xcnt 0x0
	s_mov_b32 s30, 0
	s_mov_b32 s39, 0
                                        ; implicit-def: $vgpr10
	s_and_saveexec_b32 s31, s0
	s_cbranch_execz .LBB420_10
; %bb.7:                                ;   in Loop: Header=BB420_4 Depth=1
	s_cmp_eq_f32 s5, 0
	s_cbranch_scc1 .LBB420_11
; %bb.8:                                ;   in Loop: Header=BB420_4 Depth=1
	s_add_nc_u64 s[40:41], s[28:29], s[12:13]
	global_load_u16 v10, v3, s[40:41]
	s_wait_loadcnt 0x0
	v_fma_mixlo_f16 v10, s5, v10, 0 op_sel_hi:[0,1,0]
	s_branch .LBB420_12
.LBB420_9:                              ;   in Loop: Header=BB420_4 Depth=1
	s_wait_xcnt 0x0
	s_mov_b32 s39, 0
                                        ; implicit-def: $vgpr10
	s_cbranch_execnz .LBB420_13
	s_branch .LBB420_32
.LBB420_10:                             ;   in Loop: Header=BB420_4 Depth=1
	s_or_b32 exec_lo, exec_lo, s31
	s_delay_alu instid0(SALU_CYCLE_1)
	s_and_b32 vcc_lo, exec_lo, s30
	s_cbranch_vccnz .LBB420_13
	s_branch .LBB420_32
.LBB420_11:                             ;   in Loop: Header=BB420_4 Depth=1
	v_mov_b32_e32 v10, 0
.LBB420_12:                             ;   in Loop: Header=BB420_4 Depth=1
	s_mov_b32 s39, exec_lo
	s_wait_xcnt 0x0
	s_or_b32 exec_lo, exec_lo, s31
	s_delay_alu instid0(SALU_CYCLE_1)
	s_and_b32 vcc_lo, exec_lo, s30
	s_cbranch_vccz .LBB420_32
.LBB420_13:                             ;   in Loop: Header=BB420_4 Depth=1
	s_mul_u64 s[30:31], s[16:17], s[34:35]
	v_mov_b32_e32 v16, 0
	s_lshl_b64 s[30:31], s[30:31], 1
	s_delay_alu instid0(SALU_CYCLE_1)
	s_add_nc_u64 s[30:31], s[26:27], s[30:31]
	s_and_saveexec_b32 s40, s2
	s_cbranch_execnz .LBB420_22
; %bb.14:                               ;   in Loop: Header=BB420_4 Depth=1
	s_or_b32 exec_lo, exec_lo, s40
	s_and_saveexec_b32 s40, s3
	s_cbranch_execnz .LBB420_25
.LBB420_15:                             ;   in Loop: Header=BB420_4 Depth=1
	s_or_b32 exec_lo, exec_lo, s40
	s_and_saveexec_b32 s30, s1
.LBB420_16:                             ;   in Loop: Header=BB420_4 Depth=1
	ds_store_b32 v1, v3
.LBB420_17:                             ;   in Loop: Header=BB420_4 Depth=1
	s_or_b32 exec_lo, exec_lo, s30
	ds_bpermute_b32 v11, v14, v16
	v_cmp_gt_u32_e32 vcc_lo, 24, v13
	s_wait_dscnt 0x0
	s_barrier_signal -1
	s_barrier_wait -1
	v_cndmask_b32_e64 v10, 0, 8, vcc_lo
	v_cmp_gt_u32_e32 vcc_lo, 28, v13
	s_delay_alu instid0(VALU_DEP_2)
	v_add_lshl_u32 v10, v10, v13, 2
	v_add_f32_e32 v16, v16, v11
	v_cndmask_b32_e64 v11, 0, 4, vcc_lo
	v_cmp_gt_u32_e32 vcc_lo, 30, v13
	ds_bpermute_b32 v17, v10, v16
	v_add_lshl_u32 v11, v11, v13, 2
	s_wait_dscnt 0x0
	v_add_f32_e32 v17, v16, v17
	v_cndmask_b32_e64 v16, 0, 2, vcc_lo
	v_cmp_ne_u32_e32 vcc_lo, 31, v13
	ds_bpermute_b32 v18, v11, v17
	v_add_lshl_u32 v16, v16, v13, 2
	v_add_co_ci_u32_e64 v19, null, 0, v13, vcc_lo
	s_wait_dscnt 0x0
	v_add_f32_e32 v17, v17, v18
	ds_bpermute_b32 v18, v16, v17
	s_wait_dscnt 0x0
	v_dual_add_f32 v18, v17, v18 :: v_dual_lshlrev_b32 v17, 2, v19
	ds_bpermute_b32 v19, v17, v18
	s_and_saveexec_b32 s30, s4
	s_cbranch_execz .LBB420_19
; %bb.18:                               ;   in Loop: Header=BB420_4 Depth=1
	s_wait_dscnt 0x0
	v_add_f32_e32 v18, v18, v19
	ds_store_b32 v2, v18
.LBB420_19:                             ;   in Loop: Header=BB420_4 Depth=1
	s_or_b32 exec_lo, exec_lo, s30
	v_mov_b32_e32 v18, 0
	s_wait_dscnt 0x0
	s_barrier_signal -1
	s_barrier_wait -1
	s_and_saveexec_b32 s30, s1
	s_cbranch_execnz .LBB420_26
; %bb.20:                               ;   in Loop: Header=BB420_4 Depth=1
	s_or_b32 exec_lo, exec_lo, s30
	s_and_saveexec_b32 s30, s1
	s_cbranch_execnz .LBB420_27
.LBB420_21:                             ;   in Loop: Header=BB420_4 Depth=1
	s_or_b32 exec_lo, exec_lo, s30
                                        ; implicit-def: $vgpr10
	s_and_saveexec_b32 s30, s0
	s_cbranch_execnz .LBB420_28
	s_branch .LBB420_31
.LBB420_22:                             ;   in Loop: Header=BB420_4 Depth=1
	v_mad_nc_u64_u32 v[10:11], s6, s34, v[8:9]
	v_dual_mov_b32 v16, 0 :: v_dual_mov_b32 v17, v0
	s_wait_dscnt 0x0
	v_mov_b32_e32 v18, v12
	s_mov_b32 s41, 0
	s_delay_alu instid0(VALU_DEP_3)
	v_mad_u32 v11, s7, s34, v11
.LBB420_23:                             ;   Parent Loop BB420_4 Depth=1
                                        ; =>  This Inner Loop Header: Depth=2
	global_load_u16 v19, v[10:11], off
	global_load_u16 v20, v18, s[30:31] scale_offset
	s_wait_xcnt 0x1
	v_add_nc_u64_e32 v[10:11], 0x800, v[10:11]
	s_wait_xcnt 0x0
	v_add_nc_u32_e32 v18, s38, v18
	s_wait_loadcnt 0x0
	v_mul_f16_e32 v19, v19, v20
	s_delay_alu instid0(VALU_DEP_1) | instskip(NEXT) | instid1(VALU_DEP_1)
	v_cvt_f32_f16_e32 v19, v19
	v_dual_add_f32 v16, v16, v19 :: v_dual_add_nc_u32 v17, 0x400, v17
	s_delay_alu instid0(VALU_DEP_1) | instskip(SKIP_1) | instid1(SALU_CYCLE_1)
	v_cmp_le_i32_e32 vcc_lo, s14, v17
	s_or_b32 s41, vcc_lo, s41
	s_and_not1_b32 exec_lo, exec_lo, s41
	s_cbranch_execnz .LBB420_23
; %bb.24:                               ;   in Loop: Header=BB420_4 Depth=1
	s_or_b32 exec_lo, exec_lo, s41
	s_delay_alu instid0(SALU_CYCLE_1)
	s_or_b32 exec_lo, exec_lo, s40
	s_and_saveexec_b32 s40, s3
	s_cbranch_execz .LBB420_15
.LBB420_25:                             ;   in Loop: Header=BB420_4 Depth=1
	s_mul_u64 s[42:43], s[24:25], s[34:35]
	s_wait_dscnt 0x0
	v_lshl_add_u64 v[18:19], v[4:5], 1, s[30:31]
	v_lshl_add_u64 v[10:11], s[42:43], 1, v[6:7]
	s_delay_alu instid0(VALU_DEP_1)
	v_lshl_add_u64 v[10:11], s[14:15], 1, v[10:11]
	global_load_u16 v17, v[10:11], off
	global_load_u16 v20, v[18:19], off
	s_wait_loadcnt 0x0
	s_wait_xcnt 0x1
	v_mul_f16_e32 v10, v17, v20
	s_delay_alu instid0(VALU_DEP_1) | instskip(NEXT) | instid1(VALU_DEP_1)
	v_cvt_f32_f16_e32 v10, v10
	v_add_f32_e32 v16, v16, v10
	s_wait_xcnt 0x0
	s_or_b32 exec_lo, exec_lo, s40
	s_and_saveexec_b32 s30, s1
	s_cbranch_execnz .LBB420_16
	s_branch .LBB420_17
.LBB420_26:                             ;   in Loop: Header=BB420_4 Depth=1
	ds_load_b32 v18, v1
	s_or_b32 exec_lo, exec_lo, s30
	s_and_saveexec_b32 s30, s1
	s_cbranch_execz .LBB420_21
.LBB420_27:                             ;   in Loop: Header=BB420_4 Depth=1
	s_wait_dscnt 0x0
	ds_bpermute_b32 v19, v14, v18
	s_wait_dscnt 0x0
	v_add_f32_e32 v18, v18, v19
	ds_bpermute_b32 v10, v10, v18
	s_wait_dscnt 0x0
	v_add_f32_e32 v10, v18, v10
	;; [unrolled: 3-line block ×5, first 2 shown]
	s_or_b32 exec_lo, exec_lo, s30
                                        ; implicit-def: $vgpr10
	s_and_saveexec_b32 s30, s0
	s_cbranch_execz .LBB420_31
.LBB420_28:                             ;   in Loop: Header=BB420_4 Depth=1
	s_wait_dscnt 0x0
	v_mul_f32_e32 v10, v15, v18
	s_cmp_eq_f32 s5, 0
	s_cbranch_scc1 .LBB420_30
; %bb.29:                               ;   in Loop: Header=BB420_4 Depth=1
	s_add_nc_u64 s[40:41], s[28:29], s[12:13]
	global_load_u16 v11, v3, s[40:41]
	s_wait_loadcnt 0x0
	v_fma_mix_f32 v10, s5, v11, v10 op_sel_hi:[0,1,0]
.LBB420_30:                             ;   in Loop: Header=BB420_4 Depth=1
	s_delay_alu instid0(VALU_DEP_1)
	v_cvt_f16_f32_e32 v10, v10
	s_or_b32 s39, s39, exec_lo
.LBB420_31:                             ;   in Loop: Header=BB420_4 Depth=1
	s_wait_xcnt 0x0
	s_or_b32 exec_lo, exec_lo, s30
.LBB420_32:                             ;   in Loop: Header=BB420_4 Depth=1
	s_and_saveexec_b32 s5, s39
	s_cbranch_execz .LBB420_2
; %bb.33:                               ;   in Loop: Header=BB420_4 Depth=1
	s_add_nc_u64 s[28:29], s[28:29], s[12:13]
	global_store_b16 v3, v10, s[28:29]
	s_branch .LBB420_2
.LBB420_34:
	s_endpgm
	.section	.rodata,"a",@progbits
	.p2align	6, 0x0
	.amdhsa_kernel _ZL32rocblas_gemvt_warp_reduce_kernelILb1ELi1024EiDF16_PKfDF16_EviiT3_lPKT2_lT1_lS5_lS6_lS2_lPT4_lS6_li
		.amdhsa_group_segment_fixed_size 128
		.amdhsa_private_segment_fixed_size 0
		.amdhsa_kernarg_size 140
		.amdhsa_user_sgpr_count 2
		.amdhsa_user_sgpr_dispatch_ptr 0
		.amdhsa_user_sgpr_queue_ptr 0
		.amdhsa_user_sgpr_kernarg_segment_ptr 1
		.amdhsa_user_sgpr_dispatch_id 0
		.amdhsa_user_sgpr_kernarg_preload_length 0
		.amdhsa_user_sgpr_kernarg_preload_offset 0
		.amdhsa_user_sgpr_private_segment_size 0
		.amdhsa_wavefront_size32 1
		.amdhsa_uses_dynamic_stack 0
		.amdhsa_enable_private_segment 0
		.amdhsa_system_sgpr_workgroup_id_x 1
		.amdhsa_system_sgpr_workgroup_id_y 0
		.amdhsa_system_sgpr_workgroup_id_z 1
		.amdhsa_system_sgpr_workgroup_info 0
		.amdhsa_system_vgpr_workitem_id 0
		.amdhsa_next_free_vgpr 21
		.amdhsa_next_free_sgpr 44
		.amdhsa_named_barrier_count 0
		.amdhsa_reserve_vcc 1
		.amdhsa_float_round_mode_32 0
		.amdhsa_float_round_mode_16_64 0
		.amdhsa_float_denorm_mode_32 3
		.amdhsa_float_denorm_mode_16_64 3
		.amdhsa_fp16_overflow 0
		.amdhsa_memory_ordered 1
		.amdhsa_forward_progress 1
		.amdhsa_inst_pref_size 12
		.amdhsa_round_robin_scheduling 0
		.amdhsa_exception_fp_ieee_invalid_op 0
		.amdhsa_exception_fp_denorm_src 0
		.amdhsa_exception_fp_ieee_div_zero 0
		.amdhsa_exception_fp_ieee_overflow 0
		.amdhsa_exception_fp_ieee_underflow 0
		.amdhsa_exception_fp_ieee_inexact 0
		.amdhsa_exception_int_div_zero 0
	.end_amdhsa_kernel
	.section	.text._ZL32rocblas_gemvt_warp_reduce_kernelILb1ELi1024EiDF16_PKfDF16_EviiT3_lPKT2_lT1_lS5_lS6_lS2_lPT4_lS6_li,"axG",@progbits,_ZL32rocblas_gemvt_warp_reduce_kernelILb1ELi1024EiDF16_PKfDF16_EviiT3_lPKT2_lT1_lS5_lS6_lS2_lPT4_lS6_li,comdat
.Lfunc_end420:
	.size	_ZL32rocblas_gemvt_warp_reduce_kernelILb1ELi1024EiDF16_PKfDF16_EviiT3_lPKT2_lT1_lS5_lS6_lS2_lPT4_lS6_li, .Lfunc_end420-_ZL32rocblas_gemvt_warp_reduce_kernelILb1ELi1024EiDF16_PKfDF16_EviiT3_lPKT2_lT1_lS5_lS6_lS2_lPT4_lS6_li
                                        ; -- End function
	.set _ZL32rocblas_gemvt_warp_reduce_kernelILb1ELi1024EiDF16_PKfDF16_EviiT3_lPKT2_lT1_lS5_lS6_lS2_lPT4_lS6_li.num_vgpr, 21
	.set _ZL32rocblas_gemvt_warp_reduce_kernelILb1ELi1024EiDF16_PKfDF16_EviiT3_lPKT2_lT1_lS5_lS6_lS2_lPT4_lS6_li.num_agpr, 0
	.set _ZL32rocblas_gemvt_warp_reduce_kernelILb1ELi1024EiDF16_PKfDF16_EviiT3_lPKT2_lT1_lS5_lS6_lS2_lPT4_lS6_li.numbered_sgpr, 44
	.set _ZL32rocblas_gemvt_warp_reduce_kernelILb1ELi1024EiDF16_PKfDF16_EviiT3_lPKT2_lT1_lS5_lS6_lS2_lPT4_lS6_li.num_named_barrier, 0
	.set _ZL32rocblas_gemvt_warp_reduce_kernelILb1ELi1024EiDF16_PKfDF16_EviiT3_lPKT2_lT1_lS5_lS6_lS2_lPT4_lS6_li.private_seg_size, 0
	.set _ZL32rocblas_gemvt_warp_reduce_kernelILb1ELi1024EiDF16_PKfDF16_EviiT3_lPKT2_lT1_lS5_lS6_lS2_lPT4_lS6_li.uses_vcc, 1
	.set _ZL32rocblas_gemvt_warp_reduce_kernelILb1ELi1024EiDF16_PKfDF16_EviiT3_lPKT2_lT1_lS5_lS6_lS2_lPT4_lS6_li.uses_flat_scratch, 0
	.set _ZL32rocblas_gemvt_warp_reduce_kernelILb1ELi1024EiDF16_PKfDF16_EviiT3_lPKT2_lT1_lS5_lS6_lS2_lPT4_lS6_li.has_dyn_sized_stack, 0
	.set _ZL32rocblas_gemvt_warp_reduce_kernelILb1ELi1024EiDF16_PKfDF16_EviiT3_lPKT2_lT1_lS5_lS6_lS2_lPT4_lS6_li.has_recursion, 0
	.set _ZL32rocblas_gemvt_warp_reduce_kernelILb1ELi1024EiDF16_PKfDF16_EviiT3_lPKT2_lT1_lS5_lS6_lS2_lPT4_lS6_li.has_indirect_call, 0
	.section	.AMDGPU.csdata,"",@progbits
; Kernel info:
; codeLenInByte = 1452
; TotalNumSgprs: 46
; NumVgprs: 21
; ScratchSize: 0
; MemoryBound: 0
; FloatMode: 240
; IeeeMode: 1
; LDSByteSize: 128 bytes/workgroup (compile time only)
; SGPRBlocks: 0
; VGPRBlocks: 1
; NumSGPRsForWavesPerEU: 46
; NumVGPRsForWavesPerEU: 21
; NamedBarCnt: 0
; Occupancy: 16
; WaveLimiterHint : 0
; COMPUTE_PGM_RSRC2:SCRATCH_EN: 0
; COMPUTE_PGM_RSRC2:USER_SGPR: 2
; COMPUTE_PGM_RSRC2:TRAP_HANDLER: 0
; COMPUTE_PGM_RSRC2:TGID_X_EN: 1
; COMPUTE_PGM_RSRC2:TGID_Y_EN: 0
; COMPUTE_PGM_RSRC2:TGID_Z_EN: 1
; COMPUTE_PGM_RSRC2:TIDIG_COMP_CNT: 0
	.section	.text._ZL32rocblas_gemvt_warp_reduce_kernelILb1ELi1024ElDF16_PKfDF16_EviiT3_lPKT2_lT1_lS5_lS6_lS2_lPT4_lS6_li,"axG",@progbits,_ZL32rocblas_gemvt_warp_reduce_kernelILb1ELi1024ElDF16_PKfDF16_EviiT3_lPKT2_lT1_lS5_lS6_lS2_lPT4_lS6_li,comdat
	.globl	_ZL32rocblas_gemvt_warp_reduce_kernelILb1ELi1024ElDF16_PKfDF16_EviiT3_lPKT2_lT1_lS5_lS6_lS2_lPT4_lS6_li ; -- Begin function _ZL32rocblas_gemvt_warp_reduce_kernelILb1ELi1024ElDF16_PKfDF16_EviiT3_lPKT2_lT1_lS5_lS6_lS2_lPT4_lS6_li
	.p2align	8
	.type	_ZL32rocblas_gemvt_warp_reduce_kernelILb1ELi1024ElDF16_PKfDF16_EviiT3_lPKT2_lT1_lS5_lS6_lS2_lPT4_lS6_li,@function
_ZL32rocblas_gemvt_warp_reduce_kernelILb1ELi1024ElDF16_PKfDF16_EviiT3_lPKT2_lT1_lS5_lS6_lS2_lPT4_lS6_li: ; @_ZL32rocblas_gemvt_warp_reduce_kernelILb1ELi1024ElDF16_PKfDF16_EviiT3_lPKT2_lT1_lS5_lS6_lS2_lPT4_lS6_li
; %bb.0:
	s_load_b32 s30, s[0:1], 0x88
	s_bfe_u32 s2, ttmp6, 0x40014
	s_lshr_b32 s3, ttmp7, 16
	s_add_co_i32 s2, s2, 1
	s_bfe_u32 s5, ttmp6, 0x40008
	s_mul_i32 s4, s3, s2
	s_getreg_b32 s2, hwreg(HW_REG_IB_STS2, 6, 4)
	s_add_co_i32 s5, s5, s4
	s_cmp_eq_u32 s2, 0
	s_mov_b32 s7, 0
	s_cselect_b32 s6, s3, s5
	s_wait_kmcnt 0x0
	s_cmp_ge_u32 s6, s30
	s_cbranch_scc1 .LBB421_34
; %bb.1:
	s_clause 0x2
	s_load_b512 s[8:23], s[0:1], 0x8
	s_load_b512 s[36:51], s[0:1], 0x48
	s_load_b32 s28, s[0:1], 0x0
	s_wait_xcnt 0x0
	s_bfe_u32 s0, ttmp6, 0x4000c
	s_and_b32 s1, ttmp6, 15
	s_add_co_i32 s0, s0, 1
	v_mbcnt_lo_u32_b32 v16, -1, 0
	s_mul_i32 s0, ttmp9, s0
	s_delay_alu instid0(SALU_CYCLE_1)
	s_add_co_i32 s3, s1, s0
	s_wait_kmcnt 0x0
	s_lshl_b64 s[0:1], s[22:23], 1
	s_lshl_b64 s[4:5], s[46:47], 1
	;; [unrolled: 1-line block ×3, first 2 shown]
	s_cmp_eq_u32 s2, 0
	v_cmp_gt_i32_e32 vcc_lo, s28, v0
	s_cselect_b32 s2, ttmp9, s3
	s_ashr_i32 s3, s28, 31
	s_add_nc_u64 s[22:23], s[12:13], s[24:25]
	s_lshr_b32 s3, s3, 22
	s_add_nc_u64 s[20:21], s[20:21], s[0:1]
	s_add_co_i32 s3, s28, s3
	v_cmp_eq_u32_e64 s0, 0, v0
	s_and_b32 s14, s3, 0xfffffc00
	s_delay_alu instid0(SALU_CYCLE_1) | instskip(SKIP_3) | instid1(VALU_DEP_3)
	v_dual_mov_b32 v3, 0 :: v_dual_bitop2_b32 v8, s14, v0 bitop3:0x54
	v_cndmask_b32_e32 v2, 0, v0, vcc_lo
	s_ashr_i32 s3, s2, 31
	v_cmp_gt_i32_e64 s1, s14, v0
	v_dual_mov_b32 v1, v3 :: v_dual_ashrrev_i32 v9, 31, v8
	s_delay_alu instid0(VALU_DEP_3) | instskip(SKIP_2) | instid1(VALU_DEP_2)
	v_lshlrev_b32_e32 v2, 1, v2
	s_mul_u64 s[26:27], s[48:49], s[2:3]
	s_ashr_i32 s15, s14, 31
	v_mul_u64_e32 v[10:11], s[36:37], v[0:1]
	v_mul_u64_e32 v[4:5], s[36:37], v[8:9]
	v_add_nc_u64_e32 v[6:7], s[22:23], v[2:3]
	s_add_nc_u64 s[22:23], s[44:45], s[4:5]
	s_mul_u64 s[4:5], s[16:17], s[2:3]
	v_and_b32_e32 v9, 31, v0
	s_lshl_b64 s[4:5], s[4:5], 1
	v_cmp_gt_i32_e64 s2, s28, v8
	v_lshrrev_b32_e32 v8, 3, v0
	s_add_nc_u64 s[16:17], s[4:5], s[24:25]
	v_add_nc_u64_e32 v[6:7], s[4:5], v[6:7]
	s_add_nc_u64 s[12:13], s[12:13], s[16:17]
	v_lshlrev_b32_e32 v1, 2, v9
	v_cmp_eq_u32_e64 s4, 0, v9
	v_and_b32_e32 v17, 0x7c, v8
	v_add_nc_u64_e32 v[8:9], s[12:13], v[2:3]
	v_cmp_gt_u32_e64 s3, 32, v0
	v_lshl_or_b32 v2, v16, 2, 64
	s_lshl_b64 s[12:13], s[18:19], 1
	s_lshl_b64 s[16:17], s[38:39], 1
	;; [unrolled: 1-line block ×4, first 2 shown]
	v_lshl_add_u64 v[10:11], v[10:11], 1, s[20:21]
	s_branch .LBB421_4
.LBB421_2:                              ;   in Loop: Header=BB421_4 Depth=1
	s_wait_xcnt 0x0
	s_or_b32 exec_lo, exec_lo, s5
.LBB421_3:                              ;   in Loop: Header=BB421_4 Depth=1
	s_add_co_i32 s6, s6, 0x10000
	s_delay_alu instid0(SALU_CYCLE_1)
	s_cmp_lt_u32 s6, s30
	s_cbranch_scc0 .LBB421_34
.LBB421_4:                              ; =>This Loop Header: Depth=1
                                        ;     Child Loop BB421_23 Depth 2
	s_mul_u64 s[28:29], s[10:11], s[6:7]
	s_wait_xcnt 0x0
	s_mul_u64 s[34:35], s[42:43], s[6:7]
	s_lshl_b64 s[28:29], s[28:29], 2
	s_lshl_b64 s[34:35], s[34:35], 2
	s_add_nc_u64 s[28:29], s[8:9], s[28:29]
	s_add_nc_u64 s[34:35], s[40:41], s[34:35]
	s_clause 0x1
	global_load_b32 v18, v3, s[28:29]
	global_load_b32 v12, v3, s[34:35]
	s_wait_loadcnt 0x1
	v_cmp_eq_f32_e32 vcc_lo, 0, v18
	s_wait_loadcnt 0x0
	v_cmp_eq_f32_e64 s5, 1.0, v12
	s_wait_xcnt 0x1
	s_and_b32 s28, vcc_lo, s5
	v_readfirstlane_b32 s5, v12
	s_and_b32 vcc_lo, exec_lo, s28
	s_cbranch_vccnz .LBB421_3
; %bb.5:                                ;   in Loop: Header=BB421_4 Depth=1
	v_cmp_neq_f32_e32 vcc_lo, 0, v18
	s_mul_u64 s[28:29], s[50:51], s[6:7]
	s_delay_alu instid0(SALU_CYCLE_1) | instskip(NEXT) | instid1(SALU_CYCLE_1)
	s_lshl_b64 s[28:29], s[28:29], 1
	s_add_nc_u64 s[28:29], s[22:23], s[28:29]
	s_cbranch_vccnz .LBB421_9
; %bb.6:                                ;   in Loop: Header=BB421_4 Depth=1
	s_mov_b32 s33, 0
	s_mov_b32 s31, 0
                                        ; implicit-def: $vgpr12
	s_wait_xcnt 0x0
	s_and_saveexec_b32 s34, s0
	s_cbranch_execz .LBB421_10
; %bb.7:                                ;   in Loop: Header=BB421_4 Depth=1
	s_cmp_eq_f32 s5, 0
	s_cbranch_scc1 .LBB421_11
; %bb.8:                                ;   in Loop: Header=BB421_4 Depth=1
	s_add_nc_u64 s[36:37], s[28:29], s[26:27]
	global_load_u16 v12, v3, s[36:37]
	s_wait_loadcnt 0x0
	v_fma_mixlo_f16 v12, s5, v12, 0 op_sel_hi:[0,1,0]
	s_branch .LBB421_12
.LBB421_9:                              ;   in Loop: Header=BB421_4 Depth=1
	s_mov_b32 s31, 0
                                        ; implicit-def: $vgpr12
	s_cbranch_execnz .LBB421_13
	s_branch .LBB421_32
.LBB421_10:                             ;   in Loop: Header=BB421_4 Depth=1
	s_or_b32 exec_lo, exec_lo, s34
	s_delay_alu instid0(SALU_CYCLE_1)
	s_and_b32 vcc_lo, exec_lo, s33
	s_cbranch_vccnz .LBB421_13
	s_branch .LBB421_32
.LBB421_11:                             ;   in Loop: Header=BB421_4 Depth=1
	v_mov_b32_e32 v12, 0
.LBB421_12:                             ;   in Loop: Header=BB421_4 Depth=1
	s_mov_b32 s31, exec_lo
	s_wait_xcnt 0x0
	s_or_b32 exec_lo, exec_lo, s34
	s_delay_alu instid0(SALU_CYCLE_1)
	s_and_b32 vcc_lo, exec_lo, s33
	s_cbranch_vccz .LBB421_32
.LBB421_13:                             ;   in Loop: Header=BB421_4 Depth=1
	s_wait_dscnt 0x0
	v_mov_b32_e32 v19, 0
	s_wait_xcnt 0x0
	s_and_saveexec_b32 s33, s1
	s_cbranch_execnz .LBB421_22
; %bb.14:                               ;   in Loop: Header=BB421_4 Depth=1
	s_or_b32 exec_lo, exec_lo, s33
	s_and_saveexec_b32 s33, s2
	s_cbranch_execnz .LBB421_25
.LBB421_15:                             ;   in Loop: Header=BB421_4 Depth=1
	s_or_b32 exec_lo, exec_lo, s33
	s_and_saveexec_b32 s33, s3
.LBB421_16:                             ;   in Loop: Header=BB421_4 Depth=1
	ds_store_b32 v1, v3
.LBB421_17:                             ;   in Loop: Header=BB421_4 Depth=1
	s_or_b32 exec_lo, exec_lo, s33
	ds_bpermute_b32 v13, v2, v19
	v_cmp_gt_u32_e32 vcc_lo, 24, v16
	s_wait_dscnt 0x0
	s_barrier_signal -1
	s_barrier_wait -1
	v_cndmask_b32_e64 v12, 0, 8, vcc_lo
	v_cmp_gt_u32_e32 vcc_lo, 28, v16
	s_delay_alu instid0(VALU_DEP_2)
	v_add_lshl_u32 v12, v12, v16, 2
	v_add_f32_e32 v14, v19, v13
	v_cndmask_b32_e64 v13, 0, 4, vcc_lo
	v_cmp_gt_u32_e32 vcc_lo, 30, v16
	ds_bpermute_b32 v15, v12, v14
	v_add_lshl_u32 v13, v13, v16, 2
	s_wait_dscnt 0x0
	v_add_f32_e32 v15, v14, v15
	v_cndmask_b32_e64 v14, 0, 2, vcc_lo
	v_cmp_ne_u32_e32 vcc_lo, 31, v16
	ds_bpermute_b32 v19, v13, v15
	v_add_lshl_u32 v14, v14, v16, 2
	v_add_co_ci_u32_e64 v20, null, 0, v16, vcc_lo
	s_wait_dscnt 0x0
	v_add_f32_e32 v15, v15, v19
	ds_bpermute_b32 v19, v14, v15
	s_wait_dscnt 0x0
	v_dual_add_f32 v19, v15, v19 :: v_dual_lshlrev_b32 v15, 2, v20
	ds_bpermute_b32 v20, v15, v19
	s_and_saveexec_b32 s33, s4
	s_cbranch_execz .LBB421_19
; %bb.18:                               ;   in Loop: Header=BB421_4 Depth=1
	s_wait_dscnt 0x0
	v_add_f32_e32 v19, v19, v20
	ds_store_b32 v17, v19
.LBB421_19:                             ;   in Loop: Header=BB421_4 Depth=1
	s_or_b32 exec_lo, exec_lo, s33
	v_mov_b32_e32 v19, 0
	s_wait_dscnt 0x0
	s_barrier_signal -1
	s_barrier_wait -1
	s_and_saveexec_b32 s33, s3
	s_cbranch_execnz .LBB421_26
; %bb.20:                               ;   in Loop: Header=BB421_4 Depth=1
	s_or_b32 exec_lo, exec_lo, s33
	s_and_saveexec_b32 s33, s3
	s_cbranch_execnz .LBB421_27
.LBB421_21:                             ;   in Loop: Header=BB421_4 Depth=1
	s_or_b32 exec_lo, exec_lo, s33
                                        ; implicit-def: $vgpr12
	s_and_saveexec_b32 s33, s0
	s_cbranch_execnz .LBB421_28
	s_branch .LBB421_31
.LBB421_22:                             ;   in Loop: Header=BB421_4 Depth=1
	v_mad_nc_u64_u32 v[12:13], s12, s6, v[8:9]
	v_mad_nc_u64_u32 v[14:15], s16, s6, v[10:11]
	v_dual_mov_b32 v19, 0 :: v_dual_mov_b32 v20, v0
	s_mov_b32 s34, 0
	s_delay_alu instid0(VALU_DEP_3) | instskip(NEXT) | instid1(VALU_DEP_3)
	v_mad_u32 v13, s13, s6, v13
	v_mad_u32 v15, s17, s6, v15
.LBB421_23:                             ;   Parent Loop BB421_4 Depth=1
                                        ; =>  This Inner Loop Header: Depth=2
	global_load_u16 v21, v[12:13], off
	global_load_u16 v22, v[14:15], off
	s_wait_xcnt 0x1
	v_add_nc_u64_e32 v[12:13], 0x800, v[12:13]
	s_wait_xcnt 0x0
	v_add_nc_u64_e32 v[14:15], s[24:25], v[14:15]
	s_wait_loadcnt 0x0
	v_mul_f16_e32 v21, v21, v22
	s_delay_alu instid0(VALU_DEP_1) | instskip(NEXT) | instid1(VALU_DEP_1)
	v_cvt_f32_f16_e32 v21, v21
	v_dual_add_f32 v19, v19, v21 :: v_dual_add_nc_u32 v20, 0x400, v20
	s_delay_alu instid0(VALU_DEP_1) | instskip(SKIP_1) | instid1(SALU_CYCLE_1)
	v_cmp_le_i32_e32 vcc_lo, s14, v20
	s_or_b32 s34, vcc_lo, s34
	s_and_not1_b32 exec_lo, exec_lo, s34
	s_cbranch_execnz .LBB421_23
; %bb.24:                               ;   in Loop: Header=BB421_4 Depth=1
	s_or_b32 exec_lo, exec_lo, s34
	s_delay_alu instid0(SALU_CYCLE_1)
	s_or_b32 exec_lo, exec_lo, s33
	s_and_saveexec_b32 s33, s2
	s_cbranch_execz .LBB421_15
.LBB421_25:                             ;   in Loop: Header=BB421_4 Depth=1
	s_mul_u64 s[34:35], s[18:19], s[6:7]
	s_mul_u64 s[36:37], s[38:39], s[6:7]
	v_lshl_add_u64 v[12:13], s[34:35], 1, v[6:7]
	s_lshl_b64 s[34:35], s[36:37], 1
	s_delay_alu instid0(SALU_CYCLE_1) | instskip(NEXT) | instid1(SALU_CYCLE_1)
	s_add_nc_u64 s[34:35], s[20:21], s[34:35]
	v_lshl_add_u64 v[14:15], v[4:5], 1, s[34:35]
	s_delay_alu instid0(VALU_DEP_2)
	v_lshl_add_u64 v[12:13], s[14:15], 1, v[12:13]
	global_load_u16 v20, v[12:13], off
	global_load_u16 v21, v[14:15], off
	s_wait_loadcnt 0x0
	s_wait_xcnt 0x1
	v_mul_f16_e32 v12, v20, v21
	s_delay_alu instid0(VALU_DEP_1) | instskip(NEXT) | instid1(VALU_DEP_1)
	v_cvt_f32_f16_e32 v12, v12
	v_add_f32_e32 v19, v19, v12
	s_wait_xcnt 0x0
	s_or_b32 exec_lo, exec_lo, s33
	s_and_saveexec_b32 s33, s3
	s_cbranch_execnz .LBB421_16
	s_branch .LBB421_17
.LBB421_26:                             ;   in Loop: Header=BB421_4 Depth=1
	ds_load_b32 v19, v1
	s_or_b32 exec_lo, exec_lo, s33
	s_and_saveexec_b32 s33, s3
	s_cbranch_execz .LBB421_21
.LBB421_27:                             ;   in Loop: Header=BB421_4 Depth=1
	s_wait_dscnt 0x0
	ds_bpermute_b32 v20, v2, v19
	s_wait_dscnt 0x0
	v_add_f32_e32 v19, v19, v20
	ds_bpermute_b32 v12, v12, v19
	s_wait_dscnt 0x0
	v_add_f32_e32 v12, v19, v12
	;; [unrolled: 3-line block ×5, first 2 shown]
	s_or_b32 exec_lo, exec_lo, s33
                                        ; implicit-def: $vgpr12
	s_and_saveexec_b32 s33, s0
	s_cbranch_execz .LBB421_31
.LBB421_28:                             ;   in Loop: Header=BB421_4 Depth=1
	s_wait_dscnt 0x0
	v_mul_f32_e32 v12, v18, v19
	s_cmp_eq_f32 s5, 0
	s_cbranch_scc1 .LBB421_30
; %bb.29:                               ;   in Loop: Header=BB421_4 Depth=1
	s_add_nc_u64 s[34:35], s[28:29], s[26:27]
	global_load_u16 v13, v3, s[34:35]
	s_wait_loadcnt 0x0
	v_fma_mix_f32 v12, s5, v13, v12 op_sel_hi:[0,1,0]
.LBB421_30:                             ;   in Loop: Header=BB421_4 Depth=1
	s_delay_alu instid0(VALU_DEP_1)
	v_cvt_f16_f32_e32 v12, v12
	s_or_b32 s31, s31, exec_lo
.LBB421_31:                             ;   in Loop: Header=BB421_4 Depth=1
	s_wait_xcnt 0x0
	s_or_b32 exec_lo, exec_lo, s33
.LBB421_32:                             ;   in Loop: Header=BB421_4 Depth=1
	s_wait_xcnt 0x0
	s_and_saveexec_b32 s5, s31
	s_cbranch_execz .LBB421_2
; %bb.33:                               ;   in Loop: Header=BB421_4 Depth=1
	s_add_nc_u64 s[28:29], s[28:29], s[26:27]
	global_store_b16 v3, v12, s[28:29]
	s_branch .LBB421_2
.LBB421_34:
	s_endpgm
	.section	.rodata,"a",@progbits
	.p2align	6, 0x0
	.amdhsa_kernel _ZL32rocblas_gemvt_warp_reduce_kernelILb1ELi1024ElDF16_PKfDF16_EviiT3_lPKT2_lT1_lS5_lS6_lS2_lPT4_lS6_li
		.amdhsa_group_segment_fixed_size 128
		.amdhsa_private_segment_fixed_size 0
		.amdhsa_kernarg_size 140
		.amdhsa_user_sgpr_count 2
		.amdhsa_user_sgpr_dispatch_ptr 0
		.amdhsa_user_sgpr_queue_ptr 0
		.amdhsa_user_sgpr_kernarg_segment_ptr 1
		.amdhsa_user_sgpr_dispatch_id 0
		.amdhsa_user_sgpr_kernarg_preload_length 0
		.amdhsa_user_sgpr_kernarg_preload_offset 0
		.amdhsa_user_sgpr_private_segment_size 0
		.amdhsa_wavefront_size32 1
		.amdhsa_uses_dynamic_stack 0
		.amdhsa_enable_private_segment 0
		.amdhsa_system_sgpr_workgroup_id_x 1
		.amdhsa_system_sgpr_workgroup_id_y 0
		.amdhsa_system_sgpr_workgroup_id_z 1
		.amdhsa_system_sgpr_workgroup_info 0
		.amdhsa_system_vgpr_workitem_id 0
		.amdhsa_next_free_vgpr 23
		.amdhsa_next_free_sgpr 52
		.amdhsa_named_barrier_count 0
		.amdhsa_reserve_vcc 1
		.amdhsa_float_round_mode_32 0
		.amdhsa_float_round_mode_16_64 0
		.amdhsa_float_denorm_mode_32 3
		.amdhsa_float_denorm_mode_16_64 3
		.amdhsa_fp16_overflow 0
		.amdhsa_memory_ordered 1
		.amdhsa_forward_progress 1
		.amdhsa_inst_pref_size 12
		.amdhsa_round_robin_scheduling 0
		.amdhsa_exception_fp_ieee_invalid_op 0
		.amdhsa_exception_fp_denorm_src 0
		.amdhsa_exception_fp_ieee_div_zero 0
		.amdhsa_exception_fp_ieee_overflow 0
		.amdhsa_exception_fp_ieee_underflow 0
		.amdhsa_exception_fp_ieee_inexact 0
		.amdhsa_exception_int_div_zero 0
	.end_amdhsa_kernel
	.section	.text._ZL32rocblas_gemvt_warp_reduce_kernelILb1ELi1024ElDF16_PKfDF16_EviiT3_lPKT2_lT1_lS5_lS6_lS2_lPT4_lS6_li,"axG",@progbits,_ZL32rocblas_gemvt_warp_reduce_kernelILb1ELi1024ElDF16_PKfDF16_EviiT3_lPKT2_lT1_lS5_lS6_lS2_lPT4_lS6_li,comdat
.Lfunc_end421:
	.size	_ZL32rocblas_gemvt_warp_reduce_kernelILb1ELi1024ElDF16_PKfDF16_EviiT3_lPKT2_lT1_lS5_lS6_lS2_lPT4_lS6_li, .Lfunc_end421-_ZL32rocblas_gemvt_warp_reduce_kernelILb1ELi1024ElDF16_PKfDF16_EviiT3_lPKT2_lT1_lS5_lS6_lS2_lPT4_lS6_li
                                        ; -- End function
	.set _ZL32rocblas_gemvt_warp_reduce_kernelILb1ELi1024ElDF16_PKfDF16_EviiT3_lPKT2_lT1_lS5_lS6_lS2_lPT4_lS6_li.num_vgpr, 23
	.set _ZL32rocblas_gemvt_warp_reduce_kernelILb1ELi1024ElDF16_PKfDF16_EviiT3_lPKT2_lT1_lS5_lS6_lS2_lPT4_lS6_li.num_agpr, 0
	.set _ZL32rocblas_gemvt_warp_reduce_kernelILb1ELi1024ElDF16_PKfDF16_EviiT3_lPKT2_lT1_lS5_lS6_lS2_lPT4_lS6_li.numbered_sgpr, 52
	.set _ZL32rocblas_gemvt_warp_reduce_kernelILb1ELi1024ElDF16_PKfDF16_EviiT3_lPKT2_lT1_lS5_lS6_lS2_lPT4_lS6_li.num_named_barrier, 0
	.set _ZL32rocblas_gemvt_warp_reduce_kernelILb1ELi1024ElDF16_PKfDF16_EviiT3_lPKT2_lT1_lS5_lS6_lS2_lPT4_lS6_li.private_seg_size, 0
	.set _ZL32rocblas_gemvt_warp_reduce_kernelILb1ELi1024ElDF16_PKfDF16_EviiT3_lPKT2_lT1_lS5_lS6_lS2_lPT4_lS6_li.uses_vcc, 1
	.set _ZL32rocblas_gemvt_warp_reduce_kernelILb1ELi1024ElDF16_PKfDF16_EviiT3_lPKT2_lT1_lS5_lS6_lS2_lPT4_lS6_li.uses_flat_scratch, 0
	.set _ZL32rocblas_gemvt_warp_reduce_kernelILb1ELi1024ElDF16_PKfDF16_EviiT3_lPKT2_lT1_lS5_lS6_lS2_lPT4_lS6_li.has_dyn_sized_stack, 0
	.set _ZL32rocblas_gemvt_warp_reduce_kernelILb1ELi1024ElDF16_PKfDF16_EviiT3_lPKT2_lT1_lS5_lS6_lS2_lPT4_lS6_li.has_recursion, 0
	.set _ZL32rocblas_gemvt_warp_reduce_kernelILb1ELi1024ElDF16_PKfDF16_EviiT3_lPKT2_lT1_lS5_lS6_lS2_lPT4_lS6_li.has_indirect_call, 0
	.section	.AMDGPU.csdata,"",@progbits
; Kernel info:
; codeLenInByte = 1436
; TotalNumSgprs: 54
; NumVgprs: 23
; ScratchSize: 0
; MemoryBound: 0
; FloatMode: 240
; IeeeMode: 1
; LDSByteSize: 128 bytes/workgroup (compile time only)
; SGPRBlocks: 0
; VGPRBlocks: 1
; NumSGPRsForWavesPerEU: 54
; NumVGPRsForWavesPerEU: 23
; NamedBarCnt: 0
; Occupancy: 16
; WaveLimiterHint : 0
; COMPUTE_PGM_RSRC2:SCRATCH_EN: 0
; COMPUTE_PGM_RSRC2:USER_SGPR: 2
; COMPUTE_PGM_RSRC2:TRAP_HANDLER: 0
; COMPUTE_PGM_RSRC2:TGID_X_EN: 1
; COMPUTE_PGM_RSRC2:TGID_Y_EN: 0
; COMPUTE_PGM_RSRC2:TGID_Z_EN: 1
; COMPUTE_PGM_RSRC2:TIDIG_COMP_CNT: 0
	.section	.text._ZL32rocblas_gemvt_warp_reduce_kernelILb1ELi1024EiDF16_fDF16_EviiT3_lPKT2_lT1_lS3_lS4_lS0_lPT4_lS4_li,"axG",@progbits,_ZL32rocblas_gemvt_warp_reduce_kernelILb1ELi1024EiDF16_fDF16_EviiT3_lPKT2_lT1_lS3_lS4_lS0_lPT4_lS4_li,comdat
	.globl	_ZL32rocblas_gemvt_warp_reduce_kernelILb1ELi1024EiDF16_fDF16_EviiT3_lPKT2_lT1_lS3_lS4_lS0_lPT4_lS4_li ; -- Begin function _ZL32rocblas_gemvt_warp_reduce_kernelILb1ELi1024EiDF16_fDF16_EviiT3_lPKT2_lT1_lS3_lS4_lS0_lPT4_lS4_li
	.p2align	8
	.type	_ZL32rocblas_gemvt_warp_reduce_kernelILb1ELi1024EiDF16_fDF16_EviiT3_lPKT2_lT1_lS3_lS4_lS0_lPT4_lS4_li,@function
_ZL32rocblas_gemvt_warp_reduce_kernelILb1ELi1024EiDF16_fDF16_EviiT3_lPKT2_lT1_lS3_lS4_lS0_lPT4_lS4_li: ; @_ZL32rocblas_gemvt_warp_reduce_kernelILb1ELi1024EiDF16_fDF16_EviiT3_lPKT2_lT1_lS3_lS4_lS0_lPT4_lS4_li
; %bb.0:
	s_load_b32 s19, s[0:1], 0x88
	s_bfe_u32 s2, ttmp6, 0x40014
	s_lshr_b32 s4, ttmp7, 16
	s_add_co_i32 s2, s2, 1
	s_bfe_u32 s5, ttmp6, 0x40008
	s_mul_i32 s2, s4, s2
	s_getreg_b32 s3, hwreg(HW_REG_IB_STS2, 6, 4)
	s_add_co_i32 s5, s5, s2
	s_cmp_eq_u32 s3, 0
	s_mov_b32 s25, 0
	s_cselect_b32 s24, s4, s5
	s_wait_kmcnt 0x0
	s_cmp_ge_u32 s24, s19
	s_cbranch_scc1 .LBB422_34
; %bb.1:
	s_clause 0x7
	s_load_b96 s[20:22], s[0:1], 0x40
	s_load_b128 s[12:15], s[0:1], 0x68
	s_load_b128 s[4:7], s[0:1], 0x18
	s_load_b32 s30, s[0:1], 0x8
	s_load_b96 s[16:18], s[0:1], 0x50
	s_load_b128 s[8:11], s[0:1], 0x30
	s_load_b32 s23, s[0:1], 0x0
	s_load_b32 s28, s[0:1], 0x28
	v_dual_mov_b32 v3, 0 :: v_dual_bitop2_b32 v2, 31, v0 bitop3:0x40
	v_lshrrev_b32_e32 v4, 3, v0
	v_mbcnt_lo_u32_b32 v1, -1, 0
	s_delay_alu instid0(VALU_DEP_3) | instskip(SKIP_1) | instid1(VALU_DEP_4)
	v_lshlrev_b32_e32 v12, 2, v2
	v_cmp_eq_u32_e64 s2, 0, v2
	v_and_b32_e32 v13, 0x7c, v4
	s_wait_kmcnt 0x0
	s_lshl_b64 s[26:27], s[20:21], 1
	s_lshl_b64 s[14:15], s[14:15], 1
	;; [unrolled: 1-line block ×3, first 2 shown]
	s_cmp_eq_f32 s30, 0
	s_add_nc_u64 s[12:13], s[12:13], s[14:15]
	s_clause 0x1
	s_load_b32 s29, s[0:1], 0x78
	s_load_b64 s[6:7], s[0:1], 0x80
	v_cmp_gt_i32_e32 vcc_lo, s23, v0
	s_cselect_b32 s31, -1, 0
	s_cmp_neq_f32 s30, 0
	s_add_nc_u64 s[10:11], s[10:11], s[26:27]
	s_add_nc_u64 s[26:27], s[4:5], s[20:21]
	v_mul_lo_u32 v14, v0, s22
	s_cselect_b32 s33, -1, 0
	s_cmp_neq_f32 s18, 1.0
	s_wait_xcnt 0x0
	v_cmp_eq_u32_e64 s0, 0, v0
	v_cmp_gt_u32_e64 s1, 32, v0
	s_cselect_b32 s34, -1, 0
	s_delay_alu instid0(SALU_CYCLE_1)
	s_or_b32 s33, s33, s34
	s_cmp_neq_f32 s18, 0
	s_cselect_b32 s34, -1, 0
	s_bfe_u32 s35, ttmp6, 0x4000c
	s_and_b32 s36, ttmp6, 15
	s_add_co_i32 s35, s35, 1
	s_delay_alu instid0(SALU_CYCLE_1) | instskip(NEXT) | instid1(SALU_CYCLE_1)
	s_mul_i32 s35, ttmp9, s35
	s_add_co_i32 s36, s36, s35
	s_cmp_eq_u32 s3, 0
	s_cselect_b32 s3, ttmp9, s36
	s_ashr_i32 s14, s23, 31
	s_delay_alu instid0(SALU_CYCLE_1) | instskip(NEXT) | instid1(SALU_CYCLE_1)
	s_lshr_b32 s14, s14, 22
	s_add_co_i32 s14, s23, s14
	s_delay_alu instid0(SALU_CYCLE_1) | instskip(NEXT) | instid1(SALU_CYCLE_1)
	s_and_b32 s14, s14, 0xfffffc00
	v_dual_cndmask_b32 v2, 0, v0, vcc_lo :: v_dual_bitop2_b32 v5, s14, v0 bitop3:0x54
	s_ashr_i32 s15, s14, 31
	s_delay_alu instid0(VALU_DEP_1) | instskip(NEXT) | instid1(VALU_DEP_2)
	v_mul_lo_u32 v4, s22, v5
	v_lshlrev_b32_e32 v2, 1, v2
	s_delay_alu instid0(VALU_DEP_1)
	v_add_nc_u64_e32 v[6:7], s[26:27], v[2:3]
	s_mul_i32 s26, s28, s3
	s_wait_kmcnt 0x0
	s_mul_i32 s28, s29, s3
	s_ashr_i32 s27, s26, 31
	v_cmp_gt_i32_e64 s3, s14, v0
	s_lshl_b64 s[26:27], s[26:27], 1
	s_ashr_i32 s29, s28, 31
	s_add_nc_u64 s[20:21], s[20:21], s[26:27]
	v_add_nc_u64_e32 v[6:7], s[26:27], v[6:7]
	s_add_nc_u64 s[4:5], s[4:5], s[20:21]
	s_lshl_b64 s[20:21], s[8:9], 1
	v_add_nc_u64_e32 v[8:9], s[4:5], v[2:3]
	v_cmp_gt_i32_e64 s4, s23, v5
	v_ashrrev_i32_e32 v5, 31, v4
	v_lshl_or_b32 v2, v1, 2, 64
	s_lshl_b32 s5, s22, 10
	s_lshl_b64 s[22:23], s[28:29], 1
	s_branch .LBB422_4
.LBB422_2:                              ;   in Loop: Header=BB422_4 Depth=1
	s_wait_xcnt 0x0
	s_or_b32 exec_lo, exec_lo, s28
.LBB422_3:                              ;   in Loop: Header=BB422_4 Depth=1
	s_add_co_i32 s24, s24, 0x10000
	s_delay_alu instid0(SALU_CYCLE_1)
	s_cmp_lt_u32 s24, s19
	s_cbranch_scc0 .LBB422_34
.LBB422_4:                              ; =>This Loop Header: Depth=1
                                        ;     Child Loop BB422_23 Depth 2
	s_and_not1_b32 vcc_lo, exec_lo, s33
	s_cbranch_vccnz .LBB422_3
; %bb.5:                                ;   in Loop: Header=BB422_4 Depth=1
	s_mul_u64 s[26:27], s[6:7], s[24:25]
	s_and_not1_b32 vcc_lo, exec_lo, s31
	s_lshl_b64 s[26:27], s[26:27], 1
	s_delay_alu instid0(SALU_CYCLE_1)
	s_add_nc_u64 s[26:27], s[12:13], s[26:27]
	s_cbranch_vccnz .LBB422_9
; %bb.6:                                ;   in Loop: Header=BB422_4 Depth=1
	s_mov_b32 s28, 0
	s_mov_b32 s35, 0
                                        ; implicit-def: $vgpr10
	s_and_saveexec_b32 s29, s0
	s_cbranch_execz .LBB422_10
; %bb.7:                                ;   in Loop: Header=BB422_4 Depth=1
	s_and_not1_b32 vcc_lo, exec_lo, s34
	s_cbranch_vccnz .LBB422_11
; %bb.8:                                ;   in Loop: Header=BB422_4 Depth=1
	s_add_nc_u64 s[36:37], s[26:27], s[22:23]
	global_load_u16 v10, v3, s[36:37]
	s_wait_loadcnt 0x0
	v_fma_mixlo_f16 v10, s18, v10, 0 op_sel_hi:[0,1,0]
	s_branch .LBB422_12
.LBB422_9:                              ;   in Loop: Header=BB422_4 Depth=1
	s_mov_b32 s35, 0
                                        ; implicit-def: $vgpr10
	s_cbranch_execnz .LBB422_13
	s_branch .LBB422_32
.LBB422_10:                             ;   in Loop: Header=BB422_4 Depth=1
	s_or_b32 exec_lo, exec_lo, s29
	s_delay_alu instid0(SALU_CYCLE_1)
	s_and_b32 vcc_lo, exec_lo, s28
	s_cbranch_vccnz .LBB422_13
	s_branch .LBB422_32
.LBB422_11:                             ;   in Loop: Header=BB422_4 Depth=1
	v_mov_b32_e32 v10, 0
.LBB422_12:                             ;   in Loop: Header=BB422_4 Depth=1
	s_mov_b32 s35, exec_lo
	s_wait_xcnt 0x0
	s_or_b32 exec_lo, exec_lo, s29
	s_delay_alu instid0(SALU_CYCLE_1)
	s_and_b32 vcc_lo, exec_lo, s28
	s_cbranch_vccz .LBB422_32
.LBB422_13:                             ;   in Loop: Header=BB422_4 Depth=1
	s_mul_u64 s[28:29], s[16:17], s[24:25]
	v_mov_b32_e32 v15, 0
	s_lshl_b64 s[28:29], s[28:29], 1
	s_delay_alu instid0(SALU_CYCLE_1)
	s_add_nc_u64 s[28:29], s[10:11], s[28:29]
	s_and_saveexec_b32 s36, s3
	s_cbranch_execnz .LBB422_22
; %bb.14:                               ;   in Loop: Header=BB422_4 Depth=1
	s_or_b32 exec_lo, exec_lo, s36
	s_and_saveexec_b32 s36, s4
	s_cbranch_execnz .LBB422_25
.LBB422_15:                             ;   in Loop: Header=BB422_4 Depth=1
	s_or_b32 exec_lo, exec_lo, s36
	s_and_saveexec_b32 s28, s1
.LBB422_16:                             ;   in Loop: Header=BB422_4 Depth=1
	ds_store_b32 v12, v3
.LBB422_17:                             ;   in Loop: Header=BB422_4 Depth=1
	s_or_b32 exec_lo, exec_lo, s28
	ds_bpermute_b32 v11, v2, v15
	v_cmp_gt_u32_e32 vcc_lo, 24, v1
	s_wait_dscnt 0x0
	s_barrier_signal -1
	s_barrier_wait -1
	v_cndmask_b32_e64 v10, 0, 8, vcc_lo
	v_cmp_gt_u32_e32 vcc_lo, 28, v1
	s_delay_alu instid0(VALU_DEP_2)
	v_add_lshl_u32 v10, v10, v1, 2
	v_add_f32_e32 v15, v15, v11
	v_cndmask_b32_e64 v11, 0, 4, vcc_lo
	v_cmp_gt_u32_e32 vcc_lo, 30, v1
	ds_bpermute_b32 v16, v10, v15
	v_add_lshl_u32 v11, v11, v1, 2
	s_wait_dscnt 0x0
	v_add_f32_e32 v16, v15, v16
	v_cndmask_b32_e64 v15, 0, 2, vcc_lo
	v_cmp_ne_u32_e32 vcc_lo, 31, v1
	ds_bpermute_b32 v17, v11, v16
	v_add_lshl_u32 v15, v15, v1, 2
	v_add_co_ci_u32_e64 v18, null, 0, v1, vcc_lo
	s_wait_dscnt 0x0
	v_add_f32_e32 v16, v16, v17
	ds_bpermute_b32 v17, v15, v16
	s_wait_dscnt 0x0
	v_dual_add_f32 v17, v16, v17 :: v_dual_lshlrev_b32 v16, 2, v18
	ds_bpermute_b32 v18, v16, v17
	s_and_saveexec_b32 s28, s2
	s_cbranch_execz .LBB422_19
; %bb.18:                               ;   in Loop: Header=BB422_4 Depth=1
	s_wait_dscnt 0x0
	v_add_f32_e32 v17, v17, v18
	ds_store_b32 v13, v17
.LBB422_19:                             ;   in Loop: Header=BB422_4 Depth=1
	s_or_b32 exec_lo, exec_lo, s28
	v_mov_b32_e32 v17, 0
	s_wait_dscnt 0x0
	s_barrier_signal -1
	s_barrier_wait -1
	s_and_saveexec_b32 s28, s1
	s_cbranch_execnz .LBB422_26
; %bb.20:                               ;   in Loop: Header=BB422_4 Depth=1
	s_or_b32 exec_lo, exec_lo, s28
	s_and_saveexec_b32 s28, s1
	s_cbranch_execnz .LBB422_27
.LBB422_21:                             ;   in Loop: Header=BB422_4 Depth=1
	s_or_b32 exec_lo, exec_lo, s28
                                        ; implicit-def: $vgpr10
	s_and_saveexec_b32 s28, s0
	s_cbranch_execnz .LBB422_28
	s_branch .LBB422_31
.LBB422_22:                             ;   in Loop: Header=BB422_4 Depth=1
	v_mad_nc_u64_u32 v[10:11], s20, s24, v[8:9]
	v_dual_mov_b32 v15, 0 :: v_dual_mov_b32 v16, v0
	s_wait_dscnt 0x0
	v_mov_b32_e32 v17, v14
	s_mov_b32 s37, 0
	s_delay_alu instid0(VALU_DEP_3)
	v_mad_u32 v11, s21, s24, v11
.LBB422_23:                             ;   Parent Loop BB422_4 Depth=1
                                        ; =>  This Inner Loop Header: Depth=2
	global_load_u16 v18, v[10:11], off
	global_load_u16 v19, v17, s[28:29] scale_offset
	s_wait_xcnt 0x1
	v_add_nc_u64_e32 v[10:11], 0x800, v[10:11]
	s_wait_xcnt 0x0
	v_add_nc_u32_e32 v17, s5, v17
	s_wait_loadcnt 0x0
	v_mul_f16_e32 v18, v18, v19
	s_delay_alu instid0(VALU_DEP_1) | instskip(NEXT) | instid1(VALU_DEP_1)
	v_cvt_f32_f16_e32 v18, v18
	v_dual_add_f32 v15, v15, v18 :: v_dual_add_nc_u32 v16, 0x400, v16
	s_delay_alu instid0(VALU_DEP_1) | instskip(SKIP_1) | instid1(SALU_CYCLE_1)
	v_cmp_le_i32_e32 vcc_lo, s14, v16
	s_or_b32 s37, vcc_lo, s37
	s_and_not1_b32 exec_lo, exec_lo, s37
	s_cbranch_execnz .LBB422_23
; %bb.24:                               ;   in Loop: Header=BB422_4 Depth=1
	s_or_b32 exec_lo, exec_lo, s37
	s_delay_alu instid0(SALU_CYCLE_1)
	s_or_b32 exec_lo, exec_lo, s36
	s_and_saveexec_b32 s36, s4
	s_cbranch_execz .LBB422_15
.LBB422_25:                             ;   in Loop: Header=BB422_4 Depth=1
	s_mul_u64 s[38:39], s[8:9], s[24:25]
	s_wait_dscnt 0x0
	v_lshl_add_u64 v[16:17], v[4:5], 1, s[28:29]
	v_lshl_add_u64 v[10:11], s[38:39], 1, v[6:7]
	s_delay_alu instid0(VALU_DEP_1)
	v_lshl_add_u64 v[10:11], s[14:15], 1, v[10:11]
	global_load_u16 v18, v[10:11], off
	global_load_u16 v19, v[16:17], off
	s_wait_loadcnt 0x0
	s_wait_xcnt 0x1
	v_mul_f16_e32 v10, v18, v19
	s_delay_alu instid0(VALU_DEP_1) | instskip(NEXT) | instid1(VALU_DEP_1)
	v_cvt_f32_f16_e32 v10, v10
	v_add_f32_e32 v15, v15, v10
	s_wait_xcnt 0x0
	s_or_b32 exec_lo, exec_lo, s36
	s_and_saveexec_b32 s28, s1
	s_cbranch_execnz .LBB422_16
	s_branch .LBB422_17
.LBB422_26:                             ;   in Loop: Header=BB422_4 Depth=1
	ds_load_b32 v17, v12
	s_or_b32 exec_lo, exec_lo, s28
	s_and_saveexec_b32 s28, s1
	s_cbranch_execz .LBB422_21
.LBB422_27:                             ;   in Loop: Header=BB422_4 Depth=1
	s_wait_dscnt 0x0
	ds_bpermute_b32 v18, v2, v17
	s_wait_dscnt 0x0
	v_add_f32_e32 v17, v17, v18
	ds_bpermute_b32 v10, v10, v17
	s_wait_dscnt 0x0
	v_add_f32_e32 v10, v17, v10
	;; [unrolled: 3-line block ×5, first 2 shown]
	s_or_b32 exec_lo, exec_lo, s28
                                        ; implicit-def: $vgpr10
	s_and_saveexec_b32 s28, s0
	s_cbranch_execz .LBB422_31
.LBB422_28:                             ;   in Loop: Header=BB422_4 Depth=1
	s_wait_dscnt 0x0
	v_mul_f32_e32 v10, s30, v17
	s_and_not1_b32 vcc_lo, exec_lo, s34
	s_cbranch_vccnz .LBB422_30
; %bb.29:                               ;   in Loop: Header=BB422_4 Depth=1
	s_add_nc_u64 s[36:37], s[26:27], s[22:23]
	global_load_u16 v11, v3, s[36:37]
	s_wait_loadcnt 0x0
	v_fma_mix_f32 v10, s18, v11, v10 op_sel_hi:[0,1,0]
.LBB422_30:                             ;   in Loop: Header=BB422_4 Depth=1
	s_delay_alu instid0(VALU_DEP_1)
	v_cvt_f16_f32_e32 v10, v10
	s_or_b32 s35, s35, exec_lo
.LBB422_31:                             ;   in Loop: Header=BB422_4 Depth=1
	s_wait_xcnt 0x0
	s_or_b32 exec_lo, exec_lo, s28
.LBB422_32:                             ;   in Loop: Header=BB422_4 Depth=1
	s_and_saveexec_b32 s28, s35
	s_cbranch_execz .LBB422_2
; %bb.33:                               ;   in Loop: Header=BB422_4 Depth=1
	s_add_nc_u64 s[26:27], s[26:27], s[22:23]
	global_store_b16 v3, v10, s[26:27]
	s_branch .LBB422_2
.LBB422_34:
	s_endpgm
	.section	.rodata,"a",@progbits
	.p2align	6, 0x0
	.amdhsa_kernel _ZL32rocblas_gemvt_warp_reduce_kernelILb1ELi1024EiDF16_fDF16_EviiT3_lPKT2_lT1_lS3_lS4_lS0_lPT4_lS4_li
		.amdhsa_group_segment_fixed_size 128
		.amdhsa_private_segment_fixed_size 0
		.amdhsa_kernarg_size 140
		.amdhsa_user_sgpr_count 2
		.amdhsa_user_sgpr_dispatch_ptr 0
		.amdhsa_user_sgpr_queue_ptr 0
		.amdhsa_user_sgpr_kernarg_segment_ptr 1
		.amdhsa_user_sgpr_dispatch_id 0
		.amdhsa_user_sgpr_kernarg_preload_length 0
		.amdhsa_user_sgpr_kernarg_preload_offset 0
		.amdhsa_user_sgpr_private_segment_size 0
		.amdhsa_wavefront_size32 1
		.amdhsa_uses_dynamic_stack 0
		.amdhsa_enable_private_segment 0
		.amdhsa_system_sgpr_workgroup_id_x 1
		.amdhsa_system_sgpr_workgroup_id_y 0
		.amdhsa_system_sgpr_workgroup_id_z 1
		.amdhsa_system_sgpr_workgroup_info 0
		.amdhsa_system_vgpr_workitem_id 0
		.amdhsa_next_free_vgpr 20
		.amdhsa_next_free_sgpr 40
		.amdhsa_named_barrier_count 0
		.amdhsa_reserve_vcc 1
		.amdhsa_float_round_mode_32 0
		.amdhsa_float_round_mode_16_64 0
		.amdhsa_float_denorm_mode_32 3
		.amdhsa_float_denorm_mode_16_64 3
		.amdhsa_fp16_overflow 0
		.amdhsa_memory_ordered 1
		.amdhsa_forward_progress 1
		.amdhsa_inst_pref_size 12
		.amdhsa_round_robin_scheduling 0
		.amdhsa_exception_fp_ieee_invalid_op 0
		.amdhsa_exception_fp_denorm_src 0
		.amdhsa_exception_fp_ieee_div_zero 0
		.amdhsa_exception_fp_ieee_overflow 0
		.amdhsa_exception_fp_ieee_underflow 0
		.amdhsa_exception_fp_ieee_inexact 0
		.amdhsa_exception_int_div_zero 0
	.end_amdhsa_kernel
	.section	.text._ZL32rocblas_gemvt_warp_reduce_kernelILb1ELi1024EiDF16_fDF16_EviiT3_lPKT2_lT1_lS3_lS4_lS0_lPT4_lS4_li,"axG",@progbits,_ZL32rocblas_gemvt_warp_reduce_kernelILb1ELi1024EiDF16_fDF16_EviiT3_lPKT2_lT1_lS3_lS4_lS0_lPT4_lS4_li,comdat
.Lfunc_end422:
	.size	_ZL32rocblas_gemvt_warp_reduce_kernelILb1ELi1024EiDF16_fDF16_EviiT3_lPKT2_lT1_lS3_lS4_lS0_lPT4_lS4_li, .Lfunc_end422-_ZL32rocblas_gemvt_warp_reduce_kernelILb1ELi1024EiDF16_fDF16_EviiT3_lPKT2_lT1_lS3_lS4_lS0_lPT4_lS4_li
                                        ; -- End function
	.set _ZL32rocblas_gemvt_warp_reduce_kernelILb1ELi1024EiDF16_fDF16_EviiT3_lPKT2_lT1_lS3_lS4_lS0_lPT4_lS4_li.num_vgpr, 20
	.set _ZL32rocblas_gemvt_warp_reduce_kernelILb1ELi1024EiDF16_fDF16_EviiT3_lPKT2_lT1_lS3_lS4_lS0_lPT4_lS4_li.num_agpr, 0
	.set _ZL32rocblas_gemvt_warp_reduce_kernelILb1ELi1024EiDF16_fDF16_EviiT3_lPKT2_lT1_lS3_lS4_lS0_lPT4_lS4_li.numbered_sgpr, 40
	.set _ZL32rocblas_gemvt_warp_reduce_kernelILb1ELi1024EiDF16_fDF16_EviiT3_lPKT2_lT1_lS3_lS4_lS0_lPT4_lS4_li.num_named_barrier, 0
	.set _ZL32rocblas_gemvt_warp_reduce_kernelILb1ELi1024EiDF16_fDF16_EviiT3_lPKT2_lT1_lS3_lS4_lS0_lPT4_lS4_li.private_seg_size, 0
	.set _ZL32rocblas_gemvt_warp_reduce_kernelILb1ELi1024EiDF16_fDF16_EviiT3_lPKT2_lT1_lS3_lS4_lS0_lPT4_lS4_li.uses_vcc, 1
	.set _ZL32rocblas_gemvt_warp_reduce_kernelILb1ELi1024EiDF16_fDF16_EviiT3_lPKT2_lT1_lS3_lS4_lS0_lPT4_lS4_li.uses_flat_scratch, 0
	.set _ZL32rocblas_gemvt_warp_reduce_kernelILb1ELi1024EiDF16_fDF16_EviiT3_lPKT2_lT1_lS3_lS4_lS0_lPT4_lS4_li.has_dyn_sized_stack, 0
	.set _ZL32rocblas_gemvt_warp_reduce_kernelILb1ELi1024EiDF16_fDF16_EviiT3_lPKT2_lT1_lS3_lS4_lS0_lPT4_lS4_li.has_recursion, 0
	.set _ZL32rocblas_gemvt_warp_reduce_kernelILb1ELi1024EiDF16_fDF16_EviiT3_lPKT2_lT1_lS3_lS4_lS0_lPT4_lS4_li.has_indirect_call, 0
	.section	.AMDGPU.csdata,"",@progbits
; Kernel info:
; codeLenInByte = 1436
; TotalNumSgprs: 42
; NumVgprs: 20
; ScratchSize: 0
; MemoryBound: 0
; FloatMode: 240
; IeeeMode: 1
; LDSByteSize: 128 bytes/workgroup (compile time only)
; SGPRBlocks: 0
; VGPRBlocks: 1
; NumSGPRsForWavesPerEU: 42
; NumVGPRsForWavesPerEU: 20
; NamedBarCnt: 0
; Occupancy: 16
; WaveLimiterHint : 0
; COMPUTE_PGM_RSRC2:SCRATCH_EN: 0
; COMPUTE_PGM_RSRC2:USER_SGPR: 2
; COMPUTE_PGM_RSRC2:TRAP_HANDLER: 0
; COMPUTE_PGM_RSRC2:TGID_X_EN: 1
; COMPUTE_PGM_RSRC2:TGID_Y_EN: 0
; COMPUTE_PGM_RSRC2:TGID_Z_EN: 1
; COMPUTE_PGM_RSRC2:TIDIG_COMP_CNT: 0
	.section	.text._ZL32rocblas_gemvt_warp_reduce_kernelILb1ELi1024ElDF16_fDF16_EviiT3_lPKT2_lT1_lS3_lS4_lS0_lPT4_lS4_li,"axG",@progbits,_ZL32rocblas_gemvt_warp_reduce_kernelILb1ELi1024ElDF16_fDF16_EviiT3_lPKT2_lT1_lS3_lS4_lS0_lPT4_lS4_li,comdat
	.globl	_ZL32rocblas_gemvt_warp_reduce_kernelILb1ELi1024ElDF16_fDF16_EviiT3_lPKT2_lT1_lS3_lS4_lS0_lPT4_lS4_li ; -- Begin function _ZL32rocblas_gemvt_warp_reduce_kernelILb1ELi1024ElDF16_fDF16_EviiT3_lPKT2_lT1_lS3_lS4_lS0_lPT4_lS4_li
	.p2align	8
	.type	_ZL32rocblas_gemvt_warp_reduce_kernelILb1ELi1024ElDF16_fDF16_EviiT3_lPKT2_lT1_lS3_lS4_lS0_lPT4_lS4_li,@function
_ZL32rocblas_gemvt_warp_reduce_kernelILb1ELi1024ElDF16_fDF16_EviiT3_lPKT2_lT1_lS3_lS4_lS0_lPT4_lS4_li: ; @_ZL32rocblas_gemvt_warp_reduce_kernelILb1ELi1024ElDF16_fDF16_EviiT3_lPKT2_lT1_lS3_lS4_lS0_lPT4_lS4_li
; %bb.0:
	s_load_b32 s5, s[0:1], 0x88
	s_bfe_u32 s2, ttmp6, 0x40014
	s_lshr_b32 s3, ttmp7, 16
	s_add_co_i32 s2, s2, 1
	s_bfe_u32 s6, ttmp6, 0x40008
	s_mul_i32 s4, s3, s2
	s_getreg_b32 s2, hwreg(HW_REG_IB_STS2, 6, 4)
	s_add_co_i32 s6, s6, s4
	s_cmp_eq_u32 s2, 0
	s_mov_b32 s7, 0
	s_cselect_b32 s6, s3, s6
	s_wait_kmcnt 0x0
	s_cmp_ge_u32 s6, s5
	s_cbranch_scc1 .LBB423_34
; %bb.1:
	s_clause 0x4
	s_load_b512 s[8:23], s[0:1], 0x18
	s_load_b256 s[24:31], s[0:1], 0x68
	s_load_b32 s33, s[0:1], 0x8
	s_load_b32 s34, s[0:1], 0x58
	;; [unrolled: 1-line block ×3, first 2 shown]
	s_wait_kmcnt 0x0
	s_lshl_b64 s[18:19], s[18:19], 1
	s_lshl_b64 s[26:27], s[26:27], 1
	;; [unrolled: 1-line block ×3, first 2 shown]
	s_cmp_eq_f32 s33, 0
	v_cmp_gt_i32_e32 vcc_lo, s4, v0
	v_mov_b32_e32 v3, 0
	s_add_nc_u64 s[16:17], s[16:17], s[18:19]
	s_cselect_b32 s35, -1, 0
	s_cmp_neq_f32 s33, 0
	v_cndmask_b32_e32 v2, 0, v0, vcc_lo
	s_add_nc_u64 s[18:19], s[24:25], s[26:27]
	s_cselect_b32 s3, -1, 0
	s_cmp_neq_f32 s34, 1.0
	s_delay_alu instid0(VALU_DEP_1) | instskip(SKIP_1) | instid1(SALU_CYCLE_1)
	v_lshlrev_b32_e32 v2, 1, v2
	s_cselect_b32 s0, -1, 0
	s_or_b32 s36, s3, s0
	s_cmp_neq_f32 s34, 0
	s_cselect_b32 s37, -1, 0
	s_bfe_u32 s0, ttmp6, 0x4000c
	s_and_b32 s1, ttmp6, 15
	s_add_co_i32 s0, s0, 1
	s_delay_alu instid0(SALU_CYCLE_1) | instskip(NEXT) | instid1(SALU_CYCLE_1)
	s_mul_i32 s0, ttmp9, s0
	s_add_co_i32 s1, s1, s0
	s_cmp_eq_u32 s2, 0
	s_cselect_b32 s2, ttmp9, s1
	s_ashr_i32 s0, s4, 31
	s_ashr_i32 s3, s2, 31
	s_lshr_b32 s0, s0, 22
	s_mul_u64 s[12:13], s[12:13], s[2:3]
	s_add_co_i32 s0, s4, s0
	s_lshl_b64 s[12:13], s[12:13], 1
	s_and_b32 s10, s0, 0xfffffc00
	s_delay_alu instid0(SALU_CYCLE_1) | instskip(SKIP_3) | instid1(VALU_DEP_2)
	v_dual_mov_b32 v1, v3 :: v_dual_bitop2_b32 v8, s10, v0 bitop3:0x54
	s_add_nc_u64 s[0:1], s[8:9], s[38:39]
	s_mul_u64 s[24:25], s[28:29], s[2:3]
	v_cmp_gt_u32_e64 s3, 32, v0
	v_mul_u64_e32 v[10:11], s[20:21], v[0:1]
	v_ashrrev_i32_e32 v9, 31, v8
	v_add_nc_u64_e32 v[6:7], s[0:1], v[2:3]
	v_cmp_gt_i32_e64 s2, s4, v8
	v_cmp_eq_u32_e64 s0, 0, v0
	v_cmp_gt_i32_e64 s1, s10, v0
	v_mul_u64_e32 v[4:5], s[20:21], v[8:9]
	v_dual_lshrrev_b32 v8, 3, v0 :: v_dual_bitop2_b32 v9, 31, v0 bitop3:0x40
	v_add_nc_u64_e32 v[6:7], s[12:13], v[6:7]
	s_add_nc_u64 s[12:13], s[12:13], s[38:39]
	s_ashr_i32 s11, s10, 31
	s_add_nc_u64 s[8:9], s[8:9], s[12:13]
	v_lshlrev_b32_e32 v1, 2, v9
	v_cmp_eq_u32_e64 s4, 0, v9
	v_and_b32_e32 v16, 0x7c, v8
	v_add_nc_u64_e32 v[8:9], s[8:9], v[2:3]
	v_mbcnt_lo_u32_b32 v2, -1, 0
	s_lshl_b64 s[8:9], s[14:15], 1
	s_lshl_b64 s[12:13], s[22:23], 1
	s_lshl_b64 s[20:21], s[20:21], 11
	s_lshl_b64 s[24:25], s[24:25], 1
	v_lshl_or_b32 v17, v2, 2, 64
	v_lshl_add_u64 v[10:11], v[10:11], 1, s[16:17]
	s_branch .LBB423_4
.LBB423_2:                              ;   in Loop: Header=BB423_4 Depth=1
	s_wait_xcnt 0x0
	s_or_b32 exec_lo, exec_lo, s29
.LBB423_3:                              ;   in Loop: Header=BB423_4 Depth=1
	s_add_co_i32 s6, s6, 0x10000
	s_delay_alu instid0(SALU_CYCLE_1)
	s_cmp_lt_u32 s6, s5
	s_cbranch_scc0 .LBB423_34
.LBB423_4:                              ; =>This Loop Header: Depth=1
                                        ;     Child Loop BB423_23 Depth 2
	s_and_not1_b32 vcc_lo, exec_lo, s36
	s_cbranch_vccnz .LBB423_3
; %bb.5:                                ;   in Loop: Header=BB423_4 Depth=1
	s_mul_u64 s[26:27], s[30:31], s[6:7]
	s_and_not1_b32 vcc_lo, exec_lo, s35
	s_lshl_b64 s[26:27], s[26:27], 1
	s_delay_alu instid0(SALU_CYCLE_1)
	s_add_nc_u64 s[26:27], s[18:19], s[26:27]
	s_cbranch_vccnz .LBB423_9
; %bb.6:                                ;   in Loop: Header=BB423_4 Depth=1
	s_mov_b32 s29, 0
	s_mov_b32 s28, 0
                                        ; implicit-def: $vgpr12
	s_and_saveexec_b32 s38, s0
	s_cbranch_execz .LBB423_10
; %bb.7:                                ;   in Loop: Header=BB423_4 Depth=1
	s_and_not1_b32 vcc_lo, exec_lo, s37
	s_cbranch_vccnz .LBB423_11
; %bb.8:                                ;   in Loop: Header=BB423_4 Depth=1
	s_add_nc_u64 s[40:41], s[26:27], s[24:25]
	global_load_u16 v12, v3, s[40:41]
	s_wait_loadcnt 0x0
	v_fma_mixlo_f16 v12, s34, v12, 0 op_sel_hi:[0,1,0]
	s_branch .LBB423_12
.LBB423_9:                              ;   in Loop: Header=BB423_4 Depth=1
	s_mov_b32 s28, 0
                                        ; implicit-def: $vgpr12
	s_cbranch_execnz .LBB423_13
	s_branch .LBB423_32
.LBB423_10:                             ;   in Loop: Header=BB423_4 Depth=1
	s_or_b32 exec_lo, exec_lo, s38
	s_delay_alu instid0(SALU_CYCLE_1)
	s_and_b32 vcc_lo, exec_lo, s29
	s_cbranch_vccnz .LBB423_13
	s_branch .LBB423_32
.LBB423_11:                             ;   in Loop: Header=BB423_4 Depth=1
	v_mov_b32_e32 v12, 0
.LBB423_12:                             ;   in Loop: Header=BB423_4 Depth=1
	s_mov_b32 s28, exec_lo
	s_wait_xcnt 0x0
	s_or_b32 exec_lo, exec_lo, s38
	s_delay_alu instid0(SALU_CYCLE_1)
	s_and_b32 vcc_lo, exec_lo, s29
	s_cbranch_vccz .LBB423_32
.LBB423_13:                             ;   in Loop: Header=BB423_4 Depth=1
	s_wait_dscnt 0x0
	v_mov_b32_e32 v18, 0
	s_and_saveexec_b32 s29, s1
	s_cbranch_execnz .LBB423_22
; %bb.14:                               ;   in Loop: Header=BB423_4 Depth=1
	s_or_b32 exec_lo, exec_lo, s29
	s_and_saveexec_b32 s29, s2
	s_cbranch_execnz .LBB423_25
.LBB423_15:                             ;   in Loop: Header=BB423_4 Depth=1
	s_or_b32 exec_lo, exec_lo, s29
	s_and_saveexec_b32 s29, s3
.LBB423_16:                             ;   in Loop: Header=BB423_4 Depth=1
	ds_store_b32 v1, v3
.LBB423_17:                             ;   in Loop: Header=BB423_4 Depth=1
	s_or_b32 exec_lo, exec_lo, s29
	ds_bpermute_b32 v13, v17, v18
	v_cmp_gt_u32_e32 vcc_lo, 24, v2
	s_wait_dscnt 0x0
	s_barrier_signal -1
	s_barrier_wait -1
	v_cndmask_b32_e64 v12, 0, 8, vcc_lo
	v_cmp_gt_u32_e32 vcc_lo, 28, v2
	s_delay_alu instid0(VALU_DEP_2)
	v_add_lshl_u32 v12, v12, v2, 2
	v_add_f32_e32 v14, v18, v13
	v_cndmask_b32_e64 v13, 0, 4, vcc_lo
	v_cmp_gt_u32_e32 vcc_lo, 30, v2
	ds_bpermute_b32 v15, v12, v14
	v_add_lshl_u32 v13, v13, v2, 2
	s_wait_dscnt 0x0
	v_add_f32_e32 v15, v14, v15
	v_cndmask_b32_e64 v14, 0, 2, vcc_lo
	v_cmp_ne_u32_e32 vcc_lo, 31, v2
	ds_bpermute_b32 v18, v13, v15
	v_add_lshl_u32 v14, v14, v2, 2
	v_add_co_ci_u32_e64 v19, null, 0, v2, vcc_lo
	s_wait_dscnt 0x0
	v_add_f32_e32 v15, v15, v18
	ds_bpermute_b32 v18, v14, v15
	s_wait_dscnt 0x0
	v_dual_add_f32 v18, v15, v18 :: v_dual_lshlrev_b32 v15, 2, v19
	ds_bpermute_b32 v19, v15, v18
	s_and_saveexec_b32 s29, s4
	s_cbranch_execz .LBB423_19
; %bb.18:                               ;   in Loop: Header=BB423_4 Depth=1
	s_wait_dscnt 0x0
	v_add_f32_e32 v18, v18, v19
	ds_store_b32 v16, v18
.LBB423_19:                             ;   in Loop: Header=BB423_4 Depth=1
	s_or_b32 exec_lo, exec_lo, s29
	v_mov_b32_e32 v18, 0
	s_wait_dscnt 0x0
	s_barrier_signal -1
	s_barrier_wait -1
	s_and_saveexec_b32 s29, s3
	s_cbranch_execnz .LBB423_26
; %bb.20:                               ;   in Loop: Header=BB423_4 Depth=1
	s_or_b32 exec_lo, exec_lo, s29
	s_and_saveexec_b32 s29, s3
	s_cbranch_execnz .LBB423_27
.LBB423_21:                             ;   in Loop: Header=BB423_4 Depth=1
	s_or_b32 exec_lo, exec_lo, s29
                                        ; implicit-def: $vgpr12
	s_and_saveexec_b32 s29, s0
	s_cbranch_execnz .LBB423_28
	s_branch .LBB423_31
.LBB423_22:                             ;   in Loop: Header=BB423_4 Depth=1
	v_mad_nc_u64_u32 v[12:13], s8, s6, v[8:9]
	v_mad_nc_u64_u32 v[14:15], s12, s6, v[10:11]
	v_dual_mov_b32 v18, 0 :: v_dual_mov_b32 v19, v0
	s_mov_b32 s38, 0
	s_delay_alu instid0(VALU_DEP_3) | instskip(NEXT) | instid1(VALU_DEP_3)
	v_mad_u32 v13, s9, s6, v13
	v_mad_u32 v15, s13, s6, v15
.LBB423_23:                             ;   Parent Loop BB423_4 Depth=1
                                        ; =>  This Inner Loop Header: Depth=2
	global_load_u16 v20, v[12:13], off
	global_load_u16 v21, v[14:15], off
	s_wait_xcnt 0x1
	v_add_nc_u64_e32 v[12:13], 0x800, v[12:13]
	s_wait_xcnt 0x0
	v_add_nc_u64_e32 v[14:15], s[20:21], v[14:15]
	s_wait_loadcnt 0x0
	v_mul_f16_e32 v20, v20, v21
	s_delay_alu instid0(VALU_DEP_1) | instskip(NEXT) | instid1(VALU_DEP_1)
	v_cvt_f32_f16_e32 v20, v20
	v_dual_add_f32 v18, v18, v20 :: v_dual_add_nc_u32 v19, 0x400, v19
	s_delay_alu instid0(VALU_DEP_1) | instskip(SKIP_1) | instid1(SALU_CYCLE_1)
	v_cmp_le_i32_e32 vcc_lo, s10, v19
	s_or_b32 s38, vcc_lo, s38
	s_and_not1_b32 exec_lo, exec_lo, s38
	s_cbranch_execnz .LBB423_23
; %bb.24:                               ;   in Loop: Header=BB423_4 Depth=1
	s_or_b32 exec_lo, exec_lo, s38
	s_delay_alu instid0(SALU_CYCLE_1)
	s_or_b32 exec_lo, exec_lo, s29
	s_and_saveexec_b32 s29, s2
	s_cbranch_execz .LBB423_15
.LBB423_25:                             ;   in Loop: Header=BB423_4 Depth=1
	s_mul_u64 s[38:39], s[14:15], s[6:7]
	s_mul_u64 s[40:41], s[22:23], s[6:7]
	v_lshl_add_u64 v[12:13], s[38:39], 1, v[6:7]
	s_lshl_b64 s[38:39], s[40:41], 1
	s_delay_alu instid0(SALU_CYCLE_1) | instskip(NEXT) | instid1(SALU_CYCLE_1)
	s_add_nc_u64 s[38:39], s[16:17], s[38:39]
	v_lshl_add_u64 v[14:15], v[4:5], 1, s[38:39]
	s_delay_alu instid0(VALU_DEP_2)
	v_lshl_add_u64 v[12:13], s[10:11], 1, v[12:13]
	global_load_u16 v19, v[12:13], off
	global_load_u16 v20, v[14:15], off
	s_wait_loadcnt 0x0
	s_wait_xcnt 0x1
	v_mul_f16_e32 v12, v19, v20
	s_delay_alu instid0(VALU_DEP_1) | instskip(NEXT) | instid1(VALU_DEP_1)
	v_cvt_f32_f16_e32 v12, v12
	v_add_f32_e32 v18, v18, v12
	s_wait_xcnt 0x0
	s_or_b32 exec_lo, exec_lo, s29
	s_and_saveexec_b32 s29, s3
	s_cbranch_execnz .LBB423_16
	s_branch .LBB423_17
.LBB423_26:                             ;   in Loop: Header=BB423_4 Depth=1
	ds_load_b32 v18, v1
	s_or_b32 exec_lo, exec_lo, s29
	s_and_saveexec_b32 s29, s3
	s_cbranch_execz .LBB423_21
.LBB423_27:                             ;   in Loop: Header=BB423_4 Depth=1
	s_wait_dscnt 0x0
	ds_bpermute_b32 v19, v17, v18
	s_wait_dscnt 0x0
	v_add_f32_e32 v18, v18, v19
	ds_bpermute_b32 v12, v12, v18
	s_wait_dscnt 0x0
	v_add_f32_e32 v12, v18, v12
	;; [unrolled: 3-line block ×5, first 2 shown]
	s_or_b32 exec_lo, exec_lo, s29
                                        ; implicit-def: $vgpr12
	s_and_saveexec_b32 s29, s0
	s_cbranch_execz .LBB423_31
.LBB423_28:                             ;   in Loop: Header=BB423_4 Depth=1
	s_wait_dscnt 0x0
	v_mul_f32_e32 v12, s33, v18
	s_and_not1_b32 vcc_lo, exec_lo, s37
	s_cbranch_vccnz .LBB423_30
; %bb.29:                               ;   in Loop: Header=BB423_4 Depth=1
	s_add_nc_u64 s[38:39], s[26:27], s[24:25]
	global_load_u16 v13, v3, s[38:39]
	s_wait_loadcnt 0x0
	v_fma_mix_f32 v12, s34, v13, v12 op_sel_hi:[0,1,0]
.LBB423_30:                             ;   in Loop: Header=BB423_4 Depth=1
	s_delay_alu instid0(VALU_DEP_1)
	v_cvt_f16_f32_e32 v12, v12
	s_or_b32 s28, s28, exec_lo
.LBB423_31:                             ;   in Loop: Header=BB423_4 Depth=1
	s_wait_xcnt 0x0
	s_or_b32 exec_lo, exec_lo, s29
.LBB423_32:                             ;   in Loop: Header=BB423_4 Depth=1
	s_and_saveexec_b32 s29, s28
	s_cbranch_execz .LBB423_2
; %bb.33:                               ;   in Loop: Header=BB423_4 Depth=1
	s_add_nc_u64 s[26:27], s[26:27], s[24:25]
	global_store_b16 v3, v12, s[26:27]
	s_branch .LBB423_2
.LBB423_34:
	s_endpgm
	.section	.rodata,"a",@progbits
	.p2align	6, 0x0
	.amdhsa_kernel _ZL32rocblas_gemvt_warp_reduce_kernelILb1ELi1024ElDF16_fDF16_EviiT3_lPKT2_lT1_lS3_lS4_lS0_lPT4_lS4_li
		.amdhsa_group_segment_fixed_size 128
		.amdhsa_private_segment_fixed_size 0
		.amdhsa_kernarg_size 140
		.amdhsa_user_sgpr_count 2
		.amdhsa_user_sgpr_dispatch_ptr 0
		.amdhsa_user_sgpr_queue_ptr 0
		.amdhsa_user_sgpr_kernarg_segment_ptr 1
		.amdhsa_user_sgpr_dispatch_id 0
		.amdhsa_user_sgpr_kernarg_preload_length 0
		.amdhsa_user_sgpr_kernarg_preload_offset 0
		.amdhsa_user_sgpr_private_segment_size 0
		.amdhsa_wavefront_size32 1
		.amdhsa_uses_dynamic_stack 0
		.amdhsa_enable_private_segment 0
		.amdhsa_system_sgpr_workgroup_id_x 1
		.amdhsa_system_sgpr_workgroup_id_y 0
		.amdhsa_system_sgpr_workgroup_id_z 1
		.amdhsa_system_sgpr_workgroup_info 0
		.amdhsa_system_vgpr_workitem_id 0
		.amdhsa_next_free_vgpr 22
		.amdhsa_next_free_sgpr 42
		.amdhsa_named_barrier_count 0
		.amdhsa_reserve_vcc 1
		.amdhsa_float_round_mode_32 0
		.amdhsa_float_round_mode_16_64 0
		.amdhsa_float_denorm_mode_32 3
		.amdhsa_float_denorm_mode_16_64 3
		.amdhsa_fp16_overflow 0
		.amdhsa_memory_ordered 1
		.amdhsa_forward_progress 1
		.amdhsa_inst_pref_size 11
		.amdhsa_round_robin_scheduling 0
		.amdhsa_exception_fp_ieee_invalid_op 0
		.amdhsa_exception_fp_denorm_src 0
		.amdhsa_exception_fp_ieee_div_zero 0
		.amdhsa_exception_fp_ieee_overflow 0
		.amdhsa_exception_fp_ieee_underflow 0
		.amdhsa_exception_fp_ieee_inexact 0
		.amdhsa_exception_int_div_zero 0
	.end_amdhsa_kernel
	.section	.text._ZL32rocblas_gemvt_warp_reduce_kernelILb1ELi1024ElDF16_fDF16_EviiT3_lPKT2_lT1_lS3_lS4_lS0_lPT4_lS4_li,"axG",@progbits,_ZL32rocblas_gemvt_warp_reduce_kernelILb1ELi1024ElDF16_fDF16_EviiT3_lPKT2_lT1_lS3_lS4_lS0_lPT4_lS4_li,comdat
.Lfunc_end423:
	.size	_ZL32rocblas_gemvt_warp_reduce_kernelILb1ELi1024ElDF16_fDF16_EviiT3_lPKT2_lT1_lS3_lS4_lS0_lPT4_lS4_li, .Lfunc_end423-_ZL32rocblas_gemvt_warp_reduce_kernelILb1ELi1024ElDF16_fDF16_EviiT3_lPKT2_lT1_lS3_lS4_lS0_lPT4_lS4_li
                                        ; -- End function
	.set _ZL32rocblas_gemvt_warp_reduce_kernelILb1ELi1024ElDF16_fDF16_EviiT3_lPKT2_lT1_lS3_lS4_lS0_lPT4_lS4_li.num_vgpr, 22
	.set _ZL32rocblas_gemvt_warp_reduce_kernelILb1ELi1024ElDF16_fDF16_EviiT3_lPKT2_lT1_lS3_lS4_lS0_lPT4_lS4_li.num_agpr, 0
	.set _ZL32rocblas_gemvt_warp_reduce_kernelILb1ELi1024ElDF16_fDF16_EviiT3_lPKT2_lT1_lS3_lS4_lS0_lPT4_lS4_li.numbered_sgpr, 42
	.set _ZL32rocblas_gemvt_warp_reduce_kernelILb1ELi1024ElDF16_fDF16_EviiT3_lPKT2_lT1_lS3_lS4_lS0_lPT4_lS4_li.num_named_barrier, 0
	.set _ZL32rocblas_gemvt_warp_reduce_kernelILb1ELi1024ElDF16_fDF16_EviiT3_lPKT2_lT1_lS3_lS4_lS0_lPT4_lS4_li.private_seg_size, 0
	.set _ZL32rocblas_gemvt_warp_reduce_kernelILb1ELi1024ElDF16_fDF16_EviiT3_lPKT2_lT1_lS3_lS4_lS0_lPT4_lS4_li.uses_vcc, 1
	.set _ZL32rocblas_gemvt_warp_reduce_kernelILb1ELi1024ElDF16_fDF16_EviiT3_lPKT2_lT1_lS3_lS4_lS0_lPT4_lS4_li.uses_flat_scratch, 0
	.set _ZL32rocblas_gemvt_warp_reduce_kernelILb1ELi1024ElDF16_fDF16_EviiT3_lPKT2_lT1_lS3_lS4_lS0_lPT4_lS4_li.has_dyn_sized_stack, 0
	.set _ZL32rocblas_gemvt_warp_reduce_kernelILb1ELi1024ElDF16_fDF16_EviiT3_lPKT2_lT1_lS3_lS4_lS0_lPT4_lS4_li.has_recursion, 0
	.set _ZL32rocblas_gemvt_warp_reduce_kernelILb1ELi1024ElDF16_fDF16_EviiT3_lPKT2_lT1_lS3_lS4_lS0_lPT4_lS4_li.has_indirect_call, 0
	.section	.AMDGPU.csdata,"",@progbits
; Kernel info:
; codeLenInByte = 1380
; TotalNumSgprs: 44
; NumVgprs: 22
; ScratchSize: 0
; MemoryBound: 0
; FloatMode: 240
; IeeeMode: 1
; LDSByteSize: 128 bytes/workgroup (compile time only)
; SGPRBlocks: 0
; VGPRBlocks: 1
; NumSGPRsForWavesPerEU: 44
; NumVGPRsForWavesPerEU: 22
; NamedBarCnt: 0
; Occupancy: 16
; WaveLimiterHint : 0
; COMPUTE_PGM_RSRC2:SCRATCH_EN: 0
; COMPUTE_PGM_RSRC2:USER_SGPR: 2
; COMPUTE_PGM_RSRC2:TRAP_HANDLER: 0
; COMPUTE_PGM_RSRC2:TGID_X_EN: 1
; COMPUTE_PGM_RSRC2:TGID_Y_EN: 0
; COMPUTE_PGM_RSRC2:TGID_Z_EN: 1
; COMPUTE_PGM_RSRC2:TIDIG_COMP_CNT: 0
	.section	.text._ZL34rocblas_gemvn_sm_mn_batched_kernelILi32ELi24EPKDF16_PKfKPDF16_EviiT2_lPKT1_lilS9_lilS6_lPT3_lili,"axG",@progbits,_ZL34rocblas_gemvn_sm_mn_batched_kernelILi32ELi24EPKDF16_PKfKPDF16_EviiT2_lPKT1_lilS9_lilS6_lPT3_lili,comdat
	.globl	_ZL34rocblas_gemvn_sm_mn_batched_kernelILi32ELi24EPKDF16_PKfKPDF16_EviiT2_lPKT1_lilS9_lilS6_lPT3_lili ; -- Begin function _ZL34rocblas_gemvn_sm_mn_batched_kernelILi32ELi24EPKDF16_PKfKPDF16_EviiT2_lPKT1_lilS9_lilS6_lPT3_lili
	.p2align	8
	.type	_ZL34rocblas_gemvn_sm_mn_batched_kernelILi32ELi24EPKDF16_PKfKPDF16_EviiT2_lPKT1_lilS9_lilS6_lPT3_lili,@function
_ZL34rocblas_gemvn_sm_mn_batched_kernelILi32ELi24EPKDF16_PKfKPDF16_EviiT2_lPKT1_lilS9_lilS6_lPT3_lili: ; @_ZL34rocblas_gemvn_sm_mn_batched_kernelILi32ELi24EPKDF16_PKfKPDF16_EviiT2_lPKT1_lilS9_lilS6_lPT3_lili
; %bb.0:
	s_endpgm
	.section	.rodata,"a",@progbits
	.p2align	6, 0x0
	.amdhsa_kernel _ZL34rocblas_gemvn_sm_mn_batched_kernelILi32ELi24EPKDF16_PKfKPDF16_EviiT2_lPKT1_lilS9_lilS6_lPT3_lili
		.amdhsa_group_segment_fixed_size 0
		.amdhsa_private_segment_fixed_size 0
		.amdhsa_kernarg_size 140
		.amdhsa_user_sgpr_count 2
		.amdhsa_user_sgpr_dispatch_ptr 0
		.amdhsa_user_sgpr_queue_ptr 0
		.amdhsa_user_sgpr_kernarg_segment_ptr 1
		.amdhsa_user_sgpr_dispatch_id 0
		.amdhsa_user_sgpr_kernarg_preload_length 0
		.amdhsa_user_sgpr_kernarg_preload_offset 0
		.amdhsa_user_sgpr_private_segment_size 0
		.amdhsa_wavefront_size32 1
		.amdhsa_uses_dynamic_stack 0
		.amdhsa_enable_private_segment 0
		.amdhsa_system_sgpr_workgroup_id_x 1
		.amdhsa_system_sgpr_workgroup_id_y 0
		.amdhsa_system_sgpr_workgroup_id_z 0
		.amdhsa_system_sgpr_workgroup_info 0
		.amdhsa_system_vgpr_workitem_id 0
		.amdhsa_next_free_vgpr 1
		.amdhsa_next_free_sgpr 1
		.amdhsa_named_barrier_count 0
		.amdhsa_reserve_vcc 0
		.amdhsa_float_round_mode_32 0
		.amdhsa_float_round_mode_16_64 0
		.amdhsa_float_denorm_mode_32 3
		.amdhsa_float_denorm_mode_16_64 3
		.amdhsa_fp16_overflow 0
		.amdhsa_memory_ordered 1
		.amdhsa_forward_progress 1
		.amdhsa_inst_pref_size 1
		.amdhsa_round_robin_scheduling 0
		.amdhsa_exception_fp_ieee_invalid_op 0
		.amdhsa_exception_fp_denorm_src 0
		.amdhsa_exception_fp_ieee_div_zero 0
		.amdhsa_exception_fp_ieee_overflow 0
		.amdhsa_exception_fp_ieee_underflow 0
		.amdhsa_exception_fp_ieee_inexact 0
		.amdhsa_exception_int_div_zero 0
	.end_amdhsa_kernel
	.section	.text._ZL34rocblas_gemvn_sm_mn_batched_kernelILi32ELi24EPKDF16_PKfKPDF16_EviiT2_lPKT1_lilS9_lilS6_lPT3_lili,"axG",@progbits,_ZL34rocblas_gemvn_sm_mn_batched_kernelILi32ELi24EPKDF16_PKfKPDF16_EviiT2_lPKT1_lilS9_lilS6_lPT3_lili,comdat
.Lfunc_end424:
	.size	_ZL34rocblas_gemvn_sm_mn_batched_kernelILi32ELi24EPKDF16_PKfKPDF16_EviiT2_lPKT1_lilS9_lilS6_lPT3_lili, .Lfunc_end424-_ZL34rocblas_gemvn_sm_mn_batched_kernelILi32ELi24EPKDF16_PKfKPDF16_EviiT2_lPKT1_lilS9_lilS6_lPT3_lili
                                        ; -- End function
	.set _ZL34rocblas_gemvn_sm_mn_batched_kernelILi32ELi24EPKDF16_PKfKPDF16_EviiT2_lPKT1_lilS9_lilS6_lPT3_lili.num_vgpr, 0
	.set _ZL34rocblas_gemvn_sm_mn_batched_kernelILi32ELi24EPKDF16_PKfKPDF16_EviiT2_lPKT1_lilS9_lilS6_lPT3_lili.num_agpr, 0
	.set _ZL34rocblas_gemvn_sm_mn_batched_kernelILi32ELi24EPKDF16_PKfKPDF16_EviiT2_lPKT1_lilS9_lilS6_lPT3_lili.numbered_sgpr, 0
	.set _ZL34rocblas_gemvn_sm_mn_batched_kernelILi32ELi24EPKDF16_PKfKPDF16_EviiT2_lPKT1_lilS9_lilS6_lPT3_lili.num_named_barrier, 0
	.set _ZL34rocblas_gemvn_sm_mn_batched_kernelILi32ELi24EPKDF16_PKfKPDF16_EviiT2_lPKT1_lilS9_lilS6_lPT3_lili.private_seg_size, 0
	.set _ZL34rocblas_gemvn_sm_mn_batched_kernelILi32ELi24EPKDF16_PKfKPDF16_EviiT2_lPKT1_lilS9_lilS6_lPT3_lili.uses_vcc, 0
	.set _ZL34rocblas_gemvn_sm_mn_batched_kernelILi32ELi24EPKDF16_PKfKPDF16_EviiT2_lPKT1_lilS9_lilS6_lPT3_lili.uses_flat_scratch, 0
	.set _ZL34rocblas_gemvn_sm_mn_batched_kernelILi32ELi24EPKDF16_PKfKPDF16_EviiT2_lPKT1_lilS9_lilS6_lPT3_lili.has_dyn_sized_stack, 0
	.set _ZL34rocblas_gemvn_sm_mn_batched_kernelILi32ELi24EPKDF16_PKfKPDF16_EviiT2_lPKT1_lilS9_lilS6_lPT3_lili.has_recursion, 0
	.set _ZL34rocblas_gemvn_sm_mn_batched_kernelILi32ELi24EPKDF16_PKfKPDF16_EviiT2_lPKT1_lilS9_lilS6_lPT3_lili.has_indirect_call, 0
	.section	.AMDGPU.csdata,"",@progbits
; Kernel info:
; codeLenInByte = 4
; TotalNumSgprs: 0
; NumVgprs: 0
; ScratchSize: 0
; MemoryBound: 0
; FloatMode: 240
; IeeeMode: 1
; LDSByteSize: 0 bytes/workgroup (compile time only)
; SGPRBlocks: 0
; VGPRBlocks: 0
; NumSGPRsForWavesPerEU: 1
; NumVGPRsForWavesPerEU: 1
; NamedBarCnt: 0
; Occupancy: 16
; WaveLimiterHint : 0
; COMPUTE_PGM_RSRC2:SCRATCH_EN: 0
; COMPUTE_PGM_RSRC2:USER_SGPR: 2
; COMPUTE_PGM_RSRC2:TRAP_HANDLER: 0
; COMPUTE_PGM_RSRC2:TGID_X_EN: 1
; COMPUTE_PGM_RSRC2:TGID_Y_EN: 0
; COMPUTE_PGM_RSRC2:TGID_Z_EN: 0
; COMPUTE_PGM_RSRC2:TIDIG_COMP_CNT: 0
	.section	.text._ZL34rocblas_gemvn_sm_mn_batched_kernelILi32ELi24EPKDF16_fKPDF16_EviiT2_lPKT1_lilS7_lilS4_lPT3_lili,"axG",@progbits,_ZL34rocblas_gemvn_sm_mn_batched_kernelILi32ELi24EPKDF16_fKPDF16_EviiT2_lPKT1_lilS7_lilS4_lPT3_lili,comdat
	.globl	_ZL34rocblas_gemvn_sm_mn_batched_kernelILi32ELi24EPKDF16_fKPDF16_EviiT2_lPKT1_lilS7_lilS4_lPT3_lili ; -- Begin function _ZL34rocblas_gemvn_sm_mn_batched_kernelILi32ELi24EPKDF16_fKPDF16_EviiT2_lPKT1_lilS7_lilS4_lPT3_lili
	.p2align	8
	.type	_ZL34rocblas_gemvn_sm_mn_batched_kernelILi32ELi24EPKDF16_fKPDF16_EviiT2_lPKT1_lilS7_lilS4_lPT3_lili,@function
_ZL34rocblas_gemvn_sm_mn_batched_kernelILi32ELi24EPKDF16_fKPDF16_EviiT2_lPKT1_lilS7_lilS4_lPT3_lili: ; @_ZL34rocblas_gemvn_sm_mn_batched_kernelILi32ELi24EPKDF16_fKPDF16_EviiT2_lPKT1_lilS7_lilS4_lPT3_lili
; %bb.0:
	s_endpgm
	.section	.rodata,"a",@progbits
	.p2align	6, 0x0
	.amdhsa_kernel _ZL34rocblas_gemvn_sm_mn_batched_kernelILi32ELi24EPKDF16_fKPDF16_EviiT2_lPKT1_lilS7_lilS4_lPT3_lili
		.amdhsa_group_segment_fixed_size 0
		.amdhsa_private_segment_fixed_size 0
		.amdhsa_kernarg_size 140
		.amdhsa_user_sgpr_count 2
		.amdhsa_user_sgpr_dispatch_ptr 0
		.amdhsa_user_sgpr_queue_ptr 0
		.amdhsa_user_sgpr_kernarg_segment_ptr 1
		.amdhsa_user_sgpr_dispatch_id 0
		.amdhsa_user_sgpr_kernarg_preload_length 0
		.amdhsa_user_sgpr_kernarg_preload_offset 0
		.amdhsa_user_sgpr_private_segment_size 0
		.amdhsa_wavefront_size32 1
		.amdhsa_uses_dynamic_stack 0
		.amdhsa_enable_private_segment 0
		.amdhsa_system_sgpr_workgroup_id_x 1
		.amdhsa_system_sgpr_workgroup_id_y 0
		.amdhsa_system_sgpr_workgroup_id_z 0
		.amdhsa_system_sgpr_workgroup_info 0
		.amdhsa_system_vgpr_workitem_id 0
		.amdhsa_next_free_vgpr 1
		.amdhsa_next_free_sgpr 1
		.amdhsa_named_barrier_count 0
		.amdhsa_reserve_vcc 0
		.amdhsa_float_round_mode_32 0
		.amdhsa_float_round_mode_16_64 0
		.amdhsa_float_denorm_mode_32 3
		.amdhsa_float_denorm_mode_16_64 3
		.amdhsa_fp16_overflow 0
		.amdhsa_memory_ordered 1
		.amdhsa_forward_progress 1
		.amdhsa_inst_pref_size 1
		.amdhsa_round_robin_scheduling 0
		.amdhsa_exception_fp_ieee_invalid_op 0
		.amdhsa_exception_fp_denorm_src 0
		.amdhsa_exception_fp_ieee_div_zero 0
		.amdhsa_exception_fp_ieee_overflow 0
		.amdhsa_exception_fp_ieee_underflow 0
		.amdhsa_exception_fp_ieee_inexact 0
		.amdhsa_exception_int_div_zero 0
	.end_amdhsa_kernel
	.section	.text._ZL34rocblas_gemvn_sm_mn_batched_kernelILi32ELi24EPKDF16_fKPDF16_EviiT2_lPKT1_lilS7_lilS4_lPT3_lili,"axG",@progbits,_ZL34rocblas_gemvn_sm_mn_batched_kernelILi32ELi24EPKDF16_fKPDF16_EviiT2_lPKT1_lilS7_lilS4_lPT3_lili,comdat
.Lfunc_end425:
	.size	_ZL34rocblas_gemvn_sm_mn_batched_kernelILi32ELi24EPKDF16_fKPDF16_EviiT2_lPKT1_lilS7_lilS4_lPT3_lili, .Lfunc_end425-_ZL34rocblas_gemvn_sm_mn_batched_kernelILi32ELi24EPKDF16_fKPDF16_EviiT2_lPKT1_lilS7_lilS4_lPT3_lili
                                        ; -- End function
	.set _ZL34rocblas_gemvn_sm_mn_batched_kernelILi32ELi24EPKDF16_fKPDF16_EviiT2_lPKT1_lilS7_lilS4_lPT3_lili.num_vgpr, 0
	.set _ZL34rocblas_gemvn_sm_mn_batched_kernelILi32ELi24EPKDF16_fKPDF16_EviiT2_lPKT1_lilS7_lilS4_lPT3_lili.num_agpr, 0
	.set _ZL34rocblas_gemvn_sm_mn_batched_kernelILi32ELi24EPKDF16_fKPDF16_EviiT2_lPKT1_lilS7_lilS4_lPT3_lili.numbered_sgpr, 0
	.set _ZL34rocblas_gemvn_sm_mn_batched_kernelILi32ELi24EPKDF16_fKPDF16_EviiT2_lPKT1_lilS7_lilS4_lPT3_lili.num_named_barrier, 0
	.set _ZL34rocblas_gemvn_sm_mn_batched_kernelILi32ELi24EPKDF16_fKPDF16_EviiT2_lPKT1_lilS7_lilS4_lPT3_lili.private_seg_size, 0
	.set _ZL34rocblas_gemvn_sm_mn_batched_kernelILi32ELi24EPKDF16_fKPDF16_EviiT2_lPKT1_lilS7_lilS4_lPT3_lili.uses_vcc, 0
	.set _ZL34rocblas_gemvn_sm_mn_batched_kernelILi32ELi24EPKDF16_fKPDF16_EviiT2_lPKT1_lilS7_lilS4_lPT3_lili.uses_flat_scratch, 0
	.set _ZL34rocblas_gemvn_sm_mn_batched_kernelILi32ELi24EPKDF16_fKPDF16_EviiT2_lPKT1_lilS7_lilS4_lPT3_lili.has_dyn_sized_stack, 0
	.set _ZL34rocblas_gemvn_sm_mn_batched_kernelILi32ELi24EPKDF16_fKPDF16_EviiT2_lPKT1_lilS7_lilS4_lPT3_lili.has_recursion, 0
	.set _ZL34rocblas_gemvn_sm_mn_batched_kernelILi32ELi24EPKDF16_fKPDF16_EviiT2_lPKT1_lilS7_lilS4_lPT3_lili.has_indirect_call, 0
	.section	.AMDGPU.csdata,"",@progbits
; Kernel info:
; codeLenInByte = 4
; TotalNumSgprs: 0
; NumVgprs: 0
; ScratchSize: 0
; MemoryBound: 0
; FloatMode: 240
; IeeeMode: 1
; LDSByteSize: 0 bytes/workgroup (compile time only)
; SGPRBlocks: 0
; VGPRBlocks: 0
; NumSGPRsForWavesPerEU: 1
; NumVGPRsForWavesPerEU: 1
; NamedBarCnt: 0
; Occupancy: 16
; WaveLimiterHint : 0
; COMPUTE_PGM_RSRC2:SCRATCH_EN: 0
; COMPUTE_PGM_RSRC2:USER_SGPR: 2
; COMPUTE_PGM_RSRC2:TRAP_HANDLER: 0
; COMPUTE_PGM_RSRC2:TGID_X_EN: 1
; COMPUTE_PGM_RSRC2:TGID_Y_EN: 0
; COMPUTE_PGM_RSRC2:TGID_Z_EN: 0
; COMPUTE_PGM_RSRC2:TIDIG_COMP_CNT: 0
	.section	.text._ZL20rocblas_gemvn_kernelILi64ELi4EiPKDF16_PKfKPDF16_EviiT3_lPKT2_lT1_lS9_lSA_lS6_lPT4_lSA_li,"axG",@progbits,_ZL20rocblas_gemvn_kernelILi64ELi4EiPKDF16_PKfKPDF16_EviiT3_lPKT2_lT1_lS9_lSA_lS6_lPT4_lSA_li,comdat
	.globl	_ZL20rocblas_gemvn_kernelILi64ELi4EiPKDF16_PKfKPDF16_EviiT3_lPKT2_lT1_lS9_lSA_lS6_lPT4_lSA_li ; -- Begin function _ZL20rocblas_gemvn_kernelILi64ELi4EiPKDF16_PKfKPDF16_EviiT3_lPKT2_lT1_lS9_lSA_lS6_lPT4_lSA_li
	.p2align	8
	.type	_ZL20rocblas_gemvn_kernelILi64ELi4EiPKDF16_PKfKPDF16_EviiT3_lPKT2_lT1_lS9_lSA_lS6_lPT4_lSA_li,@function
_ZL20rocblas_gemvn_kernelILi64ELi4EiPKDF16_PKfKPDF16_EviiT3_lPKT2_lT1_lS9_lSA_lS6_lPT4_lSA_li: ; @_ZL20rocblas_gemvn_kernelILi64ELi4EiPKDF16_PKfKPDF16_EviiT3_lPKT2_lT1_lS9_lSA_lS6_lPT4_lSA_li
; %bb.0:
	s_clause 0x1
	s_load_b64 s[4:5], s[0:1], 0x9c
	s_load_b32 s33, s[0:1], 0x88
	s_bfe_u32 s2, ttmp6, 0x40014
	s_lshr_b32 s3, ttmp7, 16
	s_add_co_i32 s2, s2, 1
	s_bfe_u32 s6, ttmp6, 0x40008
	s_mul_i32 s7, s3, s2
	s_getreg_b32 s2, hwreg(HW_REG_IB_STS2, 6, 4)
	s_add_co_i32 s6, s6, s7
	s_mov_b32 s11, 0
	s_wait_kmcnt 0x0
	s_lshr_b32 s7, s4, 16
	s_and_b32 s4, s4, 0xffff
	s_and_b32 s5, s5, 0xffff
	s_mul_i32 s4, s7, s4
	s_cmp_eq_u32 s2, 0
	s_mul_i32 s4, s4, s5
	s_cselect_b32 s10, s3, s6
	s_cmp_lg_u32 s4, 0x100
	s_cselect_b32 s3, -1, 0
	s_cmp_ge_u32 s10, s33
	s_cselect_b32 s4, -1, 0
	s_delay_alu instid0(SALU_CYCLE_1) | instskip(NEXT) | instid1(SALU_CYCLE_1)
	s_or_b32 s3, s3, s4
	s_and_b32 vcc_lo, exec_lo, s3
	s_cbranch_vccnz .LBB426_56
; %bb.1:
	s_clause 0x6
	s_load_b32 s4, s[0:1], 0x78
	s_load_b64 s[8:9], s[0:1], 0x0
	s_load_b256 s[12:19], s[0:1], 0x8
	s_load_b32 s34, s[0:1], 0x28
	s_load_b128 s[28:31], s[0:1], 0x38
	s_load_b32 s35, s[0:1], 0x48
	s_load_b256 s[20:27], s[0:1], 0x58
	s_wait_xcnt 0x0
	s_bfe_u32 s0, ttmp6, 0x4000c
	v_and_b32_e32 v6, 0x3ff, v0
	s_add_co_i32 s0, s0, 1
	v_bfe_u32 v7, v0, 10, 10
	s_and_b32 s1, ttmp6, 15
	s_mul_i32 s0, ttmp9, s0
	v_mov_b32_e32 v1, 0
	s_add_co_i32 s1, s1, s0
	v_lshl_add_u32 v5, v7, 6, v6
	v_lshlrev_b32_e32 v22, 2, v7
	s_wait_kmcnt 0x0
	s_ashr_i32 s5, s4, 31
	s_cmp_eq_u32 s2, 0
	s_mov_b32 s2, s8
	s_cselect_b32 s0, ttmp9, s1
	s_ashr_i32 s3, s8, 31
	s_lshl_b32 s36, s0, 8
	s_ashr_i32 s1, s9, 31
	v_dual_add_nc_u32 v0, s36, v5 :: v_dual_bitop2_b32 v23, s36, v6 bitop3:0x54
	v_or_b32_e32 v8, s36, v5
	s_lshr_b32 s0, s1, 28
	v_mul_lo_u32 v11, v7, s34
	s_delay_alu instid0(VALU_DEP_3)
	v_cmp_gt_i64_e32 vcc_lo, s[2:3], v[0:1]
	v_add_nc_u32_e32 v4, 64, v23
	v_add_nc_u32_e32 v9, 0x80, v23
	v_mul_u64_e32 v[2:3], s[4:5], v[0:1]
	v_add_nc_u32_e32 v0, 0xc0, v23
	s_add_co_i32 s0, s9, s0
	v_cmp_gt_i32_e64 s2, s8, v4
	v_mul_lo_u32 v4, s4, v8
	v_cmp_gt_i32_e64 s3, s8, v9
	v_lshlrev_b32_e32 v9, 2, v6
	v_cmp_gt_i32_e64 s4, s8, v0
	v_cmp_gt_u32_e64 s5, 0x100, v5
	s_and_b32 s37, s0, -16
	v_or_b32_e32 v10, 3, v22
	s_sub_co_i32 s6, s9, s37
	v_mad_u32 v27, s35, v22, s35
	s_cmp_gt_i32 s6, 0
	v_cmp_gt_i32_e64 s6, s8, v8
	v_ashrrev_i32_e32 v5, 31, v4
	v_lshl_add_u32 v0, v7, 10, v9
	v_lshl_add_u32 v24, v7, 8, v9
	v_mul_lo_u32 v7, v7, s35
	v_mul_lo_u32 v8, s34, v22
	v_or_b32_e32 v9, 2, v22
	v_mad_u32 v26, s34, v10, v6
	v_mul_lo_u32 v29, s35, v10
	v_cmp_gt_i32_e64 s0, s37, v22
	v_cmp_gt_i32_e64 s1, s8, v23
	v_lshl_add_u32 v31, v11, 2, v6
	s_cselect_b32 s38, -1, 0
	s_and_b32 s39, s5, vcc_lo
	s_lshl_b32 s40, s34, 4
	v_lshlrev_b32_e32 v32, 2, v7
	v_mad_u32 v25, s34, v9, v6
	v_mul_lo_u32 v28, s35, v9
	v_add3_u32 v30, v8, s34, v6
	s_lshl_b32 s41, s35, 4
	s_lshl_b64 s[18:19], s[18:19], 1
	s_lshl_b64 s[30:31], s[30:31], 1
	;; [unrolled: 1-line block ×3, first 2 shown]
	s_branch .LBB426_4
.LBB426_2:                              ;   in Loop: Header=BB426_4 Depth=1
	s_wait_xcnt 0x0
	s_or_b32 exec_lo, exec_lo, s7
.LBB426_3:                              ;   in Loop: Header=BB426_4 Depth=1
	s_add_co_i32 s10, s10, 0x10000
	s_delay_alu instid0(SALU_CYCLE_1)
	s_cmp_lt_u32 s10, s33
	s_cbranch_scc0 .LBB426_56
.LBB426_4:                              ; =>This Loop Header: Depth=1
                                        ;     Child Loop BB426_24 Depth 2
	s_mul_u64 s[42:43], s[14:15], s[10:11]
	s_wait_xcnt 0x0
	s_mul_u64 s[44:45], s[22:23], s[10:11]
	s_lshl_b64 s[42:43], s[42:43], 2
	s_lshl_b64 s[44:45], s[44:45], 2
	s_add_nc_u64 s[42:43], s[12:13], s[42:43]
	s_add_nc_u64 s[44:45], s[20:21], s[44:45]
	s_clause 0x1
	global_load_b32 v33, v1, s[42:43]
	global_load_b32 v6, v1, s[44:45]
	s_wait_loadcnt 0x1
	v_cmp_eq_f32_e64 s7, 0, v33
	s_wait_loadcnt 0x0
	v_cmp_eq_f32_e32 vcc_lo, 1.0, v6
	s_wait_xcnt 0x1
	v_readfirstlane_b32 s42, v6
	s_and_b32 s8, s7, vcc_lo
	s_delay_alu instid0(SALU_CYCLE_1)
	s_and_b32 vcc_lo, exec_lo, s8
	s_cbranch_vccnz .LBB426_3
; %bb.5:                                ;   in Loop: Header=BB426_4 Depth=1
	v_mov_b64_e32 v[10:11], 0
	v_mov_b64_e32 v[8:9], 0
	v_cmp_neq_f32_e64 s8, 0, v33
	s_and_b32 vcc_lo, exec_lo, s7
	s_cbranch_vccnz .LBB426_7
; %bb.6:                                ;   in Loop: Header=BB426_4 Depth=1
	s_wait_xcnt 0x0
	s_lshl_b64 s[44:45], s[10:11], 3
	s_delay_alu instid0(SALU_CYCLE_1)
	s_add_nc_u64 s[44:45], s[16:17], s[44:45]
	global_load_b64 v[6:7], v1, s[44:45]
	s_wait_loadcnt 0x0
	v_add_nc_u64_e32 v[8:9], s[18:19], v[6:7]
.LBB426_7:                              ;   in Loop: Header=BB426_4 Depth=1
	s_and_not1_b32 vcc_lo, exec_lo, s8
	s_cbranch_vccnz .LBB426_9
; %bb.8:                                ;   in Loop: Header=BB426_4 Depth=1
	s_wait_xcnt 0x0
	s_lshl_b64 s[44:45], s[10:11], 3
	s_delay_alu instid0(SALU_CYCLE_1)
	s_add_nc_u64 s[44:45], s[28:29], s[44:45]
	global_load_b64 v[6:7], v1, s[44:45]
	s_wait_loadcnt 0x0
	v_add_nc_u64_e32 v[10:11], s[30:31], v[6:7]
.LBB426_9:                              ;   in Loop: Header=BB426_4 Depth=1
	s_wait_xcnt 0x0
	s_lshl_b64 s[44:45], s[10:11], 3
	s_and_not1_b32 vcc_lo, exec_lo, s7
	s_add_nc_u64 s[44:45], s[24:25], s[44:45]
	global_load_b64 v[6:7], v1, s[44:45]
	s_wait_loadcnt 0x0
	v_add_nc_u64_e32 v[6:7], s[26:27], v[6:7]
	s_cbranch_vccnz .LBB426_13
; %bb.10:                               ;   in Loop: Header=BB426_4 Depth=1
	s_mov_b32 s7, 0
	s_mov_b32 s8, 0
                                        ; implicit-def: $vgpr12
	s_wait_xcnt 0x0
	s_and_saveexec_b32 s43, s39
	s_cbranch_execz .LBB426_14
; %bb.11:                               ;   in Loop: Header=BB426_4 Depth=1
	s_cmp_eq_f32 s42, 0
	s_cbranch_scc1 .LBB426_16
; %bb.12:                               ;   in Loop: Header=BB426_4 Depth=1
	v_lshl_add_u64 v[12:13], v[2:3], 1, v[6:7]
	flat_load_u16 v12, v[12:13]
	s_wait_loadcnt_dscnt 0x0
	s_wait_xcnt 0x0
	v_fma_mixlo_f16 v12, s42, v12, 0 op_sel_hi:[0,1,0]
	s_branch .LBB426_17
.LBB426_13:                             ;   in Loop: Header=BB426_4 Depth=1
	s_mov_b32 s8, 0
                                        ; implicit-def: $vgpr12
	s_cbranch_execz .LBB426_15
	s_branch .LBB426_18
.LBB426_14:                             ;   in Loop: Header=BB426_4 Depth=1
	s_or_b32 exec_lo, exec_lo, s43
	s_delay_alu instid0(SALU_CYCLE_1)
	s_and_b32 vcc_lo, exec_lo, s7
	s_cbranch_vccnz .LBB426_18
.LBB426_15:                             ;   in Loop: Header=BB426_4 Depth=1
	v_mov_b64_e32 v[8:9], v[2:3]
	s_wait_xcnt 0x0
	s_and_saveexec_b32 s7, s8
	s_cbranch_execz .LBB426_2
	s_branch .LBB426_55
.LBB426_16:                             ;   in Loop: Header=BB426_4 Depth=1
	v_mov_b32_e32 v12, 0
.LBB426_17:                             ;   in Loop: Header=BB426_4 Depth=1
	s_mov_b32 s8, exec_lo
	s_or_b32 exec_lo, exec_lo, s43
	s_delay_alu instid0(SALU_CYCLE_1)
	s_and_b32 vcc_lo, exec_lo, s7
	s_cbranch_vccz .LBB426_15
.LBB426_18:                             ;   in Loop: Header=BB426_4 Depth=1
	v_dual_mov_b32 v34, 0 :: v_dual_mov_b32 v38, v22
	v_dual_mov_b32 v35, 0 :: v_dual_mov_b32 v36, 0
	v_mov_b32_e32 v37, 0
	s_wait_xcnt 0x0
	s_and_saveexec_b32 s7, s0
	s_cbranch_execz .LBB426_30
; %bb.19:                               ;   in Loop: Header=BB426_4 Depth=1
	v_dual_mov_b32 v34, 0 :: v_dual_mov_b32 v39, v31
	v_dual_mov_b32 v40, v26 :: v_dual_mov_b32 v41, v25
	;; [unrolled: 1-line block ×4, first 2 shown]
	v_mov_b32_e32 v37, 0
	s_mov_b32 s43, 0
	s_mov_b32 s44, 0
	s_branch .LBB426_24
.LBB426_20:                             ;   in Loop: Header=BB426_24 Depth=2
	s_wait_xcnt 0x0
	s_or_b32 exec_lo, exec_lo, s48
	s_wait_loadcnt_dscnt 0x303
	v_fma_mix_f32 v12, v53, v57, v36 op_sel_hi:[0,1,0]
	s_wait_loadcnt_dscnt 0x202
	s_delay_alu instid0(VALU_DEP_1) | instskip(SKIP_1) | instid1(VALU_DEP_1)
	v_fma_mix_f32 v12, v54, v58, v12 op_sel_hi:[0,1,0]
	s_wait_loadcnt_dscnt 0x101
	v_fma_mix_f32 v12, v55, v59, v12 op_sel_hi:[0,1,0]
	s_wait_loadcnt_dscnt 0x0
	s_delay_alu instid0(VALU_DEP_1)
	v_fma_mix_f32 v36, v56, v60, v12 op_sel_hi:[0,1,0]
.LBB426_21:                             ;   in Loop: Header=BB426_24 Depth=2
	s_or_b32 exec_lo, exec_lo, s47
	s_wait_loadcnt_dscnt 0x303
	v_fma_mix_f32 v12, v53, v18, v35 op_sel_hi:[0,1,0]
	s_wait_loadcnt_dscnt 0x202
	s_delay_alu instid0(VALU_DEP_1) | instskip(SKIP_1) | instid1(VALU_DEP_1)
	v_fma_mix_f32 v12, v54, v19, v12 op_sel_hi:[0,1,0]
	s_wait_loadcnt_dscnt 0x101
	v_fma_mix_f32 v12, v55, v51, v12 op_sel_hi:[0,1,0]
	s_wait_loadcnt_dscnt 0x0
	s_delay_alu instid0(VALU_DEP_1)
	v_fma_mix_f32 v35, v56, v52, v12 op_sel_hi:[0,1,0]
.LBB426_22:                             ;   in Loop: Header=BB426_24 Depth=2
	s_or_b32 exec_lo, exec_lo, s46
	s_wait_loadcnt_dscnt 0x303
	v_fma_mix_f32 v12, v43, v47, v34 op_sel_hi:[1,1,0]
	s_wait_loadcnt_dscnt 0x202
	s_delay_alu instid0(VALU_DEP_1) | instskip(SKIP_1) | instid1(VALU_DEP_1)
	v_fma_mix_f32 v12, v44, v48, v12 op_sel_hi:[1,1,0]
	s_wait_loadcnt_dscnt 0x101
	v_fma_mix_f32 v12, v45, v49, v12 op_sel_hi:[1,1,0]
	s_wait_loadcnt_dscnt 0x0
	s_delay_alu instid0(VALU_DEP_1)
	v_fma_mix_f32 v34, v46, v50, v12 op_sel_hi:[1,1,0]
.LBB426_23:                             ;   in Loop: Header=BB426_24 Depth=2
	s_or_b32 exec_lo, exec_lo, s45
	v_dual_add_nc_u32 v38, 16, v38 :: v_dual_add_nc_u32 v41, s40, v41
	v_dual_add_nc_u32 v42, s40, v42 :: v_dual_add_nc_u32 v40, s40, v40
	v_add_nc_u32_e32 v39, s40, v39
	s_delay_alu instid0(VALU_DEP_3) | instskip(SKIP_2) | instid1(SALU_CYCLE_1)
	v_cmp_le_i32_e32 vcc_lo, s37, v38
	s_add_co_i32 s44, s44, s41
	s_or_b32 s43, vcc_lo, s43
	s_and_not1_b32 exec_lo, exec_lo, s43
	s_cbranch_execz .LBB426_29
.LBB426_24:                             ;   Parent Loop BB426_4 Depth=1
                                        ; =>  This Inner Loop Header: Depth=2
	s_and_saveexec_b32 s45, s1
	s_cbranch_execz .LBB426_23
; %bb.25:                               ;   in Loop: Header=BB426_24 Depth=2
	v_dual_add_nc_u32 v13, s44, v32 :: v_dual_add_nc_u32 v15, s44, v27
	v_readfirstlane_b32 s46, v10
	v_readfirstlane_b32 s47, v11
	v_dual_add_nc_u32 v17, s44, v28 :: v_dual_add_nc_u32 v19, s44, v29
	v_dual_add_nc_u32 v12, s36, v39 :: v_dual_add_nc_u32 v14, s36, v42
	v_readfirstlane_b32 s48, v8
	v_readfirstlane_b32 s49, v9
	v_dual_add_nc_u32 v18, s36, v41 :: v_dual_add_nc_u32 v16, s36, v40
	s_clause 0x3
	flat_load_u16 v43, v13, s[46:47] scale_offset
	flat_load_u16 v44, v15, s[46:47] scale_offset
	;; [unrolled: 1-line block ×4, first 2 shown]
	s_clause 0x3
	flat_load_u16 v47, v12, s[48:49] scale_offset
	flat_load_u16 v48, v14, s[48:49] scale_offset
	;; [unrolled: 1-line block ×4, first 2 shown]
	s_wait_xcnt 0x0
	s_and_saveexec_b32 s46, s2
	s_cbranch_execz .LBB426_22
; %bb.26:                               ;   in Loop: Header=BB426_24 Depth=2
	v_dual_ashrrev_i32 v13, 31, v12 :: v_dual_ashrrev_i32 v15, 31, v14
	v_dual_ashrrev_i32 v19, 31, v18 :: v_dual_ashrrev_i32 v17, 31, v16
	s_wait_loadcnt_dscnt 0x707
	v_cvt_f32_f16_e32 v53, v43
	s_delay_alu instid0(VALU_DEP_3)
	v_lshl_add_u64 v[20:21], v[12:13], 1, v[8:9]
	v_lshl_add_u64 v[12:13], v[14:15], 1, v[8:9]
	;; [unrolled: 1-line block ×4, first 2 shown]
	s_wait_loadcnt_dscnt 0x606
	v_cvt_f32_f16_e32 v54, v44
	s_clause 0x3
	flat_load_u16 v18, v[20:21] offset:128
	flat_load_u16 v19, v[12:13] offset:128
	;; [unrolled: 1-line block ×4, first 2 shown]
	s_wait_loadcnt_dscnt 0x909
	v_cvt_f32_f16_e32 v55, v45
	s_wait_loadcnt_dscnt 0x808
	v_cvt_f32_f16_e32 v56, v46
	s_wait_xcnt 0x0
	s_and_saveexec_b32 s47, s3
	s_cbranch_execz .LBB426_21
; %bb.27:                               ;   in Loop: Header=BB426_24 Depth=2
	s_clause 0x3
	flat_load_u16 v57, v[20:21] offset:256
	flat_load_u16 v58, v[12:13] offset:256
	;; [unrolled: 1-line block ×4, first 2 shown]
	s_wait_xcnt 0x0
	s_and_saveexec_b32 s48, s4
	s_cbranch_execz .LBB426_20
; %bb.28:                               ;   in Loop: Header=BB426_24 Depth=2
	s_clause 0x3
	flat_load_u16 v61, v[20:21] offset:384
	flat_load_u16 v62, v[12:13] offset:384
	;; [unrolled: 1-line block ×4, first 2 shown]
	s_wait_loadcnt_dscnt 0x303
	s_wait_xcnt 0x2
	v_fma_mix_f32 v12, v53, v61, v37 op_sel_hi:[0,1,0]
	s_wait_loadcnt_dscnt 0x202
	s_delay_alu instid0(VALU_DEP_1) | instskip(SKIP_1) | instid1(VALU_DEP_1)
	v_fma_mix_f32 v12, v54, v62, v12 op_sel_hi:[0,1,0]
	s_wait_loadcnt_dscnt 0x101
	v_fma_mix_f32 v12, v55, v63, v12 op_sel_hi:[0,1,0]
	s_wait_loadcnt_dscnt 0x0
	s_delay_alu instid0(VALU_DEP_1)
	v_fma_mix_f32 v37, v56, v64, v12 op_sel_hi:[0,1,0]
	s_branch .LBB426_20
.LBB426_29:                             ;   in Loop: Header=BB426_4 Depth=1
	s_or_b32 exec_lo, exec_lo, s43
.LBB426_30:                             ;   in Loop: Header=BB426_4 Depth=1
	s_delay_alu instid0(SALU_CYCLE_1) | instskip(NEXT) | instid1(SALU_CYCLE_1)
	s_or_b32 exec_lo, exec_lo, s7
	s_and_not1_b32 vcc_lo, exec_lo, s38
	s_cbranch_vccnz .LBB426_48
; %bb.31:                               ;   in Loop: Header=BB426_4 Depth=1
	v_cmp_gt_i32_e32 vcc_lo, s9, v38
	v_dual_mov_b32 v20, 0 :: v_dual_bitop2_b32 v12, 1, v38 bitop3:0x54
	v_dual_mov_b32 v21, 0 :: v_dual_mov_b32 v39, 0
	v_mov_b32_e32 v40, 0
	s_and_saveexec_b32 s43, vcc_lo
	s_cbranch_execz .LBB426_39
; %bb.32:                               ;   in Loop: Header=BB426_4 Depth=1
	v_mul_lo_u32 v13, v38, s35
	v_readfirstlane_b32 s44, v10
	v_readfirstlane_b32 s45, v11
	v_dual_mov_b32 v39, 0 :: v_dual_mov_b32 v21, 0
	v_mov_b32_e32 v20, 0
	flat_load_u16 v13, v13, s[44:45] scale_offset
	s_wait_xcnt 0x0
	s_mov_b32 s44, exec_lo
	v_cmpx_gt_i32_e64 s9, v12
	s_cbranch_execz .LBB426_38
; %bb.33:                               ;   in Loop: Header=BB426_4 Depth=1
	v_mul_lo_u32 v14, v12, s35
	v_readfirstlane_b32 s46, v10
	v_readfirstlane_b32 s47, v11
	v_dual_mov_b32 v21, 0 :: v_dual_bitop2_b32 v15, 2, v38 bitop3:0x54
	v_mov_b32_e32 v20, 0
	s_mov_b32 s45, exec_lo
	flat_load_u16 v14, v14, s[46:47] scale_offset
	s_wait_xcnt 0x0
	v_cmpx_gt_i32_e64 s9, v15
	s_cbranch_execz .LBB426_37
; %bb.34:                               ;   in Loop: Header=BB426_4 Depth=1
	v_mul_lo_u32 v15, v15, s35
	v_readfirstlane_b32 s46, v10
	v_readfirstlane_b32 s47, v11
	v_dual_mov_b32 v20, 0 :: v_dual_bitop2_b32 v16, 3, v38 bitop3:0x54
	flat_load_u16 v15, v15, s[46:47] scale_offset
	s_wait_xcnt 0x0
	s_mov_b32 s46, exec_lo
	v_cmpx_gt_i32_e64 s9, v16
	s_cbranch_execz .LBB426_36
; %bb.35:                               ;   in Loop: Header=BB426_4 Depth=1
	v_mul_lo_u32 v16, v16, s35
	v_readfirstlane_b32 s48, v10
	v_readfirstlane_b32 s49, v11
	flat_load_u16 v10, v16, s[48:49] scale_offset
	s_wait_loadcnt_dscnt 0x0
	v_cvt_f32_f16_e32 v20, v10
.LBB426_36:                             ;   in Loop: Header=BB426_4 Depth=1
	s_wait_xcnt 0x0
	s_or_b32 exec_lo, exec_lo, s46
	s_wait_loadcnt_dscnt 0x0
	v_cvt_f32_f16_e32 v21, v15
.LBB426_37:                             ;   in Loop: Header=BB426_4 Depth=1
	s_or_b32 exec_lo, exec_lo, s45
	s_wait_loadcnt_dscnt 0x0
	v_cvt_f32_f16_e32 v39, v14
.LBB426_38:                             ;   in Loop: Header=BB426_4 Depth=1
	s_or_b32 exec_lo, exec_lo, s44
	s_wait_loadcnt_dscnt 0x0
	v_cvt_f32_f16_e32 v40, v13
.LBB426_39:                             ;   in Loop: Header=BB426_4 Depth=1
	s_or_b32 exec_lo, exec_lo, s43
	s_and_saveexec_b32 s7, s1
	s_cbranch_execz .LBB426_47
; %bb.40:                               ;   in Loop: Header=BB426_4 Depth=1
	v_mul_lo_u32 v11, v38, s34
	v_or_b32_e32 v10, 2, v38
	v_mul_lo_u32 v14, v12, s34
	v_readfirstlane_b32 s44, v8
	v_readfirstlane_b32 s45, v9
	v_cndmask_b32_e32 v11, 0, v11, vcc_lo
	v_mul_lo_u32 v15, v10, s34
	v_cmp_gt_i32_e32 vcc_lo, s9, v12
	v_cndmask_b32_e32 v12, 0, v14, vcc_lo
	v_cmp_gt_i32_e32 vcc_lo, s9, v10
	s_delay_alu instid0(VALU_DEP_4) | instskip(NEXT) | instid1(VALU_DEP_1)
	v_dual_cndmask_b32 v15, 0, v15, vcc_lo :: v_dual_bitop2_b32 v13, 3, v38 bitop3:0x54
	v_mul_lo_u32 v16, v13, s34
	v_cmp_gt_i32_e32 vcc_lo, s9, v13
	s_delay_alu instid0(VALU_DEP_2) | instskip(NEXT) | instid1(VALU_DEP_4)
	v_dual_cndmask_b32 v13, 0, v16 :: v_dual_add_nc_u32 v10, v11, v23
	v_dual_add_nc_u32 v14, v12, v23 :: v_dual_add_nc_u32 v18, v15, v23
	s_delay_alu instid0(VALU_DEP_2)
	v_add_nc_u32_e32 v16, v13, v23
	s_clause 0x3
	flat_load_u16 v38, v10, s[44:45] scale_offset
	flat_load_u16 v41, v14, s[44:45] scale_offset
	;; [unrolled: 1-line block ×4, first 2 shown]
	s_wait_xcnt 0x0
	s_and_saveexec_b32 s43, s2
	s_cbranch_execz .LBB426_46
; %bb.41:                               ;   in Loop: Header=BB426_4 Depth=1
	v_dual_ashrrev_i32 v11, 31, v10 :: v_dual_ashrrev_i32 v17, 31, v16
	v_ashrrev_i32_e32 v15, 31, v14
	v_ashrrev_i32_e32 v19, 31, v18
	s_delay_alu instid0(VALU_DEP_3) | instskip(NEXT) | instid1(VALU_DEP_3)
	v_lshl_add_u64 v[12:13], v[10:11], 1, v[8:9]
	v_lshl_add_u64 v[10:11], v[14:15], 1, v[8:9]
	s_delay_alu instid0(VALU_DEP_3)
	v_lshl_add_u64 v[14:15], v[18:19], 1, v[8:9]
	v_lshl_add_u64 v[8:9], v[16:17], 1, v[8:9]
	s_clause 0x3
	flat_load_u16 v16, v[12:13] offset:128
	flat_load_u16 v17, v[10:11] offset:128
	;; [unrolled: 1-line block ×4, first 2 shown]
	s_wait_xcnt 0x0
	s_and_saveexec_b32 s44, s3
	s_cbranch_execz .LBB426_45
; %bb.42:                               ;   in Loop: Header=BB426_4 Depth=1
	s_clause 0x3
	flat_load_u16 v44, v[12:13] offset:256
	flat_load_u16 v45, v[10:11] offset:256
	;; [unrolled: 1-line block ×4, first 2 shown]
	s_wait_xcnt 0x0
	s_and_saveexec_b32 s45, s4
	s_cbranch_execz .LBB426_44
; %bb.43:                               ;   in Loop: Header=BB426_4 Depth=1
	s_clause 0x3
	flat_load_u16 v48, v[12:13] offset:384
	flat_load_u16 v49, v[10:11] offset:384
	;; [unrolled: 1-line block ×4, first 2 shown]
	s_wait_loadcnt_dscnt 0x303
	s_wait_xcnt 0x0
	v_fma_mix_f32 v8, v40, v48, v37 op_sel_hi:[0,1,0]
	s_wait_loadcnt_dscnt 0x202
	s_delay_alu instid0(VALU_DEP_1) | instskip(SKIP_1) | instid1(VALU_DEP_1)
	v_fma_mix_f32 v8, v39, v49, v8 op_sel_hi:[0,1,0]
	s_wait_loadcnt_dscnt 0x101
	v_fma_mix_f32 v8, v21, v50, v8 op_sel_hi:[0,1,0]
	s_wait_loadcnt_dscnt 0x0
	s_delay_alu instid0(VALU_DEP_1)
	v_fma_mix_f32 v37, v20, v51, v8 op_sel_hi:[0,1,0]
.LBB426_44:                             ;   in Loop: Header=BB426_4 Depth=1
	s_or_b32 exec_lo, exec_lo, s45
	s_wait_loadcnt_dscnt 0x303
	v_fma_mix_f32 v8, v40, v44, v36 op_sel_hi:[0,1,0]
	s_wait_loadcnt_dscnt 0x202
	s_delay_alu instid0(VALU_DEP_1) | instskip(SKIP_1) | instid1(VALU_DEP_1)
	v_fma_mix_f32 v8, v39, v45, v8 op_sel_hi:[0,1,0]
	s_wait_loadcnt_dscnt 0x101
	v_fma_mix_f32 v8, v21, v46, v8 op_sel_hi:[0,1,0]
	s_wait_loadcnt_dscnt 0x0
	s_delay_alu instid0(VALU_DEP_1)
	v_fma_mix_f32 v36, v20, v47, v8 op_sel_hi:[0,1,0]
.LBB426_45:                             ;   in Loop: Header=BB426_4 Depth=1
	s_or_b32 exec_lo, exec_lo, s44
	s_wait_loadcnt_dscnt 0x303
	v_fma_mix_f32 v8, v40, v16, v35 op_sel_hi:[0,1,0]
	s_wait_loadcnt_dscnt 0x202
	s_delay_alu instid0(VALU_DEP_1) | instskip(SKIP_1) | instid1(VALU_DEP_1)
	v_fma_mix_f32 v8, v39, v17, v8 op_sel_hi:[0,1,0]
	s_wait_loadcnt_dscnt 0x101
	v_fma_mix_f32 v8, v21, v18, v8 op_sel_hi:[0,1,0]
	s_wait_loadcnt_dscnt 0x0
	s_delay_alu instid0(VALU_DEP_1)
	v_fma_mix_f32 v35, v20, v19, v8 op_sel_hi:[0,1,0]
.LBB426_46:                             ;   in Loop: Header=BB426_4 Depth=1
	s_or_b32 exec_lo, exec_lo, s43
	s_wait_loadcnt_dscnt 0x303
	v_fma_mix_f32 v8, v40, v38, v34 op_sel_hi:[0,1,0]
	s_wait_loadcnt_dscnt 0x202
	s_delay_alu instid0(VALU_DEP_1) | instskip(SKIP_1) | instid1(VALU_DEP_1)
	v_fma_mix_f32 v8, v39, v41, v8 op_sel_hi:[0,1,0]
	s_wait_loadcnt_dscnt 0x101
	v_fma_mix_f32 v8, v21, v42, v8 op_sel_hi:[0,1,0]
	s_wait_loadcnt_dscnt 0x0
	s_delay_alu instid0(VALU_DEP_1)
	v_fma_mix_f32 v34, v20, v43, v8 op_sel_hi:[0,1,0]
.LBB426_47:                             ;   in Loop: Header=BB426_4 Depth=1
	s_or_b32 exec_lo, exec_lo, s7
.LBB426_48:                             ;   in Loop: Header=BB426_4 Depth=1
	ds_store_2addr_stride64_b32 v0, v34, v35 offset1:1
	ds_store_2addr_stride64_b32 v0, v36, v37 offset0:2 offset1:3
	s_wait_dscnt 0x0
	s_barrier_signal -1
	s_barrier_wait -1
                                        ; implicit-def: $vgpr12
	s_and_saveexec_b32 s7, s5
	s_cbranch_execz .LBB426_54
; %bb.49:                               ;   in Loop: Header=BB426_4 Depth=1
	ds_load_2addr_stride64_b32 v[8:9], v24 offset1:4
	ds_load_2addr_stride64_b32 v[10:11], v24 offset0:8 offset1:12
	s_mov_b32 s44, s8
                                        ; implicit-def: $vgpr12
	s_wait_dscnt 0x1
	v_add_f32_e32 v8, v8, v9
	s_wait_dscnt 0x0
	s_delay_alu instid0(VALU_DEP_1) | instskip(NEXT) | instid1(VALU_DEP_1)
	v_add_f32_e32 v8, v10, v8
	v_add_f32_e32 v8, v11, v8
	ds_store_b32 v24, v8
	s_and_saveexec_b32 s43, s6
	s_cbranch_execz .LBB426_53
; %bb.50:                               ;   in Loop: Header=BB426_4 Depth=1
	v_mul_f32_e32 v8, v33, v8
	s_cmp_eq_f32 s42, 0
	s_cbranch_scc1 .LBB426_52
; %bb.51:                               ;   in Loop: Header=BB426_4 Depth=1
	v_lshl_add_u64 v[10:11], v[4:5], 1, v[6:7]
	flat_load_u16 v9, v[10:11]
	s_wait_loadcnt_dscnt 0x0
	v_fma_mix_f32 v8, s42, v9, v8 op_sel_hi:[0,1,0]
.LBB426_52:                             ;   in Loop: Header=BB426_4 Depth=1
	s_delay_alu instid0(VALU_DEP_1)
	v_cvt_f16_f32_e32 v12, v8
	s_or_b32 s44, s8, exec_lo
.LBB426_53:                             ;   in Loop: Header=BB426_4 Depth=1
	s_wait_xcnt 0x0
	s_or_b32 exec_lo, exec_lo, s43
	s_delay_alu instid0(SALU_CYCLE_1) | instskip(SKIP_1) | instid1(SALU_CYCLE_1)
	s_and_not1_b32 s8, s8, exec_lo
	s_and_b32 s42, s44, exec_lo
	s_or_b32 s8, s8, s42
.LBB426_54:                             ;   in Loop: Header=BB426_4 Depth=1
	s_or_b32 exec_lo, exec_lo, s7
	v_mov_b64_e32 v[8:9], v[4:5]
	s_and_saveexec_b32 s7, s8
	s_cbranch_execz .LBB426_2
.LBB426_55:                             ;   in Loop: Header=BB426_4 Depth=1
	s_delay_alu instid0(VALU_DEP_1)
	v_lshl_add_u64 v[6:7], v[8:9], 1, v[6:7]
	flat_store_b16 v[6:7], v12
	s_branch .LBB426_2
.LBB426_56:
	s_sendmsg sendmsg(MSG_DEALLOC_VGPRS)
	s_endpgm
	.section	.rodata,"a",@progbits
	.p2align	6, 0x0
	.amdhsa_kernel _ZL20rocblas_gemvn_kernelILi64ELi4EiPKDF16_PKfKPDF16_EviiT3_lPKT2_lT1_lS9_lSA_lS6_lPT4_lSA_li
		.amdhsa_group_segment_fixed_size 4096
		.amdhsa_private_segment_fixed_size 0
		.amdhsa_kernarg_size 400
		.amdhsa_user_sgpr_count 2
		.amdhsa_user_sgpr_dispatch_ptr 0
		.amdhsa_user_sgpr_queue_ptr 0
		.amdhsa_user_sgpr_kernarg_segment_ptr 1
		.amdhsa_user_sgpr_dispatch_id 0
		.amdhsa_user_sgpr_kernarg_preload_length 0
		.amdhsa_user_sgpr_kernarg_preload_offset 0
		.amdhsa_user_sgpr_private_segment_size 0
		.amdhsa_wavefront_size32 1
		.amdhsa_uses_dynamic_stack 0
		.amdhsa_enable_private_segment 0
		.amdhsa_system_sgpr_workgroup_id_x 1
		.amdhsa_system_sgpr_workgroup_id_y 0
		.amdhsa_system_sgpr_workgroup_id_z 1
		.amdhsa_system_sgpr_workgroup_info 0
		.amdhsa_system_vgpr_workitem_id 1
		.amdhsa_next_free_vgpr 65
		.amdhsa_next_free_sgpr 50
		.amdhsa_named_barrier_count 0
		.amdhsa_reserve_vcc 1
		.amdhsa_float_round_mode_32 0
		.amdhsa_float_round_mode_16_64 0
		.amdhsa_float_denorm_mode_32 3
		.amdhsa_float_denorm_mode_16_64 3
		.amdhsa_fp16_overflow 0
		.amdhsa_memory_ordered 1
		.amdhsa_forward_progress 1
		.amdhsa_inst_pref_size 24
		.amdhsa_round_robin_scheduling 0
		.amdhsa_exception_fp_ieee_invalid_op 0
		.amdhsa_exception_fp_denorm_src 0
		.amdhsa_exception_fp_ieee_div_zero 0
		.amdhsa_exception_fp_ieee_overflow 0
		.amdhsa_exception_fp_ieee_underflow 0
		.amdhsa_exception_fp_ieee_inexact 0
		.amdhsa_exception_int_div_zero 0
	.end_amdhsa_kernel
	.section	.text._ZL20rocblas_gemvn_kernelILi64ELi4EiPKDF16_PKfKPDF16_EviiT3_lPKT2_lT1_lS9_lSA_lS6_lPT4_lSA_li,"axG",@progbits,_ZL20rocblas_gemvn_kernelILi64ELi4EiPKDF16_PKfKPDF16_EviiT3_lPKT2_lT1_lS9_lSA_lS6_lPT4_lSA_li,comdat
.Lfunc_end426:
	.size	_ZL20rocblas_gemvn_kernelILi64ELi4EiPKDF16_PKfKPDF16_EviiT3_lPKT2_lT1_lS9_lSA_lS6_lPT4_lSA_li, .Lfunc_end426-_ZL20rocblas_gemvn_kernelILi64ELi4EiPKDF16_PKfKPDF16_EviiT3_lPKT2_lT1_lS9_lSA_lS6_lPT4_lSA_li
                                        ; -- End function
	.set _ZL20rocblas_gemvn_kernelILi64ELi4EiPKDF16_PKfKPDF16_EviiT3_lPKT2_lT1_lS9_lSA_lS6_lPT4_lSA_li.num_vgpr, 65
	.set _ZL20rocblas_gemvn_kernelILi64ELi4EiPKDF16_PKfKPDF16_EviiT3_lPKT2_lT1_lS9_lSA_lS6_lPT4_lSA_li.num_agpr, 0
	.set _ZL20rocblas_gemvn_kernelILi64ELi4EiPKDF16_PKfKPDF16_EviiT3_lPKT2_lT1_lS9_lSA_lS6_lPT4_lSA_li.numbered_sgpr, 50
	.set _ZL20rocblas_gemvn_kernelILi64ELi4EiPKDF16_PKfKPDF16_EviiT3_lPKT2_lT1_lS9_lSA_lS6_lPT4_lSA_li.num_named_barrier, 0
	.set _ZL20rocblas_gemvn_kernelILi64ELi4EiPKDF16_PKfKPDF16_EviiT3_lPKT2_lT1_lS9_lSA_lS6_lPT4_lSA_li.private_seg_size, 0
	.set _ZL20rocblas_gemvn_kernelILi64ELi4EiPKDF16_PKfKPDF16_EviiT3_lPKT2_lT1_lS9_lSA_lS6_lPT4_lSA_li.uses_vcc, 1
	.set _ZL20rocblas_gemvn_kernelILi64ELi4EiPKDF16_PKfKPDF16_EviiT3_lPKT2_lT1_lS9_lSA_lS6_lPT4_lSA_li.uses_flat_scratch, 1
	.set _ZL20rocblas_gemvn_kernelILi64ELi4EiPKDF16_PKfKPDF16_EviiT3_lPKT2_lT1_lS9_lSA_lS6_lPT4_lSA_li.has_dyn_sized_stack, 0
	.set _ZL20rocblas_gemvn_kernelILi64ELi4EiPKDF16_PKfKPDF16_EviiT3_lPKT2_lT1_lS9_lSA_lS6_lPT4_lSA_li.has_recursion, 0
	.set _ZL20rocblas_gemvn_kernelILi64ELi4EiPKDF16_PKfKPDF16_EviiT3_lPKT2_lT1_lS9_lSA_lS6_lPT4_lSA_li.has_indirect_call, 0
	.section	.AMDGPU.csdata,"",@progbits
; Kernel info:
; codeLenInByte = 3060
; TotalNumSgprs: 52
; NumVgprs: 65
; ScratchSize: 0
; MemoryBound: 0
; FloatMode: 240
; IeeeMode: 1
; LDSByteSize: 4096 bytes/workgroup (compile time only)
; SGPRBlocks: 0
; VGPRBlocks: 4
; NumSGPRsForWavesPerEU: 52
; NumVGPRsForWavesPerEU: 65
; NamedBarCnt: 0
; Occupancy: 12
; WaveLimiterHint : 1
; COMPUTE_PGM_RSRC2:SCRATCH_EN: 0
; COMPUTE_PGM_RSRC2:USER_SGPR: 2
; COMPUTE_PGM_RSRC2:TRAP_HANDLER: 0
; COMPUTE_PGM_RSRC2:TGID_X_EN: 1
; COMPUTE_PGM_RSRC2:TGID_Y_EN: 0
; COMPUTE_PGM_RSRC2:TGID_Z_EN: 1
; COMPUTE_PGM_RSRC2:TIDIG_COMP_CNT: 1
	.section	.text._ZL20rocblas_gemvn_kernelILi64ELi4ElPKDF16_PKfKPDF16_EviiT3_lPKT2_lT1_lS9_lSA_lS6_lPT4_lSA_li,"axG",@progbits,_ZL20rocblas_gemvn_kernelILi64ELi4ElPKDF16_PKfKPDF16_EviiT3_lPKT2_lT1_lS9_lSA_lS6_lPT4_lSA_li,comdat
	.globl	_ZL20rocblas_gemvn_kernelILi64ELi4ElPKDF16_PKfKPDF16_EviiT3_lPKT2_lT1_lS9_lSA_lS6_lPT4_lSA_li ; -- Begin function _ZL20rocblas_gemvn_kernelILi64ELi4ElPKDF16_PKfKPDF16_EviiT3_lPKT2_lT1_lS9_lSA_lS6_lPT4_lSA_li
	.p2align	8
	.type	_ZL20rocblas_gemvn_kernelILi64ELi4ElPKDF16_PKfKPDF16_EviiT3_lPKT2_lT1_lS9_lSA_lS6_lPT4_lSA_li,@function
_ZL20rocblas_gemvn_kernelILi64ELi4ElPKDF16_PKfKPDF16_EviiT3_lPKT2_lT1_lS9_lSA_lS6_lPT4_lSA_li: ; @_ZL20rocblas_gemvn_kernelILi64ELi4ElPKDF16_PKfKPDF16_EviiT3_lPKT2_lT1_lS9_lSA_lS6_lPT4_lSA_li
; %bb.0:
	s_clause 0x1
	s_load_b64 s[2:3], s[0:1], 0x9c
	s_load_b32 s33, s[0:1], 0x88
	s_bfe_u32 s4, ttmp6, 0x40014
	s_lshr_b32 s5, ttmp7, 16
	s_add_co_i32 s4, s4, 1
	s_bfe_u32 s6, ttmp6, 0x40008
	s_mul_i32 s7, s5, s4
	s_getreg_b32 s4, hwreg(HW_REG_IB_STS2, 6, 4)
	s_add_co_i32 s6, s6, s7
	s_mov_b32 s11, 0
	s_wait_kmcnt 0x0
	s_lshr_b32 s7, s2, 16
	s_and_b32 s2, s2, 0xffff
	s_and_b32 s3, s3, 0xffff
	s_mul_i32 s2, s7, s2
	s_cmp_eq_u32 s4, 0
	s_mul_i32 s2, s2, s3
	s_cselect_b32 s10, s5, s6
	s_cmp_lg_u32 s2, 0x100
	s_cselect_b32 s2, -1, 0
	s_cmp_ge_u32 s10, s33
	s_cselect_b32 s3, -1, 0
	s_delay_alu instid0(SALU_CYCLE_1) | instskip(NEXT) | instid1(SALU_CYCLE_1)
	s_or_b32 s2, s2, s3
	s_and_b32 vcc_lo, exec_lo, s2
	s_cbranch_vccnz .LBB427_56
; %bb.1:
	s_clause 0x2
	s_load_b64 s[34:35], s[0:1], 0x0
	s_load_b64 s[36:37], s[0:1], 0x28
	;; [unrolled: 1-line block ×3, first 2 shown]
	s_bfe_u32 s5, ttmp6, 0x4000c
	v_and_b32_e32 v28, 0x3ff, v0
	s_add_co_i32 s5, s5, 1
	v_bfe_u32 v6, v0, 10, 10
	s_clause 0x1
	s_load_b64 s[38:39], s[0:1], 0x48
	s_load_b128 s[28:31], s[0:1], 0x38
	s_and_b32 s6, ttmp6, 15
	s_mul_i32 s5, ttmp9, s5
	v_lshl_add_u32 v29, v6, 6, v28
	s_add_co_i32 s6, s6, s5
	s_cmp_eq_u32 s4, 0
	s_load_b256 s[12:19], s[0:1], 0x8
	s_cselect_b32 s4, ttmp9, s6
	s_load_b256 s[20:27], s[0:1], 0x58
	s_lshl_b32 s6, s4, 8
	s_delay_alu instid0(SALU_CYCLE_1)
	v_dual_mov_b32 v1, 0 :: v_dual_add_nc_u32 v0, s6, v29
	v_lshlrev_b32_e32 v48, 2, v6
	s_wait_kmcnt 0x0
	s_ashr_i32 s5, s34, 31
	s_mov_b32 s4, s34
	v_mov_b32_e32 v7, v1
	v_mul_u64_e32 v[2:3], s[2:3], v[0:1]
	v_cmp_gt_i64_e32 vcc_lo, s[4:5], v[0:1]
	v_or_b32_e32 v14, s6, v28
	v_or_b32_e32 v0, 3, v48
	;; [unrolled: 1-line block ×3, first 2 shown]
	v_mul_u64_e32 v[8:9], s[38:39], v[6:7]
	v_mul_u64_e32 v[18:19], s[36:37], v[6:7]
	v_ashrrev_i32_e32 v15, 31, v14
	v_mul_u64_e32 v[10:11], s[36:37], v[0:1]
	v_mul_u64_e32 v[12:13], s[38:39], v[0:1]
	v_or_b32_e32 v0, 2, v48
	v_mad_nc_u64_u32 v[24:25], s38, v48, s[38:39]
	v_mad_nc_u64_u32 v[26:27], s36, v48, s[36:37]
	s_ashr_i32 s4, s35, 31
	v_cmp_gt_u32_e64 s5, 0x100, v29
	v_mul_u64_e32 v[20:21], s[36:37], v[0:1]
	v_mul_u64_e32 v[22:23], s[38:39], v[0:1]
	v_dual_add_nc_u32 v0, 64, v14 :: v_dual_ashrrev_i32 v17, 31, v16
	s_lshr_b32 s4, s4, 28
	v_cmp_gt_i32_e64 s6, s34, v16
	s_add_co_i32 s4, s35, s4
	v_mad_u32 v25, s39, v48, v25
	v_mul_u64_e32 v[4:5], s[2:3], v[16:17]
	v_mad_u32 v27, s37, v48, v27
	v_cmp_gt_i32_e64 s2, s34, v0
	v_lshlrev_b32_e32 v0, 2, v28
	v_add_nc_u32_e32 v7, 0x80, v14
	v_add_nc_u32_e32 v17, 0xc0, v14
	s_and_b32 s44, s4, -16
	v_cmp_gt_i32_e64 s1, s34, v14
	s_sub_co_i32 s4, s35, s44
	v_cmp_gt_i32_e64 s3, s34, v7
	s_cmp_gt_i32 s4, 0
	v_cmp_gt_i32_e64 s4, s34, v17
	v_lshl_add_u32 v49, v6, 10, v0
	v_lshl_add_u32 v50, v6, 8, v0
	v_lshlrev_b64_e32 v[6:7], 3, v[8:9]
	v_lshlrev_b64_e32 v[8:9], 1, v[14:15]
	;; [unrolled: 1-line block ×5, first 2 shown]
	v_cmp_gt_i32_e64 s0, s44, v48
	s_cselect_b32 s45, -1, 0
	s_and_b32 s34, s5, vcc_lo
	s_lshl_b64 s[40:41], s[38:39], 5
	s_lshl_b64 s[42:43], s[36:37], 5
	v_lshlrev_b64_e32 v[16:17], 1, v[20:21]
	v_lshlrev_b64_e32 v[18:19], 1, v[22:23]
	;; [unrolled: 1-line block ×4, first 2 shown]
	s_lshl_b64 s[18:19], s[18:19], 1
	s_lshl_b64 s[30:31], s[30:31], 1
	;; [unrolled: 1-line block ×3, first 2 shown]
	s_branch .LBB427_4
.LBB427_2:                              ;   in Loop: Header=BB427_4 Depth=1
	s_wait_xcnt 0x0
	s_or_b32 exec_lo, exec_lo, s7
.LBB427_3:                              ;   in Loop: Header=BB427_4 Depth=1
	s_add_co_i32 s10, s10, 0x10000
	s_delay_alu instid0(SALU_CYCLE_1)
	s_cmp_lt_u32 s10, s33
	s_cbranch_scc0 .LBB427_56
.LBB427_4:                              ; =>This Loop Header: Depth=1
                                        ;     Child Loop BB427_24 Depth 2
	s_mul_u64 s[8:9], s[14:15], s[10:11]
	s_mul_u64 s[46:47], s[22:23], s[10:11]
	s_lshl_b64 s[8:9], s[8:9], 2
	s_lshl_b64 s[46:47], s[46:47], 2
	s_add_nc_u64 s[8:9], s[12:13], s[8:9]
	s_add_nc_u64 s[46:47], s[20:21], s[46:47]
	s_clause 0x1
	global_load_b32 v51, v1, s[8:9]
	global_load_b32 v0, v1, s[46:47]
	s_wait_loadcnt 0x1
	v_cmp_eq_f32_e64 s7, 0, v51
	s_wait_loadcnt 0x0
	v_cmp_eq_f32_e32 vcc_lo, 1.0, v0
	s_wait_xcnt 0x0
	v_readfirstlane_b32 s46, v0
	s_and_b32 s8, s7, vcc_lo
	s_delay_alu instid0(SALU_CYCLE_1)
	s_and_b32 vcc_lo, exec_lo, s8
	s_cbranch_vccnz .LBB427_3
; %bb.5:                                ;   in Loop: Header=BB427_4 Depth=1
	v_mov_b64_e32 v[28:29], 0
	v_mov_b64_e32 v[26:27], 0
	v_cmp_neq_f32_e64 s8, 0, v51
	s_and_b32 vcc_lo, exec_lo, s7
	s_cbranch_vccnz .LBB427_7
; %bb.6:                                ;   in Loop: Header=BB427_4 Depth=1
	s_lshl_b64 s[48:49], s[10:11], 3
	s_delay_alu instid0(SALU_CYCLE_1)
	s_add_nc_u64 s[48:49], s[16:17], s[48:49]
	global_load_b64 v[24:25], v1, s[48:49]
	s_wait_loadcnt 0x0
	v_add_nc_u64_e32 v[26:27], s[18:19], v[24:25]
.LBB427_7:                              ;   in Loop: Header=BB427_4 Depth=1
	s_and_not1_b32 vcc_lo, exec_lo, s8
	s_cbranch_vccnz .LBB427_9
; %bb.8:                                ;   in Loop: Header=BB427_4 Depth=1
	s_lshl_b64 s[8:9], s[10:11], 3
	s_delay_alu instid0(SALU_CYCLE_1)
	s_add_nc_u64 s[8:9], s[28:29], s[8:9]
	global_load_b64 v[24:25], v1, s[8:9]
	s_wait_loadcnt 0x0
	v_add_nc_u64_e32 v[28:29], s[30:31], v[24:25]
.LBB427_9:                              ;   in Loop: Header=BB427_4 Depth=1
	s_wait_xcnt 0x0
	s_lshl_b64 s[8:9], s[10:11], 3
	s_and_not1_b32 vcc_lo, exec_lo, s7
	s_add_nc_u64 s[8:9], s[24:25], s[8:9]
	global_load_b64 v[24:25], v1, s[8:9]
	s_wait_loadcnt 0x0
	v_add_nc_u64_e32 v[24:25], s[26:27], v[24:25]
	s_cbranch_vccnz .LBB427_13
; %bb.10:                               ;   in Loop: Header=BB427_4 Depth=1
	s_mov_b32 s7, 0
	s_mov_b32 s47, 0
                                        ; implicit-def: $vgpr0
	s_wait_xcnt 0x0
	s_and_saveexec_b32 s8, s34
	s_cbranch_execz .LBB427_14
; %bb.11:                               ;   in Loop: Header=BB427_4 Depth=1
	s_cmp_eq_f32 s46, 0
	s_cbranch_scc1 .LBB427_16
; %bb.12:                               ;   in Loop: Header=BB427_4 Depth=1
	v_lshl_add_u64 v[30:31], v[2:3], 1, v[24:25]
	flat_load_u16 v0, v[30:31]
	s_wait_loadcnt_dscnt 0x0
	v_fma_mixlo_f16 v0, s46, v0, 0 op_sel_hi:[0,1,0]
	s_branch .LBB427_17
.LBB427_13:                             ;   in Loop: Header=BB427_4 Depth=1
	s_mov_b32 s47, 0
                                        ; implicit-def: $vgpr0
	s_cbranch_execz .LBB427_15
	s_branch .LBB427_18
.LBB427_14:                             ;   in Loop: Header=BB427_4 Depth=1
	s_or_b32 exec_lo, exec_lo, s8
	s_delay_alu instid0(SALU_CYCLE_1)
	s_and_b32 vcc_lo, exec_lo, s7
	s_cbranch_vccnz .LBB427_18
.LBB427_15:                             ;   in Loop: Header=BB427_4 Depth=1
	v_mov_b64_e32 v[26:27], v[2:3]
	s_wait_xcnt 0x0
	s_and_saveexec_b32 s7, s47
	s_cbranch_execz .LBB427_2
	s_branch .LBB427_55
.LBB427_16:                             ;   in Loop: Header=BB427_4 Depth=1
	v_mov_b32_e32 v0, 0
.LBB427_17:                             ;   in Loop: Header=BB427_4 Depth=1
	s_mov_b32 s47, exec_lo
	s_wait_xcnt 0x0
	s_or_b32 exec_lo, exec_lo, s8
	s_delay_alu instid0(SALU_CYCLE_1)
	s_and_b32 vcc_lo, exec_lo, s7
	s_cbranch_vccz .LBB427_15
.LBB427_18:                             ;   in Loop: Header=BB427_4 Depth=1
	v_dual_mov_b32 v52, 0 :: v_dual_mov_b32 v0, v48
	v_dual_mov_b32 v53, 0 :: v_dual_mov_b32 v54, 0
	v_mov_b32_e32 v55, 0
	s_wait_xcnt 0x0
	s_and_saveexec_b32 s7, s0
	s_cbranch_execz .LBB427_30
; %bb.19:                               ;   in Loop: Header=BB427_4 Depth=1
	v_add_nc_u64_e32 v[30:31], v[26:27], v[10:11]
	v_add_nc_u64_e32 v[32:33], v[26:27], v[14:15]
	;; [unrolled: 1-line block ×4, first 2 shown]
	v_mov_b64_e32 v[38:39], v[28:29]
	v_dual_mov_b32 v52, 0 :: v_dual_mov_b32 v0, v48
	v_dual_mov_b32 v53, 0 :: v_dual_mov_b32 v54, 0
	v_mov_b32_e32 v55, 0
	s_mov_b32 s8, 0
	s_branch .LBB427_24
.LBB427_20:                             ;   in Loop: Header=BB427_24 Depth=2
	s_wait_xcnt 0x0
	s_or_b32 exec_lo, exec_lo, s50
	s_wait_loadcnt_dscnt 0x303
	v_fma_mix_f32 v40, v68, v72, v54 op_sel_hi:[0,1,0]
	s_wait_loadcnt_dscnt 0x202
	s_delay_alu instid0(VALU_DEP_1) | instskip(SKIP_1) | instid1(VALU_DEP_1)
	v_fma_mix_f32 v40, v69, v73, v40 op_sel_hi:[0,1,0]
	s_wait_loadcnt_dscnt 0x101
	v_fma_mix_f32 v40, v70, v74, v40 op_sel_hi:[0,1,0]
	s_wait_loadcnt_dscnt 0x0
	s_delay_alu instid0(VALU_DEP_1)
	v_fma_mix_f32 v54, v71, v75, v40 op_sel_hi:[0,1,0]
.LBB427_21:                             ;   in Loop: Header=BB427_24 Depth=2
	s_or_b32 exec_lo, exec_lo, s49
	s_wait_loadcnt_dscnt 0x303
	v_fma_mix_f32 v40, v68, v64, v53 op_sel_hi:[0,1,0]
	s_wait_loadcnt_dscnt 0x202
	s_delay_alu instid0(VALU_DEP_1) | instskip(SKIP_1) | instid1(VALU_DEP_1)
	v_fma_mix_f32 v40, v69, v65, v40 op_sel_hi:[0,1,0]
	s_wait_loadcnt_dscnt 0x101
	v_fma_mix_f32 v40, v70, v66, v40 op_sel_hi:[0,1,0]
	s_wait_loadcnt_dscnt 0x0
	s_delay_alu instid0(VALU_DEP_1)
	v_fma_mix_f32 v53, v71, v67, v40 op_sel_hi:[0,1,0]
.LBB427_22:                             ;   in Loop: Header=BB427_24 Depth=2
	s_or_b32 exec_lo, exec_lo, s48
	s_wait_loadcnt_dscnt 0x303
	v_fma_mix_f32 v40, v56, v60, v52 op_sel_hi:[1,1,0]
	s_wait_loadcnt_dscnt 0x202
	s_delay_alu instid0(VALU_DEP_1) | instskip(SKIP_1) | instid1(VALU_DEP_1)
	v_fma_mix_f32 v40, v57, v61, v40 op_sel_hi:[1,1,0]
	s_wait_loadcnt_dscnt 0x101
	v_fma_mix_f32 v40, v58, v62, v40 op_sel_hi:[1,1,0]
	s_wait_loadcnt_dscnt 0x0
	s_delay_alu instid0(VALU_DEP_1)
	v_fma_mix_f32 v52, v59, v63, v40 op_sel_hi:[1,1,0]
.LBB427_23:                             ;   in Loop: Header=BB427_24 Depth=2
	s_or_b32 exec_lo, exec_lo, s9
	v_add_nc_u32_e32 v0, 16, v0
	v_add_nc_u64_e32 v[38:39], s[40:41], v[38:39]
	v_add_nc_u64_e32 v[30:31], s[42:43], v[30:31]
	;; [unrolled: 1-line block ×4, first 2 shown]
	v_cmp_le_i32_e32 vcc_lo, s44, v0
	v_add_nc_u64_e32 v[36:37], s[42:43], v[36:37]
	s_or_b32 s8, vcc_lo, s8
	s_delay_alu instid0(SALU_CYCLE_1)
	s_and_not1_b32 exec_lo, exec_lo, s8
	s_cbranch_execz .LBB427_29
.LBB427_24:                             ;   Parent Loop BB427_4 Depth=1
                                        ; =>  This Inner Loop Header: Depth=2
	s_and_saveexec_b32 s9, s1
	s_cbranch_execz .LBB427_23
; %bb.25:                               ;   in Loop: Header=BB427_24 Depth=2
	v_add_nc_u64_e32 v[64:65], v[38:39], v[6:7]
	v_add_nc_u64_e32 v[66:67], v[38:39], v[20:21]
	;; [unrolled: 1-line block ×8, first 2 shown]
	s_clause 0x3
	flat_load_u16 v56, v[64:65]
	flat_load_u16 v57, v[66:67]
	;; [unrolled: 1-line block ×8, first 2 shown]
	s_wait_xcnt 0x0
	s_and_saveexec_b32 s48, s2
	s_cbranch_execz .LBB427_22
; %bb.26:                               ;   in Loop: Header=BB427_24 Depth=2
	flat_load_u16 v64, v[40:41] offset:128
	flat_load_u16 v65, v[42:43] offset:128
	flat_load_u16 v66, v[44:45] offset:128
	flat_load_u16 v67, v[46:47] offset:128
	s_wait_loadcnt_dscnt 0xb0b
	v_cvt_f32_f16_e32 v68, v56
	s_wait_loadcnt_dscnt 0xa0a
	v_cvt_f32_f16_e32 v69, v57
	;; [unrolled: 2-line block ×4, first 2 shown]
	s_wait_xcnt 0x0
	s_and_saveexec_b32 s49, s3
	s_cbranch_execz .LBB427_21
; %bb.27:                               ;   in Loop: Header=BB427_24 Depth=2
	flat_load_u16 v72, v[40:41] offset:256
	flat_load_u16 v73, v[42:43] offset:256
	;; [unrolled: 1-line block ×4, first 2 shown]
	s_wait_xcnt 0x0
	s_and_saveexec_b32 s50, s4
	s_cbranch_execz .LBB427_20
; %bb.28:                               ;   in Loop: Header=BB427_24 Depth=2
	flat_load_u16 v76, v[40:41] offset:384
	flat_load_u16 v77, v[42:43] offset:384
	;; [unrolled: 1-line block ×4, first 2 shown]
	s_wait_loadcnt_dscnt 0x303
	s_wait_xcnt 0x3
	v_fma_mix_f32 v40, v68, v76, v55 op_sel_hi:[0,1,0]
	s_wait_loadcnt_dscnt 0x202
	s_delay_alu instid0(VALU_DEP_1) | instskip(SKIP_1) | instid1(VALU_DEP_1)
	v_fma_mix_f32 v40, v69, v77, v40 op_sel_hi:[0,1,0]
	s_wait_loadcnt_dscnt 0x101
	v_fma_mix_f32 v40, v70, v78, v40 op_sel_hi:[0,1,0]
	s_wait_loadcnt_dscnt 0x0
	s_delay_alu instid0(VALU_DEP_1)
	v_fma_mix_f32 v55, v71, v79, v40 op_sel_hi:[0,1,0]
	s_branch .LBB427_20
.LBB427_29:                             ;   in Loop: Header=BB427_4 Depth=1
	s_or_b32 exec_lo, exec_lo, s8
.LBB427_30:                             ;   in Loop: Header=BB427_4 Depth=1
	s_delay_alu instid0(SALU_CYCLE_1) | instskip(NEXT) | instid1(SALU_CYCLE_1)
	s_or_b32 exec_lo, exec_lo, s7
	s_and_not1_b32 vcc_lo, exec_lo, s45
	s_cbranch_vccnz .LBB427_48
; %bb.31:                               ;   in Loop: Header=BB427_4 Depth=1
	v_cmp_gt_i32_e32 vcc_lo, s35, v0
	v_dual_mov_b32 v34, 0 :: v_dual_bitop2_b32 v30, 1, v0 bitop3:0x54
	v_dual_mov_b32 v35, 0 :: v_dual_mov_b32 v36, 0
	v_mov_b32_e32 v37, 0
	s_and_saveexec_b32 s8, vcc_lo
	s_cbranch_execz .LBB427_39
; %bb.32:                               ;   in Loop: Header=BB427_4 Depth=1
	v_mul_u64_e32 v[32:33], s[38:39], v[0:1]
	v_dual_mov_b32 v36, 0 :: v_dual_mov_b32 v35, 0
	v_mov_b32_e32 v34, 0
	s_mov_b32 s9, exec_lo
	s_delay_alu instid0(VALU_DEP_3)
	v_lshl_add_u64 v[32:33], v[32:33], 1, v[28:29]
	flat_load_u16 v37, v[32:33]
	s_wait_xcnt 0x0
	v_cmpx_gt_i32_e64 s35, v30
	s_cbranch_execz .LBB427_38
; %bb.33:                               ;   in Loop: Header=BB427_4 Depth=1
	v_dual_mov_b32 v31, v1 :: v_dual_mov_b32 v35, 0
	v_mov_b32_e32 v34, 0
	s_mov_b32 s48, exec_lo
	s_delay_alu instid0(VALU_DEP_2) | instskip(NEXT) | instid1(VALU_DEP_1)
	v_mul_u64_e32 v[32:33], s[38:39], v[30:31]
	v_lshl_add_u64 v[32:33], v[32:33], 1, v[28:29]
	flat_load_u16 v31, v[32:33]
	s_wait_xcnt 0x0
	v_or_b32_e32 v32, 2, v0
	s_delay_alu instid0(VALU_DEP_1)
	v_cmpx_gt_i32_e64 s35, v32
	s_cbranch_execz .LBB427_37
; %bb.34:                               ;   in Loop: Header=BB427_4 Depth=1
	v_dual_mov_b32 v33, v1 :: v_dual_mov_b32 v34, 0
	s_mov_b32 s49, exec_lo
	s_delay_alu instid0(VALU_DEP_1) | instskip(NEXT) | instid1(VALU_DEP_1)
	v_mul_u64_e32 v[32:33], s[38:39], v[32:33]
	v_lshl_add_u64 v[32:33], v[32:33], 1, v[28:29]
	flat_load_u16 v35, v[32:33]
	s_wait_xcnt 0x0
	v_or_b32_e32 v32, 3, v0
	s_delay_alu instid0(VALU_DEP_1)
	v_cmpx_gt_i32_e64 s35, v32
	s_cbranch_execz .LBB427_36
; %bb.35:                               ;   in Loop: Header=BB427_4 Depth=1
	v_mov_b32_e32 v33, v1
	s_delay_alu instid0(VALU_DEP_1) | instskip(NEXT) | instid1(VALU_DEP_1)
	v_mul_u64_e32 v[32:33], s[38:39], v[32:33]
	v_lshl_add_u64 v[28:29], v[32:33], 1, v[28:29]
	flat_load_u16 v28, v[28:29]
	s_wait_loadcnt_dscnt 0x0
	v_cvt_f32_f16_e32 v34, v28
.LBB427_36:                             ;   in Loop: Header=BB427_4 Depth=1
	s_wait_xcnt 0x0
	s_or_b32 exec_lo, exec_lo, s49
	s_wait_loadcnt_dscnt 0x0
	v_cvt_f32_f16_e32 v35, v35
.LBB427_37:                             ;   in Loop: Header=BB427_4 Depth=1
	s_or_b32 exec_lo, exec_lo, s48
	s_wait_loadcnt_dscnt 0x0
	v_cvt_f32_f16_e32 v36, v31
.LBB427_38:                             ;   in Loop: Header=BB427_4 Depth=1
	s_or_b32 exec_lo, exec_lo, s9
	s_wait_loadcnt_dscnt 0x0
	v_cvt_f32_f16_e32 v37, v37
.LBB427_39:                             ;   in Loop: Header=BB427_4 Depth=1
	s_or_b32 exec_lo, exec_lo, s8
	s_and_saveexec_b32 s48, s1
	s_cbranch_execz .LBB427_47
; %bb.40:                               ;   in Loop: Header=BB427_4 Depth=1
	v_dual_mov_b32 v31, v1 :: v_dual_bitop2_b32 v28, 2, v0 bitop3:0x54
	v_mov_b32_e32 v29, v1
	v_mul_u64_e32 v[32:33], s[36:37], v[0:1]
	v_or_b32_e32 v0, 3, v0
	s_delay_alu instid0(VALU_DEP_4)
	v_mul_u64_e32 v[38:39], s[36:37], v[30:31]
	v_cmp_gt_i32_e64 s7, s35, v30
	v_mul_u64_e32 v[40:41], s[36:37], v[28:29]
	v_cmp_gt_i32_e64 s8, s35, v28
	;; [unrolled: 2-line block ×3, first 2 shown]
	v_dual_cndmask_b32 v29, 0, v33 :: v_dual_cndmask_b32 v28, 0, v32
	v_dual_cndmask_b32 v31, 0, v39, s7 :: v_dual_cndmask_b32 v30, 0, v38, s7
	v_dual_cndmask_b32 v33, 0, v41, s8 :: v_dual_cndmask_b32 v32, 0, v40, s8
	s_delay_alu instid0(VALU_DEP_4) | instskip(NEXT) | instid1(VALU_DEP_4)
	v_dual_cndmask_b32 v39, 0, v43, s9 :: v_dual_cndmask_b32 v38, 0, v42, s9
	v_lshl_add_u64 v[28:29], v[28:29], 1, v[26:27]
	s_delay_alu instid0(VALU_DEP_4) | instskip(NEXT) | instid1(VALU_DEP_4)
	v_lshl_add_u64 v[40:41], v[30:31], 1, v[26:27]
	v_lshl_add_u64 v[32:33], v[32:33], 1, v[26:27]
	s_delay_alu instid0(VALU_DEP_4) | instskip(NEXT) | instid1(VALU_DEP_4)
	v_lshl_add_u64 v[38:39], v[38:39], 1, v[26:27]
	v_add_nc_u64_e32 v[30:31], v[28:29], v[8:9]
	s_delay_alu instid0(VALU_DEP_4) | instskip(NEXT) | instid1(VALU_DEP_4)
	v_add_nc_u64_e32 v[26:27], v[40:41], v[8:9]
	v_add_nc_u64_e32 v[28:29], v[32:33], v[8:9]
	s_delay_alu instid0(VALU_DEP_4)
	v_add_nc_u64_e32 v[32:33], v[38:39], v[8:9]
	s_clause 0x3
	flat_load_u16 v0, v[30:31]
	flat_load_u16 v38, v[26:27]
	;; [unrolled: 1-line block ×4, first 2 shown]
	s_wait_xcnt 0x0
	s_and_saveexec_b32 s7, s2
	s_cbranch_execz .LBB427_46
; %bb.41:                               ;   in Loop: Header=BB427_4 Depth=1
	s_clause 0x3
	flat_load_u16 v41, v[30:31] offset:128
	flat_load_u16 v42, v[26:27] offset:128
	flat_load_u16 v43, v[28:29] offset:128
	flat_load_u16 v44, v[32:33] offset:128
	s_wait_xcnt 0x0
	s_and_saveexec_b32 s8, s3
	s_cbranch_execz .LBB427_45
; %bb.42:                               ;   in Loop: Header=BB427_4 Depth=1
	s_clause 0x3
	flat_load_u16 v45, v[30:31] offset:256
	flat_load_u16 v46, v[26:27] offset:256
	flat_load_u16 v47, v[28:29] offset:256
	flat_load_u16 v56, v[32:33] offset:256
	;; [unrolled: 9-line block ×3, first 2 shown]
	s_wait_loadcnt_dscnt 0x303
	s_wait_xcnt 0x2
	v_fma_mix_f32 v26, v37, v57, v55 op_sel_hi:[0,1,0]
	s_wait_loadcnt_dscnt 0x202
	s_delay_alu instid0(VALU_DEP_1) | instskip(SKIP_1) | instid1(VALU_DEP_1)
	v_fma_mix_f32 v26, v36, v58, v26 op_sel_hi:[0,1,0]
	s_wait_loadcnt_dscnt 0x101
	v_fma_mix_f32 v26, v35, v59, v26 op_sel_hi:[0,1,0]
	s_wait_loadcnt_dscnt 0x0
	s_delay_alu instid0(VALU_DEP_1)
	v_fma_mix_f32 v55, v34, v60, v26 op_sel_hi:[0,1,0]
.LBB427_44:                             ;   in Loop: Header=BB427_4 Depth=1
	s_wait_xcnt 0x0
	s_or_b32 exec_lo, exec_lo, s9
	s_wait_loadcnt_dscnt 0x303
	v_fma_mix_f32 v26, v37, v45, v54 op_sel_hi:[0,1,0]
	s_wait_loadcnt_dscnt 0x202
	s_delay_alu instid0(VALU_DEP_1) | instskip(SKIP_1) | instid1(VALU_DEP_1)
	v_fma_mix_f32 v26, v36, v46, v26 op_sel_hi:[0,1,0]
	s_wait_loadcnt_dscnt 0x101
	v_fma_mix_f32 v26, v35, v47, v26 op_sel_hi:[0,1,0]
	s_wait_loadcnt_dscnt 0x0
	s_delay_alu instid0(VALU_DEP_1)
	v_fma_mix_f32 v54, v34, v56, v26 op_sel_hi:[0,1,0]
.LBB427_45:                             ;   in Loop: Header=BB427_4 Depth=1
	s_or_b32 exec_lo, exec_lo, s8
	s_wait_loadcnt_dscnt 0x303
	v_fma_mix_f32 v26, v37, v41, v53 op_sel_hi:[0,1,0]
	s_wait_loadcnt_dscnt 0x202
	s_delay_alu instid0(VALU_DEP_1) | instskip(SKIP_1) | instid1(VALU_DEP_1)
	v_fma_mix_f32 v26, v36, v42, v26 op_sel_hi:[0,1,0]
	s_wait_loadcnt_dscnt 0x101
	v_fma_mix_f32 v26, v35, v43, v26 op_sel_hi:[0,1,0]
	s_wait_loadcnt_dscnt 0x0
	s_delay_alu instid0(VALU_DEP_1)
	v_fma_mix_f32 v53, v34, v44, v26 op_sel_hi:[0,1,0]
.LBB427_46:                             ;   in Loop: Header=BB427_4 Depth=1
	s_or_b32 exec_lo, exec_lo, s7
	s_wait_loadcnt_dscnt 0x303
	v_fma_mix_f32 v0, v37, v0, v52 op_sel_hi:[0,1,0]
	s_wait_loadcnt_dscnt 0x202
	s_delay_alu instid0(VALU_DEP_1) | instskip(SKIP_1) | instid1(VALU_DEP_1)
	v_fma_mix_f32 v0, v36, v38, v0 op_sel_hi:[0,1,0]
	s_wait_loadcnt_dscnt 0x101
	v_fma_mix_f32 v0, v35, v39, v0 op_sel_hi:[0,1,0]
	s_wait_loadcnt_dscnt 0x0
	s_delay_alu instid0(VALU_DEP_1)
	v_fma_mix_f32 v52, v34, v40, v0 op_sel_hi:[0,1,0]
.LBB427_47:                             ;   in Loop: Header=BB427_4 Depth=1
	s_or_b32 exec_lo, exec_lo, s48
.LBB427_48:                             ;   in Loop: Header=BB427_4 Depth=1
	ds_store_2addr_stride64_b32 v49, v52, v53 offset1:1
	ds_store_2addr_stride64_b32 v49, v54, v55 offset0:2 offset1:3
	s_wait_dscnt 0x0
	s_barrier_signal -1
	s_barrier_wait -1
                                        ; implicit-def: $vgpr0
	s_and_saveexec_b32 s7, s5
	s_cbranch_execz .LBB427_54
; %bb.49:                               ;   in Loop: Header=BB427_4 Depth=1
	ds_load_2addr_stride64_b32 v[26:27], v50 offset1:4
	ds_load_2addr_stride64_b32 v[28:29], v50 offset0:8 offset1:12
	s_mov_b32 s9, s47
	s_wait_dscnt 0x1
	v_add_f32_e32 v0, v26, v27
	s_wait_dscnt 0x0
	s_delay_alu instid0(VALU_DEP_1) | instskip(NEXT) | instid1(VALU_DEP_1)
	v_add_f32_e32 v0, v28, v0
	v_add_f32_e32 v26, v29, v0
                                        ; implicit-def: $vgpr0
	ds_store_b32 v50, v26
	s_and_saveexec_b32 s8, s6
	s_cbranch_execz .LBB427_53
; %bb.50:                               ;   in Loop: Header=BB427_4 Depth=1
	v_mul_f32_e32 v0, v51, v26
	s_cmp_eq_f32 s46, 0
	s_cbranch_scc1 .LBB427_52
; %bb.51:                               ;   in Loop: Header=BB427_4 Depth=1
	v_lshl_add_u64 v[26:27], v[4:5], 1, v[24:25]
	flat_load_u16 v26, v[26:27]
	s_wait_loadcnt_dscnt 0x0
	v_fma_mix_f32 v0, s46, v26, v0 op_sel_hi:[0,1,0]
.LBB427_52:                             ;   in Loop: Header=BB427_4 Depth=1
	s_delay_alu instid0(VALU_DEP_1)
	v_cvt_f16_f32_e32 v0, v0
	s_or_b32 s9, s47, exec_lo
.LBB427_53:                             ;   in Loop: Header=BB427_4 Depth=1
	s_wait_xcnt 0x0
	s_or_b32 exec_lo, exec_lo, s8
	s_delay_alu instid0(SALU_CYCLE_1) | instskip(SKIP_1) | instid1(SALU_CYCLE_1)
	s_and_not1_b32 s8, s47, exec_lo
	s_and_b32 s9, s9, exec_lo
	s_or_b32 s47, s8, s9
.LBB427_54:                             ;   in Loop: Header=BB427_4 Depth=1
	s_or_b32 exec_lo, exec_lo, s7
	v_mov_b64_e32 v[26:27], v[4:5]
	s_and_saveexec_b32 s7, s47
	s_cbranch_execz .LBB427_2
.LBB427_55:                             ;   in Loop: Header=BB427_4 Depth=1
	s_delay_alu instid0(VALU_DEP_1)
	v_lshl_add_u64 v[24:25], v[26:27], 1, v[24:25]
	flat_store_b16 v[24:25], v0
	s_branch .LBB427_2
.LBB427_56:
	s_sendmsg sendmsg(MSG_DEALLOC_VGPRS)
	s_endpgm
	.section	.rodata,"a",@progbits
	.p2align	6, 0x0
	.amdhsa_kernel _ZL20rocblas_gemvn_kernelILi64ELi4ElPKDF16_PKfKPDF16_EviiT3_lPKT2_lT1_lS9_lSA_lS6_lPT4_lSA_li
		.amdhsa_group_segment_fixed_size 4096
		.amdhsa_private_segment_fixed_size 0
		.amdhsa_kernarg_size 400
		.amdhsa_user_sgpr_count 2
		.amdhsa_user_sgpr_dispatch_ptr 0
		.amdhsa_user_sgpr_queue_ptr 0
		.amdhsa_user_sgpr_kernarg_segment_ptr 1
		.amdhsa_user_sgpr_dispatch_id 0
		.amdhsa_user_sgpr_kernarg_preload_length 0
		.amdhsa_user_sgpr_kernarg_preload_offset 0
		.amdhsa_user_sgpr_private_segment_size 0
		.amdhsa_wavefront_size32 1
		.amdhsa_uses_dynamic_stack 0
		.amdhsa_enable_private_segment 0
		.amdhsa_system_sgpr_workgroup_id_x 1
		.amdhsa_system_sgpr_workgroup_id_y 0
		.amdhsa_system_sgpr_workgroup_id_z 1
		.amdhsa_system_sgpr_workgroup_info 0
		.amdhsa_system_vgpr_workitem_id 1
		.amdhsa_next_free_vgpr 80
		.amdhsa_next_free_sgpr 51
		.amdhsa_named_barrier_count 0
		.amdhsa_reserve_vcc 1
		.amdhsa_float_round_mode_32 0
		.amdhsa_float_round_mode_16_64 0
		.amdhsa_float_denorm_mode_32 3
		.amdhsa_float_denorm_mode_16_64 3
		.amdhsa_fp16_overflow 0
		.amdhsa_memory_ordered 1
		.amdhsa_forward_progress 1
		.amdhsa_inst_pref_size 24
		.amdhsa_round_robin_scheduling 0
		.amdhsa_exception_fp_ieee_invalid_op 0
		.amdhsa_exception_fp_denorm_src 0
		.amdhsa_exception_fp_ieee_div_zero 0
		.amdhsa_exception_fp_ieee_overflow 0
		.amdhsa_exception_fp_ieee_underflow 0
		.amdhsa_exception_fp_ieee_inexact 0
		.amdhsa_exception_int_div_zero 0
	.end_amdhsa_kernel
	.section	.text._ZL20rocblas_gemvn_kernelILi64ELi4ElPKDF16_PKfKPDF16_EviiT3_lPKT2_lT1_lS9_lSA_lS6_lPT4_lSA_li,"axG",@progbits,_ZL20rocblas_gemvn_kernelILi64ELi4ElPKDF16_PKfKPDF16_EviiT3_lPKT2_lT1_lS9_lSA_lS6_lPT4_lSA_li,comdat
.Lfunc_end427:
	.size	_ZL20rocblas_gemvn_kernelILi64ELi4ElPKDF16_PKfKPDF16_EviiT3_lPKT2_lT1_lS9_lSA_lS6_lPT4_lSA_li, .Lfunc_end427-_ZL20rocblas_gemvn_kernelILi64ELi4ElPKDF16_PKfKPDF16_EviiT3_lPKT2_lT1_lS9_lSA_lS6_lPT4_lSA_li
                                        ; -- End function
	.set _ZL20rocblas_gemvn_kernelILi64ELi4ElPKDF16_PKfKPDF16_EviiT3_lPKT2_lT1_lS9_lSA_lS6_lPT4_lSA_li.num_vgpr, 80
	.set _ZL20rocblas_gemvn_kernelILi64ELi4ElPKDF16_PKfKPDF16_EviiT3_lPKT2_lT1_lS9_lSA_lS6_lPT4_lSA_li.num_agpr, 0
	.set _ZL20rocblas_gemvn_kernelILi64ELi4ElPKDF16_PKfKPDF16_EviiT3_lPKT2_lT1_lS9_lSA_lS6_lPT4_lSA_li.numbered_sgpr, 51
	.set _ZL20rocblas_gemvn_kernelILi64ELi4ElPKDF16_PKfKPDF16_EviiT3_lPKT2_lT1_lS9_lSA_lS6_lPT4_lSA_li.num_named_barrier, 0
	.set _ZL20rocblas_gemvn_kernelILi64ELi4ElPKDF16_PKfKPDF16_EviiT3_lPKT2_lT1_lS9_lSA_lS6_lPT4_lSA_li.private_seg_size, 0
	.set _ZL20rocblas_gemvn_kernelILi64ELi4ElPKDF16_PKfKPDF16_EviiT3_lPKT2_lT1_lS9_lSA_lS6_lPT4_lSA_li.uses_vcc, 1
	.set _ZL20rocblas_gemvn_kernelILi64ELi4ElPKDF16_PKfKPDF16_EviiT3_lPKT2_lT1_lS9_lSA_lS6_lPT4_lSA_li.uses_flat_scratch, 1
	.set _ZL20rocblas_gemvn_kernelILi64ELi4ElPKDF16_PKfKPDF16_EviiT3_lPKT2_lT1_lS9_lSA_lS6_lPT4_lSA_li.has_dyn_sized_stack, 0
	.set _ZL20rocblas_gemvn_kernelILi64ELi4ElPKDF16_PKfKPDF16_EviiT3_lPKT2_lT1_lS9_lSA_lS6_lPT4_lSA_li.has_recursion, 0
	.set _ZL20rocblas_gemvn_kernelILi64ELi4ElPKDF16_PKfKPDF16_EviiT3_lPKT2_lT1_lS9_lSA_lS6_lPT4_lSA_li.has_indirect_call, 0
	.section	.AMDGPU.csdata,"",@progbits
; Kernel info:
; codeLenInByte = 2956
; TotalNumSgprs: 53
; NumVgprs: 80
; ScratchSize: 0
; MemoryBound: 0
; FloatMode: 240
; IeeeMode: 1
; LDSByteSize: 4096 bytes/workgroup (compile time only)
; SGPRBlocks: 0
; VGPRBlocks: 4
; NumSGPRsForWavesPerEU: 53
; NumVGPRsForWavesPerEU: 80
; NamedBarCnt: 0
; Occupancy: 12
; WaveLimiterHint : 1
; COMPUTE_PGM_RSRC2:SCRATCH_EN: 0
; COMPUTE_PGM_RSRC2:USER_SGPR: 2
; COMPUTE_PGM_RSRC2:TRAP_HANDLER: 0
; COMPUTE_PGM_RSRC2:TGID_X_EN: 1
; COMPUTE_PGM_RSRC2:TGID_Y_EN: 0
; COMPUTE_PGM_RSRC2:TGID_Z_EN: 1
; COMPUTE_PGM_RSRC2:TIDIG_COMP_CNT: 1
	.section	.text._ZL20rocblas_gemvn_kernelILi64ELi4EiPKDF16_fKPDF16_EviiT3_lPKT2_lT1_lS7_lS8_lS4_lPT4_lS8_li,"axG",@progbits,_ZL20rocblas_gemvn_kernelILi64ELi4EiPKDF16_fKPDF16_EviiT3_lPKT2_lT1_lS7_lS8_lS4_lPT4_lS8_li,comdat
	.globl	_ZL20rocblas_gemvn_kernelILi64ELi4EiPKDF16_fKPDF16_EviiT3_lPKT2_lT1_lS7_lS8_lS4_lPT4_lS8_li ; -- Begin function _ZL20rocblas_gemvn_kernelILi64ELi4EiPKDF16_fKPDF16_EviiT3_lPKT2_lT1_lS7_lS8_lS4_lPT4_lS8_li
	.p2align	8
	.type	_ZL20rocblas_gemvn_kernelILi64ELi4EiPKDF16_fKPDF16_EviiT3_lPKT2_lT1_lS7_lS8_lS4_lPT4_lS8_li,@function
_ZL20rocblas_gemvn_kernelILi64ELi4EiPKDF16_fKPDF16_EviiT3_lPKT2_lT1_lS7_lS8_lS4_lPT4_lS8_li: ; @_ZL20rocblas_gemvn_kernelILi64ELi4EiPKDF16_fKPDF16_EviiT3_lPKT2_lT1_lS7_lS8_lS4_lPT4_lS8_li
; %bb.0:
	s_clause 0x1
	s_load_b64 s[2:3], s[0:1], 0x9c
	s_load_b32 s23, s[0:1], 0x88
	s_bfe_u32 s4, ttmp6, 0x40014
	s_lshr_b32 s5, ttmp7, 16
	s_add_co_i32 s4, s4, 1
	s_bfe_u32 s6, ttmp6, 0x40008
	s_mul_i32 s7, s5, s4
	s_getreg_b32 s4, hwreg(HW_REG_IB_STS2, 6, 4)
	s_add_co_i32 s6, s6, s7
	s_mov_b32 s25, 0
	s_wait_kmcnt 0x0
	s_lshr_b32 s7, s2, 16
	s_and_b32 s2, s2, 0xffff
	s_and_b32 s3, s3, 0xffff
	s_mul_i32 s2, s7, s2
	s_cmp_eq_u32 s4, 0
	s_mul_i32 s2, s2, s3
	s_cselect_b32 s24, s5, s6
	s_cmp_lg_u32 s2, 0x100
	s_cselect_b32 s2, -1, 0
	s_cmp_ge_u32 s24, s23
	s_cselect_b32 s3, -1, 0
	s_delay_alu instid0(SALU_CYCLE_1) | instskip(NEXT) | instid1(SALU_CYCLE_1)
	s_or_b32 s2, s2, s3
	s_and_b32 vcc_lo, exec_lo, s2
	s_cbranch_vccnz .LBB428_58
; %bb.1:
	s_clause 0x7
	s_load_b32 s2, s[0:1], 0x78
	s_load_b96 s[20:22], s[0:1], 0x0
	s_load_b32 s26, s[0:1], 0x58
	s_load_b128 s[8:11], s[0:1], 0x68
	s_load_b32 s27, s[0:1], 0x28
	s_load_b128 s[12:15], s[0:1], 0x38
	;; [unrolled: 2-line block ×3, first 2 shown]
	v_and_b32_e32 v6, 0x3ff, v0
	v_bfe_u32 v7, v0, 10, 10
	s_delay_alu instid0(VALU_DEP_2) | instskip(NEXT) | instid1(VALU_DEP_2)
	v_dual_mov_b32 v1, 0 :: v_dual_lshlrev_b32 v0, 2, v6
	v_lshl_add_u32 v2, v7, 6, v6
	s_delay_alu instid0(VALU_DEP_2)
	v_lshl_add_u32 v23, v7, 10, v0
	v_lshl_add_u32 v24, v7, 8, v0
	s_wait_kmcnt 0x0
	s_ashr_i32 s3, s2, 31
	s_cmp_eq_f32 s22, 0
	v_cmp_gt_u32_e64 s0, 0x100, v2
	s_mov_b32 s6, s20
	s_cselect_b32 s29, -1, 0
	s_cmp_neq_f32 s26, 1.0
	s_cselect_b32 s1, -1, 0
	s_cmp_neq_f32 s22, 0
	s_cselect_b32 s5, -1, 0
	s_bfe_u32 s7, ttmp6, 0x4000c
	s_and_b32 s31, ttmp6, 15
	s_add_co_i32 s7, s7, 1
	s_or_b32 s30, s5, s1
	s_mul_i32 s7, ttmp9, s7
	v_cndmask_b32_e64 v25, 0, 1, s5
	s_add_co_i32 s31, s31, s7
	s_cmp_eq_u32 s4, 0
	s_cselect_b32 s1, ttmp9, s31
	s_ashr_i32 s7, s20, 31
	s_lshl_b32 s31, s1, 8
	s_delay_alu instid0(SALU_CYCLE_1) | instskip(SKIP_3) | instid1(VALU_DEP_3)
	v_dual_lshlrev_b32 v22, 2, v7 :: v_dual_add_nc_u32 v0, s31, v2
	v_or_b32_e32 v26, s31, v6
	v_or_b32_e32 v5, s31, v2
	s_cmp_neq_f32 s26, 0
	v_mul_lo_u32 v9, s27, v22
	v_mul_u64_e32 v[2:3], s[2:3], v[0:1]
	v_add_nc_u32_e32 v10, 0x80, v26
	v_mul_lo_u32 v4, s2, v5
	v_or_b32_e32 v8, 2, v22
	s_cselect_b32 s33, -1, 0
	s_ashr_i32 s1, s21, 31
	v_cmp_gt_i32_e64 s4, s20, v10
	v_mul_lo_u32 v10, v7, s27
	v_mul_lo_u32 v7, v7, s28
	s_lshr_b32 s3, s1, 28
	v_cmp_gt_i32_e64 s2, s20, v5
	s_add_co_i32 s3, s21, s3
	v_cmp_gt_i64_e32 vcc_lo, s[6:7], v[0:1]
	v_ashrrev_i32_e32 v5, 31, v4
	v_mad_u32 v27, s27, v8, v6
	v_mul_lo_u32 v29, s28, v8
	s_and_b32 s34, s3, -16
	s_delay_alu instid0(SALU_CYCLE_1)
	s_sub_co_i32 s6, s21, s34
	v_lshlrev_b32_e32 v32, 2, v7
	v_add_nc_u32_e32 v11, 0xc0, v26
	v_add_nc_u32_e32 v0, 64, v26
	v_cmp_gt_i32_e64 s1, s20, v26
	s_cmp_gt_i32 s6, 0
	v_cmp_gt_i32_e64 s6, s34, v22
	v_cmp_gt_i32_e64 s5, s20, v11
	v_or_b32_e32 v11, 3, v22
	v_cmp_gt_i32_e64 s3, s20, v0
	v_add3_u32 v0, v9, s27, v6
	v_lshl_add_u32 v31, v10, 2, v6
	s_cselect_b32 s20, -1, 0
	v_mad_u32 v28, s27, v11, v6
	v_mul_lo_u32 v30, s28, v11
	s_and_b32 s35, s0, vcc_lo
	s_lshl_b32 s36, s27, 4
	s_lshl_b32 s37, s28, 4
	s_lshl_b64 s[18:19], s[18:19], 1
	s_lshl_b64 s[14:15], s[14:15], 1
	;; [unrolled: 1-line block ×3, first 2 shown]
	s_branch .LBB428_4
.LBB428_2:                              ;   in Loop: Header=BB428_4 Depth=1
	s_wait_xcnt 0x0
	s_or_b32 exec_lo, exec_lo, s7
.LBB428_3:                              ;   in Loop: Header=BB428_4 Depth=1
	s_add_co_i32 s24, s24, 0x10000
	s_delay_alu instid0(SALU_CYCLE_1)
	s_cmp_lt_u32 s24, s23
	s_cbranch_scc0 .LBB428_58
.LBB428_4:                              ; =>This Loop Header: Depth=1
                                        ;     Child Loop BB428_26 Depth 2
	s_and_not1_b32 vcc_lo, exec_lo, s30
	s_cbranch_vccnz .LBB428_3
; %bb.5:                                ;   in Loop: Header=BB428_4 Depth=1
	s_and_not1_b32 vcc_lo, exec_lo, s29
	s_cbranch_vccnz .LBB428_7
; %bb.6:                                ;   in Loop: Header=BB428_4 Depth=1
	v_mov_b64_e32 v[10:11], 0
	v_mov_b64_e32 v[8:9], 0
	s_cbranch_execz .LBB428_8
	s_branch .LBB428_9
.LBB428_7:                              ;   in Loop: Header=BB428_4 Depth=1
	v_mov_b64_e32 v[10:11], 0
	v_mov_b64_e32 v[8:9], 0
.LBB428_8:                              ;   in Loop: Header=BB428_4 Depth=1
	s_lshl_b64 s[38:39], s[24:25], 3
	s_delay_alu instid0(SALU_CYCLE_1)
	s_add_nc_u64 s[38:39], s[16:17], s[38:39]
	global_load_b64 v[6:7], v1, s[38:39]
	s_wait_loadcnt 0x0
	v_add_nc_u64_e32 v[8:9], s[18:19], v[6:7]
.LBB428_9:                              ;   in Loop: Header=BB428_4 Depth=1
	v_cmp_ne_u32_e32 vcc_lo, 1, v25
	s_cbranch_vccnz .LBB428_11
; %bb.10:                               ;   in Loop: Header=BB428_4 Depth=1
	s_wait_xcnt 0x0
	s_lshl_b64 s[38:39], s[24:25], 3
	s_delay_alu instid0(SALU_CYCLE_1)
	s_add_nc_u64 s[38:39], s[12:13], s[38:39]
	global_load_b64 v[6:7], v1, s[38:39]
	s_wait_loadcnt 0x0
	v_add_nc_u64_e32 v[10:11], s[14:15], v[6:7]
.LBB428_11:                             ;   in Loop: Header=BB428_4 Depth=1
	s_wait_xcnt 0x0
	s_lshl_b64 s[38:39], s[24:25], 3
	s_and_not1_b32 vcc_lo, exec_lo, s29
	s_add_nc_u64 s[38:39], s[8:9], s[38:39]
	global_load_b64 v[6:7], v1, s[38:39]
	s_wait_loadcnt 0x0
	v_add_nc_u64_e32 v[6:7], s[10:11], v[6:7]
	s_cbranch_vccnz .LBB428_15
; %bb.12:                               ;   in Loop: Header=BB428_4 Depth=1
	s_mov_b32 s7, 0
	s_wait_xcnt 0x0
	s_mov_b32 s38, 0
                                        ; implicit-def: $vgpr12
	s_and_saveexec_b32 s39, s35
	s_cbranch_execz .LBB428_16
; %bb.13:                               ;   in Loop: Header=BB428_4 Depth=1
	s_and_not1_b32 vcc_lo, exec_lo, s33
	s_cbranch_vccnz .LBB428_18
; %bb.14:                               ;   in Loop: Header=BB428_4 Depth=1
	v_lshl_add_u64 v[12:13], v[2:3], 1, v[6:7]
	flat_load_u16 v12, v[12:13]
	s_wait_loadcnt_dscnt 0x0
	s_wait_xcnt 0x0
	v_fma_mixlo_f16 v12, s26, v12, 0 op_sel_hi:[0,1,0]
	s_branch .LBB428_19
.LBB428_15:                             ;   in Loop: Header=BB428_4 Depth=1
	s_wait_xcnt 0x0
	s_mov_b32 s38, 0
                                        ; implicit-def: $vgpr12
	s_cbranch_execz .LBB428_17
	s_branch .LBB428_20
.LBB428_16:                             ;   in Loop: Header=BB428_4 Depth=1
	s_or_b32 exec_lo, exec_lo, s39
	s_delay_alu instid0(SALU_CYCLE_1)
	s_and_b32 vcc_lo, exec_lo, s7
	s_cbranch_vccnz .LBB428_20
.LBB428_17:                             ;   in Loop: Header=BB428_4 Depth=1
	v_mov_b64_e32 v[8:9], v[2:3]
	s_and_saveexec_b32 s7, s38
	s_cbranch_execz .LBB428_2
	s_branch .LBB428_57
.LBB428_18:                             ;   in Loop: Header=BB428_4 Depth=1
	v_mov_b32_e32 v12, 0
.LBB428_19:                             ;   in Loop: Header=BB428_4 Depth=1
	s_mov_b32 s38, exec_lo
	s_or_b32 exec_lo, exec_lo, s39
	s_delay_alu instid0(SALU_CYCLE_1)
	s_and_b32 vcc_lo, exec_lo, s7
	s_cbranch_vccz .LBB428_17
.LBB428_20:                             ;   in Loop: Header=BB428_4 Depth=1
	v_dual_mov_b32 v33, 0 :: v_dual_mov_b32 v37, v22
	v_dual_mov_b32 v34, 0 :: v_dual_mov_b32 v35, 0
	v_mov_b32_e32 v36, 0
	s_and_saveexec_b32 s7, s6
	s_cbranch_execz .LBB428_32
; %bb.21:                               ;   in Loop: Header=BB428_4 Depth=1
	v_dual_mov_b32 v33, 0 :: v_dual_mov_b32 v38, v31
	v_dual_mov_b32 v39, v28 :: v_dual_mov_b32 v40, v27
	v_dual_mov_b32 v41, v0 :: v_dual_mov_b32 v37, v22
	v_dual_mov_b32 v34, 0 :: v_dual_mov_b32 v35, 0
	v_mov_b32_e32 v36, 0
	s_mov_b32 s39, 0
	s_mov_b32 s40, 0
	s_branch .LBB428_26
.LBB428_22:                             ;   in Loop: Header=BB428_26 Depth=2
	s_wait_xcnt 0x0
	s_or_b32 exec_lo, exec_lo, s44
	s_wait_loadcnt_dscnt 0x303
	v_fma_mix_f32 v12, v52, v56, v35 op_sel_hi:[0,1,0]
	s_wait_loadcnt_dscnt 0x202
	s_delay_alu instid0(VALU_DEP_1) | instskip(SKIP_1) | instid1(VALU_DEP_1)
	v_fma_mix_f32 v12, v53, v57, v12 op_sel_hi:[0,1,0]
	s_wait_loadcnt_dscnt 0x101
	v_fma_mix_f32 v12, v54, v58, v12 op_sel_hi:[0,1,0]
	s_wait_loadcnt_dscnt 0x0
	s_delay_alu instid0(VALU_DEP_1)
	v_fma_mix_f32 v35, v55, v59, v12 op_sel_hi:[0,1,0]
.LBB428_23:                             ;   in Loop: Header=BB428_26 Depth=2
	s_or_b32 exec_lo, exec_lo, s43
	s_wait_loadcnt_dscnt 0x303
	v_fma_mix_f32 v12, v52, v18, v34 op_sel_hi:[0,1,0]
	s_wait_loadcnt_dscnt 0x202
	s_delay_alu instid0(VALU_DEP_1) | instskip(SKIP_1) | instid1(VALU_DEP_1)
	v_fma_mix_f32 v12, v53, v19, v12 op_sel_hi:[0,1,0]
	s_wait_loadcnt_dscnt 0x101
	v_fma_mix_f32 v12, v54, v50, v12 op_sel_hi:[0,1,0]
	s_wait_loadcnt_dscnt 0x0
	s_delay_alu instid0(VALU_DEP_1)
	v_fma_mix_f32 v34, v55, v51, v12 op_sel_hi:[0,1,0]
.LBB428_24:                             ;   in Loop: Header=BB428_26 Depth=2
	s_or_b32 exec_lo, exec_lo, s42
	s_wait_loadcnt_dscnt 0x303
	v_fma_mix_f32 v12, v42, v46, v33 op_sel_hi:[1,1,0]
	s_wait_loadcnt_dscnt 0x202
	s_delay_alu instid0(VALU_DEP_1) | instskip(SKIP_1) | instid1(VALU_DEP_1)
	v_fma_mix_f32 v12, v43, v47, v12 op_sel_hi:[1,1,0]
	s_wait_loadcnt_dscnt 0x101
	v_fma_mix_f32 v12, v44, v48, v12 op_sel_hi:[1,1,0]
	s_wait_loadcnt_dscnt 0x0
	s_delay_alu instid0(VALU_DEP_1)
	v_fma_mix_f32 v33, v45, v49, v12 op_sel_hi:[1,1,0]
.LBB428_25:                             ;   in Loop: Header=BB428_26 Depth=2
	s_or_b32 exec_lo, exec_lo, s41
	v_dual_add_nc_u32 v37, 16, v37 :: v_dual_add_nc_u32 v40, s36, v40
	v_dual_add_nc_u32 v41, s36, v41 :: v_dual_add_nc_u32 v39, s36, v39
	v_add_nc_u32_e32 v38, s36, v38
	s_delay_alu instid0(VALU_DEP_3) | instskip(SKIP_2) | instid1(SALU_CYCLE_1)
	v_cmp_le_i32_e32 vcc_lo, s34, v37
	s_add_co_i32 s40, s40, s37
	s_or_b32 s39, vcc_lo, s39
	s_and_not1_b32 exec_lo, exec_lo, s39
	s_cbranch_execz .LBB428_31
.LBB428_26:                             ;   Parent Loop BB428_4 Depth=1
                                        ; =>  This Inner Loop Header: Depth=2
	s_and_saveexec_b32 s41, s1
	s_cbranch_execz .LBB428_25
; %bb.27:                               ;   in Loop: Header=BB428_26 Depth=2
	v_mad_u32 v13, s28, v22, s28
	v_dual_add_nc_u32 v15, s40, v32 :: v_dual_add_nc_u32 v17, s40, v29
	v_readfirstlane_b32 s42, v10
	v_readfirstlane_b32 s43, v11
	v_add_nc_u32_e32 v19, s40, v30
	v_dual_add_nc_u32 v12, s31, v38 :: v_dual_add_nc_u32 v14, s31, v41
	v_readfirstlane_b32 s44, v8
	v_readfirstlane_b32 s45, v9
	v_dual_add_nc_u32 v18, s31, v40 :: v_dual_add_nc_u32 v16, s31, v39
	v_add_nc_u32_e32 v13, s40, v13
	s_clause 0x3
	flat_load_u16 v42, v15, s[42:43] scale_offset
	flat_load_u16 v43, v13, s[42:43] scale_offset
	;; [unrolled: 1-line block ×4, first 2 shown]
	s_clause 0x3
	flat_load_u16 v46, v12, s[44:45] scale_offset
	flat_load_u16 v47, v14, s[44:45] scale_offset
	;; [unrolled: 1-line block ×4, first 2 shown]
	s_wait_xcnt 0x0
	s_and_saveexec_b32 s42, s3
	s_cbranch_execz .LBB428_24
; %bb.28:                               ;   in Loop: Header=BB428_26 Depth=2
	v_dual_ashrrev_i32 v13, 31, v12 :: v_dual_ashrrev_i32 v15, 31, v14
	v_dual_ashrrev_i32 v19, 31, v18 :: v_dual_ashrrev_i32 v17, 31, v16
	s_wait_loadcnt_dscnt 0x707
	v_cvt_f32_f16_e32 v52, v42
	s_delay_alu instid0(VALU_DEP_3)
	v_lshl_add_u64 v[20:21], v[12:13], 1, v[8:9]
	v_lshl_add_u64 v[12:13], v[14:15], 1, v[8:9]
	v_lshl_add_u64 v[14:15], v[18:19], 1, v[8:9]
	v_lshl_add_u64 v[16:17], v[16:17], 1, v[8:9]
	s_wait_loadcnt_dscnt 0x606
	v_cvt_f32_f16_e32 v53, v43
	s_clause 0x3
	flat_load_u16 v18, v[20:21] offset:128
	flat_load_u16 v19, v[12:13] offset:128
	;; [unrolled: 1-line block ×4, first 2 shown]
	s_wait_loadcnt_dscnt 0x909
	v_cvt_f32_f16_e32 v54, v44
	s_wait_loadcnt_dscnt 0x808
	v_cvt_f32_f16_e32 v55, v45
	s_wait_xcnt 0x0
	s_and_saveexec_b32 s43, s4
	s_cbranch_execz .LBB428_23
; %bb.29:                               ;   in Loop: Header=BB428_26 Depth=2
	s_clause 0x3
	flat_load_u16 v56, v[20:21] offset:256
	flat_load_u16 v57, v[12:13] offset:256
	;; [unrolled: 1-line block ×4, first 2 shown]
	s_wait_xcnt 0x0
	s_and_saveexec_b32 s44, s5
	s_cbranch_execz .LBB428_22
; %bb.30:                               ;   in Loop: Header=BB428_26 Depth=2
	s_clause 0x3
	flat_load_u16 v60, v[20:21] offset:384
	flat_load_u16 v61, v[12:13] offset:384
	;; [unrolled: 1-line block ×4, first 2 shown]
	s_wait_loadcnt_dscnt 0x303
	s_wait_xcnt 0x2
	v_fma_mix_f32 v12, v52, v60, v36 op_sel_hi:[0,1,0]
	s_wait_loadcnt_dscnt 0x202
	s_delay_alu instid0(VALU_DEP_1) | instskip(SKIP_1) | instid1(VALU_DEP_1)
	v_fma_mix_f32 v12, v53, v61, v12 op_sel_hi:[0,1,0]
	s_wait_loadcnt_dscnt 0x101
	v_fma_mix_f32 v12, v54, v62, v12 op_sel_hi:[0,1,0]
	s_wait_loadcnt_dscnt 0x0
	s_delay_alu instid0(VALU_DEP_1)
	v_fma_mix_f32 v36, v55, v63, v12 op_sel_hi:[0,1,0]
	s_branch .LBB428_22
.LBB428_31:                             ;   in Loop: Header=BB428_4 Depth=1
	s_or_b32 exec_lo, exec_lo, s39
.LBB428_32:                             ;   in Loop: Header=BB428_4 Depth=1
	s_delay_alu instid0(SALU_CYCLE_1) | instskip(NEXT) | instid1(SALU_CYCLE_1)
	s_or_b32 exec_lo, exec_lo, s7
	s_and_not1_b32 vcc_lo, exec_lo, s20
	s_cbranch_vccnz .LBB428_50
; %bb.33:                               ;   in Loop: Header=BB428_4 Depth=1
	v_cmp_gt_i32_e32 vcc_lo, s21, v37
	v_dual_mov_b32 v18, 0 :: v_dual_bitop2_b32 v12, 1, v37 bitop3:0x54
	v_dual_mov_b32 v19, 0 :: v_dual_mov_b32 v20, 0
	v_mov_b32_e32 v21, 0
	s_and_saveexec_b32 s39, vcc_lo
	s_cbranch_execz .LBB428_41
; %bb.34:                               ;   in Loop: Header=BB428_4 Depth=1
	v_mul_lo_u32 v13, v37, s28
	v_readfirstlane_b32 s40, v10
	v_readfirstlane_b32 s41, v11
	v_dual_mov_b32 v20, 0 :: v_dual_mov_b32 v19, 0
	v_mov_b32_e32 v18, 0
	flat_load_u16 v13, v13, s[40:41] scale_offset
	s_wait_xcnt 0x0
	s_mov_b32 s40, exec_lo
	v_cmpx_gt_i32_e64 s21, v12
	s_cbranch_execz .LBB428_40
; %bb.35:                               ;   in Loop: Header=BB428_4 Depth=1
	v_mul_lo_u32 v14, v12, s28
	v_readfirstlane_b32 s42, v10
	v_readfirstlane_b32 s43, v11
	v_dual_mov_b32 v19, 0 :: v_dual_bitop2_b32 v15, 2, v37 bitop3:0x54
	v_mov_b32_e32 v18, 0
	s_mov_b32 s41, exec_lo
	flat_load_u16 v14, v14, s[42:43] scale_offset
	s_wait_xcnt 0x0
	v_cmpx_gt_i32_e64 s21, v15
	s_cbranch_execz .LBB428_39
; %bb.36:                               ;   in Loop: Header=BB428_4 Depth=1
	v_mul_lo_u32 v15, v15, s28
	v_readfirstlane_b32 s42, v10
	v_readfirstlane_b32 s43, v11
	v_dual_mov_b32 v18, 0 :: v_dual_bitop2_b32 v16, 3, v37 bitop3:0x54
	flat_load_u16 v15, v15, s[42:43] scale_offset
	s_wait_xcnt 0x0
	s_mov_b32 s42, exec_lo
	v_cmpx_gt_i32_e64 s21, v16
	s_cbranch_execz .LBB428_38
; %bb.37:                               ;   in Loop: Header=BB428_4 Depth=1
	v_mul_lo_u32 v16, v16, s28
	v_readfirstlane_b32 s44, v10
	v_readfirstlane_b32 s45, v11
	flat_load_u16 v10, v16, s[44:45] scale_offset
	s_wait_loadcnt_dscnt 0x0
	v_cvt_f32_f16_e32 v18, v10
.LBB428_38:                             ;   in Loop: Header=BB428_4 Depth=1
	s_wait_xcnt 0x0
	s_or_b32 exec_lo, exec_lo, s42
	s_wait_loadcnt_dscnt 0x0
	v_cvt_f32_f16_e32 v19, v15
.LBB428_39:                             ;   in Loop: Header=BB428_4 Depth=1
	s_or_b32 exec_lo, exec_lo, s41
	s_wait_loadcnt_dscnt 0x0
	v_cvt_f32_f16_e32 v20, v14
.LBB428_40:                             ;   in Loop: Header=BB428_4 Depth=1
	s_or_b32 exec_lo, exec_lo, s40
	s_wait_loadcnt_dscnt 0x0
	v_cvt_f32_f16_e32 v21, v13
.LBB428_41:                             ;   in Loop: Header=BB428_4 Depth=1
	s_or_b32 exec_lo, exec_lo, s39
	s_and_saveexec_b32 s7, s1
	s_cbranch_execz .LBB428_49
; %bb.42:                               ;   in Loop: Header=BB428_4 Depth=1
	v_mul_lo_u32 v11, v37, s27
	v_mul_lo_u32 v14, v12, s27
	v_or_b32_e32 v10, 2, v37
	v_readfirstlane_b32 s40, v8
	v_readfirstlane_b32 s41, v9
	v_cndmask_b32_e32 v11, 0, v11, vcc_lo
	s_delay_alu instid0(VALU_DEP_4) | instskip(SKIP_2) | instid1(VALU_DEP_1)
	v_mul_lo_u32 v15, v10, s27
	v_cmp_gt_i32_e32 vcc_lo, s21, v12
	v_dual_cndmask_b32 v12, 0, v14, vcc_lo :: v_dual_bitop2_b32 v13, 3, v37 bitop3:0x54
	v_mul_lo_u32 v16, v13, s27
	v_cmp_gt_i32_e32 vcc_lo, s21, v10
	s_delay_alu instid0(VALU_DEP_3) | instskip(SKIP_2) | instid1(VALU_DEP_2)
	v_dual_add_nc_u32 v10, v11, v26 :: v_dual_add_nc_u32 v12, v12, v26
	v_cndmask_b32_e32 v14, 0, v15, vcc_lo
	v_cmp_gt_i32_e32 vcc_lo, s21, v13
	v_dual_cndmask_b32 v13, 0, v16 :: v_dual_add_nc_u32 v14, v14, v26
	s_delay_alu instid0(VALU_DEP_1)
	v_add_nc_u32_e32 v16, v13, v26
	s_clause 0x3
	flat_load_u16 v37, v10, s[40:41] scale_offset
	flat_load_u16 v38, v12, s[40:41] scale_offset
	;; [unrolled: 1-line block ×4, first 2 shown]
	s_wait_xcnt 0x0
	s_and_saveexec_b32 s39, s3
	s_cbranch_execz .LBB428_48
; %bb.43:                               ;   in Loop: Header=BB428_4 Depth=1
	v_dual_ashrrev_i32 v11, 31, v10 :: v_dual_ashrrev_i32 v13, 31, v12
	v_dual_ashrrev_i32 v15, 31, v14 :: v_dual_ashrrev_i32 v17, 31, v16
	s_delay_alu instid0(VALU_DEP_2) | instskip(NEXT) | instid1(VALU_DEP_3)
	v_lshl_add_u64 v[10:11], v[10:11], 1, v[8:9]
	v_lshl_add_u64 v[12:13], v[12:13], 1, v[8:9]
	s_delay_alu instid0(VALU_DEP_3) | instskip(NEXT) | instid1(VALU_DEP_4)
	v_lshl_add_u64 v[14:15], v[14:15], 1, v[8:9]
	v_lshl_add_u64 v[8:9], v[16:17], 1, v[8:9]
	s_clause 0x3
	flat_load_u16 v16, v[10:11] offset:128
	flat_load_u16 v17, v[12:13] offset:128
	;; [unrolled: 1-line block ×4, first 2 shown]
	s_wait_xcnt 0x0
	s_and_saveexec_b32 s40, s4
	s_cbranch_execz .LBB428_47
; %bb.44:                               ;   in Loop: Header=BB428_4 Depth=1
	s_clause 0x3
	flat_load_u16 v43, v[10:11] offset:256
	flat_load_u16 v44, v[12:13] offset:256
	flat_load_u16 v45, v[14:15] offset:256
	flat_load_u16 v46, v[8:9] offset:256
	s_wait_xcnt 0x0
	s_and_saveexec_b32 s41, s5
	s_cbranch_execz .LBB428_46
; %bb.45:                               ;   in Loop: Header=BB428_4 Depth=1
	s_clause 0x3
	flat_load_u16 v47, v[10:11] offset:384
	flat_load_u16 v48, v[12:13] offset:384
	;; [unrolled: 1-line block ×4, first 2 shown]
	s_wait_loadcnt_dscnt 0x303
	s_wait_xcnt 0x0
	v_fma_mix_f32 v8, v21, v47, v36 op_sel_hi:[0,1,0]
	s_wait_loadcnt_dscnt 0x202
	s_delay_alu instid0(VALU_DEP_1) | instskip(SKIP_1) | instid1(VALU_DEP_1)
	v_fma_mix_f32 v8, v20, v48, v8 op_sel_hi:[0,1,0]
	s_wait_loadcnt_dscnt 0x101
	v_fma_mix_f32 v8, v19, v49, v8 op_sel_hi:[0,1,0]
	s_wait_loadcnt_dscnt 0x0
	s_delay_alu instid0(VALU_DEP_1)
	v_fma_mix_f32 v36, v18, v50, v8 op_sel_hi:[0,1,0]
.LBB428_46:                             ;   in Loop: Header=BB428_4 Depth=1
	s_or_b32 exec_lo, exec_lo, s41
	s_wait_loadcnt_dscnt 0x303
	v_fma_mix_f32 v8, v21, v43, v35 op_sel_hi:[0,1,0]
	s_wait_loadcnt_dscnt 0x202
	s_delay_alu instid0(VALU_DEP_1) | instskip(SKIP_1) | instid1(VALU_DEP_1)
	v_fma_mix_f32 v8, v20, v44, v8 op_sel_hi:[0,1,0]
	s_wait_loadcnt_dscnt 0x101
	v_fma_mix_f32 v8, v19, v45, v8 op_sel_hi:[0,1,0]
	s_wait_loadcnt_dscnt 0x0
	s_delay_alu instid0(VALU_DEP_1)
	v_fma_mix_f32 v35, v18, v46, v8 op_sel_hi:[0,1,0]
.LBB428_47:                             ;   in Loop: Header=BB428_4 Depth=1
	s_or_b32 exec_lo, exec_lo, s40
	s_wait_loadcnt_dscnt 0x303
	v_fma_mix_f32 v8, v21, v16, v34 op_sel_hi:[0,1,0]
	s_wait_loadcnt_dscnt 0x202
	s_delay_alu instid0(VALU_DEP_1) | instskip(SKIP_1) | instid1(VALU_DEP_1)
	v_fma_mix_f32 v8, v20, v17, v8 op_sel_hi:[0,1,0]
	s_wait_loadcnt_dscnt 0x101
	v_fma_mix_f32 v8, v19, v41, v8 op_sel_hi:[0,1,0]
	s_wait_loadcnt_dscnt 0x0
	s_delay_alu instid0(VALU_DEP_1)
	v_fma_mix_f32 v34, v18, v42, v8 op_sel_hi:[0,1,0]
.LBB428_48:                             ;   in Loop: Header=BB428_4 Depth=1
	s_or_b32 exec_lo, exec_lo, s39
	s_wait_loadcnt_dscnt 0x303
	v_fma_mix_f32 v8, v21, v37, v33 op_sel_hi:[0,1,0]
	s_wait_loadcnt_dscnt 0x202
	s_delay_alu instid0(VALU_DEP_1) | instskip(SKIP_1) | instid1(VALU_DEP_1)
	v_fma_mix_f32 v8, v20, v38, v8 op_sel_hi:[0,1,0]
	s_wait_loadcnt_dscnt 0x101
	v_fma_mix_f32 v8, v19, v39, v8 op_sel_hi:[0,1,0]
	s_wait_loadcnt_dscnt 0x0
	s_delay_alu instid0(VALU_DEP_1)
	v_fma_mix_f32 v33, v18, v40, v8 op_sel_hi:[0,1,0]
.LBB428_49:                             ;   in Loop: Header=BB428_4 Depth=1
	s_or_b32 exec_lo, exec_lo, s7
.LBB428_50:                             ;   in Loop: Header=BB428_4 Depth=1
	ds_store_2addr_stride64_b32 v23, v33, v34 offset1:1
	ds_store_2addr_stride64_b32 v23, v35, v36 offset0:2 offset1:3
	s_wait_dscnt 0x0
	s_barrier_signal -1
	s_barrier_wait -1
                                        ; implicit-def: $vgpr12
	s_and_saveexec_b32 s7, s0
	s_cbranch_execz .LBB428_56
; %bb.51:                               ;   in Loop: Header=BB428_4 Depth=1
	ds_load_2addr_stride64_b32 v[8:9], v24 offset1:4
	ds_load_2addr_stride64_b32 v[10:11], v24 offset0:8 offset1:12
	s_mov_b32 s40, s38
                                        ; implicit-def: $vgpr12
	s_wait_dscnt 0x1
	v_add_f32_e32 v8, v8, v9
	s_wait_dscnt 0x0
	s_delay_alu instid0(VALU_DEP_1) | instskip(NEXT) | instid1(VALU_DEP_1)
	v_add_f32_e32 v8, v10, v8
	v_add_f32_e32 v8, v11, v8
	ds_store_b32 v24, v8
	s_and_saveexec_b32 s39, s2
	s_cbranch_execz .LBB428_55
; %bb.52:                               ;   in Loop: Header=BB428_4 Depth=1
	v_mul_f32_e32 v8, s22, v8
	s_and_not1_b32 vcc_lo, exec_lo, s33
	s_cbranch_vccnz .LBB428_54
; %bb.53:                               ;   in Loop: Header=BB428_4 Depth=1
	v_lshl_add_u64 v[10:11], v[4:5], 1, v[6:7]
	flat_load_u16 v9, v[10:11]
	s_wait_loadcnt_dscnt 0x0
	v_fma_mix_f32 v8, s26, v9, v8 op_sel_hi:[0,1,0]
.LBB428_54:                             ;   in Loop: Header=BB428_4 Depth=1
	s_delay_alu instid0(VALU_DEP_1)
	v_cvt_f16_f32_e32 v12, v8
	s_or_b32 s40, s38, exec_lo
.LBB428_55:                             ;   in Loop: Header=BB428_4 Depth=1
	s_wait_xcnt 0x0
	s_or_b32 exec_lo, exec_lo, s39
	s_delay_alu instid0(SALU_CYCLE_1) | instskip(SKIP_1) | instid1(SALU_CYCLE_1)
	s_and_not1_b32 s38, s38, exec_lo
	s_and_b32 s39, s40, exec_lo
	s_or_b32 s38, s38, s39
.LBB428_56:                             ;   in Loop: Header=BB428_4 Depth=1
	s_or_b32 exec_lo, exec_lo, s7
	v_mov_b64_e32 v[8:9], v[4:5]
	s_and_saveexec_b32 s7, s38
	s_cbranch_execz .LBB428_2
.LBB428_57:                             ;   in Loop: Header=BB428_4 Depth=1
	s_delay_alu instid0(VALU_DEP_1)
	v_lshl_add_u64 v[6:7], v[8:9], 1, v[6:7]
	flat_store_b16 v[6:7], v12
	s_branch .LBB428_2
.LBB428_58:
	s_endpgm
	.section	.rodata,"a",@progbits
	.p2align	6, 0x0
	.amdhsa_kernel _ZL20rocblas_gemvn_kernelILi64ELi4EiPKDF16_fKPDF16_EviiT3_lPKT2_lT1_lS7_lS8_lS4_lPT4_lS8_li
		.amdhsa_group_segment_fixed_size 4096
		.amdhsa_private_segment_fixed_size 0
		.amdhsa_kernarg_size 400
		.amdhsa_user_sgpr_count 2
		.amdhsa_user_sgpr_dispatch_ptr 0
		.amdhsa_user_sgpr_queue_ptr 0
		.amdhsa_user_sgpr_kernarg_segment_ptr 1
		.amdhsa_user_sgpr_dispatch_id 0
		.amdhsa_user_sgpr_kernarg_preload_length 0
		.amdhsa_user_sgpr_kernarg_preload_offset 0
		.amdhsa_user_sgpr_private_segment_size 0
		.amdhsa_wavefront_size32 1
		.amdhsa_uses_dynamic_stack 0
		.amdhsa_enable_private_segment 0
		.amdhsa_system_sgpr_workgroup_id_x 1
		.amdhsa_system_sgpr_workgroup_id_y 0
		.amdhsa_system_sgpr_workgroup_id_z 1
		.amdhsa_system_sgpr_workgroup_info 0
		.amdhsa_system_vgpr_workitem_id 1
		.amdhsa_next_free_vgpr 64
		.amdhsa_next_free_sgpr 46
		.amdhsa_named_barrier_count 0
		.amdhsa_reserve_vcc 1
		.amdhsa_float_round_mode_32 0
		.amdhsa_float_round_mode_16_64 0
		.amdhsa_float_denorm_mode_32 3
		.amdhsa_float_denorm_mode_16_64 3
		.amdhsa_fp16_overflow 0
		.amdhsa_memory_ordered 1
		.amdhsa_forward_progress 1
		.amdhsa_inst_pref_size 24
		.amdhsa_round_robin_scheduling 0
		.amdhsa_exception_fp_ieee_invalid_op 0
		.amdhsa_exception_fp_denorm_src 0
		.amdhsa_exception_fp_ieee_div_zero 0
		.amdhsa_exception_fp_ieee_overflow 0
		.amdhsa_exception_fp_ieee_underflow 0
		.amdhsa_exception_fp_ieee_inexact 0
		.amdhsa_exception_int_div_zero 0
	.end_amdhsa_kernel
	.section	.text._ZL20rocblas_gemvn_kernelILi64ELi4EiPKDF16_fKPDF16_EviiT3_lPKT2_lT1_lS7_lS8_lS4_lPT4_lS8_li,"axG",@progbits,_ZL20rocblas_gemvn_kernelILi64ELi4EiPKDF16_fKPDF16_EviiT3_lPKT2_lT1_lS7_lS8_lS4_lPT4_lS8_li,comdat
.Lfunc_end428:
	.size	_ZL20rocblas_gemvn_kernelILi64ELi4EiPKDF16_fKPDF16_EviiT3_lPKT2_lT1_lS7_lS8_lS4_lPT4_lS8_li, .Lfunc_end428-_ZL20rocblas_gemvn_kernelILi64ELi4EiPKDF16_fKPDF16_EviiT3_lPKT2_lT1_lS7_lS8_lS4_lPT4_lS8_li
                                        ; -- End function
	.set _ZL20rocblas_gemvn_kernelILi64ELi4EiPKDF16_fKPDF16_EviiT3_lPKT2_lT1_lS7_lS8_lS4_lPT4_lS8_li.num_vgpr, 64
	.set _ZL20rocblas_gemvn_kernelILi64ELi4EiPKDF16_fKPDF16_EviiT3_lPKT2_lT1_lS7_lS8_lS4_lPT4_lS8_li.num_agpr, 0
	.set _ZL20rocblas_gemvn_kernelILi64ELi4EiPKDF16_fKPDF16_EviiT3_lPKT2_lT1_lS7_lS8_lS4_lPT4_lS8_li.numbered_sgpr, 46
	.set _ZL20rocblas_gemvn_kernelILi64ELi4EiPKDF16_fKPDF16_EviiT3_lPKT2_lT1_lS7_lS8_lS4_lPT4_lS8_li.num_named_barrier, 0
	.set _ZL20rocblas_gemvn_kernelILi64ELi4EiPKDF16_fKPDF16_EviiT3_lPKT2_lT1_lS7_lS8_lS4_lPT4_lS8_li.private_seg_size, 0
	.set _ZL20rocblas_gemvn_kernelILi64ELi4EiPKDF16_fKPDF16_EviiT3_lPKT2_lT1_lS7_lS8_lS4_lPT4_lS8_li.uses_vcc, 1
	.set _ZL20rocblas_gemvn_kernelILi64ELi4EiPKDF16_fKPDF16_EviiT3_lPKT2_lT1_lS7_lS8_lS4_lPT4_lS8_li.uses_flat_scratch, 1
	.set _ZL20rocblas_gemvn_kernelILi64ELi4EiPKDF16_fKPDF16_EviiT3_lPKT2_lT1_lS7_lS8_lS4_lPT4_lS8_li.has_dyn_sized_stack, 0
	.set _ZL20rocblas_gemvn_kernelILi64ELi4EiPKDF16_fKPDF16_EviiT3_lPKT2_lT1_lS7_lS8_lS4_lPT4_lS8_li.has_recursion, 0
	.set _ZL20rocblas_gemvn_kernelILi64ELi4EiPKDF16_fKPDF16_EviiT3_lPKT2_lT1_lS7_lS8_lS4_lPT4_lS8_li.has_indirect_call, 0
	.section	.AMDGPU.csdata,"",@progbits
; Kernel info:
; codeLenInByte = 3016
; TotalNumSgprs: 48
; NumVgprs: 64
; ScratchSize: 0
; MemoryBound: 0
; FloatMode: 240
; IeeeMode: 1
; LDSByteSize: 4096 bytes/workgroup (compile time only)
; SGPRBlocks: 0
; VGPRBlocks: 3
; NumSGPRsForWavesPerEU: 48
; NumVGPRsForWavesPerEU: 64
; NamedBarCnt: 0
; Occupancy: 16
; WaveLimiterHint : 1
; COMPUTE_PGM_RSRC2:SCRATCH_EN: 0
; COMPUTE_PGM_RSRC2:USER_SGPR: 2
; COMPUTE_PGM_RSRC2:TRAP_HANDLER: 0
; COMPUTE_PGM_RSRC2:TGID_X_EN: 1
; COMPUTE_PGM_RSRC2:TGID_Y_EN: 0
; COMPUTE_PGM_RSRC2:TGID_Z_EN: 1
; COMPUTE_PGM_RSRC2:TIDIG_COMP_CNT: 1
	.section	.text._ZL20rocblas_gemvn_kernelILi64ELi4ElPKDF16_fKPDF16_EviiT3_lPKT2_lT1_lS7_lS8_lS4_lPT4_lS8_li,"axG",@progbits,_ZL20rocblas_gemvn_kernelILi64ELi4ElPKDF16_fKPDF16_EviiT3_lPKT2_lT1_lS7_lS8_lS4_lPT4_lS8_li,comdat
	.globl	_ZL20rocblas_gemvn_kernelILi64ELi4ElPKDF16_fKPDF16_EviiT3_lPKT2_lT1_lS7_lS8_lS4_lPT4_lS8_li ; -- Begin function _ZL20rocblas_gemvn_kernelILi64ELi4ElPKDF16_fKPDF16_EviiT3_lPKT2_lT1_lS7_lS8_lS4_lPT4_lS8_li
	.p2align	8
	.type	_ZL20rocblas_gemvn_kernelILi64ELi4ElPKDF16_fKPDF16_EviiT3_lPKT2_lT1_lS7_lS8_lS4_lPT4_lS8_li,@function
_ZL20rocblas_gemvn_kernelILi64ELi4ElPKDF16_fKPDF16_EviiT3_lPKT2_lT1_lS7_lS8_lS4_lPT4_lS8_li: ; @_ZL20rocblas_gemvn_kernelILi64ELi4ElPKDF16_fKPDF16_EviiT3_lPKT2_lT1_lS7_lS8_lS4_lPT4_lS8_li
; %bb.0:
	s_clause 0x1
	s_load_b64 s[2:3], s[0:1], 0x9c
	s_load_b32 s27, s[0:1], 0x88
	s_bfe_u32 s4, ttmp6, 0x40014
	s_lshr_b32 s5, ttmp7, 16
	s_add_co_i32 s4, s4, 1
	s_bfe_u32 s6, ttmp6, 0x40008
	s_mul_i32 s7, s5, s4
	s_getreg_b32 s4, hwreg(HW_REG_IB_STS2, 6, 4)
	s_add_co_i32 s6, s6, s7
	s_mov_b32 s11, 0
	s_wait_kmcnt 0x0
	s_lshr_b32 s7, s2, 16
	s_and_b32 s2, s2, 0xffff
	s_and_b32 s3, s3, 0xffff
	s_mul_i32 s2, s7, s2
	s_cmp_eq_u32 s4, 0
	s_mul_i32 s2, s2, s3
	s_cselect_b32 s10, s5, s6
	s_cmp_lg_u32 s2, 0x100
	s_cselect_b32 s2, -1, 0
	s_cmp_ge_u32 s10, s27
	s_cselect_b32 s3, -1, 0
	s_delay_alu instid0(SALU_CYCLE_1) | instskip(NEXT) | instid1(SALU_CYCLE_1)
	s_or_b32 s2, s2, s3
	s_and_b32 vcc_lo, exec_lo, s2
	s_cbranch_vccnz .LBB429_58
; %bb.1:
	s_clause 0x7
	s_load_b96 s[24:26], s[0:1], 0x0
	s_load_b32 s33, s[0:1], 0x58
	s_load_b64 s[28:29], s[0:1], 0x48
	s_load_b128 s[12:15], s[0:1], 0x18
	s_load_b64 s[30:31], s[0:1], 0x28
	s_load_b128 s[16:19], s[0:1], 0x38
	s_load_b64 s[2:3], s[0:1], 0x78
	s_load_b128 s[20:23], s[0:1], 0x68
	v_bfe_u32 v4, v0, 10, 10
	v_and_b32_e32 v15, 0x3ff, v0
	s_delay_alu instid0(VALU_DEP_2) | instskip(NEXT) | instid1(VALU_DEP_2)
	v_dual_mov_b32 v1, 0 :: v_dual_lshlrev_b32 v48, 2, v4
	v_lshl_add_u32 v14, v4, 6, v15
	s_delay_alu instid0(VALU_DEP_2) | instskip(NEXT) | instid1(VALU_DEP_1)
	v_dual_mov_b32 v5, v1 :: v_dual_lshlrev_b32 v20, 2, v15
	v_lshl_add_u32 v50, v4, 10, v20
	s_wait_kmcnt 0x0
	s_cmp_eq_f32 s26, 0
	v_lshl_add_u32 v51, v4, 8, v20
	v_mad_nc_u64_u32 v[6:7], s28, v48, s[28:29]
	v_mul_u64_e32 v[10:11], s[28:29], v[4:5]
	s_cselect_b32 s38, -1, 0
	s_cmp_neq_f32 s33, 1.0
	v_mad_nc_u64_u32 v[8:9], s30, v48, s[30:31]
	v_mul_u64_e32 v[12:13], s[30:31], v[4:5]
	s_cselect_b32 s0, -1, 0
	s_cmp_neq_f32 s26, 0
	s_delay_alu instid0(VALU_DEP_4)
	v_mad_u32 v7, s29, v48, v7
	s_cselect_b32 s1, -1, 0
	s_bfe_u32 s5, ttmp6, 0x4000c
	s_and_b32 s6, ttmp6, 15
	s_add_co_i32 s5, s5, 1
	s_or_b32 s39, s1, s0
	s_mul_i32 s5, ttmp9, s5
	v_cndmask_b32_e64 v49, 0, 1, s1
	s_add_co_i32 s6, s6, s5
	s_cmp_eq_u32 s4, 0
	s_mov_b32 s0, s24
	s_cselect_b32 s1, ttmp9, s6
	v_mad_u32 v9, s31, v48, v9
	s_lshl_b32 s4, s1, 8
	s_ashr_i32 s1, s24, 31
	v_dual_add_nc_u32 v0, s4, v14 :: v_dual_bitop2_b32 v24, s4, v15 bitop3:0x54
	v_lshlrev_b64_e32 v[4:5], 1, v[6:7]
	s_cmp_neq_f32 s33, 0
	s_delay_alu instid0(VALU_DEP_2)
	v_cmp_gt_i64_e32 vcc_lo, s[0:1], v[0:1]
	v_cmp_gt_u32_e64 s0, 0x100, v14
	v_or_b32_e32 v14, s4, v14
	v_mul_u64_e32 v[2:3], s[2:3], v[0:1]
	v_or_b32_e32 v0, 3, v48
	v_lshlrev_b64_e32 v[6:7], 1, v[8:9]
	s_cselect_b32 s40, -1, 0
	v_ashrrev_i32_e32 v15, 31, v14
	s_ashr_i32 s1, s25, 31
	v_mul_u64_e32 v[16:17], s[30:31], v[0:1]
	v_mul_u64_e32 v[18:19], s[28:29], v[0:1]
	v_or_b32_e32 v0, 2, v48
	v_mul_u64_e32 v[8:9], s[2:3], v[14:15]
	s_lshr_b32 s4, s1, 28
	v_ashrrev_i32_e32 v25, 31, v24
	v_add_nc_u32_e32 v15, 0x80, v24
	v_mul_u64_e32 v[20:21], s[30:31], v[0:1]
	v_mul_u64_e32 v[22:23], s[28:29], v[0:1]
	s_add_co_i32 s3, s25, s4
	v_add_nc_u32_e32 v0, 64, v24
	v_add_nc_u32_e32 v26, 0xc0, v24
	s_and_b32 s41, s3, -16
	v_cmp_gt_i32_e64 s2, s24, v14
	v_lshlrev_b64_e32 v[10:11], 3, v[10:11]
	v_lshlrev_b64_e32 v[12:13], 3, v[12:13]
	v_cmp_gt_i32_e64 s4, s24, v15
	s_sub_co_i32 s6, s25, s41
	v_lshlrev_b64_e32 v[14:15], 1, v[24:25]
	v_cmp_gt_i32_e64 s1, s24, v24
	v_cmp_gt_i32_e64 s3, s24, v0
	;; [unrolled: 1-line block ×3, first 2 shown]
	s_cmp_gt_i32 s6, 0
	v_cmp_gt_i32_e64 s6, s41, v48
	s_cselect_b32 s24, -1, 0
	s_and_b32 s42, s0, vcc_lo
	s_lshl_b64 s[34:35], s[28:29], 5
	s_lshl_b64 s[36:37], s[30:31], 5
	;; [unrolled: 1-line block ×5, first 2 shown]
	v_lshlrev_b64_e32 v[16:17], 1, v[16:17]
	v_lshlrev_b64_e32 v[18:19], 1, v[18:19]
	;; [unrolled: 1-line block ×4, first 2 shown]
	s_branch .LBB429_4
.LBB429_2:                              ;   in Loop: Header=BB429_4 Depth=1
	s_wait_xcnt 0x0
	s_or_b32 exec_lo, exec_lo, s7
.LBB429_3:                              ;   in Loop: Header=BB429_4 Depth=1
	s_add_co_i32 s10, s10, 0x10000
	s_delay_alu instid0(SALU_CYCLE_1)
	s_cmp_lt_u32 s10, s27
	s_cbranch_scc0 .LBB429_58
.LBB429_4:                              ; =>This Loop Header: Depth=1
                                        ;     Child Loop BB429_26 Depth 2
	s_and_not1_b32 vcc_lo, exec_lo, s39
	s_cbranch_vccnz .LBB429_3
; %bb.5:                                ;   in Loop: Header=BB429_4 Depth=1
	s_and_not1_b32 vcc_lo, exec_lo, s38
	s_cbranch_vccnz .LBB429_7
; %bb.6:                                ;   in Loop: Header=BB429_4 Depth=1
	v_mov_b64_e32 v[28:29], 0
	v_mov_b64_e32 v[26:27], 0
	s_cbranch_execz .LBB429_8
	s_branch .LBB429_9
.LBB429_7:                              ;   in Loop: Header=BB429_4 Depth=1
	v_mov_b64_e32 v[28:29], 0
	v_mov_b64_e32 v[26:27], 0
.LBB429_8:                              ;   in Loop: Header=BB429_4 Depth=1
	s_lshl_b64 s[8:9], s[10:11], 3
	s_delay_alu instid0(SALU_CYCLE_1)
	s_add_nc_u64 s[8:9], s[12:13], s[8:9]
	global_load_b64 v[24:25], v1, s[8:9]
	s_wait_loadcnt 0x0
	v_add_nc_u64_e32 v[26:27], s[14:15], v[24:25]
.LBB429_9:                              ;   in Loop: Header=BB429_4 Depth=1
	v_cmp_ne_u32_e32 vcc_lo, 1, v49
	s_cbranch_vccnz .LBB429_11
; %bb.10:                               ;   in Loop: Header=BB429_4 Depth=1
	s_wait_xcnt 0x0
	s_lshl_b64 s[8:9], s[10:11], 3
	s_delay_alu instid0(SALU_CYCLE_1)
	s_add_nc_u64 s[8:9], s[16:17], s[8:9]
	global_load_b64 v[24:25], v1, s[8:9]
	s_wait_loadcnt 0x0
	v_add_nc_u64_e32 v[28:29], s[18:19], v[24:25]
.LBB429_11:                             ;   in Loop: Header=BB429_4 Depth=1
	s_wait_xcnt 0x0
	s_lshl_b64 s[8:9], s[10:11], 3
	s_and_not1_b32 vcc_lo, exec_lo, s38
	s_add_nc_u64 s[8:9], s[20:21], s[8:9]
	global_load_b64 v[24:25], v1, s[8:9]
	s_wait_loadcnt 0x0
	v_add_nc_u64_e32 v[24:25], s[22:23], v[24:25]
	s_cbranch_vccnz .LBB429_15
; %bb.12:                               ;   in Loop: Header=BB429_4 Depth=1
	s_mov_b32 s7, 0
	s_mov_b32 s43, 0
                                        ; implicit-def: $vgpr0
	s_wait_xcnt 0x0
	s_and_saveexec_b32 s8, s42
	s_cbranch_execz .LBB429_16
; %bb.13:                               ;   in Loop: Header=BB429_4 Depth=1
	s_and_not1_b32 vcc_lo, exec_lo, s40
	s_cbranch_vccnz .LBB429_18
; %bb.14:                               ;   in Loop: Header=BB429_4 Depth=1
	v_lshl_add_u64 v[30:31], v[2:3], 1, v[24:25]
	flat_load_u16 v0, v[30:31]
	s_wait_loadcnt_dscnt 0x0
	v_fma_mixlo_f16 v0, s33, v0, 0 op_sel_hi:[0,1,0]
	s_branch .LBB429_19
.LBB429_15:                             ;   in Loop: Header=BB429_4 Depth=1
	s_mov_b32 s43, 0
                                        ; implicit-def: $vgpr0
	s_cbranch_execz .LBB429_17
	s_branch .LBB429_20
.LBB429_16:                             ;   in Loop: Header=BB429_4 Depth=1
	s_or_b32 exec_lo, exec_lo, s8
	s_delay_alu instid0(SALU_CYCLE_1)
	s_and_b32 vcc_lo, exec_lo, s7
	s_cbranch_vccnz .LBB429_20
.LBB429_17:                             ;   in Loop: Header=BB429_4 Depth=1
	v_mov_b64_e32 v[26:27], v[2:3]
	s_wait_xcnt 0x0
	s_and_saveexec_b32 s7, s43
	s_cbranch_execz .LBB429_2
	s_branch .LBB429_57
.LBB429_18:                             ;   in Loop: Header=BB429_4 Depth=1
	v_mov_b32_e32 v0, 0
.LBB429_19:                             ;   in Loop: Header=BB429_4 Depth=1
	s_mov_b32 s43, exec_lo
	s_wait_xcnt 0x0
	s_or_b32 exec_lo, exec_lo, s8
	s_delay_alu instid0(SALU_CYCLE_1)
	s_and_b32 vcc_lo, exec_lo, s7
	s_cbranch_vccz .LBB429_17
.LBB429_20:                             ;   in Loop: Header=BB429_4 Depth=1
	v_dual_mov_b32 v52, 0 :: v_dual_mov_b32 v0, v48
	v_dual_mov_b32 v53, 0 :: v_dual_mov_b32 v54, 0
	v_mov_b32_e32 v55, 0
	s_wait_xcnt 0x0
	s_and_saveexec_b32 s7, s6
	s_cbranch_execz .LBB429_32
; %bb.21:                               ;   in Loop: Header=BB429_4 Depth=1
	v_add_nc_u64_e32 v[30:31], v[26:27], v[16:17]
	v_add_nc_u64_e32 v[32:33], v[26:27], v[12:13]
	;; [unrolled: 1-line block ×4, first 2 shown]
	v_mov_b64_e32 v[38:39], v[28:29]
	v_dual_mov_b32 v52, 0 :: v_dual_mov_b32 v0, v48
	v_dual_mov_b32 v53, 0 :: v_dual_mov_b32 v54, 0
	v_mov_b32_e32 v55, 0
	s_mov_b32 s8, 0
	s_branch .LBB429_26
.LBB429_22:                             ;   in Loop: Header=BB429_26 Depth=2
	s_wait_xcnt 0x0
	s_or_b32 exec_lo, exec_lo, s46
	s_wait_loadcnt_dscnt 0x303
	v_fma_mix_f32 v40, v68, v72, v54 op_sel_hi:[0,1,0]
	s_wait_loadcnt_dscnt 0x202
	s_delay_alu instid0(VALU_DEP_1) | instskip(SKIP_1) | instid1(VALU_DEP_1)
	v_fma_mix_f32 v40, v69, v73, v40 op_sel_hi:[0,1,0]
	s_wait_loadcnt_dscnt 0x101
	v_fma_mix_f32 v40, v70, v74, v40 op_sel_hi:[0,1,0]
	s_wait_loadcnt_dscnt 0x0
	s_delay_alu instid0(VALU_DEP_1)
	v_fma_mix_f32 v54, v71, v75, v40 op_sel_hi:[0,1,0]
.LBB429_23:                             ;   in Loop: Header=BB429_26 Depth=2
	s_or_b32 exec_lo, exec_lo, s45
	s_wait_loadcnt_dscnt 0x303
	v_fma_mix_f32 v40, v68, v64, v53 op_sel_hi:[0,1,0]
	s_wait_loadcnt_dscnt 0x202
	s_delay_alu instid0(VALU_DEP_1) | instskip(SKIP_1) | instid1(VALU_DEP_1)
	v_fma_mix_f32 v40, v69, v65, v40 op_sel_hi:[0,1,0]
	s_wait_loadcnt_dscnt 0x101
	v_fma_mix_f32 v40, v70, v66, v40 op_sel_hi:[0,1,0]
	s_wait_loadcnt_dscnt 0x0
	s_delay_alu instid0(VALU_DEP_1)
	v_fma_mix_f32 v53, v71, v67, v40 op_sel_hi:[0,1,0]
.LBB429_24:                             ;   in Loop: Header=BB429_26 Depth=2
	s_or_b32 exec_lo, exec_lo, s44
	s_wait_loadcnt_dscnt 0x303
	v_fma_mix_f32 v40, v56, v60, v52 op_sel_hi:[1,1,0]
	s_wait_loadcnt_dscnt 0x202
	s_delay_alu instid0(VALU_DEP_1) | instskip(SKIP_1) | instid1(VALU_DEP_1)
	v_fma_mix_f32 v40, v57, v61, v40 op_sel_hi:[1,1,0]
	s_wait_loadcnt_dscnt 0x101
	v_fma_mix_f32 v40, v58, v62, v40 op_sel_hi:[1,1,0]
	s_wait_loadcnt_dscnt 0x0
	s_delay_alu instid0(VALU_DEP_1)
	v_fma_mix_f32 v52, v59, v63, v40 op_sel_hi:[1,1,0]
.LBB429_25:                             ;   in Loop: Header=BB429_26 Depth=2
	s_or_b32 exec_lo, exec_lo, s9
	v_add_nc_u32_e32 v0, 16, v0
	v_add_nc_u64_e32 v[38:39], s[34:35], v[38:39]
	v_add_nc_u64_e32 v[30:31], s[36:37], v[30:31]
	;; [unrolled: 1-line block ×4, first 2 shown]
	v_cmp_le_i32_e32 vcc_lo, s41, v0
	v_add_nc_u64_e32 v[36:37], s[36:37], v[36:37]
	s_or_b32 s8, vcc_lo, s8
	s_delay_alu instid0(SALU_CYCLE_1)
	s_and_not1_b32 exec_lo, exec_lo, s8
	s_cbranch_execz .LBB429_31
.LBB429_26:                             ;   Parent Loop BB429_4 Depth=1
                                        ; =>  This Inner Loop Header: Depth=2
	s_and_saveexec_b32 s9, s1
	s_cbranch_execz .LBB429_25
; %bb.27:                               ;   in Loop: Header=BB429_26 Depth=2
	v_add_nc_u64_e32 v[64:65], v[38:39], v[10:11]
	v_add_nc_u64_e32 v[66:67], v[38:39], v[4:5]
	;; [unrolled: 1-line block ×8, first 2 shown]
	s_clause 0x3
	flat_load_u16 v56, v[64:65]
	flat_load_u16 v57, v[66:67]
	flat_load_u16 v58, v[68:69]
	flat_load_u16 v59, v[70:71]
	flat_load_u16 v60, v[40:41]
	flat_load_u16 v61, v[42:43]
	flat_load_u16 v62, v[44:45]
	flat_load_u16 v63, v[46:47]
	s_wait_xcnt 0x0
	s_and_saveexec_b32 s44, s3
	s_cbranch_execz .LBB429_24
; %bb.28:                               ;   in Loop: Header=BB429_26 Depth=2
	flat_load_u16 v64, v[40:41] offset:128
	flat_load_u16 v65, v[42:43] offset:128
	flat_load_u16 v66, v[44:45] offset:128
	flat_load_u16 v67, v[46:47] offset:128
	s_wait_loadcnt_dscnt 0xb0b
	v_cvt_f32_f16_e32 v68, v56
	s_wait_loadcnt_dscnt 0xa0a
	v_cvt_f32_f16_e32 v69, v57
	;; [unrolled: 2-line block ×4, first 2 shown]
	s_wait_xcnt 0x0
	s_and_saveexec_b32 s45, s4
	s_cbranch_execz .LBB429_23
; %bb.29:                               ;   in Loop: Header=BB429_26 Depth=2
	flat_load_u16 v72, v[40:41] offset:256
	flat_load_u16 v73, v[42:43] offset:256
	;; [unrolled: 1-line block ×4, first 2 shown]
	s_wait_xcnt 0x0
	s_and_saveexec_b32 s46, s5
	s_cbranch_execz .LBB429_22
; %bb.30:                               ;   in Loop: Header=BB429_26 Depth=2
	flat_load_u16 v76, v[40:41] offset:384
	flat_load_u16 v77, v[42:43] offset:384
	;; [unrolled: 1-line block ×4, first 2 shown]
	s_wait_loadcnt_dscnt 0x303
	s_wait_xcnt 0x3
	v_fma_mix_f32 v40, v68, v76, v55 op_sel_hi:[0,1,0]
	s_wait_loadcnt_dscnt 0x202
	s_delay_alu instid0(VALU_DEP_1) | instskip(SKIP_1) | instid1(VALU_DEP_1)
	v_fma_mix_f32 v40, v69, v77, v40 op_sel_hi:[0,1,0]
	s_wait_loadcnt_dscnt 0x101
	v_fma_mix_f32 v40, v70, v78, v40 op_sel_hi:[0,1,0]
	s_wait_loadcnt_dscnt 0x0
	s_delay_alu instid0(VALU_DEP_1)
	v_fma_mix_f32 v55, v71, v79, v40 op_sel_hi:[0,1,0]
	s_branch .LBB429_22
.LBB429_31:                             ;   in Loop: Header=BB429_4 Depth=1
	s_or_b32 exec_lo, exec_lo, s8
.LBB429_32:                             ;   in Loop: Header=BB429_4 Depth=1
	s_delay_alu instid0(SALU_CYCLE_1) | instskip(NEXT) | instid1(SALU_CYCLE_1)
	s_or_b32 exec_lo, exec_lo, s7
	s_and_not1_b32 vcc_lo, exec_lo, s24
	s_cbranch_vccnz .LBB429_50
; %bb.33:                               ;   in Loop: Header=BB429_4 Depth=1
	v_cmp_gt_i32_e32 vcc_lo, s25, v0
	v_dual_mov_b32 v34, 0 :: v_dual_bitop2_b32 v30, 1, v0 bitop3:0x54
	v_dual_mov_b32 v35, 0 :: v_dual_mov_b32 v36, 0
	v_mov_b32_e32 v37, 0
	s_and_saveexec_b32 s8, vcc_lo
	s_cbranch_execz .LBB429_41
; %bb.34:                               ;   in Loop: Header=BB429_4 Depth=1
	v_mul_u64_e32 v[32:33], s[28:29], v[0:1]
	v_dual_mov_b32 v36, 0 :: v_dual_mov_b32 v35, 0
	v_mov_b32_e32 v34, 0
	s_mov_b32 s9, exec_lo
	s_delay_alu instid0(VALU_DEP_3)
	v_lshl_add_u64 v[32:33], v[32:33], 1, v[28:29]
	flat_load_u16 v37, v[32:33]
	s_wait_xcnt 0x0
	v_cmpx_gt_i32_e64 s25, v30
	s_cbranch_execz .LBB429_40
; %bb.35:                               ;   in Loop: Header=BB429_4 Depth=1
	v_dual_mov_b32 v31, v1 :: v_dual_mov_b32 v35, 0
	v_mov_b32_e32 v34, 0
	s_mov_b32 s44, exec_lo
	s_delay_alu instid0(VALU_DEP_2) | instskip(NEXT) | instid1(VALU_DEP_1)
	v_mul_u64_e32 v[32:33], s[28:29], v[30:31]
	v_lshl_add_u64 v[32:33], v[32:33], 1, v[28:29]
	flat_load_u16 v31, v[32:33]
	s_wait_xcnt 0x0
	v_or_b32_e32 v32, 2, v0
	s_delay_alu instid0(VALU_DEP_1)
	v_cmpx_gt_i32_e64 s25, v32
	s_cbranch_execz .LBB429_39
; %bb.36:                               ;   in Loop: Header=BB429_4 Depth=1
	v_dual_mov_b32 v33, v1 :: v_dual_mov_b32 v34, 0
	s_mov_b32 s45, exec_lo
	s_delay_alu instid0(VALU_DEP_1) | instskip(NEXT) | instid1(VALU_DEP_1)
	v_mul_u64_e32 v[32:33], s[28:29], v[32:33]
	v_lshl_add_u64 v[32:33], v[32:33], 1, v[28:29]
	flat_load_u16 v35, v[32:33]
	s_wait_xcnt 0x0
	v_or_b32_e32 v32, 3, v0
	s_delay_alu instid0(VALU_DEP_1)
	v_cmpx_gt_i32_e64 s25, v32
	s_cbranch_execz .LBB429_38
; %bb.37:                               ;   in Loop: Header=BB429_4 Depth=1
	v_mov_b32_e32 v33, v1
	s_delay_alu instid0(VALU_DEP_1) | instskip(NEXT) | instid1(VALU_DEP_1)
	v_mul_u64_e32 v[32:33], s[28:29], v[32:33]
	v_lshl_add_u64 v[28:29], v[32:33], 1, v[28:29]
	flat_load_u16 v28, v[28:29]
	s_wait_loadcnt_dscnt 0x0
	v_cvt_f32_f16_e32 v34, v28
.LBB429_38:                             ;   in Loop: Header=BB429_4 Depth=1
	s_wait_xcnt 0x0
	s_or_b32 exec_lo, exec_lo, s45
	s_wait_loadcnt_dscnt 0x0
	v_cvt_f32_f16_e32 v35, v35
.LBB429_39:                             ;   in Loop: Header=BB429_4 Depth=1
	s_or_b32 exec_lo, exec_lo, s44
	s_wait_loadcnt_dscnt 0x0
	v_cvt_f32_f16_e32 v36, v31
.LBB429_40:                             ;   in Loop: Header=BB429_4 Depth=1
	s_or_b32 exec_lo, exec_lo, s9
	s_wait_loadcnt_dscnt 0x0
	v_cvt_f32_f16_e32 v37, v37
.LBB429_41:                             ;   in Loop: Header=BB429_4 Depth=1
	s_or_b32 exec_lo, exec_lo, s8
	s_and_saveexec_b32 s44, s1
	s_cbranch_execz .LBB429_49
; %bb.42:                               ;   in Loop: Header=BB429_4 Depth=1
	v_dual_mov_b32 v31, v1 :: v_dual_bitop2_b32 v28, 2, v0 bitop3:0x54
	v_mov_b32_e32 v29, v1
	v_mul_u64_e32 v[32:33], s[30:31], v[0:1]
	v_or_b32_e32 v0, 3, v0
	s_delay_alu instid0(VALU_DEP_4)
	v_mul_u64_e32 v[38:39], s[30:31], v[30:31]
	v_cmp_gt_i32_e64 s7, s25, v30
	v_mul_u64_e32 v[40:41], s[30:31], v[28:29]
	v_cmp_gt_i32_e64 s8, s25, v28
	;; [unrolled: 2-line block ×3, first 2 shown]
	v_dual_cndmask_b32 v29, 0, v33 :: v_dual_cndmask_b32 v28, 0, v32
	v_dual_cndmask_b32 v31, 0, v39, s7 :: v_dual_cndmask_b32 v30, 0, v38, s7
	v_dual_cndmask_b32 v33, 0, v41, s8 :: v_dual_cndmask_b32 v32, 0, v40, s8
	s_delay_alu instid0(VALU_DEP_4) | instskip(NEXT) | instid1(VALU_DEP_4)
	v_dual_cndmask_b32 v39, 0, v43, s9 :: v_dual_cndmask_b32 v38, 0, v42, s9
	v_lshl_add_u64 v[28:29], v[28:29], 1, v[26:27]
	s_delay_alu instid0(VALU_DEP_4) | instskip(NEXT) | instid1(VALU_DEP_4)
	v_lshl_add_u64 v[30:31], v[30:31], 1, v[26:27]
	v_lshl_add_u64 v[32:33], v[32:33], 1, v[26:27]
	s_delay_alu instid0(VALU_DEP_4) | instskip(NEXT) | instid1(VALU_DEP_4)
	v_lshl_add_u64 v[38:39], v[38:39], 1, v[26:27]
	v_add_nc_u64_e32 v[28:29], v[28:29], v[14:15]
	s_delay_alu instid0(VALU_DEP_4) | instskip(NEXT) | instid1(VALU_DEP_4)
	v_add_nc_u64_e32 v[26:27], v[30:31], v[14:15]
	v_add_nc_u64_e32 v[32:33], v[32:33], v[14:15]
	s_delay_alu instid0(VALU_DEP_4)
	v_add_nc_u64_e32 v[30:31], v[38:39], v[14:15]
	s_clause 0x3
	flat_load_u16 v0, v[28:29]
	flat_load_u16 v38, v[26:27]
	;; [unrolled: 1-line block ×4, first 2 shown]
	s_wait_xcnt 0x0
	s_and_saveexec_b32 s7, s3
	s_cbranch_execz .LBB429_48
; %bb.43:                               ;   in Loop: Header=BB429_4 Depth=1
	s_clause 0x3
	flat_load_u16 v41, v[28:29] offset:128
	flat_load_u16 v42, v[26:27] offset:128
	flat_load_u16 v43, v[32:33] offset:128
	flat_load_u16 v44, v[30:31] offset:128
	s_wait_xcnt 0x0
	s_and_saveexec_b32 s8, s4
	s_cbranch_execz .LBB429_47
; %bb.44:                               ;   in Loop: Header=BB429_4 Depth=1
	s_clause 0x3
	flat_load_u16 v45, v[28:29] offset:256
	flat_load_u16 v46, v[26:27] offset:256
	flat_load_u16 v47, v[32:33] offset:256
	flat_load_u16 v56, v[30:31] offset:256
	;; [unrolled: 9-line block ×3, first 2 shown]
	s_wait_loadcnt_dscnt 0x303
	s_wait_xcnt 0x2
	v_fma_mix_f32 v26, v37, v57, v55 op_sel_hi:[0,1,0]
	s_wait_loadcnt_dscnt 0x202
	s_delay_alu instid0(VALU_DEP_1) | instskip(SKIP_1) | instid1(VALU_DEP_1)
	v_fma_mix_f32 v26, v36, v58, v26 op_sel_hi:[0,1,0]
	s_wait_loadcnt_dscnt 0x101
	v_fma_mix_f32 v26, v35, v59, v26 op_sel_hi:[0,1,0]
	s_wait_loadcnt_dscnt 0x0
	s_delay_alu instid0(VALU_DEP_1)
	v_fma_mix_f32 v55, v34, v60, v26 op_sel_hi:[0,1,0]
.LBB429_46:                             ;   in Loop: Header=BB429_4 Depth=1
	s_wait_xcnt 0x0
	s_or_b32 exec_lo, exec_lo, s9
	s_wait_loadcnt_dscnt 0x303
	v_fma_mix_f32 v26, v37, v45, v54 op_sel_hi:[0,1,0]
	s_wait_loadcnt_dscnt 0x202
	s_delay_alu instid0(VALU_DEP_1) | instskip(SKIP_1) | instid1(VALU_DEP_1)
	v_fma_mix_f32 v26, v36, v46, v26 op_sel_hi:[0,1,0]
	s_wait_loadcnt_dscnt 0x101
	v_fma_mix_f32 v26, v35, v47, v26 op_sel_hi:[0,1,0]
	s_wait_loadcnt_dscnt 0x0
	s_delay_alu instid0(VALU_DEP_1)
	v_fma_mix_f32 v54, v34, v56, v26 op_sel_hi:[0,1,0]
.LBB429_47:                             ;   in Loop: Header=BB429_4 Depth=1
	s_or_b32 exec_lo, exec_lo, s8
	s_wait_loadcnt_dscnt 0x303
	v_fma_mix_f32 v26, v37, v41, v53 op_sel_hi:[0,1,0]
	s_wait_loadcnt_dscnt 0x202
	s_delay_alu instid0(VALU_DEP_1) | instskip(SKIP_1) | instid1(VALU_DEP_1)
	v_fma_mix_f32 v26, v36, v42, v26 op_sel_hi:[0,1,0]
	s_wait_loadcnt_dscnt 0x101
	v_fma_mix_f32 v26, v35, v43, v26 op_sel_hi:[0,1,0]
	s_wait_loadcnt_dscnt 0x0
	s_delay_alu instid0(VALU_DEP_1)
	v_fma_mix_f32 v53, v34, v44, v26 op_sel_hi:[0,1,0]
.LBB429_48:                             ;   in Loop: Header=BB429_4 Depth=1
	s_or_b32 exec_lo, exec_lo, s7
	s_wait_loadcnt_dscnt 0x303
	v_fma_mix_f32 v0, v37, v0, v52 op_sel_hi:[0,1,0]
	s_wait_loadcnt_dscnt 0x202
	s_delay_alu instid0(VALU_DEP_1) | instskip(SKIP_1) | instid1(VALU_DEP_1)
	v_fma_mix_f32 v0, v36, v38, v0 op_sel_hi:[0,1,0]
	s_wait_loadcnt_dscnt 0x101
	v_fma_mix_f32 v0, v35, v39, v0 op_sel_hi:[0,1,0]
	s_wait_loadcnt_dscnt 0x0
	s_delay_alu instid0(VALU_DEP_1)
	v_fma_mix_f32 v52, v34, v40, v0 op_sel_hi:[0,1,0]
.LBB429_49:                             ;   in Loop: Header=BB429_4 Depth=1
	s_or_b32 exec_lo, exec_lo, s44
.LBB429_50:                             ;   in Loop: Header=BB429_4 Depth=1
	ds_store_2addr_stride64_b32 v50, v52, v53 offset1:1
	ds_store_2addr_stride64_b32 v50, v54, v55 offset0:2 offset1:3
	s_wait_dscnt 0x0
	s_barrier_signal -1
	s_barrier_wait -1
                                        ; implicit-def: $vgpr0
	s_and_saveexec_b32 s7, s0
	s_cbranch_execz .LBB429_56
; %bb.51:                               ;   in Loop: Header=BB429_4 Depth=1
	ds_load_2addr_stride64_b32 v[26:27], v51 offset1:4
	ds_load_2addr_stride64_b32 v[28:29], v51 offset0:8 offset1:12
	s_mov_b32 s9, s43
	s_wait_dscnt 0x1
	v_add_f32_e32 v0, v26, v27
	s_wait_dscnt 0x0
	s_delay_alu instid0(VALU_DEP_1) | instskip(NEXT) | instid1(VALU_DEP_1)
	v_add_f32_e32 v0, v28, v0
	v_add_f32_e32 v26, v29, v0
                                        ; implicit-def: $vgpr0
	ds_store_b32 v51, v26
	s_and_saveexec_b32 s8, s2
	s_cbranch_execz .LBB429_55
; %bb.52:                               ;   in Loop: Header=BB429_4 Depth=1
	v_mul_f32_e32 v0, s26, v26
	s_and_not1_b32 vcc_lo, exec_lo, s40
	s_cbranch_vccnz .LBB429_54
; %bb.53:                               ;   in Loop: Header=BB429_4 Depth=1
	v_lshl_add_u64 v[26:27], v[8:9], 1, v[24:25]
	flat_load_u16 v26, v[26:27]
	s_wait_loadcnt_dscnt 0x0
	v_fma_mix_f32 v0, s33, v26, v0 op_sel_hi:[0,1,0]
.LBB429_54:                             ;   in Loop: Header=BB429_4 Depth=1
	s_delay_alu instid0(VALU_DEP_1)
	v_cvt_f16_f32_e32 v0, v0
	s_or_b32 s9, s43, exec_lo
.LBB429_55:                             ;   in Loop: Header=BB429_4 Depth=1
	s_wait_xcnt 0x0
	s_or_b32 exec_lo, exec_lo, s8
	s_delay_alu instid0(SALU_CYCLE_1) | instskip(SKIP_1) | instid1(SALU_CYCLE_1)
	s_and_not1_b32 s8, s43, exec_lo
	s_and_b32 s9, s9, exec_lo
	s_or_b32 s43, s8, s9
.LBB429_56:                             ;   in Loop: Header=BB429_4 Depth=1
	s_or_b32 exec_lo, exec_lo, s7
	v_mov_b64_e32 v[26:27], v[8:9]
	s_and_saveexec_b32 s7, s43
	s_cbranch_execz .LBB429_2
.LBB429_57:                             ;   in Loop: Header=BB429_4 Depth=1
	s_delay_alu instid0(VALU_DEP_1)
	v_lshl_add_u64 v[24:25], v[26:27], 1, v[24:25]
	flat_store_b16 v[24:25], v0
	s_branch .LBB429_2
.LBB429_58:
	s_sendmsg sendmsg(MSG_DEALLOC_VGPRS)
	s_endpgm
	.section	.rodata,"a",@progbits
	.p2align	6, 0x0
	.amdhsa_kernel _ZL20rocblas_gemvn_kernelILi64ELi4ElPKDF16_fKPDF16_EviiT3_lPKT2_lT1_lS7_lS8_lS4_lPT4_lS8_li
		.amdhsa_group_segment_fixed_size 4096
		.amdhsa_private_segment_fixed_size 0
		.amdhsa_kernarg_size 400
		.amdhsa_user_sgpr_count 2
		.amdhsa_user_sgpr_dispatch_ptr 0
		.amdhsa_user_sgpr_queue_ptr 0
		.amdhsa_user_sgpr_kernarg_segment_ptr 1
		.amdhsa_user_sgpr_dispatch_id 0
		.amdhsa_user_sgpr_kernarg_preload_length 0
		.amdhsa_user_sgpr_kernarg_preload_offset 0
		.amdhsa_user_sgpr_private_segment_size 0
		.amdhsa_wavefront_size32 1
		.amdhsa_uses_dynamic_stack 0
		.amdhsa_enable_private_segment 0
		.amdhsa_system_sgpr_workgroup_id_x 1
		.amdhsa_system_sgpr_workgroup_id_y 0
		.amdhsa_system_sgpr_workgroup_id_z 1
		.amdhsa_system_sgpr_workgroup_info 0
		.amdhsa_system_vgpr_workitem_id 1
		.amdhsa_next_free_vgpr 80
		.amdhsa_next_free_sgpr 47
		.amdhsa_named_barrier_count 0
		.amdhsa_reserve_vcc 1
		.amdhsa_float_round_mode_32 0
		.amdhsa_float_round_mode_16_64 0
		.amdhsa_float_denorm_mode_32 3
		.amdhsa_float_denorm_mode_16_64 3
		.amdhsa_fp16_overflow 0
		.amdhsa_memory_ordered 1
		.amdhsa_forward_progress 1
		.amdhsa_inst_pref_size 23
		.amdhsa_round_robin_scheduling 0
		.amdhsa_exception_fp_ieee_invalid_op 0
		.amdhsa_exception_fp_denorm_src 0
		.amdhsa_exception_fp_ieee_div_zero 0
		.amdhsa_exception_fp_ieee_overflow 0
		.amdhsa_exception_fp_ieee_underflow 0
		.amdhsa_exception_fp_ieee_inexact 0
		.amdhsa_exception_int_div_zero 0
	.end_amdhsa_kernel
	.section	.text._ZL20rocblas_gemvn_kernelILi64ELi4ElPKDF16_fKPDF16_EviiT3_lPKT2_lT1_lS7_lS8_lS4_lPT4_lS8_li,"axG",@progbits,_ZL20rocblas_gemvn_kernelILi64ELi4ElPKDF16_fKPDF16_EviiT3_lPKT2_lT1_lS7_lS8_lS4_lPT4_lS8_li,comdat
.Lfunc_end429:
	.size	_ZL20rocblas_gemvn_kernelILi64ELi4ElPKDF16_fKPDF16_EviiT3_lPKT2_lT1_lS7_lS8_lS4_lPT4_lS8_li, .Lfunc_end429-_ZL20rocblas_gemvn_kernelILi64ELi4ElPKDF16_fKPDF16_EviiT3_lPKT2_lT1_lS7_lS8_lS4_lPT4_lS8_li
                                        ; -- End function
	.set _ZL20rocblas_gemvn_kernelILi64ELi4ElPKDF16_fKPDF16_EviiT3_lPKT2_lT1_lS7_lS8_lS4_lPT4_lS8_li.num_vgpr, 80
	.set _ZL20rocblas_gemvn_kernelILi64ELi4ElPKDF16_fKPDF16_EviiT3_lPKT2_lT1_lS7_lS8_lS4_lPT4_lS8_li.num_agpr, 0
	.set _ZL20rocblas_gemvn_kernelILi64ELi4ElPKDF16_fKPDF16_EviiT3_lPKT2_lT1_lS7_lS8_lS4_lPT4_lS8_li.numbered_sgpr, 47
	.set _ZL20rocblas_gemvn_kernelILi64ELi4ElPKDF16_fKPDF16_EviiT3_lPKT2_lT1_lS7_lS8_lS4_lPT4_lS8_li.num_named_barrier, 0
	.set _ZL20rocblas_gemvn_kernelILi64ELi4ElPKDF16_fKPDF16_EviiT3_lPKT2_lT1_lS7_lS8_lS4_lPT4_lS8_li.private_seg_size, 0
	.set _ZL20rocblas_gemvn_kernelILi64ELi4ElPKDF16_fKPDF16_EviiT3_lPKT2_lT1_lS7_lS8_lS4_lPT4_lS8_li.uses_vcc, 1
	.set _ZL20rocblas_gemvn_kernelILi64ELi4ElPKDF16_fKPDF16_EviiT3_lPKT2_lT1_lS7_lS8_lS4_lPT4_lS8_li.uses_flat_scratch, 1
	.set _ZL20rocblas_gemvn_kernelILi64ELi4ElPKDF16_fKPDF16_EviiT3_lPKT2_lT1_lS7_lS8_lS4_lPT4_lS8_li.has_dyn_sized_stack, 0
	.set _ZL20rocblas_gemvn_kernelILi64ELi4ElPKDF16_fKPDF16_EviiT3_lPKT2_lT1_lS7_lS8_lS4_lPT4_lS8_li.has_recursion, 0
	.set _ZL20rocblas_gemvn_kernelILi64ELi4ElPKDF16_fKPDF16_EviiT3_lPKT2_lT1_lS7_lS8_lS4_lPT4_lS8_li.has_indirect_call, 0
	.section	.AMDGPU.csdata,"",@progbits
; Kernel info:
; codeLenInByte = 2940
; TotalNumSgprs: 49
; NumVgprs: 80
; ScratchSize: 0
; MemoryBound: 0
; FloatMode: 240
; IeeeMode: 1
; LDSByteSize: 4096 bytes/workgroup (compile time only)
; SGPRBlocks: 0
; VGPRBlocks: 4
; NumSGPRsForWavesPerEU: 49
; NumVGPRsForWavesPerEU: 80
; NamedBarCnt: 0
; Occupancy: 12
; WaveLimiterHint : 1
; COMPUTE_PGM_RSRC2:SCRATCH_EN: 0
; COMPUTE_PGM_RSRC2:USER_SGPR: 2
; COMPUTE_PGM_RSRC2:TRAP_HANDLER: 0
; COMPUTE_PGM_RSRC2:TGID_X_EN: 1
; COMPUTE_PGM_RSRC2:TGID_Y_EN: 0
; COMPUTE_PGM_RSRC2:TGID_Z_EN: 1
; COMPUTE_PGM_RSRC2:TIDIG_COMP_CNT: 1
	.section	.text._ZL20rocblas_gemvn_kernelILi32ELi16EiPKDF16_PKfKPDF16_EviiT3_lPKT2_lT1_lS9_lSA_lS6_lPT4_lSA_li,"axG",@progbits,_ZL20rocblas_gemvn_kernelILi32ELi16EiPKDF16_PKfKPDF16_EviiT3_lPKT2_lT1_lS9_lSA_lS6_lPT4_lSA_li,comdat
	.globl	_ZL20rocblas_gemvn_kernelILi32ELi16EiPKDF16_PKfKPDF16_EviiT3_lPKT2_lT1_lS9_lSA_lS6_lPT4_lSA_li ; -- Begin function _ZL20rocblas_gemvn_kernelILi32ELi16EiPKDF16_PKfKPDF16_EviiT3_lPKT2_lT1_lS9_lSA_lS6_lPT4_lSA_li
	.p2align	8
	.type	_ZL20rocblas_gemvn_kernelILi32ELi16EiPKDF16_PKfKPDF16_EviiT3_lPKT2_lT1_lS9_lSA_lS6_lPT4_lSA_li,@function
_ZL20rocblas_gemvn_kernelILi32ELi16EiPKDF16_PKfKPDF16_EviiT3_lPKT2_lT1_lS9_lSA_lS6_lPT4_lSA_li: ; @_ZL20rocblas_gemvn_kernelILi32ELi16EiPKDF16_PKfKPDF16_EviiT3_lPKT2_lT1_lS9_lSA_lS6_lPT4_lSA_li
; %bb.0:
	s_clause 0x1
	s_load_b64 s[4:5], s[0:1], 0x9c
	s_load_b32 s33, s[0:1], 0x88
	s_bfe_u32 s2, ttmp6, 0x40014
	s_lshr_b32 s3, ttmp7, 16
	s_add_co_i32 s2, s2, 1
	s_bfe_u32 s6, ttmp6, 0x40008
	s_mul_i32 s7, s3, s2
	s_getreg_b32 s2, hwreg(HW_REG_IB_STS2, 6, 4)
	s_add_co_i32 s6, s6, s7
	s_mov_b32 s11, 0
	s_wait_kmcnt 0x0
	s_lshr_b32 s7, s4, 16
	s_and_b32 s4, s4, 0xffff
	s_and_b32 s5, s5, 0xffff
	s_mul_i32 s4, s7, s4
	s_cmp_eq_u32 s2, 0
	s_mul_i32 s4, s4, s5
	s_cselect_b32 s10, s3, s6
	s_cmp_lg_u32 s4, 0x200
	s_cselect_b32 s3, -1, 0
	s_cmp_ge_u32 s10, s33
	s_cselect_b32 s4, -1, 0
	s_delay_alu instid0(SALU_CYCLE_1) | instskip(NEXT) | instid1(SALU_CYCLE_1)
	s_or_b32 s3, s3, s4
	s_and_b32 vcc_lo, exec_lo, s3
	s_cbranch_vccnz .LBB430_56
; %bb.1:
	s_clause 0x6
	s_load_b32 s4, s[0:1], 0x78
	s_load_b64 s[8:9], s[0:1], 0x0
	s_load_b256 s[12:19], s[0:1], 0x8
	s_load_b32 s34, s[0:1], 0x28
	s_load_b128 s[28:31], s[0:1], 0x38
	s_load_b32 s35, s[0:1], 0x48
	s_load_b256 s[20:27], s[0:1], 0x58
	s_wait_xcnt 0x0
	s_bfe_u32 s0, ttmp6, 0x4000c
	v_and_b32_e32 v6, 0x3ff, v0
	s_add_co_i32 s0, s0, 1
	v_bfe_u32 v7, v0, 10, 10
	s_and_b32 s1, ttmp6, 15
	s_mul_i32 s0, ttmp9, s0
	v_mov_b32_e32 v1, 0
	s_add_co_i32 s1, s1, s0
	v_lshl_add_u32 v5, v7, 5, v6
	v_lshlrev_b32_e32 v22, 2, v7
	s_wait_kmcnt 0x0
	s_ashr_i32 s5, s4, 31
	s_cmp_eq_u32 s2, 0
	s_mov_b32 s2, s8
	s_cselect_b32 s0, ttmp9, s1
	s_ashr_i32 s3, s8, 31
	s_lshl_b32 s36, s0, 7
	s_ashr_i32 s1, s9, 31
	v_dual_add_nc_u32 v0, s36, v5 :: v_dual_add_nc_u32 v23, s36, v6
	v_or_b32_e32 v8, s36, v5
	s_lshr_b32 s0, s1, 26
	v_mul_lo_u32 v11, v7, s34
	s_delay_alu instid0(VALU_DEP_3) | instskip(SKIP_4) | instid1(VALU_DEP_4)
	v_cmp_gt_i64_e32 vcc_lo, s[2:3], v[0:1]
	v_dual_add_nc_u32 v4, 32, v23 :: v_dual_add_nc_u32 v9, 64, v23
	v_or_b32_e32 v10, 3, v22
	v_mul_u64_e32 v[2:3], s[4:5], v[0:1]
	v_add_nc_u32_e32 v0, 0x60, v23
	v_cmp_gt_i32_e64 s2, s8, v4
	v_mul_lo_u32 v4, s4, v8
	v_cmp_gt_i32_e64 s3, s8, v9
	v_lshlrev_b32_e32 v9, 2, v6
	s_add_co_i32 s37, s9, s0
	v_cmp_gt_i32_e64 s4, s8, v0
	v_cmp_gt_u32_e64 s5, 0x80, v5
	s_and_not1_b32 s37, s37, 63
	v_mad_u32 v26, s34, v10, v6
	s_sub_co_i32 s6, s9, s37
	v_mad_u32 v27, s35, v22, s35
	s_cmp_gt_i32 s6, 0
	v_ashrrev_i32_e32 v5, 31, v4
	v_lshl_add_u32 v0, v7, 9, v9
	v_lshl_add_u32 v24, v7, 7, v9
	v_mul_lo_u32 v7, v7, s35
	v_cmp_gt_i32_e64 s6, s8, v8
	v_mul_lo_u32 v8, s34, v22
	v_or_b32_e32 v9, 2, v22
	v_mul_lo_u32 v29, s35, v10
	v_cmp_gt_i32_e64 s0, s37, v22
	v_cmp_gt_i32_e64 s1, s8, v23
	v_lshl_add_u32 v31, v11, 2, v6
	s_cselect_b32 s38, -1, 0
	s_and_b32 s39, s5, vcc_lo
	s_lshl_b32 s40, s34, 6
	v_lshlrev_b32_e32 v32, 2, v7
	v_mad_u32 v25, s34, v9, v6
	v_mul_lo_u32 v28, s35, v9
	v_add3_u32 v30, v8, s34, v6
	s_lshl_b32 s41, s35, 6
	s_lshl_b64 s[18:19], s[18:19], 1
	s_lshl_b64 s[30:31], s[30:31], 1
	;; [unrolled: 1-line block ×3, first 2 shown]
	s_branch .LBB430_4
.LBB430_2:                              ;   in Loop: Header=BB430_4 Depth=1
	s_wait_xcnt 0x0
	s_or_b32 exec_lo, exec_lo, s7
.LBB430_3:                              ;   in Loop: Header=BB430_4 Depth=1
	s_add_co_i32 s10, s10, 0x10000
	s_delay_alu instid0(SALU_CYCLE_1)
	s_cmp_lt_u32 s10, s33
	s_cbranch_scc0 .LBB430_56
.LBB430_4:                              ; =>This Loop Header: Depth=1
                                        ;     Child Loop BB430_24 Depth 2
	s_mul_u64 s[42:43], s[14:15], s[10:11]
	s_wait_xcnt 0x0
	s_mul_u64 s[44:45], s[22:23], s[10:11]
	s_lshl_b64 s[42:43], s[42:43], 2
	s_lshl_b64 s[44:45], s[44:45], 2
	s_add_nc_u64 s[42:43], s[12:13], s[42:43]
	s_add_nc_u64 s[44:45], s[20:21], s[44:45]
	s_clause 0x1
	global_load_b32 v33, v1, s[42:43]
	global_load_b32 v6, v1, s[44:45]
	s_wait_loadcnt 0x1
	v_cmp_eq_f32_e64 s7, 0, v33
	s_wait_loadcnt 0x0
	v_cmp_eq_f32_e32 vcc_lo, 1.0, v6
	s_wait_xcnt 0x1
	v_readfirstlane_b32 s42, v6
	s_and_b32 s8, s7, vcc_lo
	s_delay_alu instid0(SALU_CYCLE_1)
	s_and_b32 vcc_lo, exec_lo, s8
	s_cbranch_vccnz .LBB430_3
; %bb.5:                                ;   in Loop: Header=BB430_4 Depth=1
	v_mov_b64_e32 v[10:11], 0
	v_mov_b64_e32 v[8:9], 0
	v_cmp_neq_f32_e64 s8, 0, v33
	s_and_b32 vcc_lo, exec_lo, s7
	s_cbranch_vccnz .LBB430_7
; %bb.6:                                ;   in Loop: Header=BB430_4 Depth=1
	s_wait_xcnt 0x0
	s_lshl_b64 s[44:45], s[10:11], 3
	s_delay_alu instid0(SALU_CYCLE_1)
	s_add_nc_u64 s[44:45], s[16:17], s[44:45]
	global_load_b64 v[6:7], v1, s[44:45]
	s_wait_loadcnt 0x0
	v_add_nc_u64_e32 v[8:9], s[18:19], v[6:7]
.LBB430_7:                              ;   in Loop: Header=BB430_4 Depth=1
	s_and_not1_b32 vcc_lo, exec_lo, s8
	s_cbranch_vccnz .LBB430_9
; %bb.8:                                ;   in Loop: Header=BB430_4 Depth=1
	s_wait_xcnt 0x0
	s_lshl_b64 s[44:45], s[10:11], 3
	s_delay_alu instid0(SALU_CYCLE_1)
	s_add_nc_u64 s[44:45], s[28:29], s[44:45]
	global_load_b64 v[6:7], v1, s[44:45]
	s_wait_loadcnt 0x0
	v_add_nc_u64_e32 v[10:11], s[30:31], v[6:7]
.LBB430_9:                              ;   in Loop: Header=BB430_4 Depth=1
	s_wait_xcnt 0x0
	s_lshl_b64 s[44:45], s[10:11], 3
	s_and_not1_b32 vcc_lo, exec_lo, s7
	s_add_nc_u64 s[44:45], s[24:25], s[44:45]
	global_load_b64 v[6:7], v1, s[44:45]
	s_wait_loadcnt 0x0
	v_add_nc_u64_e32 v[6:7], s[26:27], v[6:7]
	s_cbranch_vccnz .LBB430_13
; %bb.10:                               ;   in Loop: Header=BB430_4 Depth=1
	s_mov_b32 s7, 0
	s_mov_b32 s8, 0
                                        ; implicit-def: $vgpr12
	s_wait_xcnt 0x0
	s_and_saveexec_b32 s43, s39
	s_cbranch_execz .LBB430_14
; %bb.11:                               ;   in Loop: Header=BB430_4 Depth=1
	s_cmp_eq_f32 s42, 0
	s_cbranch_scc1 .LBB430_16
; %bb.12:                               ;   in Loop: Header=BB430_4 Depth=1
	v_lshl_add_u64 v[12:13], v[2:3], 1, v[6:7]
	flat_load_u16 v12, v[12:13]
	s_wait_loadcnt_dscnt 0x0
	s_wait_xcnt 0x0
	v_fma_mixlo_f16 v12, s42, v12, 0 op_sel_hi:[0,1,0]
	s_branch .LBB430_17
.LBB430_13:                             ;   in Loop: Header=BB430_4 Depth=1
	s_mov_b32 s8, 0
                                        ; implicit-def: $vgpr12
	s_cbranch_execz .LBB430_15
	s_branch .LBB430_18
.LBB430_14:                             ;   in Loop: Header=BB430_4 Depth=1
	s_or_b32 exec_lo, exec_lo, s43
	s_delay_alu instid0(SALU_CYCLE_1)
	s_and_b32 vcc_lo, exec_lo, s7
	s_cbranch_vccnz .LBB430_18
.LBB430_15:                             ;   in Loop: Header=BB430_4 Depth=1
	v_mov_b64_e32 v[8:9], v[2:3]
	s_wait_xcnt 0x0
	s_and_saveexec_b32 s7, s8
	s_cbranch_execz .LBB430_2
	s_branch .LBB430_55
.LBB430_16:                             ;   in Loop: Header=BB430_4 Depth=1
	v_mov_b32_e32 v12, 0
.LBB430_17:                             ;   in Loop: Header=BB430_4 Depth=1
	s_mov_b32 s8, exec_lo
	s_or_b32 exec_lo, exec_lo, s43
	s_delay_alu instid0(SALU_CYCLE_1)
	s_and_b32 vcc_lo, exec_lo, s7
	s_cbranch_vccz .LBB430_15
.LBB430_18:                             ;   in Loop: Header=BB430_4 Depth=1
	v_dual_mov_b32 v34, 0 :: v_dual_mov_b32 v38, v22
	v_dual_mov_b32 v35, 0 :: v_dual_mov_b32 v36, 0
	v_mov_b32_e32 v37, 0
	s_wait_xcnt 0x0
	s_and_saveexec_b32 s7, s0
	s_cbranch_execz .LBB430_30
; %bb.19:                               ;   in Loop: Header=BB430_4 Depth=1
	v_dual_mov_b32 v34, 0 :: v_dual_mov_b32 v39, v31
	v_dual_mov_b32 v40, v26 :: v_dual_mov_b32 v41, v25
	v_dual_mov_b32 v42, v30 :: v_dual_mov_b32 v38, v22
	v_dual_mov_b32 v35, 0 :: v_dual_mov_b32 v36, 0
	v_mov_b32_e32 v37, 0
	s_mov_b32 s43, 0
	s_mov_b32 s44, 0
	s_branch .LBB430_24
.LBB430_20:                             ;   in Loop: Header=BB430_24 Depth=2
	s_wait_xcnt 0x0
	s_or_b32 exec_lo, exec_lo, s48
	s_wait_loadcnt_dscnt 0x303
	v_fma_mix_f32 v12, v53, v57, v36 op_sel_hi:[0,1,0]
	s_wait_loadcnt_dscnt 0x202
	s_delay_alu instid0(VALU_DEP_1) | instskip(SKIP_1) | instid1(VALU_DEP_1)
	v_fma_mix_f32 v12, v54, v58, v12 op_sel_hi:[0,1,0]
	s_wait_loadcnt_dscnt 0x101
	v_fma_mix_f32 v12, v55, v59, v12 op_sel_hi:[0,1,0]
	s_wait_loadcnt_dscnt 0x0
	s_delay_alu instid0(VALU_DEP_1)
	v_fma_mix_f32 v36, v56, v60, v12 op_sel_hi:[0,1,0]
.LBB430_21:                             ;   in Loop: Header=BB430_24 Depth=2
	s_or_b32 exec_lo, exec_lo, s47
	s_wait_loadcnt_dscnt 0x303
	v_fma_mix_f32 v12, v53, v18, v35 op_sel_hi:[0,1,0]
	s_wait_loadcnt_dscnt 0x202
	s_delay_alu instid0(VALU_DEP_1) | instskip(SKIP_1) | instid1(VALU_DEP_1)
	v_fma_mix_f32 v12, v54, v19, v12 op_sel_hi:[0,1,0]
	s_wait_loadcnt_dscnt 0x101
	v_fma_mix_f32 v12, v55, v51, v12 op_sel_hi:[0,1,0]
	s_wait_loadcnt_dscnt 0x0
	s_delay_alu instid0(VALU_DEP_1)
	v_fma_mix_f32 v35, v56, v52, v12 op_sel_hi:[0,1,0]
.LBB430_22:                             ;   in Loop: Header=BB430_24 Depth=2
	s_or_b32 exec_lo, exec_lo, s46
	s_wait_loadcnt_dscnt 0x303
	v_fma_mix_f32 v12, v43, v47, v34 op_sel_hi:[1,1,0]
	s_wait_loadcnt_dscnt 0x202
	s_delay_alu instid0(VALU_DEP_1) | instskip(SKIP_1) | instid1(VALU_DEP_1)
	v_fma_mix_f32 v12, v44, v48, v12 op_sel_hi:[1,1,0]
	s_wait_loadcnt_dscnt 0x101
	v_fma_mix_f32 v12, v45, v49, v12 op_sel_hi:[1,1,0]
	s_wait_loadcnt_dscnt 0x0
	s_delay_alu instid0(VALU_DEP_1)
	v_fma_mix_f32 v34, v46, v50, v12 op_sel_hi:[1,1,0]
.LBB430_23:                             ;   in Loop: Header=BB430_24 Depth=2
	s_or_b32 exec_lo, exec_lo, s45
	v_dual_add_nc_u32 v38, 64, v38 :: v_dual_add_nc_u32 v41, s40, v41
	v_dual_add_nc_u32 v42, s40, v42 :: v_dual_add_nc_u32 v40, s40, v40
	v_add_nc_u32_e32 v39, s40, v39
	s_delay_alu instid0(VALU_DEP_3) | instskip(SKIP_2) | instid1(SALU_CYCLE_1)
	v_cmp_le_i32_e32 vcc_lo, s37, v38
	s_add_co_i32 s44, s44, s41
	s_or_b32 s43, vcc_lo, s43
	s_and_not1_b32 exec_lo, exec_lo, s43
	s_cbranch_execz .LBB430_29
.LBB430_24:                             ;   Parent Loop BB430_4 Depth=1
                                        ; =>  This Inner Loop Header: Depth=2
	s_and_saveexec_b32 s45, s1
	s_cbranch_execz .LBB430_23
; %bb.25:                               ;   in Loop: Header=BB430_24 Depth=2
	v_dual_add_nc_u32 v13, s44, v32 :: v_dual_add_nc_u32 v15, s44, v27
	v_readfirstlane_b32 s46, v10
	v_readfirstlane_b32 s47, v11
	v_dual_add_nc_u32 v17, s44, v28 :: v_dual_add_nc_u32 v19, s44, v29
	v_dual_add_nc_u32 v12, s36, v39 :: v_dual_add_nc_u32 v14, s36, v42
	v_readfirstlane_b32 s48, v8
	v_readfirstlane_b32 s49, v9
	v_dual_add_nc_u32 v18, s36, v41 :: v_dual_add_nc_u32 v16, s36, v40
	s_clause 0x3
	flat_load_u16 v43, v13, s[46:47] scale_offset
	flat_load_u16 v44, v15, s[46:47] scale_offset
	;; [unrolled: 1-line block ×4, first 2 shown]
	s_clause 0x3
	flat_load_u16 v47, v12, s[48:49] scale_offset
	flat_load_u16 v48, v14, s[48:49] scale_offset
	;; [unrolled: 1-line block ×4, first 2 shown]
	s_wait_xcnt 0x0
	s_and_saveexec_b32 s46, s2
	s_cbranch_execz .LBB430_22
; %bb.26:                               ;   in Loop: Header=BB430_24 Depth=2
	v_dual_ashrrev_i32 v13, 31, v12 :: v_dual_ashrrev_i32 v15, 31, v14
	v_dual_ashrrev_i32 v19, 31, v18 :: v_dual_ashrrev_i32 v17, 31, v16
	s_wait_loadcnt_dscnt 0x707
	v_cvt_f32_f16_e32 v53, v43
	s_delay_alu instid0(VALU_DEP_3)
	v_lshl_add_u64 v[20:21], v[12:13], 1, v[8:9]
	v_lshl_add_u64 v[12:13], v[14:15], 1, v[8:9]
	;; [unrolled: 1-line block ×4, first 2 shown]
	s_wait_loadcnt_dscnt 0x606
	v_cvt_f32_f16_e32 v54, v44
	s_clause 0x3
	flat_load_u16 v18, v[20:21] offset:64
	flat_load_u16 v19, v[12:13] offset:64
	;; [unrolled: 1-line block ×4, first 2 shown]
	s_wait_loadcnt_dscnt 0x909
	v_cvt_f32_f16_e32 v55, v45
	s_wait_loadcnt_dscnt 0x808
	v_cvt_f32_f16_e32 v56, v46
	s_wait_xcnt 0x0
	s_and_saveexec_b32 s47, s3
	s_cbranch_execz .LBB430_21
; %bb.27:                               ;   in Loop: Header=BB430_24 Depth=2
	s_clause 0x3
	flat_load_u16 v57, v[20:21] offset:128
	flat_load_u16 v58, v[12:13] offset:128
	;; [unrolled: 1-line block ×4, first 2 shown]
	s_wait_xcnt 0x0
	s_and_saveexec_b32 s48, s4
	s_cbranch_execz .LBB430_20
; %bb.28:                               ;   in Loop: Header=BB430_24 Depth=2
	s_clause 0x3
	flat_load_u16 v61, v[20:21] offset:192
	flat_load_u16 v62, v[12:13] offset:192
	;; [unrolled: 1-line block ×4, first 2 shown]
	s_wait_loadcnt_dscnt 0x303
	s_wait_xcnt 0x2
	v_fma_mix_f32 v12, v53, v61, v37 op_sel_hi:[0,1,0]
	s_wait_loadcnt_dscnt 0x202
	s_delay_alu instid0(VALU_DEP_1) | instskip(SKIP_1) | instid1(VALU_DEP_1)
	v_fma_mix_f32 v12, v54, v62, v12 op_sel_hi:[0,1,0]
	s_wait_loadcnt_dscnt 0x101
	v_fma_mix_f32 v12, v55, v63, v12 op_sel_hi:[0,1,0]
	s_wait_loadcnt_dscnt 0x0
	s_delay_alu instid0(VALU_DEP_1)
	v_fma_mix_f32 v37, v56, v64, v12 op_sel_hi:[0,1,0]
	s_branch .LBB430_20
.LBB430_29:                             ;   in Loop: Header=BB430_4 Depth=1
	s_or_b32 exec_lo, exec_lo, s43
.LBB430_30:                             ;   in Loop: Header=BB430_4 Depth=1
	s_delay_alu instid0(SALU_CYCLE_1) | instskip(NEXT) | instid1(SALU_CYCLE_1)
	s_or_b32 exec_lo, exec_lo, s7
	s_and_not1_b32 vcc_lo, exec_lo, s38
	s_cbranch_vccnz .LBB430_48
; %bb.31:                               ;   in Loop: Header=BB430_4 Depth=1
	v_cmp_gt_i32_e32 vcc_lo, s9, v38
	v_dual_mov_b32 v20, 0 :: v_dual_bitop2_b32 v12, 1, v38 bitop3:0x54
	v_dual_mov_b32 v21, 0 :: v_dual_mov_b32 v39, 0
	v_mov_b32_e32 v40, 0
	s_and_saveexec_b32 s43, vcc_lo
	s_cbranch_execz .LBB430_39
; %bb.32:                               ;   in Loop: Header=BB430_4 Depth=1
	v_mul_lo_u32 v13, v38, s35
	v_readfirstlane_b32 s44, v10
	v_readfirstlane_b32 s45, v11
	v_dual_mov_b32 v39, 0 :: v_dual_mov_b32 v21, 0
	v_mov_b32_e32 v20, 0
	flat_load_u16 v13, v13, s[44:45] scale_offset
	s_wait_xcnt 0x0
	s_mov_b32 s44, exec_lo
	v_cmpx_gt_i32_e64 s9, v12
	s_cbranch_execz .LBB430_38
; %bb.33:                               ;   in Loop: Header=BB430_4 Depth=1
	v_mul_lo_u32 v14, v12, s35
	v_readfirstlane_b32 s46, v10
	v_readfirstlane_b32 s47, v11
	v_dual_mov_b32 v21, 0 :: v_dual_bitop2_b32 v15, 2, v38 bitop3:0x54
	v_mov_b32_e32 v20, 0
	s_mov_b32 s45, exec_lo
	flat_load_u16 v14, v14, s[46:47] scale_offset
	s_wait_xcnt 0x0
	v_cmpx_gt_i32_e64 s9, v15
	s_cbranch_execz .LBB430_37
; %bb.34:                               ;   in Loop: Header=BB430_4 Depth=1
	v_mul_lo_u32 v15, v15, s35
	v_readfirstlane_b32 s46, v10
	v_readfirstlane_b32 s47, v11
	v_dual_mov_b32 v20, 0 :: v_dual_bitop2_b32 v16, 3, v38 bitop3:0x54
	flat_load_u16 v15, v15, s[46:47] scale_offset
	s_wait_xcnt 0x0
	s_mov_b32 s46, exec_lo
	v_cmpx_gt_i32_e64 s9, v16
	s_cbranch_execz .LBB430_36
; %bb.35:                               ;   in Loop: Header=BB430_4 Depth=1
	v_mul_lo_u32 v16, v16, s35
	v_readfirstlane_b32 s48, v10
	v_readfirstlane_b32 s49, v11
	flat_load_u16 v10, v16, s[48:49] scale_offset
	s_wait_loadcnt_dscnt 0x0
	v_cvt_f32_f16_e32 v20, v10
.LBB430_36:                             ;   in Loop: Header=BB430_4 Depth=1
	s_wait_xcnt 0x0
	s_or_b32 exec_lo, exec_lo, s46
	s_wait_loadcnt_dscnt 0x0
	v_cvt_f32_f16_e32 v21, v15
.LBB430_37:                             ;   in Loop: Header=BB430_4 Depth=1
	s_or_b32 exec_lo, exec_lo, s45
	s_wait_loadcnt_dscnt 0x0
	v_cvt_f32_f16_e32 v39, v14
.LBB430_38:                             ;   in Loop: Header=BB430_4 Depth=1
	s_or_b32 exec_lo, exec_lo, s44
	s_wait_loadcnt_dscnt 0x0
	v_cvt_f32_f16_e32 v40, v13
.LBB430_39:                             ;   in Loop: Header=BB430_4 Depth=1
	s_or_b32 exec_lo, exec_lo, s43
	s_and_saveexec_b32 s7, s1
	s_cbranch_execz .LBB430_47
; %bb.40:                               ;   in Loop: Header=BB430_4 Depth=1
	v_mul_lo_u32 v11, v38, s34
	v_or_b32_e32 v10, 2, v38
	v_mul_lo_u32 v14, v12, s34
	v_readfirstlane_b32 s44, v8
	v_readfirstlane_b32 s45, v9
	v_cndmask_b32_e32 v11, 0, v11, vcc_lo
	v_mul_lo_u32 v15, v10, s34
	v_cmp_gt_i32_e32 vcc_lo, s9, v12
	v_cndmask_b32_e32 v12, 0, v14, vcc_lo
	v_cmp_gt_i32_e32 vcc_lo, s9, v10
	s_delay_alu instid0(VALU_DEP_4) | instskip(NEXT) | instid1(VALU_DEP_1)
	v_dual_cndmask_b32 v15, 0, v15, vcc_lo :: v_dual_bitop2_b32 v13, 3, v38 bitop3:0x54
	v_mul_lo_u32 v16, v13, s34
	v_cmp_gt_i32_e32 vcc_lo, s9, v13
	s_delay_alu instid0(VALU_DEP_2) | instskip(NEXT) | instid1(VALU_DEP_4)
	v_dual_cndmask_b32 v13, 0, v16 :: v_dual_add_nc_u32 v10, v11, v23
	v_dual_add_nc_u32 v14, v12, v23 :: v_dual_add_nc_u32 v18, v15, v23
	s_delay_alu instid0(VALU_DEP_2)
	v_add_nc_u32_e32 v16, v13, v23
	s_clause 0x3
	flat_load_u16 v38, v10, s[44:45] scale_offset
	flat_load_u16 v41, v14, s[44:45] scale_offset
	;; [unrolled: 1-line block ×4, first 2 shown]
	s_wait_xcnt 0x0
	s_and_saveexec_b32 s43, s2
	s_cbranch_execz .LBB430_46
; %bb.41:                               ;   in Loop: Header=BB430_4 Depth=1
	v_dual_ashrrev_i32 v11, 31, v10 :: v_dual_ashrrev_i32 v17, 31, v16
	v_ashrrev_i32_e32 v15, 31, v14
	v_ashrrev_i32_e32 v19, 31, v18
	s_delay_alu instid0(VALU_DEP_3) | instskip(NEXT) | instid1(VALU_DEP_3)
	v_lshl_add_u64 v[12:13], v[10:11], 1, v[8:9]
	v_lshl_add_u64 v[10:11], v[14:15], 1, v[8:9]
	s_delay_alu instid0(VALU_DEP_3)
	v_lshl_add_u64 v[14:15], v[18:19], 1, v[8:9]
	v_lshl_add_u64 v[8:9], v[16:17], 1, v[8:9]
	s_clause 0x3
	flat_load_u16 v16, v[12:13] offset:64
	flat_load_u16 v17, v[10:11] offset:64
	;; [unrolled: 1-line block ×4, first 2 shown]
	s_wait_xcnt 0x0
	s_and_saveexec_b32 s44, s3
	s_cbranch_execz .LBB430_45
; %bb.42:                               ;   in Loop: Header=BB430_4 Depth=1
	s_clause 0x3
	flat_load_u16 v44, v[12:13] offset:128
	flat_load_u16 v45, v[10:11] offset:128
	;; [unrolled: 1-line block ×4, first 2 shown]
	s_wait_xcnt 0x0
	s_and_saveexec_b32 s45, s4
	s_cbranch_execz .LBB430_44
; %bb.43:                               ;   in Loop: Header=BB430_4 Depth=1
	s_clause 0x3
	flat_load_u16 v48, v[12:13] offset:192
	flat_load_u16 v49, v[10:11] offset:192
	;; [unrolled: 1-line block ×4, first 2 shown]
	s_wait_loadcnt_dscnt 0x303
	s_wait_xcnt 0x0
	v_fma_mix_f32 v8, v40, v48, v37 op_sel_hi:[0,1,0]
	s_wait_loadcnt_dscnt 0x202
	s_delay_alu instid0(VALU_DEP_1) | instskip(SKIP_1) | instid1(VALU_DEP_1)
	v_fma_mix_f32 v8, v39, v49, v8 op_sel_hi:[0,1,0]
	s_wait_loadcnt_dscnt 0x101
	v_fma_mix_f32 v8, v21, v50, v8 op_sel_hi:[0,1,0]
	s_wait_loadcnt_dscnt 0x0
	s_delay_alu instid0(VALU_DEP_1)
	v_fma_mix_f32 v37, v20, v51, v8 op_sel_hi:[0,1,0]
.LBB430_44:                             ;   in Loop: Header=BB430_4 Depth=1
	s_or_b32 exec_lo, exec_lo, s45
	s_wait_loadcnt_dscnt 0x303
	v_fma_mix_f32 v8, v40, v44, v36 op_sel_hi:[0,1,0]
	s_wait_loadcnt_dscnt 0x202
	s_delay_alu instid0(VALU_DEP_1) | instskip(SKIP_1) | instid1(VALU_DEP_1)
	v_fma_mix_f32 v8, v39, v45, v8 op_sel_hi:[0,1,0]
	s_wait_loadcnt_dscnt 0x101
	v_fma_mix_f32 v8, v21, v46, v8 op_sel_hi:[0,1,0]
	s_wait_loadcnt_dscnt 0x0
	s_delay_alu instid0(VALU_DEP_1)
	v_fma_mix_f32 v36, v20, v47, v8 op_sel_hi:[0,1,0]
.LBB430_45:                             ;   in Loop: Header=BB430_4 Depth=1
	s_or_b32 exec_lo, exec_lo, s44
	s_wait_loadcnt_dscnt 0x303
	v_fma_mix_f32 v8, v40, v16, v35 op_sel_hi:[0,1,0]
	s_wait_loadcnt_dscnt 0x202
	s_delay_alu instid0(VALU_DEP_1) | instskip(SKIP_1) | instid1(VALU_DEP_1)
	v_fma_mix_f32 v8, v39, v17, v8 op_sel_hi:[0,1,0]
	s_wait_loadcnt_dscnt 0x101
	v_fma_mix_f32 v8, v21, v18, v8 op_sel_hi:[0,1,0]
	s_wait_loadcnt_dscnt 0x0
	s_delay_alu instid0(VALU_DEP_1)
	v_fma_mix_f32 v35, v20, v19, v8 op_sel_hi:[0,1,0]
.LBB430_46:                             ;   in Loop: Header=BB430_4 Depth=1
	s_or_b32 exec_lo, exec_lo, s43
	s_wait_loadcnt_dscnt 0x303
	v_fma_mix_f32 v8, v40, v38, v34 op_sel_hi:[0,1,0]
	s_wait_loadcnt_dscnt 0x202
	s_delay_alu instid0(VALU_DEP_1) | instskip(SKIP_1) | instid1(VALU_DEP_1)
	v_fma_mix_f32 v8, v39, v41, v8 op_sel_hi:[0,1,0]
	s_wait_loadcnt_dscnt 0x101
	v_fma_mix_f32 v8, v21, v42, v8 op_sel_hi:[0,1,0]
	s_wait_loadcnt_dscnt 0x0
	s_delay_alu instid0(VALU_DEP_1)
	v_fma_mix_f32 v34, v20, v43, v8 op_sel_hi:[0,1,0]
.LBB430_47:                             ;   in Loop: Header=BB430_4 Depth=1
	s_or_b32 exec_lo, exec_lo, s7
.LBB430_48:                             ;   in Loop: Header=BB430_4 Depth=1
	ds_store_2addr_b32 v0, v34, v35 offset1:32
	ds_store_2addr_b32 v0, v36, v37 offset0:64 offset1:96
	s_wait_dscnt 0x0
	s_barrier_signal -1
	s_barrier_wait -1
                                        ; implicit-def: $vgpr12
	s_and_saveexec_b32 s7, s5
	s_cbranch_execz .LBB430_54
; %bb.49:                               ;   in Loop: Header=BB430_4 Depth=1
	ds_load_2addr_stride64_b32 v[8:9], v24 offset1:2
	ds_load_2addr_stride64_b32 v[10:11], v24 offset0:4 offset1:6
	ds_load_2addr_stride64_b32 v[12:13], v24 offset0:8 offset1:10
	s_mov_b32 s44, s8
	s_wait_dscnt 0x2
	v_add_f32_e32 v14, v8, v9
	ds_load_2addr_stride64_b32 v[8:9], v24 offset0:12 offset1:14
	s_wait_dscnt 0x2
	v_add_f32_e32 v10, v10, v14
	s_delay_alu instid0(VALU_DEP_1) | instskip(SKIP_3) | instid1(VALU_DEP_1)
	v_add_f32_e32 v14, v11, v10
	ds_load_2addr_stride64_b32 v[10:11], v24 offset0:16 offset1:18
	s_wait_dscnt 0x2
	v_add_f32_e32 v12, v12, v14
	v_add_f32_e32 v14, v13, v12
	ds_load_2addr_stride64_b32 v[12:13], v24 offset0:20 offset1:22
	s_wait_dscnt 0x2
	v_add_f32_e32 v8, v8, v14
	s_delay_alu instid0(VALU_DEP_1) | instskip(SKIP_1) | instid1(VALU_DEP_1)
	v_add_f32_e32 v8, v9, v8
	s_wait_dscnt 0x1
	v_add_f32_e32 v10, v10, v8
	ds_load_2addr_stride64_b32 v[8:9], v24 offset0:24 offset1:26
	v_add_f32_e32 v10, v11, v10
	s_wait_dscnt 0x1
	s_delay_alu instid0(VALU_DEP_1) | instskip(SKIP_3) | instid1(VALU_DEP_1)
	v_add_f32_e32 v12, v12, v10
	ds_load_2addr_stride64_b32 v[10:11], v24 offset0:28 offset1:30
	v_add_f32_e32 v12, v13, v12
	s_wait_dscnt 0x1
	v_add_f32_e32 v8, v8, v12
                                        ; implicit-def: $vgpr12
	s_delay_alu instid0(VALU_DEP_1) | instskip(SKIP_1) | instid1(VALU_DEP_1)
	v_add_f32_e32 v8, v9, v8
	s_wait_dscnt 0x0
	v_add_f32_e32 v8, v10, v8
	s_delay_alu instid0(VALU_DEP_1)
	v_add_f32_e32 v8, v11, v8
	ds_store_b32 v24, v8
	s_and_saveexec_b32 s43, s6
	s_cbranch_execz .LBB430_53
; %bb.50:                               ;   in Loop: Header=BB430_4 Depth=1
	v_mul_f32_e32 v8, v33, v8
	s_cmp_eq_f32 s42, 0
	s_cbranch_scc1 .LBB430_52
; %bb.51:                               ;   in Loop: Header=BB430_4 Depth=1
	v_lshl_add_u64 v[10:11], v[4:5], 1, v[6:7]
	flat_load_u16 v9, v[10:11]
	s_wait_loadcnt_dscnt 0x0
	v_fma_mix_f32 v8, s42, v9, v8 op_sel_hi:[0,1,0]
.LBB430_52:                             ;   in Loop: Header=BB430_4 Depth=1
	s_delay_alu instid0(VALU_DEP_1)
	v_cvt_f16_f32_e32 v12, v8
	s_or_b32 s44, s8, exec_lo
.LBB430_53:                             ;   in Loop: Header=BB430_4 Depth=1
	s_wait_xcnt 0x0
	s_or_b32 exec_lo, exec_lo, s43
	s_delay_alu instid0(SALU_CYCLE_1) | instskip(SKIP_1) | instid1(SALU_CYCLE_1)
	s_and_not1_b32 s8, s8, exec_lo
	s_and_b32 s42, s44, exec_lo
	s_or_b32 s8, s8, s42
.LBB430_54:                             ;   in Loop: Header=BB430_4 Depth=1
	s_or_b32 exec_lo, exec_lo, s7
	v_mov_b64_e32 v[8:9], v[4:5]
	s_and_saveexec_b32 s7, s8
	s_cbranch_execz .LBB430_2
.LBB430_55:                             ;   in Loop: Header=BB430_4 Depth=1
	s_delay_alu instid0(VALU_DEP_1)
	v_lshl_add_u64 v[6:7], v[8:9], 1, v[6:7]
	flat_store_b16 v[6:7], v12
	s_branch .LBB430_2
.LBB430_56:
	s_sendmsg sendmsg(MSG_DEALLOC_VGPRS)
	s_endpgm
	.section	.rodata,"a",@progbits
	.p2align	6, 0x0
	.amdhsa_kernel _ZL20rocblas_gemvn_kernelILi32ELi16EiPKDF16_PKfKPDF16_EviiT3_lPKT2_lT1_lS9_lSA_lS6_lPT4_lSA_li
		.amdhsa_group_segment_fixed_size 8192
		.amdhsa_private_segment_fixed_size 0
		.amdhsa_kernarg_size 400
		.amdhsa_user_sgpr_count 2
		.amdhsa_user_sgpr_dispatch_ptr 0
		.amdhsa_user_sgpr_queue_ptr 0
		.amdhsa_user_sgpr_kernarg_segment_ptr 1
		.amdhsa_user_sgpr_dispatch_id 0
		.amdhsa_user_sgpr_kernarg_preload_length 0
		.amdhsa_user_sgpr_kernarg_preload_offset 0
		.amdhsa_user_sgpr_private_segment_size 0
		.amdhsa_wavefront_size32 1
		.amdhsa_uses_dynamic_stack 0
		.amdhsa_enable_private_segment 0
		.amdhsa_system_sgpr_workgroup_id_x 1
		.amdhsa_system_sgpr_workgroup_id_y 0
		.amdhsa_system_sgpr_workgroup_id_z 1
		.amdhsa_system_sgpr_workgroup_info 0
		.amdhsa_system_vgpr_workitem_id 1
		.amdhsa_next_free_vgpr 65
		.amdhsa_next_free_sgpr 50
		.amdhsa_named_barrier_count 0
		.amdhsa_reserve_vcc 1
		.amdhsa_float_round_mode_32 0
		.amdhsa_float_round_mode_16_64 0
		.amdhsa_float_denorm_mode_32 3
		.amdhsa_float_denorm_mode_16_64 3
		.amdhsa_fp16_overflow 0
		.amdhsa_memory_ordered 1
		.amdhsa_forward_progress 1
		.amdhsa_inst_pref_size 25
		.amdhsa_round_robin_scheduling 0
		.amdhsa_exception_fp_ieee_invalid_op 0
		.amdhsa_exception_fp_denorm_src 0
		.amdhsa_exception_fp_ieee_div_zero 0
		.amdhsa_exception_fp_ieee_overflow 0
		.amdhsa_exception_fp_ieee_underflow 0
		.amdhsa_exception_fp_ieee_inexact 0
		.amdhsa_exception_int_div_zero 0
	.end_amdhsa_kernel
	.section	.text._ZL20rocblas_gemvn_kernelILi32ELi16EiPKDF16_PKfKPDF16_EviiT3_lPKT2_lT1_lS9_lSA_lS6_lPT4_lSA_li,"axG",@progbits,_ZL20rocblas_gemvn_kernelILi32ELi16EiPKDF16_PKfKPDF16_EviiT3_lPKT2_lT1_lS9_lSA_lS6_lPT4_lSA_li,comdat
.Lfunc_end430:
	.size	_ZL20rocblas_gemvn_kernelILi32ELi16EiPKDF16_PKfKPDF16_EviiT3_lPKT2_lT1_lS9_lSA_lS6_lPT4_lSA_li, .Lfunc_end430-_ZL20rocblas_gemvn_kernelILi32ELi16EiPKDF16_PKfKPDF16_EviiT3_lPKT2_lT1_lS9_lSA_lS6_lPT4_lSA_li
                                        ; -- End function
	.set _ZL20rocblas_gemvn_kernelILi32ELi16EiPKDF16_PKfKPDF16_EviiT3_lPKT2_lT1_lS9_lSA_lS6_lPT4_lSA_li.num_vgpr, 65
	.set _ZL20rocblas_gemvn_kernelILi32ELi16EiPKDF16_PKfKPDF16_EviiT3_lPKT2_lT1_lS9_lSA_lS6_lPT4_lSA_li.num_agpr, 0
	.set _ZL20rocblas_gemvn_kernelILi32ELi16EiPKDF16_PKfKPDF16_EviiT3_lPKT2_lT1_lS9_lSA_lS6_lPT4_lSA_li.numbered_sgpr, 50
	.set _ZL20rocblas_gemvn_kernelILi32ELi16EiPKDF16_PKfKPDF16_EviiT3_lPKT2_lT1_lS9_lSA_lS6_lPT4_lSA_li.num_named_barrier, 0
	.set _ZL20rocblas_gemvn_kernelILi32ELi16EiPKDF16_PKfKPDF16_EviiT3_lPKT2_lT1_lS9_lSA_lS6_lPT4_lSA_li.private_seg_size, 0
	.set _ZL20rocblas_gemvn_kernelILi32ELi16EiPKDF16_PKfKPDF16_EviiT3_lPKT2_lT1_lS9_lSA_lS6_lPT4_lSA_li.uses_vcc, 1
	.set _ZL20rocblas_gemvn_kernelILi32ELi16EiPKDF16_PKfKPDF16_EviiT3_lPKT2_lT1_lS9_lSA_lS6_lPT4_lSA_li.uses_flat_scratch, 1
	.set _ZL20rocblas_gemvn_kernelILi32ELi16EiPKDF16_PKfKPDF16_EviiT3_lPKT2_lT1_lS9_lSA_lS6_lPT4_lSA_li.has_dyn_sized_stack, 0
	.set _ZL20rocblas_gemvn_kernelILi32ELi16EiPKDF16_PKfKPDF16_EviiT3_lPKT2_lT1_lS9_lSA_lS6_lPT4_lSA_li.has_recursion, 0
	.set _ZL20rocblas_gemvn_kernelILi32ELi16EiPKDF16_PKfKPDF16_EviiT3_lPKT2_lT1_lS9_lSA_lS6_lPT4_lSA_li.has_indirect_call, 0
	.section	.AMDGPU.csdata,"",@progbits
; Kernel info:
; codeLenInByte = 3196
; TotalNumSgprs: 52
; NumVgprs: 65
; ScratchSize: 0
; MemoryBound: 0
; FloatMode: 240
; IeeeMode: 1
; LDSByteSize: 8192 bytes/workgroup (compile time only)
; SGPRBlocks: 0
; VGPRBlocks: 4
; NumSGPRsForWavesPerEU: 52
; NumVGPRsForWavesPerEU: 65
; NamedBarCnt: 0
; Occupancy: 12
; WaveLimiterHint : 1
; COMPUTE_PGM_RSRC2:SCRATCH_EN: 0
; COMPUTE_PGM_RSRC2:USER_SGPR: 2
; COMPUTE_PGM_RSRC2:TRAP_HANDLER: 0
; COMPUTE_PGM_RSRC2:TGID_X_EN: 1
; COMPUTE_PGM_RSRC2:TGID_Y_EN: 0
; COMPUTE_PGM_RSRC2:TGID_Z_EN: 1
; COMPUTE_PGM_RSRC2:TIDIG_COMP_CNT: 1
	.section	.text._ZL20rocblas_gemvn_kernelILi32ELi16ElPKDF16_PKfKPDF16_EviiT3_lPKT2_lT1_lS9_lSA_lS6_lPT4_lSA_li,"axG",@progbits,_ZL20rocblas_gemvn_kernelILi32ELi16ElPKDF16_PKfKPDF16_EviiT3_lPKT2_lT1_lS9_lSA_lS6_lPT4_lSA_li,comdat
	.globl	_ZL20rocblas_gemvn_kernelILi32ELi16ElPKDF16_PKfKPDF16_EviiT3_lPKT2_lT1_lS9_lSA_lS6_lPT4_lSA_li ; -- Begin function _ZL20rocblas_gemvn_kernelILi32ELi16ElPKDF16_PKfKPDF16_EviiT3_lPKT2_lT1_lS9_lSA_lS6_lPT4_lSA_li
	.p2align	8
	.type	_ZL20rocblas_gemvn_kernelILi32ELi16ElPKDF16_PKfKPDF16_EviiT3_lPKT2_lT1_lS9_lSA_lS6_lPT4_lSA_li,@function
_ZL20rocblas_gemvn_kernelILi32ELi16ElPKDF16_PKfKPDF16_EviiT3_lPKT2_lT1_lS9_lSA_lS6_lPT4_lSA_li: ; @_ZL20rocblas_gemvn_kernelILi32ELi16ElPKDF16_PKfKPDF16_EviiT3_lPKT2_lT1_lS9_lSA_lS6_lPT4_lSA_li
; %bb.0:
	s_clause 0x1
	s_load_b64 s[2:3], s[0:1], 0x9c
	s_load_b32 s33, s[0:1], 0x88
	s_bfe_u32 s4, ttmp6, 0x40014
	s_lshr_b32 s5, ttmp7, 16
	s_add_co_i32 s4, s4, 1
	s_bfe_u32 s6, ttmp6, 0x40008
	s_mul_i32 s7, s5, s4
	s_getreg_b32 s4, hwreg(HW_REG_IB_STS2, 6, 4)
	s_add_co_i32 s6, s6, s7
	s_mov_b32 s11, 0
	s_wait_kmcnt 0x0
	s_lshr_b32 s7, s2, 16
	s_and_b32 s2, s2, 0xffff
	s_and_b32 s3, s3, 0xffff
	s_mul_i32 s2, s7, s2
	s_cmp_eq_u32 s4, 0
	s_mul_i32 s2, s2, s3
	s_cselect_b32 s10, s5, s6
	s_cmp_lg_u32 s2, 0x200
	s_cselect_b32 s2, -1, 0
	s_cmp_ge_u32 s10, s33
	s_cselect_b32 s3, -1, 0
	s_delay_alu instid0(SALU_CYCLE_1) | instskip(NEXT) | instid1(SALU_CYCLE_1)
	s_or_b32 s2, s2, s3
	s_and_b32 vcc_lo, exec_lo, s2
	s_cbranch_vccnz .LBB431_56
; %bb.1:
	s_clause 0x2
	s_load_b64 s[34:35], s[0:1], 0x0
	s_load_b64 s[36:37], s[0:1], 0x28
	;; [unrolled: 1-line block ×3, first 2 shown]
	s_bfe_u32 s5, ttmp6, 0x4000c
	v_and_b32_e32 v28, 0x3ff, v0
	s_add_co_i32 s5, s5, 1
	v_bfe_u32 v6, v0, 10, 10
	s_clause 0x1
	s_load_b64 s[38:39], s[0:1], 0x48
	s_load_b128 s[28:31], s[0:1], 0x38
	s_and_b32 s6, ttmp6, 15
	s_mul_i32 s5, ttmp9, s5
	v_lshl_add_u32 v29, v6, 5, v28
	s_add_co_i32 s6, s6, s5
	s_cmp_eq_u32 s4, 0
	s_load_b256 s[12:19], s[0:1], 0x8
	s_cselect_b32 s4, ttmp9, s6
	s_load_b256 s[20:27], s[0:1], 0x58
	s_lshl_b32 s6, s4, 7
	s_delay_alu instid0(SALU_CYCLE_1)
	v_dual_mov_b32 v1, 0 :: v_dual_add_nc_u32 v0, s6, v29
	v_lshlrev_b32_e32 v48, 2, v6
	s_wait_kmcnt 0x0
	s_ashr_i32 s5, s34, 31
	s_mov_b32 s4, s34
	v_mov_b32_e32 v7, v1
	v_mul_u64_e32 v[2:3], s[2:3], v[0:1]
	v_cmp_gt_i64_e32 vcc_lo, s[4:5], v[0:1]
	v_dual_add_nc_u32 v14, s6, v28 :: v_dual_bitop2_b32 v16, s6, v29 bitop3:0x54
	v_or_b32_e32 v0, 3, v48
	v_mul_u64_e32 v[8:9], s[38:39], v[6:7]
	v_mul_u64_e32 v[18:19], s[36:37], v[6:7]
	s_delay_alu instid0(VALU_DEP_4) | instskip(NEXT) | instid1(VALU_DEP_4)
	v_dual_ashrrev_i32 v15, 31, v14 :: v_dual_add_nc_u32 v7, 64, v14
	v_mul_u64_e32 v[10:11], s[36:37], v[0:1]
	v_mul_u64_e32 v[12:13], s[38:39], v[0:1]
	v_or_b32_e32 v0, 2, v48
	v_ashrrev_i32_e32 v17, 31, v16
	v_mad_nc_u64_u32 v[24:25], s38, v48, s[38:39]
	v_mad_nc_u64_u32 v[26:27], s36, v48, s[36:37]
	s_ashr_i32 s4, s35, 31
	v_mul_u64_e32 v[20:21], s[36:37], v[0:1]
	v_mul_u64_e32 v[22:23], s[38:39], v[0:1]
	v_add_nc_u32_e32 v0, 32, v14
	v_mul_u64_e32 v[4:5], s[2:3], v[16:17]
	s_lshr_b32 s4, s4, 26
	v_add_nc_u32_e32 v17, 0x60, v14
	s_add_co_i32 s44, s35, s4
	v_cmp_gt_i32_e64 s2, s34, v0
	v_mad_u32 v25, s39, v48, v25
	v_mad_u32 v27, s37, v48, v27
	v_lshlrev_b32_e32 v0, 2, v28
	s_and_not1_b32 s44, s44, 63
	v_cmp_gt_i32_e64 s1, s34, v14
	s_sub_co_i32 s4, s35, s44
	v_cmp_gt_i32_e64 s3, s34, v7
	s_cmp_gt_i32 s4, 0
	v_cmp_gt_i32_e64 s4, s34, v17
	v_lshl_add_u32 v49, v6, 9, v0
	v_cmp_gt_u32_e64 s5, 0x80, v29
	v_lshl_add_u32 v50, v6, 7, v0
	v_cmp_gt_i32_e64 s6, s34, v16
	v_lshlrev_b64_e32 v[6:7], 3, v[8:9]
	v_lshlrev_b64_e32 v[8:9], 1, v[14:15]
	;; [unrolled: 1-line block ×3, first 2 shown]
	v_cmp_gt_i32_e64 s0, s44, v48
	v_lshlrev_b64_e32 v[10:11], 1, v[10:11]
	v_lshlrev_b64_e32 v[12:13], 1, v[12:13]
	s_cselect_b32 s45, -1, 0
	s_and_b32 s34, s5, vcc_lo
	s_lshl_b64 s[40:41], s[38:39], 7
	s_lshl_b64 s[42:43], s[36:37], 7
	;; [unrolled: 1-line block ×3, first 2 shown]
	v_lshlrev_b64_e32 v[16:17], 1, v[20:21]
	v_lshlrev_b64_e32 v[18:19], 1, v[22:23]
	;; [unrolled: 1-line block ×4, first 2 shown]
	s_lshl_b64 s[30:31], s[30:31], 1
	s_lshl_b64 s[26:27], s[26:27], 1
	s_branch .LBB431_4
.LBB431_2:                              ;   in Loop: Header=BB431_4 Depth=1
	s_wait_xcnt 0x0
	s_or_b32 exec_lo, exec_lo, s7
.LBB431_3:                              ;   in Loop: Header=BB431_4 Depth=1
	s_add_co_i32 s10, s10, 0x10000
	s_delay_alu instid0(SALU_CYCLE_1)
	s_cmp_lt_u32 s10, s33
	s_cbranch_scc0 .LBB431_56
.LBB431_4:                              ; =>This Loop Header: Depth=1
                                        ;     Child Loop BB431_24 Depth 2
	s_mul_u64 s[8:9], s[14:15], s[10:11]
	s_mul_u64 s[46:47], s[22:23], s[10:11]
	s_lshl_b64 s[8:9], s[8:9], 2
	s_lshl_b64 s[46:47], s[46:47], 2
	s_add_nc_u64 s[8:9], s[12:13], s[8:9]
	s_add_nc_u64 s[46:47], s[20:21], s[46:47]
	s_clause 0x1
	global_load_b32 v51, v1, s[8:9]
	global_load_b32 v0, v1, s[46:47]
	s_wait_loadcnt 0x1
	v_cmp_eq_f32_e64 s7, 0, v51
	s_wait_loadcnt 0x0
	v_cmp_eq_f32_e32 vcc_lo, 1.0, v0
	s_wait_xcnt 0x0
	v_readfirstlane_b32 s46, v0
	s_and_b32 s8, s7, vcc_lo
	s_delay_alu instid0(SALU_CYCLE_1)
	s_and_b32 vcc_lo, exec_lo, s8
	s_cbranch_vccnz .LBB431_3
; %bb.5:                                ;   in Loop: Header=BB431_4 Depth=1
	v_mov_b64_e32 v[28:29], 0
	v_mov_b64_e32 v[26:27], 0
	v_cmp_neq_f32_e64 s8, 0, v51
	s_and_b32 vcc_lo, exec_lo, s7
	s_cbranch_vccnz .LBB431_7
; %bb.6:                                ;   in Loop: Header=BB431_4 Depth=1
	s_lshl_b64 s[48:49], s[10:11], 3
	s_delay_alu instid0(SALU_CYCLE_1)
	s_add_nc_u64 s[48:49], s[16:17], s[48:49]
	global_load_b64 v[24:25], v1, s[48:49]
	s_wait_loadcnt 0x0
	v_add_nc_u64_e32 v[26:27], s[18:19], v[24:25]
.LBB431_7:                              ;   in Loop: Header=BB431_4 Depth=1
	s_and_not1_b32 vcc_lo, exec_lo, s8
	s_cbranch_vccnz .LBB431_9
; %bb.8:                                ;   in Loop: Header=BB431_4 Depth=1
	s_lshl_b64 s[8:9], s[10:11], 3
	s_delay_alu instid0(SALU_CYCLE_1)
	s_add_nc_u64 s[8:9], s[28:29], s[8:9]
	global_load_b64 v[24:25], v1, s[8:9]
	s_wait_loadcnt 0x0
	v_add_nc_u64_e32 v[28:29], s[30:31], v[24:25]
.LBB431_9:                              ;   in Loop: Header=BB431_4 Depth=1
	s_wait_xcnt 0x0
	s_lshl_b64 s[8:9], s[10:11], 3
	s_and_not1_b32 vcc_lo, exec_lo, s7
	s_add_nc_u64 s[8:9], s[24:25], s[8:9]
	global_load_b64 v[24:25], v1, s[8:9]
	s_wait_loadcnt 0x0
	v_add_nc_u64_e32 v[24:25], s[26:27], v[24:25]
	s_cbranch_vccnz .LBB431_13
; %bb.10:                               ;   in Loop: Header=BB431_4 Depth=1
	s_mov_b32 s7, 0
	s_mov_b32 s47, 0
                                        ; implicit-def: $vgpr0
	s_wait_xcnt 0x0
	s_and_saveexec_b32 s8, s34
	s_cbranch_execz .LBB431_14
; %bb.11:                               ;   in Loop: Header=BB431_4 Depth=1
	s_cmp_eq_f32 s46, 0
	s_cbranch_scc1 .LBB431_16
; %bb.12:                               ;   in Loop: Header=BB431_4 Depth=1
	v_lshl_add_u64 v[30:31], v[2:3], 1, v[24:25]
	flat_load_u16 v0, v[30:31]
	s_wait_loadcnt_dscnt 0x0
	v_fma_mixlo_f16 v0, s46, v0, 0 op_sel_hi:[0,1,0]
	s_branch .LBB431_17
.LBB431_13:                             ;   in Loop: Header=BB431_4 Depth=1
	s_mov_b32 s47, 0
                                        ; implicit-def: $vgpr0
	s_cbranch_execz .LBB431_15
	s_branch .LBB431_18
.LBB431_14:                             ;   in Loop: Header=BB431_4 Depth=1
	s_or_b32 exec_lo, exec_lo, s8
	s_delay_alu instid0(SALU_CYCLE_1)
	s_and_b32 vcc_lo, exec_lo, s7
	s_cbranch_vccnz .LBB431_18
.LBB431_15:                             ;   in Loop: Header=BB431_4 Depth=1
	v_mov_b64_e32 v[26:27], v[2:3]
	s_wait_xcnt 0x0
	s_and_saveexec_b32 s7, s47
	s_cbranch_execz .LBB431_2
	s_branch .LBB431_55
.LBB431_16:                             ;   in Loop: Header=BB431_4 Depth=1
	v_mov_b32_e32 v0, 0
.LBB431_17:                             ;   in Loop: Header=BB431_4 Depth=1
	s_mov_b32 s47, exec_lo
	s_wait_xcnt 0x0
	s_or_b32 exec_lo, exec_lo, s8
	s_delay_alu instid0(SALU_CYCLE_1)
	s_and_b32 vcc_lo, exec_lo, s7
	s_cbranch_vccz .LBB431_15
.LBB431_18:                             ;   in Loop: Header=BB431_4 Depth=1
	v_dual_mov_b32 v52, 0 :: v_dual_mov_b32 v0, v48
	v_dual_mov_b32 v53, 0 :: v_dual_mov_b32 v54, 0
	v_mov_b32_e32 v55, 0
	s_wait_xcnt 0x0
	s_and_saveexec_b32 s7, s0
	s_cbranch_execz .LBB431_30
; %bb.19:                               ;   in Loop: Header=BB431_4 Depth=1
	v_add_nc_u64_e32 v[30:31], v[26:27], v[10:11]
	v_add_nc_u64_e32 v[32:33], v[26:27], v[14:15]
	;; [unrolled: 1-line block ×4, first 2 shown]
	v_mov_b64_e32 v[38:39], v[28:29]
	v_dual_mov_b32 v52, 0 :: v_dual_mov_b32 v0, v48
	v_dual_mov_b32 v53, 0 :: v_dual_mov_b32 v54, 0
	v_mov_b32_e32 v55, 0
	s_mov_b32 s8, 0
	s_branch .LBB431_24
.LBB431_20:                             ;   in Loop: Header=BB431_24 Depth=2
	s_wait_xcnt 0x0
	s_or_b32 exec_lo, exec_lo, s50
	s_wait_loadcnt_dscnt 0x303
	v_fma_mix_f32 v40, v68, v72, v54 op_sel_hi:[0,1,0]
	s_wait_loadcnt_dscnt 0x202
	s_delay_alu instid0(VALU_DEP_1) | instskip(SKIP_1) | instid1(VALU_DEP_1)
	v_fma_mix_f32 v40, v69, v73, v40 op_sel_hi:[0,1,0]
	s_wait_loadcnt_dscnt 0x101
	v_fma_mix_f32 v40, v70, v74, v40 op_sel_hi:[0,1,0]
	s_wait_loadcnt_dscnt 0x0
	s_delay_alu instid0(VALU_DEP_1)
	v_fma_mix_f32 v54, v71, v75, v40 op_sel_hi:[0,1,0]
.LBB431_21:                             ;   in Loop: Header=BB431_24 Depth=2
	s_or_b32 exec_lo, exec_lo, s49
	s_wait_loadcnt_dscnt 0x303
	v_fma_mix_f32 v40, v68, v64, v53 op_sel_hi:[0,1,0]
	s_wait_loadcnt_dscnt 0x202
	s_delay_alu instid0(VALU_DEP_1) | instskip(SKIP_1) | instid1(VALU_DEP_1)
	v_fma_mix_f32 v40, v69, v65, v40 op_sel_hi:[0,1,0]
	s_wait_loadcnt_dscnt 0x101
	v_fma_mix_f32 v40, v70, v66, v40 op_sel_hi:[0,1,0]
	s_wait_loadcnt_dscnt 0x0
	s_delay_alu instid0(VALU_DEP_1)
	v_fma_mix_f32 v53, v71, v67, v40 op_sel_hi:[0,1,0]
.LBB431_22:                             ;   in Loop: Header=BB431_24 Depth=2
	s_or_b32 exec_lo, exec_lo, s48
	s_wait_loadcnt_dscnt 0x303
	v_fma_mix_f32 v40, v56, v60, v52 op_sel_hi:[1,1,0]
	s_wait_loadcnt_dscnt 0x202
	s_delay_alu instid0(VALU_DEP_1) | instskip(SKIP_1) | instid1(VALU_DEP_1)
	v_fma_mix_f32 v40, v57, v61, v40 op_sel_hi:[1,1,0]
	s_wait_loadcnt_dscnt 0x101
	v_fma_mix_f32 v40, v58, v62, v40 op_sel_hi:[1,1,0]
	s_wait_loadcnt_dscnt 0x0
	s_delay_alu instid0(VALU_DEP_1)
	v_fma_mix_f32 v52, v59, v63, v40 op_sel_hi:[1,1,0]
.LBB431_23:                             ;   in Loop: Header=BB431_24 Depth=2
	s_or_b32 exec_lo, exec_lo, s9
	v_add_nc_u32_e32 v0, 64, v0
	v_add_nc_u64_e32 v[38:39], s[40:41], v[38:39]
	v_add_nc_u64_e32 v[30:31], s[42:43], v[30:31]
	;; [unrolled: 1-line block ×4, first 2 shown]
	v_cmp_le_i32_e32 vcc_lo, s44, v0
	v_add_nc_u64_e32 v[36:37], s[42:43], v[36:37]
	s_or_b32 s8, vcc_lo, s8
	s_delay_alu instid0(SALU_CYCLE_1)
	s_and_not1_b32 exec_lo, exec_lo, s8
	s_cbranch_execz .LBB431_29
.LBB431_24:                             ;   Parent Loop BB431_4 Depth=1
                                        ; =>  This Inner Loop Header: Depth=2
	s_and_saveexec_b32 s9, s1
	s_cbranch_execz .LBB431_23
; %bb.25:                               ;   in Loop: Header=BB431_24 Depth=2
	v_add_nc_u64_e32 v[64:65], v[38:39], v[6:7]
	v_add_nc_u64_e32 v[66:67], v[38:39], v[20:21]
	;; [unrolled: 1-line block ×8, first 2 shown]
	s_clause 0x3
	flat_load_u16 v56, v[64:65]
	flat_load_u16 v57, v[66:67]
	;; [unrolled: 1-line block ×8, first 2 shown]
	s_wait_xcnt 0x0
	s_and_saveexec_b32 s48, s2
	s_cbranch_execz .LBB431_22
; %bb.26:                               ;   in Loop: Header=BB431_24 Depth=2
	flat_load_u16 v64, v[40:41] offset:64
	flat_load_u16 v65, v[42:43] offset:64
	;; [unrolled: 1-line block ×4, first 2 shown]
	s_wait_loadcnt_dscnt 0xb0b
	v_cvt_f32_f16_e32 v68, v56
	s_wait_loadcnt_dscnt 0xa0a
	v_cvt_f32_f16_e32 v69, v57
	;; [unrolled: 2-line block ×4, first 2 shown]
	s_wait_xcnt 0x0
	s_and_saveexec_b32 s49, s3
	s_cbranch_execz .LBB431_21
; %bb.27:                               ;   in Loop: Header=BB431_24 Depth=2
	flat_load_u16 v72, v[40:41] offset:128
	flat_load_u16 v73, v[42:43] offset:128
	;; [unrolled: 1-line block ×4, first 2 shown]
	s_wait_xcnt 0x0
	s_and_saveexec_b32 s50, s4
	s_cbranch_execz .LBB431_20
; %bb.28:                               ;   in Loop: Header=BB431_24 Depth=2
	flat_load_u16 v76, v[40:41] offset:192
	flat_load_u16 v77, v[42:43] offset:192
	;; [unrolled: 1-line block ×4, first 2 shown]
	s_wait_loadcnt_dscnt 0x303
	s_wait_xcnt 0x3
	v_fma_mix_f32 v40, v68, v76, v55 op_sel_hi:[0,1,0]
	s_wait_loadcnt_dscnt 0x202
	s_delay_alu instid0(VALU_DEP_1) | instskip(SKIP_1) | instid1(VALU_DEP_1)
	v_fma_mix_f32 v40, v69, v77, v40 op_sel_hi:[0,1,0]
	s_wait_loadcnt_dscnt 0x101
	v_fma_mix_f32 v40, v70, v78, v40 op_sel_hi:[0,1,0]
	s_wait_loadcnt_dscnt 0x0
	s_delay_alu instid0(VALU_DEP_1)
	v_fma_mix_f32 v55, v71, v79, v40 op_sel_hi:[0,1,0]
	s_branch .LBB431_20
.LBB431_29:                             ;   in Loop: Header=BB431_4 Depth=1
	s_or_b32 exec_lo, exec_lo, s8
.LBB431_30:                             ;   in Loop: Header=BB431_4 Depth=1
	s_delay_alu instid0(SALU_CYCLE_1) | instskip(NEXT) | instid1(SALU_CYCLE_1)
	s_or_b32 exec_lo, exec_lo, s7
	s_and_not1_b32 vcc_lo, exec_lo, s45
	s_cbranch_vccnz .LBB431_48
; %bb.31:                               ;   in Loop: Header=BB431_4 Depth=1
	v_cmp_gt_i32_e32 vcc_lo, s35, v0
	v_dual_mov_b32 v34, 0 :: v_dual_bitop2_b32 v30, 1, v0 bitop3:0x54
	v_dual_mov_b32 v35, 0 :: v_dual_mov_b32 v36, 0
	v_mov_b32_e32 v37, 0
	s_and_saveexec_b32 s8, vcc_lo
	s_cbranch_execz .LBB431_39
; %bb.32:                               ;   in Loop: Header=BB431_4 Depth=1
	v_mul_u64_e32 v[32:33], s[38:39], v[0:1]
	v_dual_mov_b32 v36, 0 :: v_dual_mov_b32 v35, 0
	v_mov_b32_e32 v34, 0
	s_mov_b32 s9, exec_lo
	s_delay_alu instid0(VALU_DEP_3)
	v_lshl_add_u64 v[32:33], v[32:33], 1, v[28:29]
	flat_load_u16 v37, v[32:33]
	s_wait_xcnt 0x0
	v_cmpx_gt_i32_e64 s35, v30
	s_cbranch_execz .LBB431_38
; %bb.33:                               ;   in Loop: Header=BB431_4 Depth=1
	v_dual_mov_b32 v31, v1 :: v_dual_mov_b32 v35, 0
	v_mov_b32_e32 v34, 0
	s_mov_b32 s48, exec_lo
	s_delay_alu instid0(VALU_DEP_2) | instskip(NEXT) | instid1(VALU_DEP_1)
	v_mul_u64_e32 v[32:33], s[38:39], v[30:31]
	v_lshl_add_u64 v[32:33], v[32:33], 1, v[28:29]
	flat_load_u16 v31, v[32:33]
	s_wait_xcnt 0x0
	v_or_b32_e32 v32, 2, v0
	s_delay_alu instid0(VALU_DEP_1)
	v_cmpx_gt_i32_e64 s35, v32
	s_cbranch_execz .LBB431_37
; %bb.34:                               ;   in Loop: Header=BB431_4 Depth=1
	v_dual_mov_b32 v33, v1 :: v_dual_mov_b32 v34, 0
	s_mov_b32 s49, exec_lo
	s_delay_alu instid0(VALU_DEP_1) | instskip(NEXT) | instid1(VALU_DEP_1)
	v_mul_u64_e32 v[32:33], s[38:39], v[32:33]
	v_lshl_add_u64 v[32:33], v[32:33], 1, v[28:29]
	flat_load_u16 v35, v[32:33]
	s_wait_xcnt 0x0
	v_or_b32_e32 v32, 3, v0
	s_delay_alu instid0(VALU_DEP_1)
	v_cmpx_gt_i32_e64 s35, v32
	s_cbranch_execz .LBB431_36
; %bb.35:                               ;   in Loop: Header=BB431_4 Depth=1
	v_mov_b32_e32 v33, v1
	s_delay_alu instid0(VALU_DEP_1) | instskip(NEXT) | instid1(VALU_DEP_1)
	v_mul_u64_e32 v[32:33], s[38:39], v[32:33]
	v_lshl_add_u64 v[28:29], v[32:33], 1, v[28:29]
	flat_load_u16 v28, v[28:29]
	s_wait_loadcnt_dscnt 0x0
	v_cvt_f32_f16_e32 v34, v28
.LBB431_36:                             ;   in Loop: Header=BB431_4 Depth=1
	s_wait_xcnt 0x0
	s_or_b32 exec_lo, exec_lo, s49
	s_wait_loadcnt_dscnt 0x0
	v_cvt_f32_f16_e32 v35, v35
.LBB431_37:                             ;   in Loop: Header=BB431_4 Depth=1
	s_or_b32 exec_lo, exec_lo, s48
	s_wait_loadcnt_dscnt 0x0
	v_cvt_f32_f16_e32 v36, v31
.LBB431_38:                             ;   in Loop: Header=BB431_4 Depth=1
	s_or_b32 exec_lo, exec_lo, s9
	s_wait_loadcnt_dscnt 0x0
	v_cvt_f32_f16_e32 v37, v37
.LBB431_39:                             ;   in Loop: Header=BB431_4 Depth=1
	s_or_b32 exec_lo, exec_lo, s8
	s_and_saveexec_b32 s48, s1
	s_cbranch_execz .LBB431_47
; %bb.40:                               ;   in Loop: Header=BB431_4 Depth=1
	v_dual_mov_b32 v31, v1 :: v_dual_bitop2_b32 v28, 2, v0 bitop3:0x54
	v_mov_b32_e32 v29, v1
	v_mul_u64_e32 v[32:33], s[36:37], v[0:1]
	v_or_b32_e32 v0, 3, v0
	s_delay_alu instid0(VALU_DEP_4)
	v_mul_u64_e32 v[38:39], s[36:37], v[30:31]
	v_cmp_gt_i32_e64 s7, s35, v30
	v_mul_u64_e32 v[40:41], s[36:37], v[28:29]
	v_cmp_gt_i32_e64 s8, s35, v28
	v_mul_u64_e32 v[42:43], s[36:37], v[0:1]
	v_cmp_gt_i32_e64 s9, s35, v0
	v_dual_cndmask_b32 v29, 0, v33 :: v_dual_cndmask_b32 v28, 0, v32
	v_dual_cndmask_b32 v31, 0, v39, s7 :: v_dual_cndmask_b32 v30, 0, v38, s7
	v_dual_cndmask_b32 v33, 0, v41, s8 :: v_dual_cndmask_b32 v32, 0, v40, s8
	s_delay_alu instid0(VALU_DEP_4) | instskip(NEXT) | instid1(VALU_DEP_4)
	v_dual_cndmask_b32 v39, 0, v43, s9 :: v_dual_cndmask_b32 v38, 0, v42, s9
	v_lshl_add_u64 v[28:29], v[28:29], 1, v[26:27]
	s_delay_alu instid0(VALU_DEP_4) | instskip(NEXT) | instid1(VALU_DEP_4)
	v_lshl_add_u64 v[40:41], v[30:31], 1, v[26:27]
	v_lshl_add_u64 v[32:33], v[32:33], 1, v[26:27]
	s_delay_alu instid0(VALU_DEP_4) | instskip(NEXT) | instid1(VALU_DEP_4)
	v_lshl_add_u64 v[38:39], v[38:39], 1, v[26:27]
	v_add_nc_u64_e32 v[30:31], v[28:29], v[8:9]
	s_delay_alu instid0(VALU_DEP_4) | instskip(NEXT) | instid1(VALU_DEP_4)
	v_add_nc_u64_e32 v[26:27], v[40:41], v[8:9]
	v_add_nc_u64_e32 v[28:29], v[32:33], v[8:9]
	s_delay_alu instid0(VALU_DEP_4)
	v_add_nc_u64_e32 v[32:33], v[38:39], v[8:9]
	s_clause 0x3
	flat_load_u16 v0, v[30:31]
	flat_load_u16 v38, v[26:27]
	;; [unrolled: 1-line block ×4, first 2 shown]
	s_wait_xcnt 0x0
	s_and_saveexec_b32 s7, s2
	s_cbranch_execz .LBB431_46
; %bb.41:                               ;   in Loop: Header=BB431_4 Depth=1
	s_clause 0x3
	flat_load_u16 v41, v[30:31] offset:64
	flat_load_u16 v42, v[26:27] offset:64
	flat_load_u16 v43, v[28:29] offset:64
	flat_load_u16 v44, v[32:33] offset:64
	s_wait_xcnt 0x0
	s_and_saveexec_b32 s8, s3
	s_cbranch_execz .LBB431_45
; %bb.42:                               ;   in Loop: Header=BB431_4 Depth=1
	s_clause 0x3
	flat_load_u16 v45, v[30:31] offset:128
	flat_load_u16 v46, v[26:27] offset:128
	flat_load_u16 v47, v[28:29] offset:128
	flat_load_u16 v56, v[32:33] offset:128
	;; [unrolled: 9-line block ×3, first 2 shown]
	s_wait_loadcnt_dscnt 0x303
	s_wait_xcnt 0x2
	v_fma_mix_f32 v26, v37, v57, v55 op_sel_hi:[0,1,0]
	s_wait_loadcnt_dscnt 0x202
	s_delay_alu instid0(VALU_DEP_1) | instskip(SKIP_1) | instid1(VALU_DEP_1)
	v_fma_mix_f32 v26, v36, v58, v26 op_sel_hi:[0,1,0]
	s_wait_loadcnt_dscnt 0x101
	v_fma_mix_f32 v26, v35, v59, v26 op_sel_hi:[0,1,0]
	s_wait_loadcnt_dscnt 0x0
	s_delay_alu instid0(VALU_DEP_1)
	v_fma_mix_f32 v55, v34, v60, v26 op_sel_hi:[0,1,0]
.LBB431_44:                             ;   in Loop: Header=BB431_4 Depth=1
	s_wait_xcnt 0x0
	s_or_b32 exec_lo, exec_lo, s9
	s_wait_loadcnt_dscnt 0x303
	v_fma_mix_f32 v26, v37, v45, v54 op_sel_hi:[0,1,0]
	s_wait_loadcnt_dscnt 0x202
	s_delay_alu instid0(VALU_DEP_1) | instskip(SKIP_1) | instid1(VALU_DEP_1)
	v_fma_mix_f32 v26, v36, v46, v26 op_sel_hi:[0,1,0]
	s_wait_loadcnt_dscnt 0x101
	v_fma_mix_f32 v26, v35, v47, v26 op_sel_hi:[0,1,0]
	s_wait_loadcnt_dscnt 0x0
	s_delay_alu instid0(VALU_DEP_1)
	v_fma_mix_f32 v54, v34, v56, v26 op_sel_hi:[0,1,0]
.LBB431_45:                             ;   in Loop: Header=BB431_4 Depth=1
	s_or_b32 exec_lo, exec_lo, s8
	s_wait_loadcnt_dscnt 0x303
	v_fma_mix_f32 v26, v37, v41, v53 op_sel_hi:[0,1,0]
	s_wait_loadcnt_dscnt 0x202
	s_delay_alu instid0(VALU_DEP_1) | instskip(SKIP_1) | instid1(VALU_DEP_1)
	v_fma_mix_f32 v26, v36, v42, v26 op_sel_hi:[0,1,0]
	s_wait_loadcnt_dscnt 0x101
	v_fma_mix_f32 v26, v35, v43, v26 op_sel_hi:[0,1,0]
	s_wait_loadcnt_dscnt 0x0
	s_delay_alu instid0(VALU_DEP_1)
	v_fma_mix_f32 v53, v34, v44, v26 op_sel_hi:[0,1,0]
.LBB431_46:                             ;   in Loop: Header=BB431_4 Depth=1
	s_or_b32 exec_lo, exec_lo, s7
	s_wait_loadcnt_dscnt 0x303
	v_fma_mix_f32 v0, v37, v0, v52 op_sel_hi:[0,1,0]
	s_wait_loadcnt_dscnt 0x202
	s_delay_alu instid0(VALU_DEP_1) | instskip(SKIP_1) | instid1(VALU_DEP_1)
	v_fma_mix_f32 v0, v36, v38, v0 op_sel_hi:[0,1,0]
	s_wait_loadcnt_dscnt 0x101
	v_fma_mix_f32 v0, v35, v39, v0 op_sel_hi:[0,1,0]
	s_wait_loadcnt_dscnt 0x0
	s_delay_alu instid0(VALU_DEP_1)
	v_fma_mix_f32 v52, v34, v40, v0 op_sel_hi:[0,1,0]
.LBB431_47:                             ;   in Loop: Header=BB431_4 Depth=1
	s_or_b32 exec_lo, exec_lo, s48
.LBB431_48:                             ;   in Loop: Header=BB431_4 Depth=1
	ds_store_2addr_b32 v49, v52, v53 offset1:32
	ds_store_2addr_b32 v49, v54, v55 offset0:64 offset1:96
	s_wait_dscnt 0x0
	s_barrier_signal -1
	s_barrier_wait -1
                                        ; implicit-def: $vgpr0
	s_and_saveexec_b32 s7, s5
	s_cbranch_execz .LBB431_54
; %bb.49:                               ;   in Loop: Header=BB431_4 Depth=1
	ds_load_2addr_stride64_b32 v[26:27], v50 offset1:2
	ds_load_2addr_stride64_b32 v[28:29], v50 offset0:4 offset1:6
	ds_load_2addr_stride64_b32 v[30:31], v50 offset0:8 offset1:10
	s_mov_b32 s9, s47
	s_wait_dscnt 0x2
	v_add_f32_e32 v0, v26, v27
	ds_load_2addr_stride64_b32 v[26:27], v50 offset0:12 offset1:14
	s_wait_dscnt 0x2
	v_add_f32_e32 v0, v28, v0
	s_delay_alu instid0(VALU_DEP_1) | instskip(SKIP_3) | instid1(VALU_DEP_1)
	v_add_f32_e32 v0, v29, v0
	ds_load_2addr_stride64_b32 v[28:29], v50 offset0:16 offset1:18
	s_wait_dscnt 0x2
	v_add_f32_e32 v0, v30, v0
	v_add_f32_e32 v0, v31, v0
	ds_load_2addr_stride64_b32 v[30:31], v50 offset0:20 offset1:22
	s_wait_dscnt 0x2
	v_add_f32_e32 v0, v26, v0
	s_delay_alu instid0(VALU_DEP_1) | instskip(SKIP_3) | instid1(VALU_DEP_1)
	v_add_f32_e32 v0, v27, v0
	ds_load_2addr_stride64_b32 v[26:27], v50 offset0:24 offset1:26
	s_wait_dscnt 0x2
	v_add_f32_e32 v0, v28, v0
	v_add_f32_e32 v0, v29, v0
	ds_load_2addr_stride64_b32 v[28:29], v50 offset0:28 offset1:30
	s_wait_dscnt 0x2
	v_add_f32_e32 v0, v30, v0
	s_delay_alu instid0(VALU_DEP_1) | instskip(SKIP_1) | instid1(VALU_DEP_1)
	v_add_f32_e32 v0, v31, v0
	s_wait_dscnt 0x1
	v_add_f32_e32 v0, v26, v0
	s_delay_alu instid0(VALU_DEP_1) | instskip(SKIP_1) | instid1(VALU_DEP_1)
	v_add_f32_e32 v0, v27, v0
	s_wait_dscnt 0x0
	v_add_f32_e32 v0, v28, v0
	s_delay_alu instid0(VALU_DEP_1)
	v_add_f32_e32 v26, v29, v0
                                        ; implicit-def: $vgpr0
	ds_store_b32 v50, v26
	s_and_saveexec_b32 s8, s6
	s_cbranch_execz .LBB431_53
; %bb.50:                               ;   in Loop: Header=BB431_4 Depth=1
	v_mul_f32_e32 v0, v51, v26
	s_cmp_eq_f32 s46, 0
	s_cbranch_scc1 .LBB431_52
; %bb.51:                               ;   in Loop: Header=BB431_4 Depth=1
	v_lshl_add_u64 v[26:27], v[4:5], 1, v[24:25]
	flat_load_u16 v26, v[26:27]
	s_wait_loadcnt_dscnt 0x0
	v_fma_mix_f32 v0, s46, v26, v0 op_sel_hi:[0,1,0]
.LBB431_52:                             ;   in Loop: Header=BB431_4 Depth=1
	s_delay_alu instid0(VALU_DEP_1)
	v_cvt_f16_f32_e32 v0, v0
	s_or_b32 s9, s47, exec_lo
.LBB431_53:                             ;   in Loop: Header=BB431_4 Depth=1
	s_wait_xcnt 0x0
	s_or_b32 exec_lo, exec_lo, s8
	s_delay_alu instid0(SALU_CYCLE_1) | instskip(SKIP_1) | instid1(SALU_CYCLE_1)
	s_and_not1_b32 s8, s47, exec_lo
	s_and_b32 s9, s9, exec_lo
	s_or_b32 s47, s8, s9
.LBB431_54:                             ;   in Loop: Header=BB431_4 Depth=1
	s_or_b32 exec_lo, exec_lo, s7
	v_mov_b64_e32 v[26:27], v[4:5]
	s_and_saveexec_b32 s7, s47
	s_cbranch_execz .LBB431_2
.LBB431_55:                             ;   in Loop: Header=BB431_4 Depth=1
	s_delay_alu instid0(VALU_DEP_1)
	v_lshl_add_u64 v[24:25], v[26:27], 1, v[24:25]
	flat_store_b16 v[24:25], v0
	s_branch .LBB431_2
.LBB431_56:
	s_sendmsg sendmsg(MSG_DEALLOC_VGPRS)
	s_endpgm
	.section	.rodata,"a",@progbits
	.p2align	6, 0x0
	.amdhsa_kernel _ZL20rocblas_gemvn_kernelILi32ELi16ElPKDF16_PKfKPDF16_EviiT3_lPKT2_lT1_lS9_lSA_lS6_lPT4_lSA_li
		.amdhsa_group_segment_fixed_size 8192
		.amdhsa_private_segment_fixed_size 0
		.amdhsa_kernarg_size 400
		.amdhsa_user_sgpr_count 2
		.amdhsa_user_sgpr_dispatch_ptr 0
		.amdhsa_user_sgpr_queue_ptr 0
		.amdhsa_user_sgpr_kernarg_segment_ptr 1
		.amdhsa_user_sgpr_dispatch_id 0
		.amdhsa_user_sgpr_kernarg_preload_length 0
		.amdhsa_user_sgpr_kernarg_preload_offset 0
		.amdhsa_user_sgpr_private_segment_size 0
		.amdhsa_wavefront_size32 1
		.amdhsa_uses_dynamic_stack 0
		.amdhsa_enable_private_segment 0
		.amdhsa_system_sgpr_workgroup_id_x 1
		.amdhsa_system_sgpr_workgroup_id_y 0
		.amdhsa_system_sgpr_workgroup_id_z 1
		.amdhsa_system_sgpr_workgroup_info 0
		.amdhsa_system_vgpr_workitem_id 1
		.amdhsa_next_free_vgpr 80
		.amdhsa_next_free_sgpr 51
		.amdhsa_named_barrier_count 0
		.amdhsa_reserve_vcc 1
		.amdhsa_float_round_mode_32 0
		.amdhsa_float_round_mode_16_64 0
		.amdhsa_float_denorm_mode_32 3
		.amdhsa_float_denorm_mode_16_64 3
		.amdhsa_fp16_overflow 0
		.amdhsa_memory_ordered 1
		.amdhsa_forward_progress 1
		.amdhsa_inst_pref_size 25
		.amdhsa_round_robin_scheduling 0
		.amdhsa_exception_fp_ieee_invalid_op 0
		.amdhsa_exception_fp_denorm_src 0
		.amdhsa_exception_fp_ieee_div_zero 0
		.amdhsa_exception_fp_ieee_overflow 0
		.amdhsa_exception_fp_ieee_underflow 0
		.amdhsa_exception_fp_ieee_inexact 0
		.amdhsa_exception_int_div_zero 0
	.end_amdhsa_kernel
	.section	.text._ZL20rocblas_gemvn_kernelILi32ELi16ElPKDF16_PKfKPDF16_EviiT3_lPKT2_lT1_lS9_lSA_lS6_lPT4_lSA_li,"axG",@progbits,_ZL20rocblas_gemvn_kernelILi32ELi16ElPKDF16_PKfKPDF16_EviiT3_lPKT2_lT1_lS9_lSA_lS6_lPT4_lSA_li,comdat
.Lfunc_end431:
	.size	_ZL20rocblas_gemvn_kernelILi32ELi16ElPKDF16_PKfKPDF16_EviiT3_lPKT2_lT1_lS9_lSA_lS6_lPT4_lSA_li, .Lfunc_end431-_ZL20rocblas_gemvn_kernelILi32ELi16ElPKDF16_PKfKPDF16_EviiT3_lPKT2_lT1_lS9_lSA_lS6_lPT4_lSA_li
                                        ; -- End function
	.set _ZL20rocblas_gemvn_kernelILi32ELi16ElPKDF16_PKfKPDF16_EviiT3_lPKT2_lT1_lS9_lSA_lS6_lPT4_lSA_li.num_vgpr, 80
	.set _ZL20rocblas_gemvn_kernelILi32ELi16ElPKDF16_PKfKPDF16_EviiT3_lPKT2_lT1_lS9_lSA_lS6_lPT4_lSA_li.num_agpr, 0
	.set _ZL20rocblas_gemvn_kernelILi32ELi16ElPKDF16_PKfKPDF16_EviiT3_lPKT2_lT1_lS9_lSA_lS6_lPT4_lSA_li.numbered_sgpr, 51
	.set _ZL20rocblas_gemvn_kernelILi32ELi16ElPKDF16_PKfKPDF16_EviiT3_lPKT2_lT1_lS9_lSA_lS6_lPT4_lSA_li.num_named_barrier, 0
	.set _ZL20rocblas_gemvn_kernelILi32ELi16ElPKDF16_PKfKPDF16_EviiT3_lPKT2_lT1_lS9_lSA_lS6_lPT4_lSA_li.private_seg_size, 0
	.set _ZL20rocblas_gemvn_kernelILi32ELi16ElPKDF16_PKfKPDF16_EviiT3_lPKT2_lT1_lS9_lSA_lS6_lPT4_lSA_li.uses_vcc, 1
	.set _ZL20rocblas_gemvn_kernelILi32ELi16ElPKDF16_PKfKPDF16_EviiT3_lPKT2_lT1_lS9_lSA_lS6_lPT4_lSA_li.uses_flat_scratch, 1
	.set _ZL20rocblas_gemvn_kernelILi32ELi16ElPKDF16_PKfKPDF16_EviiT3_lPKT2_lT1_lS9_lSA_lS6_lPT4_lSA_li.has_dyn_sized_stack, 0
	.set _ZL20rocblas_gemvn_kernelILi32ELi16ElPKDF16_PKfKPDF16_EviiT3_lPKT2_lT1_lS9_lSA_lS6_lPT4_lSA_li.has_recursion, 0
	.set _ZL20rocblas_gemvn_kernelILi32ELi16ElPKDF16_PKfKPDF16_EviiT3_lPKT2_lT1_lS9_lSA_lS6_lPT4_lSA_li.has_indirect_call, 0
	.section	.AMDGPU.csdata,"",@progbits
; Kernel info:
; codeLenInByte = 3096
; TotalNumSgprs: 53
; NumVgprs: 80
; ScratchSize: 0
; MemoryBound: 0
; FloatMode: 240
; IeeeMode: 1
; LDSByteSize: 8192 bytes/workgroup (compile time only)
; SGPRBlocks: 0
; VGPRBlocks: 4
; NumSGPRsForWavesPerEU: 53
; NumVGPRsForWavesPerEU: 80
; NamedBarCnt: 0
; Occupancy: 12
; WaveLimiterHint : 1
; COMPUTE_PGM_RSRC2:SCRATCH_EN: 0
; COMPUTE_PGM_RSRC2:USER_SGPR: 2
; COMPUTE_PGM_RSRC2:TRAP_HANDLER: 0
; COMPUTE_PGM_RSRC2:TGID_X_EN: 1
; COMPUTE_PGM_RSRC2:TGID_Y_EN: 0
; COMPUTE_PGM_RSRC2:TGID_Z_EN: 1
; COMPUTE_PGM_RSRC2:TIDIG_COMP_CNT: 1
	.section	.text._ZL20rocblas_gemvn_kernelILi32ELi16EiPKDF16_fKPDF16_EviiT3_lPKT2_lT1_lS7_lS8_lS4_lPT4_lS8_li,"axG",@progbits,_ZL20rocblas_gemvn_kernelILi32ELi16EiPKDF16_fKPDF16_EviiT3_lPKT2_lT1_lS7_lS8_lS4_lPT4_lS8_li,comdat
	.globl	_ZL20rocblas_gemvn_kernelILi32ELi16EiPKDF16_fKPDF16_EviiT3_lPKT2_lT1_lS7_lS8_lS4_lPT4_lS8_li ; -- Begin function _ZL20rocblas_gemvn_kernelILi32ELi16EiPKDF16_fKPDF16_EviiT3_lPKT2_lT1_lS7_lS8_lS4_lPT4_lS8_li
	.p2align	8
	.type	_ZL20rocblas_gemvn_kernelILi32ELi16EiPKDF16_fKPDF16_EviiT3_lPKT2_lT1_lS7_lS8_lS4_lPT4_lS8_li,@function
_ZL20rocblas_gemvn_kernelILi32ELi16EiPKDF16_fKPDF16_EviiT3_lPKT2_lT1_lS7_lS8_lS4_lPT4_lS8_li: ; @_ZL20rocblas_gemvn_kernelILi32ELi16EiPKDF16_fKPDF16_EviiT3_lPKT2_lT1_lS7_lS8_lS4_lPT4_lS8_li
; %bb.0:
	s_clause 0x1
	s_load_b64 s[2:3], s[0:1], 0x9c
	s_load_b32 s23, s[0:1], 0x88
	s_bfe_u32 s4, ttmp6, 0x40014
	s_lshr_b32 s5, ttmp7, 16
	s_add_co_i32 s4, s4, 1
	s_bfe_u32 s6, ttmp6, 0x40008
	s_mul_i32 s7, s5, s4
	s_getreg_b32 s4, hwreg(HW_REG_IB_STS2, 6, 4)
	s_add_co_i32 s6, s6, s7
	s_mov_b32 s25, 0
	s_wait_kmcnt 0x0
	s_lshr_b32 s7, s2, 16
	s_and_b32 s2, s2, 0xffff
	s_and_b32 s3, s3, 0xffff
	s_mul_i32 s2, s7, s2
	s_cmp_eq_u32 s4, 0
	s_mul_i32 s2, s2, s3
	s_cselect_b32 s24, s5, s6
	s_cmp_lg_u32 s2, 0x200
	s_cselect_b32 s2, -1, 0
	s_cmp_ge_u32 s24, s23
	s_cselect_b32 s3, -1, 0
	s_delay_alu instid0(SALU_CYCLE_1) | instskip(NEXT) | instid1(SALU_CYCLE_1)
	s_or_b32 s2, s2, s3
	s_and_b32 vcc_lo, exec_lo, s2
	s_cbranch_vccnz .LBB432_58
; %bb.1:
	s_clause 0x7
	s_load_b32 s2, s[0:1], 0x78
	s_load_b96 s[20:22], s[0:1], 0x0
	s_load_b32 s26, s[0:1], 0x58
	s_load_b128 s[8:11], s[0:1], 0x68
	s_load_b32 s27, s[0:1], 0x28
	s_load_b128 s[12:15], s[0:1], 0x38
	;; [unrolled: 2-line block ×3, first 2 shown]
	v_and_b32_e32 v6, 0x3ff, v0
	v_bfe_u32 v7, v0, 10, 10
	s_delay_alu instid0(VALU_DEP_2) | instskip(NEXT) | instid1(VALU_DEP_2)
	v_dual_mov_b32 v1, 0 :: v_dual_lshlrev_b32 v0, 2, v6
	v_lshl_add_u32 v2, v7, 5, v6
	s_delay_alu instid0(VALU_DEP_2)
	v_lshl_add_u32 v23, v7, 9, v0
	v_lshl_add_u32 v24, v7, 7, v0
	s_wait_kmcnt 0x0
	s_ashr_i32 s3, s2, 31
	s_cmp_eq_f32 s22, 0
	v_cmp_gt_u32_e64 s0, 0x80, v2
	s_mov_b32 s6, s20
	s_cselect_b32 s29, -1, 0
	s_cmp_neq_f32 s26, 1.0
	s_cselect_b32 s1, -1, 0
	s_cmp_neq_f32 s22, 0
	s_cselect_b32 s5, -1, 0
	s_bfe_u32 s7, ttmp6, 0x4000c
	s_and_b32 s31, ttmp6, 15
	s_add_co_i32 s7, s7, 1
	s_or_b32 s30, s5, s1
	s_mul_i32 s7, ttmp9, s7
	v_cndmask_b32_e64 v25, 0, 1, s5
	s_add_co_i32 s31, s31, s7
	s_cmp_eq_u32 s4, 0
	s_cselect_b32 s1, ttmp9, s31
	s_ashr_i32 s7, s20, 31
	s_lshl_b32 s31, s1, 7
	s_delay_alu instid0(SALU_CYCLE_1) | instskip(SKIP_3) | instid1(VALU_DEP_3)
	v_dual_lshlrev_b32 v22, 2, v7 :: v_dual_add_nc_u32 v0, s31, v2
	v_add_nc_u32_e32 v26, s31, v6
	v_or_b32_e32 v5, s31, v2
	s_cmp_neq_f32 s26, 0
	v_mul_lo_u32 v9, s27, v22
	v_mul_u64_e32 v[2:3], s[2:3], v[0:1]
	v_add_nc_u32_e32 v10, 64, v26
	v_mul_lo_u32 v4, s2, v5
	v_or_b32_e32 v8, 2, v22
	s_cselect_b32 s33, -1, 0
	s_ashr_i32 s1, s21, 31
	v_cmp_gt_i32_e64 s4, s20, v10
	v_mul_lo_u32 v10, v7, s27
	v_mul_lo_u32 v7, v7, s28
	s_lshr_b32 s3, s1, 26
	v_cmp_gt_i32_e64 s2, s20, v5
	s_add_co_i32 s34, s21, s3
	v_cmp_gt_i64_e32 vcc_lo, s[6:7], v[0:1]
	v_ashrrev_i32_e32 v5, 31, v4
	v_mad_u32 v27, s27, v8, v6
	v_mul_lo_u32 v29, s28, v8
	s_and_not1_b32 s34, s34, 63
	s_delay_alu instid0(SALU_CYCLE_1)
	s_sub_co_i32 s6, s21, s34
	v_lshlrev_b32_e32 v32, 2, v7
	v_add_nc_u32_e32 v11, 0x60, v26
	v_add_nc_u32_e32 v0, 32, v26
	v_cmp_gt_i32_e64 s1, s20, v26
	s_cmp_gt_i32 s6, 0
	v_cmp_gt_i32_e64 s6, s34, v22
	v_cmp_gt_i32_e64 s5, s20, v11
	v_or_b32_e32 v11, 3, v22
	v_cmp_gt_i32_e64 s3, s20, v0
	v_add3_u32 v0, v9, s27, v6
	v_lshl_add_u32 v31, v10, 2, v6
	s_cselect_b32 s20, -1, 0
	v_mad_u32 v28, s27, v11, v6
	v_mul_lo_u32 v30, s28, v11
	s_and_b32 s35, s0, vcc_lo
	s_lshl_b32 s36, s27, 6
	s_lshl_b32 s37, s28, 6
	s_lshl_b64 s[18:19], s[18:19], 1
	s_lshl_b64 s[14:15], s[14:15], 1
	;; [unrolled: 1-line block ×3, first 2 shown]
	s_branch .LBB432_4
.LBB432_2:                              ;   in Loop: Header=BB432_4 Depth=1
	s_wait_xcnt 0x0
	s_or_b32 exec_lo, exec_lo, s7
.LBB432_3:                              ;   in Loop: Header=BB432_4 Depth=1
	s_add_co_i32 s24, s24, 0x10000
	s_delay_alu instid0(SALU_CYCLE_1)
	s_cmp_lt_u32 s24, s23
	s_cbranch_scc0 .LBB432_58
.LBB432_4:                              ; =>This Loop Header: Depth=1
                                        ;     Child Loop BB432_26 Depth 2
	s_and_not1_b32 vcc_lo, exec_lo, s30
	s_cbranch_vccnz .LBB432_3
; %bb.5:                                ;   in Loop: Header=BB432_4 Depth=1
	s_and_not1_b32 vcc_lo, exec_lo, s29
	s_cbranch_vccnz .LBB432_7
; %bb.6:                                ;   in Loop: Header=BB432_4 Depth=1
	v_mov_b64_e32 v[10:11], 0
	v_mov_b64_e32 v[8:9], 0
	s_cbranch_execz .LBB432_8
	s_branch .LBB432_9
.LBB432_7:                              ;   in Loop: Header=BB432_4 Depth=1
	v_mov_b64_e32 v[10:11], 0
	v_mov_b64_e32 v[8:9], 0
.LBB432_8:                              ;   in Loop: Header=BB432_4 Depth=1
	s_lshl_b64 s[38:39], s[24:25], 3
	s_delay_alu instid0(SALU_CYCLE_1)
	s_add_nc_u64 s[38:39], s[16:17], s[38:39]
	global_load_b64 v[6:7], v1, s[38:39]
	s_wait_loadcnt 0x0
	v_add_nc_u64_e32 v[8:9], s[18:19], v[6:7]
.LBB432_9:                              ;   in Loop: Header=BB432_4 Depth=1
	v_cmp_ne_u32_e32 vcc_lo, 1, v25
	s_cbranch_vccnz .LBB432_11
; %bb.10:                               ;   in Loop: Header=BB432_4 Depth=1
	s_wait_xcnt 0x0
	s_lshl_b64 s[38:39], s[24:25], 3
	s_delay_alu instid0(SALU_CYCLE_1)
	s_add_nc_u64 s[38:39], s[12:13], s[38:39]
	global_load_b64 v[6:7], v1, s[38:39]
	s_wait_loadcnt 0x0
	v_add_nc_u64_e32 v[10:11], s[14:15], v[6:7]
.LBB432_11:                             ;   in Loop: Header=BB432_4 Depth=1
	s_wait_xcnt 0x0
	s_lshl_b64 s[38:39], s[24:25], 3
	s_and_not1_b32 vcc_lo, exec_lo, s29
	s_add_nc_u64 s[38:39], s[8:9], s[38:39]
	global_load_b64 v[6:7], v1, s[38:39]
	s_wait_loadcnt 0x0
	v_add_nc_u64_e32 v[6:7], s[10:11], v[6:7]
	s_cbranch_vccnz .LBB432_15
; %bb.12:                               ;   in Loop: Header=BB432_4 Depth=1
	s_mov_b32 s7, 0
	s_wait_xcnt 0x0
	s_mov_b32 s38, 0
                                        ; implicit-def: $vgpr12
	s_and_saveexec_b32 s39, s35
	s_cbranch_execz .LBB432_16
; %bb.13:                               ;   in Loop: Header=BB432_4 Depth=1
	s_and_not1_b32 vcc_lo, exec_lo, s33
	s_cbranch_vccnz .LBB432_18
; %bb.14:                               ;   in Loop: Header=BB432_4 Depth=1
	v_lshl_add_u64 v[12:13], v[2:3], 1, v[6:7]
	flat_load_u16 v12, v[12:13]
	s_wait_loadcnt_dscnt 0x0
	s_wait_xcnt 0x0
	v_fma_mixlo_f16 v12, s26, v12, 0 op_sel_hi:[0,1,0]
	s_branch .LBB432_19
.LBB432_15:                             ;   in Loop: Header=BB432_4 Depth=1
	s_wait_xcnt 0x0
	s_mov_b32 s38, 0
                                        ; implicit-def: $vgpr12
	s_cbranch_execz .LBB432_17
	s_branch .LBB432_20
.LBB432_16:                             ;   in Loop: Header=BB432_4 Depth=1
	s_or_b32 exec_lo, exec_lo, s39
	s_delay_alu instid0(SALU_CYCLE_1)
	s_and_b32 vcc_lo, exec_lo, s7
	s_cbranch_vccnz .LBB432_20
.LBB432_17:                             ;   in Loop: Header=BB432_4 Depth=1
	v_mov_b64_e32 v[8:9], v[2:3]
	s_and_saveexec_b32 s7, s38
	s_cbranch_execz .LBB432_2
	s_branch .LBB432_57
.LBB432_18:                             ;   in Loop: Header=BB432_4 Depth=1
	v_mov_b32_e32 v12, 0
.LBB432_19:                             ;   in Loop: Header=BB432_4 Depth=1
	s_mov_b32 s38, exec_lo
	s_or_b32 exec_lo, exec_lo, s39
	s_delay_alu instid0(SALU_CYCLE_1)
	s_and_b32 vcc_lo, exec_lo, s7
	s_cbranch_vccz .LBB432_17
.LBB432_20:                             ;   in Loop: Header=BB432_4 Depth=1
	v_dual_mov_b32 v33, 0 :: v_dual_mov_b32 v37, v22
	v_dual_mov_b32 v34, 0 :: v_dual_mov_b32 v35, 0
	v_mov_b32_e32 v36, 0
	s_and_saveexec_b32 s7, s6
	s_cbranch_execz .LBB432_32
; %bb.21:                               ;   in Loop: Header=BB432_4 Depth=1
	v_dual_mov_b32 v33, 0 :: v_dual_mov_b32 v38, v31
	v_dual_mov_b32 v39, v28 :: v_dual_mov_b32 v40, v27
	;; [unrolled: 1-line block ×4, first 2 shown]
	v_mov_b32_e32 v36, 0
	s_mov_b32 s39, 0
	s_mov_b32 s40, 0
	s_branch .LBB432_26
.LBB432_22:                             ;   in Loop: Header=BB432_26 Depth=2
	s_wait_xcnt 0x0
	s_or_b32 exec_lo, exec_lo, s44
	s_wait_loadcnt_dscnt 0x303
	v_fma_mix_f32 v12, v52, v56, v35 op_sel_hi:[0,1,0]
	s_wait_loadcnt_dscnt 0x202
	s_delay_alu instid0(VALU_DEP_1) | instskip(SKIP_1) | instid1(VALU_DEP_1)
	v_fma_mix_f32 v12, v53, v57, v12 op_sel_hi:[0,1,0]
	s_wait_loadcnt_dscnt 0x101
	v_fma_mix_f32 v12, v54, v58, v12 op_sel_hi:[0,1,0]
	s_wait_loadcnt_dscnt 0x0
	s_delay_alu instid0(VALU_DEP_1)
	v_fma_mix_f32 v35, v55, v59, v12 op_sel_hi:[0,1,0]
.LBB432_23:                             ;   in Loop: Header=BB432_26 Depth=2
	s_or_b32 exec_lo, exec_lo, s43
	s_wait_loadcnt_dscnt 0x303
	v_fma_mix_f32 v12, v52, v18, v34 op_sel_hi:[0,1,0]
	s_wait_loadcnt_dscnt 0x202
	s_delay_alu instid0(VALU_DEP_1) | instskip(SKIP_1) | instid1(VALU_DEP_1)
	v_fma_mix_f32 v12, v53, v19, v12 op_sel_hi:[0,1,0]
	s_wait_loadcnt_dscnt 0x101
	v_fma_mix_f32 v12, v54, v50, v12 op_sel_hi:[0,1,0]
	s_wait_loadcnt_dscnt 0x0
	s_delay_alu instid0(VALU_DEP_1)
	v_fma_mix_f32 v34, v55, v51, v12 op_sel_hi:[0,1,0]
.LBB432_24:                             ;   in Loop: Header=BB432_26 Depth=2
	s_or_b32 exec_lo, exec_lo, s42
	s_wait_loadcnt_dscnt 0x303
	v_fma_mix_f32 v12, v42, v46, v33 op_sel_hi:[1,1,0]
	s_wait_loadcnt_dscnt 0x202
	s_delay_alu instid0(VALU_DEP_1) | instskip(SKIP_1) | instid1(VALU_DEP_1)
	v_fma_mix_f32 v12, v43, v47, v12 op_sel_hi:[1,1,0]
	s_wait_loadcnt_dscnt 0x101
	v_fma_mix_f32 v12, v44, v48, v12 op_sel_hi:[1,1,0]
	s_wait_loadcnt_dscnt 0x0
	s_delay_alu instid0(VALU_DEP_1)
	v_fma_mix_f32 v33, v45, v49, v12 op_sel_hi:[1,1,0]
.LBB432_25:                             ;   in Loop: Header=BB432_26 Depth=2
	s_or_b32 exec_lo, exec_lo, s41
	v_dual_add_nc_u32 v37, 64, v37 :: v_dual_add_nc_u32 v40, s36, v40
	v_dual_add_nc_u32 v41, s36, v41 :: v_dual_add_nc_u32 v39, s36, v39
	v_add_nc_u32_e32 v38, s36, v38
	s_delay_alu instid0(VALU_DEP_3) | instskip(SKIP_2) | instid1(SALU_CYCLE_1)
	v_cmp_le_i32_e32 vcc_lo, s34, v37
	s_add_co_i32 s40, s40, s37
	s_or_b32 s39, vcc_lo, s39
	s_and_not1_b32 exec_lo, exec_lo, s39
	s_cbranch_execz .LBB432_31
.LBB432_26:                             ;   Parent Loop BB432_4 Depth=1
                                        ; =>  This Inner Loop Header: Depth=2
	s_and_saveexec_b32 s41, s1
	s_cbranch_execz .LBB432_25
; %bb.27:                               ;   in Loop: Header=BB432_26 Depth=2
	v_mad_u32 v13, s28, v22, s28
	v_dual_add_nc_u32 v15, s40, v32 :: v_dual_add_nc_u32 v17, s40, v29
	v_readfirstlane_b32 s42, v10
	v_readfirstlane_b32 s43, v11
	v_add_nc_u32_e32 v19, s40, v30
	v_dual_add_nc_u32 v12, s31, v38 :: v_dual_add_nc_u32 v14, s31, v41
	v_readfirstlane_b32 s44, v8
	v_readfirstlane_b32 s45, v9
	v_dual_add_nc_u32 v18, s31, v40 :: v_dual_add_nc_u32 v16, s31, v39
	v_add_nc_u32_e32 v13, s40, v13
	s_clause 0x3
	flat_load_u16 v42, v15, s[42:43] scale_offset
	flat_load_u16 v43, v13, s[42:43] scale_offset
	;; [unrolled: 1-line block ×4, first 2 shown]
	s_clause 0x3
	flat_load_u16 v46, v12, s[44:45] scale_offset
	flat_load_u16 v47, v14, s[44:45] scale_offset
	;; [unrolled: 1-line block ×4, first 2 shown]
	s_wait_xcnt 0x0
	s_and_saveexec_b32 s42, s3
	s_cbranch_execz .LBB432_24
; %bb.28:                               ;   in Loop: Header=BB432_26 Depth=2
	v_dual_ashrrev_i32 v13, 31, v12 :: v_dual_ashrrev_i32 v15, 31, v14
	v_dual_ashrrev_i32 v19, 31, v18 :: v_dual_ashrrev_i32 v17, 31, v16
	s_wait_loadcnt_dscnt 0x707
	v_cvt_f32_f16_e32 v52, v42
	s_delay_alu instid0(VALU_DEP_3)
	v_lshl_add_u64 v[20:21], v[12:13], 1, v[8:9]
	v_lshl_add_u64 v[12:13], v[14:15], 1, v[8:9]
	;; [unrolled: 1-line block ×4, first 2 shown]
	s_wait_loadcnt_dscnt 0x606
	v_cvt_f32_f16_e32 v53, v43
	s_clause 0x3
	flat_load_u16 v18, v[20:21] offset:64
	flat_load_u16 v19, v[12:13] offset:64
	flat_load_u16 v50, v[14:15] offset:64
	flat_load_u16 v51, v[16:17] offset:64
	s_wait_loadcnt_dscnt 0x909
	v_cvt_f32_f16_e32 v54, v44
	s_wait_loadcnt_dscnt 0x808
	v_cvt_f32_f16_e32 v55, v45
	s_wait_xcnt 0x0
	s_and_saveexec_b32 s43, s4
	s_cbranch_execz .LBB432_23
; %bb.29:                               ;   in Loop: Header=BB432_26 Depth=2
	s_clause 0x3
	flat_load_u16 v56, v[20:21] offset:128
	flat_load_u16 v57, v[12:13] offset:128
	;; [unrolled: 1-line block ×4, first 2 shown]
	s_wait_xcnt 0x0
	s_and_saveexec_b32 s44, s5
	s_cbranch_execz .LBB432_22
; %bb.30:                               ;   in Loop: Header=BB432_26 Depth=2
	s_clause 0x3
	flat_load_u16 v60, v[20:21] offset:192
	flat_load_u16 v61, v[12:13] offset:192
	;; [unrolled: 1-line block ×4, first 2 shown]
	s_wait_loadcnt_dscnt 0x303
	s_wait_xcnt 0x2
	v_fma_mix_f32 v12, v52, v60, v36 op_sel_hi:[0,1,0]
	s_wait_loadcnt_dscnt 0x202
	s_delay_alu instid0(VALU_DEP_1) | instskip(SKIP_1) | instid1(VALU_DEP_1)
	v_fma_mix_f32 v12, v53, v61, v12 op_sel_hi:[0,1,0]
	s_wait_loadcnt_dscnt 0x101
	v_fma_mix_f32 v12, v54, v62, v12 op_sel_hi:[0,1,0]
	s_wait_loadcnt_dscnt 0x0
	s_delay_alu instid0(VALU_DEP_1)
	v_fma_mix_f32 v36, v55, v63, v12 op_sel_hi:[0,1,0]
	s_branch .LBB432_22
.LBB432_31:                             ;   in Loop: Header=BB432_4 Depth=1
	s_or_b32 exec_lo, exec_lo, s39
.LBB432_32:                             ;   in Loop: Header=BB432_4 Depth=1
	s_delay_alu instid0(SALU_CYCLE_1) | instskip(NEXT) | instid1(SALU_CYCLE_1)
	s_or_b32 exec_lo, exec_lo, s7
	s_and_not1_b32 vcc_lo, exec_lo, s20
	s_cbranch_vccnz .LBB432_50
; %bb.33:                               ;   in Loop: Header=BB432_4 Depth=1
	v_cmp_gt_i32_e32 vcc_lo, s21, v37
	v_dual_mov_b32 v18, 0 :: v_dual_bitop2_b32 v12, 1, v37 bitop3:0x54
	v_dual_mov_b32 v19, 0 :: v_dual_mov_b32 v20, 0
	v_mov_b32_e32 v21, 0
	s_and_saveexec_b32 s39, vcc_lo
	s_cbranch_execz .LBB432_41
; %bb.34:                               ;   in Loop: Header=BB432_4 Depth=1
	v_mul_lo_u32 v13, v37, s28
	v_readfirstlane_b32 s40, v10
	v_readfirstlane_b32 s41, v11
	v_dual_mov_b32 v20, 0 :: v_dual_mov_b32 v19, 0
	v_mov_b32_e32 v18, 0
	flat_load_u16 v13, v13, s[40:41] scale_offset
	s_wait_xcnt 0x0
	s_mov_b32 s40, exec_lo
	v_cmpx_gt_i32_e64 s21, v12
	s_cbranch_execz .LBB432_40
; %bb.35:                               ;   in Loop: Header=BB432_4 Depth=1
	v_mul_lo_u32 v14, v12, s28
	v_readfirstlane_b32 s42, v10
	v_readfirstlane_b32 s43, v11
	v_dual_mov_b32 v19, 0 :: v_dual_bitop2_b32 v15, 2, v37 bitop3:0x54
	v_mov_b32_e32 v18, 0
	s_mov_b32 s41, exec_lo
	flat_load_u16 v14, v14, s[42:43] scale_offset
	s_wait_xcnt 0x0
	v_cmpx_gt_i32_e64 s21, v15
	s_cbranch_execz .LBB432_39
; %bb.36:                               ;   in Loop: Header=BB432_4 Depth=1
	v_mul_lo_u32 v15, v15, s28
	v_readfirstlane_b32 s42, v10
	v_readfirstlane_b32 s43, v11
	v_dual_mov_b32 v18, 0 :: v_dual_bitop2_b32 v16, 3, v37 bitop3:0x54
	flat_load_u16 v15, v15, s[42:43] scale_offset
	s_wait_xcnt 0x0
	s_mov_b32 s42, exec_lo
	v_cmpx_gt_i32_e64 s21, v16
	s_cbranch_execz .LBB432_38
; %bb.37:                               ;   in Loop: Header=BB432_4 Depth=1
	v_mul_lo_u32 v16, v16, s28
	v_readfirstlane_b32 s44, v10
	v_readfirstlane_b32 s45, v11
	flat_load_u16 v10, v16, s[44:45] scale_offset
	s_wait_loadcnt_dscnt 0x0
	v_cvt_f32_f16_e32 v18, v10
.LBB432_38:                             ;   in Loop: Header=BB432_4 Depth=1
	s_wait_xcnt 0x0
	s_or_b32 exec_lo, exec_lo, s42
	s_wait_loadcnt_dscnt 0x0
	v_cvt_f32_f16_e32 v19, v15
.LBB432_39:                             ;   in Loop: Header=BB432_4 Depth=1
	s_or_b32 exec_lo, exec_lo, s41
	s_wait_loadcnt_dscnt 0x0
	v_cvt_f32_f16_e32 v20, v14
.LBB432_40:                             ;   in Loop: Header=BB432_4 Depth=1
	s_or_b32 exec_lo, exec_lo, s40
	s_wait_loadcnt_dscnt 0x0
	v_cvt_f32_f16_e32 v21, v13
.LBB432_41:                             ;   in Loop: Header=BB432_4 Depth=1
	s_or_b32 exec_lo, exec_lo, s39
	s_and_saveexec_b32 s7, s1
	s_cbranch_execz .LBB432_49
; %bb.42:                               ;   in Loop: Header=BB432_4 Depth=1
	v_mul_lo_u32 v11, v37, s27
	v_mul_lo_u32 v14, v12, s27
	v_or_b32_e32 v10, 2, v37
	v_readfirstlane_b32 s40, v8
	v_readfirstlane_b32 s41, v9
	v_cndmask_b32_e32 v11, 0, v11, vcc_lo
	s_delay_alu instid0(VALU_DEP_4) | instskip(SKIP_2) | instid1(VALU_DEP_1)
	v_mul_lo_u32 v15, v10, s27
	v_cmp_gt_i32_e32 vcc_lo, s21, v12
	v_dual_cndmask_b32 v12, 0, v14, vcc_lo :: v_dual_bitop2_b32 v13, 3, v37 bitop3:0x54
	v_mul_lo_u32 v16, v13, s27
	v_cmp_gt_i32_e32 vcc_lo, s21, v10
	s_delay_alu instid0(VALU_DEP_3) | instskip(SKIP_2) | instid1(VALU_DEP_2)
	v_dual_add_nc_u32 v10, v11, v26 :: v_dual_add_nc_u32 v12, v12, v26
	v_cndmask_b32_e32 v14, 0, v15, vcc_lo
	v_cmp_gt_i32_e32 vcc_lo, s21, v13
	v_dual_cndmask_b32 v13, 0, v16 :: v_dual_add_nc_u32 v14, v14, v26
	s_delay_alu instid0(VALU_DEP_1)
	v_add_nc_u32_e32 v16, v13, v26
	s_clause 0x3
	flat_load_u16 v37, v10, s[40:41] scale_offset
	flat_load_u16 v38, v12, s[40:41] scale_offset
	;; [unrolled: 1-line block ×4, first 2 shown]
	s_wait_xcnt 0x0
	s_and_saveexec_b32 s39, s3
	s_cbranch_execz .LBB432_48
; %bb.43:                               ;   in Loop: Header=BB432_4 Depth=1
	v_dual_ashrrev_i32 v11, 31, v10 :: v_dual_ashrrev_i32 v13, 31, v12
	v_dual_ashrrev_i32 v15, 31, v14 :: v_dual_ashrrev_i32 v17, 31, v16
	s_delay_alu instid0(VALU_DEP_2) | instskip(NEXT) | instid1(VALU_DEP_3)
	v_lshl_add_u64 v[10:11], v[10:11], 1, v[8:9]
	v_lshl_add_u64 v[12:13], v[12:13], 1, v[8:9]
	s_delay_alu instid0(VALU_DEP_3) | instskip(NEXT) | instid1(VALU_DEP_4)
	v_lshl_add_u64 v[14:15], v[14:15], 1, v[8:9]
	v_lshl_add_u64 v[8:9], v[16:17], 1, v[8:9]
	s_clause 0x3
	flat_load_u16 v16, v[10:11] offset:64
	flat_load_u16 v17, v[12:13] offset:64
	;; [unrolled: 1-line block ×4, first 2 shown]
	s_wait_xcnt 0x0
	s_and_saveexec_b32 s40, s4
	s_cbranch_execz .LBB432_47
; %bb.44:                               ;   in Loop: Header=BB432_4 Depth=1
	s_clause 0x3
	flat_load_u16 v43, v[10:11] offset:128
	flat_load_u16 v44, v[12:13] offset:128
	;; [unrolled: 1-line block ×4, first 2 shown]
	s_wait_xcnt 0x0
	s_and_saveexec_b32 s41, s5
	s_cbranch_execz .LBB432_46
; %bb.45:                               ;   in Loop: Header=BB432_4 Depth=1
	s_clause 0x3
	flat_load_u16 v47, v[10:11] offset:192
	flat_load_u16 v48, v[12:13] offset:192
	;; [unrolled: 1-line block ×4, first 2 shown]
	s_wait_loadcnt_dscnt 0x303
	s_wait_xcnt 0x0
	v_fma_mix_f32 v8, v21, v47, v36 op_sel_hi:[0,1,0]
	s_wait_loadcnt_dscnt 0x202
	s_delay_alu instid0(VALU_DEP_1) | instskip(SKIP_1) | instid1(VALU_DEP_1)
	v_fma_mix_f32 v8, v20, v48, v8 op_sel_hi:[0,1,0]
	s_wait_loadcnt_dscnt 0x101
	v_fma_mix_f32 v8, v19, v49, v8 op_sel_hi:[0,1,0]
	s_wait_loadcnt_dscnt 0x0
	s_delay_alu instid0(VALU_DEP_1)
	v_fma_mix_f32 v36, v18, v50, v8 op_sel_hi:[0,1,0]
.LBB432_46:                             ;   in Loop: Header=BB432_4 Depth=1
	s_or_b32 exec_lo, exec_lo, s41
	s_wait_loadcnt_dscnt 0x303
	v_fma_mix_f32 v8, v21, v43, v35 op_sel_hi:[0,1,0]
	s_wait_loadcnt_dscnt 0x202
	s_delay_alu instid0(VALU_DEP_1) | instskip(SKIP_1) | instid1(VALU_DEP_1)
	v_fma_mix_f32 v8, v20, v44, v8 op_sel_hi:[0,1,0]
	s_wait_loadcnt_dscnt 0x101
	v_fma_mix_f32 v8, v19, v45, v8 op_sel_hi:[0,1,0]
	s_wait_loadcnt_dscnt 0x0
	s_delay_alu instid0(VALU_DEP_1)
	v_fma_mix_f32 v35, v18, v46, v8 op_sel_hi:[0,1,0]
.LBB432_47:                             ;   in Loop: Header=BB432_4 Depth=1
	s_or_b32 exec_lo, exec_lo, s40
	s_wait_loadcnt_dscnt 0x303
	v_fma_mix_f32 v8, v21, v16, v34 op_sel_hi:[0,1,0]
	s_wait_loadcnt_dscnt 0x202
	s_delay_alu instid0(VALU_DEP_1) | instskip(SKIP_1) | instid1(VALU_DEP_1)
	v_fma_mix_f32 v8, v20, v17, v8 op_sel_hi:[0,1,0]
	s_wait_loadcnt_dscnt 0x101
	v_fma_mix_f32 v8, v19, v41, v8 op_sel_hi:[0,1,0]
	s_wait_loadcnt_dscnt 0x0
	s_delay_alu instid0(VALU_DEP_1)
	v_fma_mix_f32 v34, v18, v42, v8 op_sel_hi:[0,1,0]
.LBB432_48:                             ;   in Loop: Header=BB432_4 Depth=1
	s_or_b32 exec_lo, exec_lo, s39
	s_wait_loadcnt_dscnt 0x303
	v_fma_mix_f32 v8, v21, v37, v33 op_sel_hi:[0,1,0]
	s_wait_loadcnt_dscnt 0x202
	s_delay_alu instid0(VALU_DEP_1) | instskip(SKIP_1) | instid1(VALU_DEP_1)
	v_fma_mix_f32 v8, v20, v38, v8 op_sel_hi:[0,1,0]
	s_wait_loadcnt_dscnt 0x101
	v_fma_mix_f32 v8, v19, v39, v8 op_sel_hi:[0,1,0]
	s_wait_loadcnt_dscnt 0x0
	s_delay_alu instid0(VALU_DEP_1)
	v_fma_mix_f32 v33, v18, v40, v8 op_sel_hi:[0,1,0]
.LBB432_49:                             ;   in Loop: Header=BB432_4 Depth=1
	s_or_b32 exec_lo, exec_lo, s7
.LBB432_50:                             ;   in Loop: Header=BB432_4 Depth=1
	ds_store_2addr_b32 v23, v33, v34 offset1:32
	ds_store_2addr_b32 v23, v35, v36 offset0:64 offset1:96
	s_wait_dscnt 0x0
	s_barrier_signal -1
	s_barrier_wait -1
                                        ; implicit-def: $vgpr12
	s_and_saveexec_b32 s7, s0
	s_cbranch_execz .LBB432_56
; %bb.51:                               ;   in Loop: Header=BB432_4 Depth=1
	ds_load_2addr_stride64_b32 v[8:9], v24 offset1:2
	ds_load_2addr_stride64_b32 v[10:11], v24 offset0:4 offset1:6
	ds_load_2addr_stride64_b32 v[12:13], v24 offset0:8 offset1:10
	s_mov_b32 s40, s38
	s_wait_dscnt 0x2
	v_add_f32_e32 v14, v8, v9
	ds_load_2addr_stride64_b32 v[8:9], v24 offset0:12 offset1:14
	s_wait_dscnt 0x2
	v_add_f32_e32 v10, v10, v14
	s_delay_alu instid0(VALU_DEP_1) | instskip(SKIP_3) | instid1(VALU_DEP_1)
	v_add_f32_e32 v14, v11, v10
	ds_load_2addr_stride64_b32 v[10:11], v24 offset0:16 offset1:18
	s_wait_dscnt 0x2
	v_add_f32_e32 v12, v12, v14
	v_add_f32_e32 v14, v13, v12
	ds_load_2addr_stride64_b32 v[12:13], v24 offset0:20 offset1:22
	s_wait_dscnt 0x2
	v_add_f32_e32 v8, v8, v14
	s_delay_alu instid0(VALU_DEP_1) | instskip(SKIP_1) | instid1(VALU_DEP_1)
	v_add_f32_e32 v8, v9, v8
	s_wait_dscnt 0x1
	v_add_f32_e32 v10, v10, v8
	ds_load_2addr_stride64_b32 v[8:9], v24 offset0:24 offset1:26
	v_add_f32_e32 v10, v11, v10
	s_wait_dscnt 0x1
	s_delay_alu instid0(VALU_DEP_1) | instskip(SKIP_3) | instid1(VALU_DEP_1)
	v_add_f32_e32 v12, v12, v10
	ds_load_2addr_stride64_b32 v[10:11], v24 offset0:28 offset1:30
	v_add_f32_e32 v12, v13, v12
	s_wait_dscnt 0x1
	v_add_f32_e32 v8, v8, v12
                                        ; implicit-def: $vgpr12
	s_delay_alu instid0(VALU_DEP_1) | instskip(SKIP_1) | instid1(VALU_DEP_1)
	v_add_f32_e32 v8, v9, v8
	s_wait_dscnt 0x0
	v_add_f32_e32 v8, v10, v8
	s_delay_alu instid0(VALU_DEP_1)
	v_add_f32_e32 v8, v11, v8
	ds_store_b32 v24, v8
	s_and_saveexec_b32 s39, s2
	s_cbranch_execz .LBB432_55
; %bb.52:                               ;   in Loop: Header=BB432_4 Depth=1
	v_mul_f32_e32 v8, s22, v8
	s_and_not1_b32 vcc_lo, exec_lo, s33
	s_cbranch_vccnz .LBB432_54
; %bb.53:                               ;   in Loop: Header=BB432_4 Depth=1
	v_lshl_add_u64 v[10:11], v[4:5], 1, v[6:7]
	flat_load_u16 v9, v[10:11]
	s_wait_loadcnt_dscnt 0x0
	v_fma_mix_f32 v8, s26, v9, v8 op_sel_hi:[0,1,0]
.LBB432_54:                             ;   in Loop: Header=BB432_4 Depth=1
	s_delay_alu instid0(VALU_DEP_1)
	v_cvt_f16_f32_e32 v12, v8
	s_or_b32 s40, s38, exec_lo
.LBB432_55:                             ;   in Loop: Header=BB432_4 Depth=1
	s_wait_xcnt 0x0
	s_or_b32 exec_lo, exec_lo, s39
	s_delay_alu instid0(SALU_CYCLE_1) | instskip(SKIP_1) | instid1(SALU_CYCLE_1)
	s_and_not1_b32 s38, s38, exec_lo
	s_and_b32 s39, s40, exec_lo
	s_or_b32 s38, s38, s39
.LBB432_56:                             ;   in Loop: Header=BB432_4 Depth=1
	s_or_b32 exec_lo, exec_lo, s7
	v_mov_b64_e32 v[8:9], v[4:5]
	s_and_saveexec_b32 s7, s38
	s_cbranch_execz .LBB432_2
.LBB432_57:                             ;   in Loop: Header=BB432_4 Depth=1
	s_delay_alu instid0(VALU_DEP_1)
	v_lshl_add_u64 v[6:7], v[8:9], 1, v[6:7]
	flat_store_b16 v[6:7], v12
	s_branch .LBB432_2
.LBB432_58:
	s_endpgm
	.section	.rodata,"a",@progbits
	.p2align	6, 0x0
	.amdhsa_kernel _ZL20rocblas_gemvn_kernelILi32ELi16EiPKDF16_fKPDF16_EviiT3_lPKT2_lT1_lS7_lS8_lS4_lPT4_lS8_li
		.amdhsa_group_segment_fixed_size 8192
		.amdhsa_private_segment_fixed_size 0
		.amdhsa_kernarg_size 400
		.amdhsa_user_sgpr_count 2
		.amdhsa_user_sgpr_dispatch_ptr 0
		.amdhsa_user_sgpr_queue_ptr 0
		.amdhsa_user_sgpr_kernarg_segment_ptr 1
		.amdhsa_user_sgpr_dispatch_id 0
		.amdhsa_user_sgpr_kernarg_preload_length 0
		.amdhsa_user_sgpr_kernarg_preload_offset 0
		.amdhsa_user_sgpr_private_segment_size 0
		.amdhsa_wavefront_size32 1
		.amdhsa_uses_dynamic_stack 0
		.amdhsa_enable_private_segment 0
		.amdhsa_system_sgpr_workgroup_id_x 1
		.amdhsa_system_sgpr_workgroup_id_y 0
		.amdhsa_system_sgpr_workgroup_id_z 1
		.amdhsa_system_sgpr_workgroup_info 0
		.amdhsa_system_vgpr_workitem_id 1
		.amdhsa_next_free_vgpr 64
		.amdhsa_next_free_sgpr 46
		.amdhsa_named_barrier_count 0
		.amdhsa_reserve_vcc 1
		.amdhsa_float_round_mode_32 0
		.amdhsa_float_round_mode_16_64 0
		.amdhsa_float_denorm_mode_32 3
		.amdhsa_float_denorm_mode_16_64 3
		.amdhsa_fp16_overflow 0
		.amdhsa_memory_ordered 1
		.amdhsa_forward_progress 1
		.amdhsa_inst_pref_size 25
		.amdhsa_round_robin_scheduling 0
		.amdhsa_exception_fp_ieee_invalid_op 0
		.amdhsa_exception_fp_denorm_src 0
		.amdhsa_exception_fp_ieee_div_zero 0
		.amdhsa_exception_fp_ieee_overflow 0
		.amdhsa_exception_fp_ieee_underflow 0
		.amdhsa_exception_fp_ieee_inexact 0
		.amdhsa_exception_int_div_zero 0
	.end_amdhsa_kernel
	.section	.text._ZL20rocblas_gemvn_kernelILi32ELi16EiPKDF16_fKPDF16_EviiT3_lPKT2_lT1_lS7_lS8_lS4_lPT4_lS8_li,"axG",@progbits,_ZL20rocblas_gemvn_kernelILi32ELi16EiPKDF16_fKPDF16_EviiT3_lPKT2_lT1_lS7_lS8_lS4_lPT4_lS8_li,comdat
.Lfunc_end432:
	.size	_ZL20rocblas_gemvn_kernelILi32ELi16EiPKDF16_fKPDF16_EviiT3_lPKT2_lT1_lS7_lS8_lS4_lPT4_lS8_li, .Lfunc_end432-_ZL20rocblas_gemvn_kernelILi32ELi16EiPKDF16_fKPDF16_EviiT3_lPKT2_lT1_lS7_lS8_lS4_lPT4_lS8_li
                                        ; -- End function
	.set _ZL20rocblas_gemvn_kernelILi32ELi16EiPKDF16_fKPDF16_EviiT3_lPKT2_lT1_lS7_lS8_lS4_lPT4_lS8_li.num_vgpr, 64
	.set _ZL20rocblas_gemvn_kernelILi32ELi16EiPKDF16_fKPDF16_EviiT3_lPKT2_lT1_lS7_lS8_lS4_lPT4_lS8_li.num_agpr, 0
	.set _ZL20rocblas_gemvn_kernelILi32ELi16EiPKDF16_fKPDF16_EviiT3_lPKT2_lT1_lS7_lS8_lS4_lPT4_lS8_li.numbered_sgpr, 46
	.set _ZL20rocblas_gemvn_kernelILi32ELi16EiPKDF16_fKPDF16_EviiT3_lPKT2_lT1_lS7_lS8_lS4_lPT4_lS8_li.num_named_barrier, 0
	.set _ZL20rocblas_gemvn_kernelILi32ELi16EiPKDF16_fKPDF16_EviiT3_lPKT2_lT1_lS7_lS8_lS4_lPT4_lS8_li.private_seg_size, 0
	.set _ZL20rocblas_gemvn_kernelILi32ELi16EiPKDF16_fKPDF16_EviiT3_lPKT2_lT1_lS7_lS8_lS4_lPT4_lS8_li.uses_vcc, 1
	.set _ZL20rocblas_gemvn_kernelILi32ELi16EiPKDF16_fKPDF16_EviiT3_lPKT2_lT1_lS7_lS8_lS4_lPT4_lS8_li.uses_flat_scratch, 1
	.set _ZL20rocblas_gemvn_kernelILi32ELi16EiPKDF16_fKPDF16_EviiT3_lPKT2_lT1_lS7_lS8_lS4_lPT4_lS8_li.has_dyn_sized_stack, 0
	.set _ZL20rocblas_gemvn_kernelILi32ELi16EiPKDF16_fKPDF16_EviiT3_lPKT2_lT1_lS7_lS8_lS4_lPT4_lS8_li.has_recursion, 0
	.set _ZL20rocblas_gemvn_kernelILi32ELi16EiPKDF16_fKPDF16_EviiT3_lPKT2_lT1_lS7_lS8_lS4_lPT4_lS8_li.has_indirect_call, 0
	.section	.AMDGPU.csdata,"",@progbits
; Kernel info:
; codeLenInByte = 3148
; TotalNumSgprs: 48
; NumVgprs: 64
; ScratchSize: 0
; MemoryBound: 0
; FloatMode: 240
; IeeeMode: 1
; LDSByteSize: 8192 bytes/workgroup (compile time only)
; SGPRBlocks: 0
; VGPRBlocks: 3
; NumSGPRsForWavesPerEU: 48
; NumVGPRsForWavesPerEU: 64
; NamedBarCnt: 0
; Occupancy: 16
; WaveLimiterHint : 1
; COMPUTE_PGM_RSRC2:SCRATCH_EN: 0
; COMPUTE_PGM_RSRC2:USER_SGPR: 2
; COMPUTE_PGM_RSRC2:TRAP_HANDLER: 0
; COMPUTE_PGM_RSRC2:TGID_X_EN: 1
; COMPUTE_PGM_RSRC2:TGID_Y_EN: 0
; COMPUTE_PGM_RSRC2:TGID_Z_EN: 1
; COMPUTE_PGM_RSRC2:TIDIG_COMP_CNT: 1
	.section	.text._ZL20rocblas_gemvn_kernelILi32ELi16ElPKDF16_fKPDF16_EviiT3_lPKT2_lT1_lS7_lS8_lS4_lPT4_lS8_li,"axG",@progbits,_ZL20rocblas_gemvn_kernelILi32ELi16ElPKDF16_fKPDF16_EviiT3_lPKT2_lT1_lS7_lS8_lS4_lPT4_lS8_li,comdat
	.globl	_ZL20rocblas_gemvn_kernelILi32ELi16ElPKDF16_fKPDF16_EviiT3_lPKT2_lT1_lS7_lS8_lS4_lPT4_lS8_li ; -- Begin function _ZL20rocblas_gemvn_kernelILi32ELi16ElPKDF16_fKPDF16_EviiT3_lPKT2_lT1_lS7_lS8_lS4_lPT4_lS8_li
	.p2align	8
	.type	_ZL20rocblas_gemvn_kernelILi32ELi16ElPKDF16_fKPDF16_EviiT3_lPKT2_lT1_lS7_lS8_lS4_lPT4_lS8_li,@function
_ZL20rocblas_gemvn_kernelILi32ELi16ElPKDF16_fKPDF16_EviiT3_lPKT2_lT1_lS7_lS8_lS4_lPT4_lS8_li: ; @_ZL20rocblas_gemvn_kernelILi32ELi16ElPKDF16_fKPDF16_EviiT3_lPKT2_lT1_lS7_lS8_lS4_lPT4_lS8_li
; %bb.0:
	s_clause 0x1
	s_load_b64 s[2:3], s[0:1], 0x9c
	s_load_b32 s27, s[0:1], 0x88
	s_bfe_u32 s4, ttmp6, 0x40014
	s_lshr_b32 s5, ttmp7, 16
	s_add_co_i32 s4, s4, 1
	s_bfe_u32 s6, ttmp6, 0x40008
	s_mul_i32 s7, s5, s4
	s_getreg_b32 s4, hwreg(HW_REG_IB_STS2, 6, 4)
	s_add_co_i32 s6, s6, s7
	s_mov_b32 s11, 0
	s_wait_kmcnt 0x0
	s_lshr_b32 s7, s2, 16
	s_and_b32 s2, s2, 0xffff
	s_and_b32 s3, s3, 0xffff
	s_mul_i32 s2, s7, s2
	s_cmp_eq_u32 s4, 0
	s_mul_i32 s2, s2, s3
	s_cselect_b32 s10, s5, s6
	s_cmp_lg_u32 s2, 0x200
	s_cselect_b32 s2, -1, 0
	s_cmp_ge_u32 s10, s27
	s_cselect_b32 s3, -1, 0
	s_delay_alu instid0(SALU_CYCLE_1) | instskip(NEXT) | instid1(SALU_CYCLE_1)
	s_or_b32 s2, s2, s3
	s_and_b32 vcc_lo, exec_lo, s2
	s_cbranch_vccnz .LBB433_58
; %bb.1:
	s_clause 0x7
	s_load_b96 s[24:26], s[0:1], 0x0
	s_load_b32 s33, s[0:1], 0x58
	s_load_b64 s[28:29], s[0:1], 0x48
	s_load_b128 s[12:15], s[0:1], 0x18
	s_load_b64 s[30:31], s[0:1], 0x28
	s_load_b128 s[16:19], s[0:1], 0x38
	;; [unrolled: 2-line block ×3, first 2 shown]
	v_bfe_u32 v4, v0, 10, 10
	v_and_b32_e32 v15, 0x3ff, v0
	s_delay_alu instid0(VALU_DEP_2) | instskip(NEXT) | instid1(VALU_DEP_2)
	v_dual_mov_b32 v1, 0 :: v_dual_lshlrev_b32 v48, 2, v4
	v_lshl_add_u32 v14, v4, 5, v15
	s_delay_alu instid0(VALU_DEP_2) | instskip(NEXT) | instid1(VALU_DEP_1)
	v_dual_mov_b32 v5, v1 :: v_dual_lshlrev_b32 v20, 2, v15
	v_lshl_add_u32 v50, v4, 9, v20
	s_wait_kmcnt 0x0
	s_cmp_eq_f32 s26, 0
	v_lshl_add_u32 v51, v4, 7, v20
	v_mad_nc_u64_u32 v[6:7], s28, v48, s[28:29]
	v_mul_u64_e32 v[10:11], s[28:29], v[4:5]
	s_cselect_b32 s38, -1, 0
	s_cmp_neq_f32 s33, 1.0
	v_mad_nc_u64_u32 v[8:9], s30, v48, s[30:31]
	v_mul_u64_e32 v[12:13], s[30:31], v[4:5]
	s_cselect_b32 s0, -1, 0
	s_cmp_neq_f32 s26, 0
	s_delay_alu instid0(VALU_DEP_4)
	v_mad_u32 v7, s29, v48, v7
	s_cselect_b32 s1, -1, 0
	s_bfe_u32 s5, ttmp6, 0x4000c
	s_and_b32 s6, ttmp6, 15
	s_add_co_i32 s5, s5, 1
	s_or_b32 s39, s1, s0
	s_mul_i32 s5, ttmp9, s5
	v_cndmask_b32_e64 v49, 0, 1, s1
	s_add_co_i32 s6, s6, s5
	s_cmp_eq_u32 s4, 0
	s_mov_b32 s0, s24
	s_cselect_b32 s1, ttmp9, s6
	v_mad_u32 v9, s31, v48, v9
	s_lshl_b32 s4, s1, 7
	s_ashr_i32 s1, s24, 31
	v_add_nc_u32_e32 v0, s4, v14
	v_lshlrev_b64_e32 v[4:5], 1, v[6:7]
	v_add_nc_u32_e32 v24, s4, v15
	s_cmp_neq_f32 s33, 0
	s_delay_alu instid0(VALU_DEP_3)
	v_cmp_gt_i64_e32 vcc_lo, s[0:1], v[0:1]
	v_cmp_gt_u32_e64 s0, 0x80, v14
	v_or_b32_e32 v14, s4, v14
	v_mul_u64_e32 v[2:3], s[2:3], v[0:1]
	v_or_b32_e32 v0, 3, v48
	v_lshlrev_b64_e32 v[6:7], 1, v[8:9]
	s_cselect_b32 s40, -1, 0
	v_ashrrev_i32_e32 v15, 31, v14
	s_ashr_i32 s1, s25, 31
	v_mul_u64_e32 v[16:17], s[30:31], v[0:1]
	v_mul_u64_e32 v[18:19], s[28:29], v[0:1]
	v_or_b32_e32 v0, 2, v48
	v_mul_u64_e32 v[8:9], s[2:3], v[14:15]
	s_lshr_b32 s4, s1, 26
	v_dual_ashrrev_i32 v25, 31, v24 :: v_dual_add_nc_u32 v15, 64, v24
	s_delay_alu instid0(VALU_DEP_3)
	v_mul_u64_e32 v[20:21], s[30:31], v[0:1]
	v_mul_u64_e32 v[22:23], s[28:29], v[0:1]
	s_add_co_i32 s41, s25, s4
	v_add_nc_u32_e32 v0, 32, v24
	v_add_nc_u32_e32 v26, 0x60, v24
	s_and_not1_b32 s41, s41, 63
	v_cmp_gt_i32_e64 s2, s24, v14
	v_lshlrev_b64_e32 v[10:11], 3, v[10:11]
	v_lshlrev_b64_e32 v[12:13], 3, v[12:13]
	v_cmp_gt_i32_e64 s4, s24, v15
	s_sub_co_i32 s6, s25, s41
	v_lshlrev_b64_e32 v[14:15], 1, v[24:25]
	v_cmp_gt_i32_e64 s1, s24, v24
	v_cmp_gt_i32_e64 s3, s24, v0
	;; [unrolled: 1-line block ×3, first 2 shown]
	s_cmp_gt_i32 s6, 0
	v_cmp_gt_i32_e64 s6, s41, v48
	s_cselect_b32 s24, -1, 0
	s_and_b32 s42, s0, vcc_lo
	s_lshl_b64 s[34:35], s[28:29], 7
	s_lshl_b64 s[36:37], s[30:31], 7
	s_lshl_b64 s[14:15], s[14:15], 1
	s_lshl_b64 s[18:19], s[18:19], 1
	s_lshl_b64 s[22:23], s[22:23], 1
	v_lshlrev_b64_e32 v[16:17], 1, v[16:17]
	v_lshlrev_b64_e32 v[18:19], 1, v[18:19]
	;; [unrolled: 1-line block ×4, first 2 shown]
	s_branch .LBB433_4
.LBB433_2:                              ;   in Loop: Header=BB433_4 Depth=1
	s_wait_xcnt 0x0
	s_or_b32 exec_lo, exec_lo, s7
.LBB433_3:                              ;   in Loop: Header=BB433_4 Depth=1
	s_add_co_i32 s10, s10, 0x10000
	s_delay_alu instid0(SALU_CYCLE_1)
	s_cmp_lt_u32 s10, s27
	s_cbranch_scc0 .LBB433_58
.LBB433_4:                              ; =>This Loop Header: Depth=1
                                        ;     Child Loop BB433_26 Depth 2
	s_and_not1_b32 vcc_lo, exec_lo, s39
	s_cbranch_vccnz .LBB433_3
; %bb.5:                                ;   in Loop: Header=BB433_4 Depth=1
	s_and_not1_b32 vcc_lo, exec_lo, s38
	s_cbranch_vccnz .LBB433_7
; %bb.6:                                ;   in Loop: Header=BB433_4 Depth=1
	v_mov_b64_e32 v[28:29], 0
	v_mov_b64_e32 v[26:27], 0
	s_cbranch_execz .LBB433_8
	s_branch .LBB433_9
.LBB433_7:                              ;   in Loop: Header=BB433_4 Depth=1
	v_mov_b64_e32 v[28:29], 0
	v_mov_b64_e32 v[26:27], 0
.LBB433_8:                              ;   in Loop: Header=BB433_4 Depth=1
	s_lshl_b64 s[8:9], s[10:11], 3
	s_delay_alu instid0(SALU_CYCLE_1)
	s_add_nc_u64 s[8:9], s[12:13], s[8:9]
	global_load_b64 v[24:25], v1, s[8:9]
	s_wait_loadcnt 0x0
	v_add_nc_u64_e32 v[26:27], s[14:15], v[24:25]
.LBB433_9:                              ;   in Loop: Header=BB433_4 Depth=1
	v_cmp_ne_u32_e32 vcc_lo, 1, v49
	s_cbranch_vccnz .LBB433_11
; %bb.10:                               ;   in Loop: Header=BB433_4 Depth=1
	s_wait_xcnt 0x0
	s_lshl_b64 s[8:9], s[10:11], 3
	s_delay_alu instid0(SALU_CYCLE_1)
	s_add_nc_u64 s[8:9], s[16:17], s[8:9]
	global_load_b64 v[24:25], v1, s[8:9]
	s_wait_loadcnt 0x0
	v_add_nc_u64_e32 v[28:29], s[18:19], v[24:25]
.LBB433_11:                             ;   in Loop: Header=BB433_4 Depth=1
	s_wait_xcnt 0x0
	s_lshl_b64 s[8:9], s[10:11], 3
	s_and_not1_b32 vcc_lo, exec_lo, s38
	s_add_nc_u64 s[8:9], s[20:21], s[8:9]
	global_load_b64 v[24:25], v1, s[8:9]
	s_wait_loadcnt 0x0
	v_add_nc_u64_e32 v[24:25], s[22:23], v[24:25]
	s_cbranch_vccnz .LBB433_15
; %bb.12:                               ;   in Loop: Header=BB433_4 Depth=1
	s_mov_b32 s7, 0
	s_mov_b32 s43, 0
                                        ; implicit-def: $vgpr0
	s_wait_xcnt 0x0
	s_and_saveexec_b32 s8, s42
	s_cbranch_execz .LBB433_16
; %bb.13:                               ;   in Loop: Header=BB433_4 Depth=1
	s_and_not1_b32 vcc_lo, exec_lo, s40
	s_cbranch_vccnz .LBB433_18
; %bb.14:                               ;   in Loop: Header=BB433_4 Depth=1
	v_lshl_add_u64 v[30:31], v[2:3], 1, v[24:25]
	flat_load_u16 v0, v[30:31]
	s_wait_loadcnt_dscnt 0x0
	v_fma_mixlo_f16 v0, s33, v0, 0 op_sel_hi:[0,1,0]
	s_branch .LBB433_19
.LBB433_15:                             ;   in Loop: Header=BB433_4 Depth=1
	s_mov_b32 s43, 0
                                        ; implicit-def: $vgpr0
	s_cbranch_execz .LBB433_17
	s_branch .LBB433_20
.LBB433_16:                             ;   in Loop: Header=BB433_4 Depth=1
	s_or_b32 exec_lo, exec_lo, s8
	s_delay_alu instid0(SALU_CYCLE_1)
	s_and_b32 vcc_lo, exec_lo, s7
	s_cbranch_vccnz .LBB433_20
.LBB433_17:                             ;   in Loop: Header=BB433_4 Depth=1
	v_mov_b64_e32 v[26:27], v[2:3]
	s_wait_xcnt 0x0
	s_and_saveexec_b32 s7, s43
	s_cbranch_execz .LBB433_2
	s_branch .LBB433_57
.LBB433_18:                             ;   in Loop: Header=BB433_4 Depth=1
	v_mov_b32_e32 v0, 0
.LBB433_19:                             ;   in Loop: Header=BB433_4 Depth=1
	s_mov_b32 s43, exec_lo
	s_wait_xcnt 0x0
	s_or_b32 exec_lo, exec_lo, s8
	s_delay_alu instid0(SALU_CYCLE_1)
	s_and_b32 vcc_lo, exec_lo, s7
	s_cbranch_vccz .LBB433_17
.LBB433_20:                             ;   in Loop: Header=BB433_4 Depth=1
	v_dual_mov_b32 v52, 0 :: v_dual_mov_b32 v0, v48
	v_dual_mov_b32 v53, 0 :: v_dual_mov_b32 v54, 0
	v_mov_b32_e32 v55, 0
	s_wait_xcnt 0x0
	s_and_saveexec_b32 s7, s6
	s_cbranch_execz .LBB433_32
; %bb.21:                               ;   in Loop: Header=BB433_4 Depth=1
	v_add_nc_u64_e32 v[30:31], v[26:27], v[16:17]
	v_add_nc_u64_e32 v[32:33], v[26:27], v[12:13]
	;; [unrolled: 1-line block ×4, first 2 shown]
	v_mov_b64_e32 v[38:39], v[28:29]
	v_dual_mov_b32 v52, 0 :: v_dual_mov_b32 v0, v48
	v_dual_mov_b32 v53, 0 :: v_dual_mov_b32 v54, 0
	v_mov_b32_e32 v55, 0
	s_mov_b32 s8, 0
	s_branch .LBB433_26
.LBB433_22:                             ;   in Loop: Header=BB433_26 Depth=2
	s_wait_xcnt 0x0
	s_or_b32 exec_lo, exec_lo, s46
	s_wait_loadcnt_dscnt 0x303
	v_fma_mix_f32 v40, v68, v72, v54 op_sel_hi:[0,1,0]
	s_wait_loadcnt_dscnt 0x202
	s_delay_alu instid0(VALU_DEP_1) | instskip(SKIP_1) | instid1(VALU_DEP_1)
	v_fma_mix_f32 v40, v69, v73, v40 op_sel_hi:[0,1,0]
	s_wait_loadcnt_dscnt 0x101
	v_fma_mix_f32 v40, v70, v74, v40 op_sel_hi:[0,1,0]
	s_wait_loadcnt_dscnt 0x0
	s_delay_alu instid0(VALU_DEP_1)
	v_fma_mix_f32 v54, v71, v75, v40 op_sel_hi:[0,1,0]
.LBB433_23:                             ;   in Loop: Header=BB433_26 Depth=2
	s_or_b32 exec_lo, exec_lo, s45
	s_wait_loadcnt_dscnt 0x303
	v_fma_mix_f32 v40, v68, v64, v53 op_sel_hi:[0,1,0]
	s_wait_loadcnt_dscnt 0x202
	s_delay_alu instid0(VALU_DEP_1) | instskip(SKIP_1) | instid1(VALU_DEP_1)
	v_fma_mix_f32 v40, v69, v65, v40 op_sel_hi:[0,1,0]
	s_wait_loadcnt_dscnt 0x101
	v_fma_mix_f32 v40, v70, v66, v40 op_sel_hi:[0,1,0]
	s_wait_loadcnt_dscnt 0x0
	s_delay_alu instid0(VALU_DEP_1)
	v_fma_mix_f32 v53, v71, v67, v40 op_sel_hi:[0,1,0]
.LBB433_24:                             ;   in Loop: Header=BB433_26 Depth=2
	s_or_b32 exec_lo, exec_lo, s44
	s_wait_loadcnt_dscnt 0x303
	v_fma_mix_f32 v40, v56, v60, v52 op_sel_hi:[1,1,0]
	s_wait_loadcnt_dscnt 0x202
	s_delay_alu instid0(VALU_DEP_1) | instskip(SKIP_1) | instid1(VALU_DEP_1)
	v_fma_mix_f32 v40, v57, v61, v40 op_sel_hi:[1,1,0]
	s_wait_loadcnt_dscnt 0x101
	v_fma_mix_f32 v40, v58, v62, v40 op_sel_hi:[1,1,0]
	s_wait_loadcnt_dscnt 0x0
	s_delay_alu instid0(VALU_DEP_1)
	v_fma_mix_f32 v52, v59, v63, v40 op_sel_hi:[1,1,0]
.LBB433_25:                             ;   in Loop: Header=BB433_26 Depth=2
	s_or_b32 exec_lo, exec_lo, s9
	v_add_nc_u32_e32 v0, 64, v0
	v_add_nc_u64_e32 v[38:39], s[34:35], v[38:39]
	v_add_nc_u64_e32 v[30:31], s[36:37], v[30:31]
	;; [unrolled: 1-line block ×4, first 2 shown]
	v_cmp_le_i32_e32 vcc_lo, s41, v0
	v_add_nc_u64_e32 v[36:37], s[36:37], v[36:37]
	s_or_b32 s8, vcc_lo, s8
	s_delay_alu instid0(SALU_CYCLE_1)
	s_and_not1_b32 exec_lo, exec_lo, s8
	s_cbranch_execz .LBB433_31
.LBB433_26:                             ;   Parent Loop BB433_4 Depth=1
                                        ; =>  This Inner Loop Header: Depth=2
	s_and_saveexec_b32 s9, s1
	s_cbranch_execz .LBB433_25
; %bb.27:                               ;   in Loop: Header=BB433_26 Depth=2
	v_add_nc_u64_e32 v[64:65], v[38:39], v[10:11]
	v_add_nc_u64_e32 v[66:67], v[38:39], v[4:5]
	;; [unrolled: 1-line block ×8, first 2 shown]
	s_clause 0x3
	flat_load_u16 v56, v[64:65]
	flat_load_u16 v57, v[66:67]
	;; [unrolled: 1-line block ×8, first 2 shown]
	s_wait_xcnt 0x0
	s_and_saveexec_b32 s44, s3
	s_cbranch_execz .LBB433_24
; %bb.28:                               ;   in Loop: Header=BB433_26 Depth=2
	flat_load_u16 v64, v[40:41] offset:64
	flat_load_u16 v65, v[42:43] offset:64
	;; [unrolled: 1-line block ×4, first 2 shown]
	s_wait_loadcnt_dscnt 0xb0b
	v_cvt_f32_f16_e32 v68, v56
	s_wait_loadcnt_dscnt 0xa0a
	v_cvt_f32_f16_e32 v69, v57
	;; [unrolled: 2-line block ×4, first 2 shown]
	s_wait_xcnt 0x0
	s_and_saveexec_b32 s45, s4
	s_cbranch_execz .LBB433_23
; %bb.29:                               ;   in Loop: Header=BB433_26 Depth=2
	flat_load_u16 v72, v[40:41] offset:128
	flat_load_u16 v73, v[42:43] offset:128
	;; [unrolled: 1-line block ×4, first 2 shown]
	s_wait_xcnt 0x0
	s_and_saveexec_b32 s46, s5
	s_cbranch_execz .LBB433_22
; %bb.30:                               ;   in Loop: Header=BB433_26 Depth=2
	flat_load_u16 v76, v[40:41] offset:192
	flat_load_u16 v77, v[42:43] offset:192
	;; [unrolled: 1-line block ×4, first 2 shown]
	s_wait_loadcnt_dscnt 0x303
	s_wait_xcnt 0x3
	v_fma_mix_f32 v40, v68, v76, v55 op_sel_hi:[0,1,0]
	s_wait_loadcnt_dscnt 0x202
	s_delay_alu instid0(VALU_DEP_1) | instskip(SKIP_1) | instid1(VALU_DEP_1)
	v_fma_mix_f32 v40, v69, v77, v40 op_sel_hi:[0,1,0]
	s_wait_loadcnt_dscnt 0x101
	v_fma_mix_f32 v40, v70, v78, v40 op_sel_hi:[0,1,0]
	s_wait_loadcnt_dscnt 0x0
	s_delay_alu instid0(VALU_DEP_1)
	v_fma_mix_f32 v55, v71, v79, v40 op_sel_hi:[0,1,0]
	s_branch .LBB433_22
.LBB433_31:                             ;   in Loop: Header=BB433_4 Depth=1
	s_or_b32 exec_lo, exec_lo, s8
.LBB433_32:                             ;   in Loop: Header=BB433_4 Depth=1
	s_delay_alu instid0(SALU_CYCLE_1) | instskip(NEXT) | instid1(SALU_CYCLE_1)
	s_or_b32 exec_lo, exec_lo, s7
	s_and_not1_b32 vcc_lo, exec_lo, s24
	s_cbranch_vccnz .LBB433_50
; %bb.33:                               ;   in Loop: Header=BB433_4 Depth=1
	v_cmp_gt_i32_e32 vcc_lo, s25, v0
	v_dual_mov_b32 v34, 0 :: v_dual_bitop2_b32 v30, 1, v0 bitop3:0x54
	v_dual_mov_b32 v35, 0 :: v_dual_mov_b32 v36, 0
	v_mov_b32_e32 v37, 0
	s_and_saveexec_b32 s8, vcc_lo
	s_cbranch_execz .LBB433_41
; %bb.34:                               ;   in Loop: Header=BB433_4 Depth=1
	v_mul_u64_e32 v[32:33], s[28:29], v[0:1]
	v_dual_mov_b32 v36, 0 :: v_dual_mov_b32 v35, 0
	v_mov_b32_e32 v34, 0
	s_mov_b32 s9, exec_lo
	s_delay_alu instid0(VALU_DEP_3)
	v_lshl_add_u64 v[32:33], v[32:33], 1, v[28:29]
	flat_load_u16 v37, v[32:33]
	s_wait_xcnt 0x0
	v_cmpx_gt_i32_e64 s25, v30
	s_cbranch_execz .LBB433_40
; %bb.35:                               ;   in Loop: Header=BB433_4 Depth=1
	v_dual_mov_b32 v31, v1 :: v_dual_mov_b32 v35, 0
	v_mov_b32_e32 v34, 0
	s_mov_b32 s44, exec_lo
	s_delay_alu instid0(VALU_DEP_2) | instskip(NEXT) | instid1(VALU_DEP_1)
	v_mul_u64_e32 v[32:33], s[28:29], v[30:31]
	v_lshl_add_u64 v[32:33], v[32:33], 1, v[28:29]
	flat_load_u16 v31, v[32:33]
	s_wait_xcnt 0x0
	v_or_b32_e32 v32, 2, v0
	s_delay_alu instid0(VALU_DEP_1)
	v_cmpx_gt_i32_e64 s25, v32
	s_cbranch_execz .LBB433_39
; %bb.36:                               ;   in Loop: Header=BB433_4 Depth=1
	v_dual_mov_b32 v33, v1 :: v_dual_mov_b32 v34, 0
	s_mov_b32 s45, exec_lo
	s_delay_alu instid0(VALU_DEP_1) | instskip(NEXT) | instid1(VALU_DEP_1)
	v_mul_u64_e32 v[32:33], s[28:29], v[32:33]
	v_lshl_add_u64 v[32:33], v[32:33], 1, v[28:29]
	flat_load_u16 v35, v[32:33]
	s_wait_xcnt 0x0
	v_or_b32_e32 v32, 3, v0
	s_delay_alu instid0(VALU_DEP_1)
	v_cmpx_gt_i32_e64 s25, v32
	s_cbranch_execz .LBB433_38
; %bb.37:                               ;   in Loop: Header=BB433_4 Depth=1
	v_mov_b32_e32 v33, v1
	s_delay_alu instid0(VALU_DEP_1) | instskip(NEXT) | instid1(VALU_DEP_1)
	v_mul_u64_e32 v[32:33], s[28:29], v[32:33]
	v_lshl_add_u64 v[28:29], v[32:33], 1, v[28:29]
	flat_load_u16 v28, v[28:29]
	s_wait_loadcnt_dscnt 0x0
	v_cvt_f32_f16_e32 v34, v28
.LBB433_38:                             ;   in Loop: Header=BB433_4 Depth=1
	s_wait_xcnt 0x0
	s_or_b32 exec_lo, exec_lo, s45
	s_wait_loadcnt_dscnt 0x0
	v_cvt_f32_f16_e32 v35, v35
.LBB433_39:                             ;   in Loop: Header=BB433_4 Depth=1
	s_or_b32 exec_lo, exec_lo, s44
	s_wait_loadcnt_dscnt 0x0
	v_cvt_f32_f16_e32 v36, v31
.LBB433_40:                             ;   in Loop: Header=BB433_4 Depth=1
	s_or_b32 exec_lo, exec_lo, s9
	s_wait_loadcnt_dscnt 0x0
	v_cvt_f32_f16_e32 v37, v37
.LBB433_41:                             ;   in Loop: Header=BB433_4 Depth=1
	s_or_b32 exec_lo, exec_lo, s8
	s_and_saveexec_b32 s44, s1
	s_cbranch_execz .LBB433_49
; %bb.42:                               ;   in Loop: Header=BB433_4 Depth=1
	v_dual_mov_b32 v31, v1 :: v_dual_bitop2_b32 v28, 2, v0 bitop3:0x54
	v_mov_b32_e32 v29, v1
	v_mul_u64_e32 v[32:33], s[30:31], v[0:1]
	v_or_b32_e32 v0, 3, v0
	s_delay_alu instid0(VALU_DEP_4)
	v_mul_u64_e32 v[38:39], s[30:31], v[30:31]
	v_cmp_gt_i32_e64 s7, s25, v30
	v_mul_u64_e32 v[40:41], s[30:31], v[28:29]
	v_cmp_gt_i32_e64 s8, s25, v28
	;; [unrolled: 2-line block ×3, first 2 shown]
	v_dual_cndmask_b32 v29, 0, v33 :: v_dual_cndmask_b32 v28, 0, v32
	v_dual_cndmask_b32 v31, 0, v39, s7 :: v_dual_cndmask_b32 v30, 0, v38, s7
	v_dual_cndmask_b32 v33, 0, v41, s8 :: v_dual_cndmask_b32 v32, 0, v40, s8
	s_delay_alu instid0(VALU_DEP_4) | instskip(NEXT) | instid1(VALU_DEP_4)
	v_dual_cndmask_b32 v39, 0, v43, s9 :: v_dual_cndmask_b32 v38, 0, v42, s9
	v_lshl_add_u64 v[28:29], v[28:29], 1, v[26:27]
	s_delay_alu instid0(VALU_DEP_4) | instskip(NEXT) | instid1(VALU_DEP_4)
	v_lshl_add_u64 v[30:31], v[30:31], 1, v[26:27]
	v_lshl_add_u64 v[32:33], v[32:33], 1, v[26:27]
	s_delay_alu instid0(VALU_DEP_4) | instskip(NEXT) | instid1(VALU_DEP_4)
	v_lshl_add_u64 v[38:39], v[38:39], 1, v[26:27]
	v_add_nc_u64_e32 v[28:29], v[28:29], v[14:15]
	s_delay_alu instid0(VALU_DEP_4) | instskip(NEXT) | instid1(VALU_DEP_4)
	v_add_nc_u64_e32 v[26:27], v[30:31], v[14:15]
	v_add_nc_u64_e32 v[32:33], v[32:33], v[14:15]
	s_delay_alu instid0(VALU_DEP_4)
	v_add_nc_u64_e32 v[30:31], v[38:39], v[14:15]
	s_clause 0x3
	flat_load_u16 v0, v[28:29]
	flat_load_u16 v38, v[26:27]
	flat_load_u16 v39, v[32:33]
	flat_load_u16 v40, v[30:31]
	s_wait_xcnt 0x0
	s_and_saveexec_b32 s7, s3
	s_cbranch_execz .LBB433_48
; %bb.43:                               ;   in Loop: Header=BB433_4 Depth=1
	s_clause 0x3
	flat_load_u16 v41, v[28:29] offset:64
	flat_load_u16 v42, v[26:27] offset:64
	flat_load_u16 v43, v[32:33] offset:64
	flat_load_u16 v44, v[30:31] offset:64
	s_wait_xcnt 0x0
	s_and_saveexec_b32 s8, s4
	s_cbranch_execz .LBB433_47
; %bb.44:                               ;   in Loop: Header=BB433_4 Depth=1
	s_clause 0x3
	flat_load_u16 v45, v[28:29] offset:128
	flat_load_u16 v46, v[26:27] offset:128
	flat_load_u16 v47, v[32:33] offset:128
	flat_load_u16 v56, v[30:31] offset:128
	;; [unrolled: 9-line block ×3, first 2 shown]
	s_wait_loadcnt_dscnt 0x303
	s_wait_xcnt 0x2
	v_fma_mix_f32 v26, v37, v57, v55 op_sel_hi:[0,1,0]
	s_wait_loadcnt_dscnt 0x202
	s_delay_alu instid0(VALU_DEP_1) | instskip(SKIP_1) | instid1(VALU_DEP_1)
	v_fma_mix_f32 v26, v36, v58, v26 op_sel_hi:[0,1,0]
	s_wait_loadcnt_dscnt 0x101
	v_fma_mix_f32 v26, v35, v59, v26 op_sel_hi:[0,1,0]
	s_wait_loadcnt_dscnt 0x0
	s_delay_alu instid0(VALU_DEP_1)
	v_fma_mix_f32 v55, v34, v60, v26 op_sel_hi:[0,1,0]
.LBB433_46:                             ;   in Loop: Header=BB433_4 Depth=1
	s_wait_xcnt 0x0
	s_or_b32 exec_lo, exec_lo, s9
	s_wait_loadcnt_dscnt 0x303
	v_fma_mix_f32 v26, v37, v45, v54 op_sel_hi:[0,1,0]
	s_wait_loadcnt_dscnt 0x202
	s_delay_alu instid0(VALU_DEP_1) | instskip(SKIP_1) | instid1(VALU_DEP_1)
	v_fma_mix_f32 v26, v36, v46, v26 op_sel_hi:[0,1,0]
	s_wait_loadcnt_dscnt 0x101
	v_fma_mix_f32 v26, v35, v47, v26 op_sel_hi:[0,1,0]
	s_wait_loadcnt_dscnt 0x0
	s_delay_alu instid0(VALU_DEP_1)
	v_fma_mix_f32 v54, v34, v56, v26 op_sel_hi:[0,1,0]
.LBB433_47:                             ;   in Loop: Header=BB433_4 Depth=1
	s_or_b32 exec_lo, exec_lo, s8
	s_wait_loadcnt_dscnt 0x303
	v_fma_mix_f32 v26, v37, v41, v53 op_sel_hi:[0,1,0]
	s_wait_loadcnt_dscnt 0x202
	s_delay_alu instid0(VALU_DEP_1) | instskip(SKIP_1) | instid1(VALU_DEP_1)
	v_fma_mix_f32 v26, v36, v42, v26 op_sel_hi:[0,1,0]
	s_wait_loadcnt_dscnt 0x101
	v_fma_mix_f32 v26, v35, v43, v26 op_sel_hi:[0,1,0]
	s_wait_loadcnt_dscnt 0x0
	s_delay_alu instid0(VALU_DEP_1)
	v_fma_mix_f32 v53, v34, v44, v26 op_sel_hi:[0,1,0]
.LBB433_48:                             ;   in Loop: Header=BB433_4 Depth=1
	s_or_b32 exec_lo, exec_lo, s7
	s_wait_loadcnt_dscnt 0x303
	v_fma_mix_f32 v0, v37, v0, v52 op_sel_hi:[0,1,0]
	s_wait_loadcnt_dscnt 0x202
	s_delay_alu instid0(VALU_DEP_1) | instskip(SKIP_1) | instid1(VALU_DEP_1)
	v_fma_mix_f32 v0, v36, v38, v0 op_sel_hi:[0,1,0]
	s_wait_loadcnt_dscnt 0x101
	v_fma_mix_f32 v0, v35, v39, v0 op_sel_hi:[0,1,0]
	s_wait_loadcnt_dscnt 0x0
	s_delay_alu instid0(VALU_DEP_1)
	v_fma_mix_f32 v52, v34, v40, v0 op_sel_hi:[0,1,0]
.LBB433_49:                             ;   in Loop: Header=BB433_4 Depth=1
	s_or_b32 exec_lo, exec_lo, s44
.LBB433_50:                             ;   in Loop: Header=BB433_4 Depth=1
	ds_store_2addr_b32 v50, v52, v53 offset1:32
	ds_store_2addr_b32 v50, v54, v55 offset0:64 offset1:96
	s_wait_dscnt 0x0
	s_barrier_signal -1
	s_barrier_wait -1
                                        ; implicit-def: $vgpr0
	s_and_saveexec_b32 s7, s0
	s_cbranch_execz .LBB433_56
; %bb.51:                               ;   in Loop: Header=BB433_4 Depth=1
	ds_load_2addr_stride64_b32 v[26:27], v51 offset1:2
	ds_load_2addr_stride64_b32 v[28:29], v51 offset0:4 offset1:6
	ds_load_2addr_stride64_b32 v[30:31], v51 offset0:8 offset1:10
	s_mov_b32 s9, s43
	s_wait_dscnt 0x2
	v_add_f32_e32 v0, v26, v27
	ds_load_2addr_stride64_b32 v[26:27], v51 offset0:12 offset1:14
	s_wait_dscnt 0x2
	v_add_f32_e32 v0, v28, v0
	s_delay_alu instid0(VALU_DEP_1) | instskip(SKIP_3) | instid1(VALU_DEP_1)
	v_add_f32_e32 v0, v29, v0
	ds_load_2addr_stride64_b32 v[28:29], v51 offset0:16 offset1:18
	s_wait_dscnt 0x2
	v_add_f32_e32 v0, v30, v0
	v_add_f32_e32 v0, v31, v0
	ds_load_2addr_stride64_b32 v[30:31], v51 offset0:20 offset1:22
	s_wait_dscnt 0x2
	v_add_f32_e32 v0, v26, v0
	s_delay_alu instid0(VALU_DEP_1) | instskip(SKIP_3) | instid1(VALU_DEP_1)
	v_add_f32_e32 v0, v27, v0
	ds_load_2addr_stride64_b32 v[26:27], v51 offset0:24 offset1:26
	s_wait_dscnt 0x2
	v_add_f32_e32 v0, v28, v0
	v_add_f32_e32 v0, v29, v0
	ds_load_2addr_stride64_b32 v[28:29], v51 offset0:28 offset1:30
	s_wait_dscnt 0x2
	v_add_f32_e32 v0, v30, v0
	s_delay_alu instid0(VALU_DEP_1) | instskip(SKIP_1) | instid1(VALU_DEP_1)
	v_add_f32_e32 v0, v31, v0
	s_wait_dscnt 0x1
	v_add_f32_e32 v0, v26, v0
	s_delay_alu instid0(VALU_DEP_1) | instskip(SKIP_1) | instid1(VALU_DEP_1)
	v_add_f32_e32 v0, v27, v0
	s_wait_dscnt 0x0
	v_add_f32_e32 v0, v28, v0
	s_delay_alu instid0(VALU_DEP_1)
	v_add_f32_e32 v26, v29, v0
                                        ; implicit-def: $vgpr0
	ds_store_b32 v51, v26
	s_and_saveexec_b32 s8, s2
	s_cbranch_execz .LBB433_55
; %bb.52:                               ;   in Loop: Header=BB433_4 Depth=1
	v_mul_f32_e32 v0, s26, v26
	s_and_not1_b32 vcc_lo, exec_lo, s40
	s_cbranch_vccnz .LBB433_54
; %bb.53:                               ;   in Loop: Header=BB433_4 Depth=1
	v_lshl_add_u64 v[26:27], v[8:9], 1, v[24:25]
	flat_load_u16 v26, v[26:27]
	s_wait_loadcnt_dscnt 0x0
	v_fma_mix_f32 v0, s33, v26, v0 op_sel_hi:[0,1,0]
.LBB433_54:                             ;   in Loop: Header=BB433_4 Depth=1
	s_delay_alu instid0(VALU_DEP_1)
	v_cvt_f16_f32_e32 v0, v0
	s_or_b32 s9, s43, exec_lo
.LBB433_55:                             ;   in Loop: Header=BB433_4 Depth=1
	s_wait_xcnt 0x0
	s_or_b32 exec_lo, exec_lo, s8
	s_delay_alu instid0(SALU_CYCLE_1) | instskip(SKIP_1) | instid1(SALU_CYCLE_1)
	s_and_not1_b32 s8, s43, exec_lo
	s_and_b32 s9, s9, exec_lo
	s_or_b32 s43, s8, s9
.LBB433_56:                             ;   in Loop: Header=BB433_4 Depth=1
	s_or_b32 exec_lo, exec_lo, s7
	v_mov_b64_e32 v[26:27], v[8:9]
	s_and_saveexec_b32 s7, s43
	s_cbranch_execz .LBB433_2
.LBB433_57:                             ;   in Loop: Header=BB433_4 Depth=1
	s_delay_alu instid0(VALU_DEP_1)
	v_lshl_add_u64 v[24:25], v[26:27], 1, v[24:25]
	flat_store_b16 v[24:25], v0
	s_branch .LBB433_2
.LBB433_58:
	s_sendmsg sendmsg(MSG_DEALLOC_VGPRS)
	s_endpgm
	.section	.rodata,"a",@progbits
	.p2align	6, 0x0
	.amdhsa_kernel _ZL20rocblas_gemvn_kernelILi32ELi16ElPKDF16_fKPDF16_EviiT3_lPKT2_lT1_lS7_lS8_lS4_lPT4_lS8_li
		.amdhsa_group_segment_fixed_size 8192
		.amdhsa_private_segment_fixed_size 0
		.amdhsa_kernarg_size 400
		.amdhsa_user_sgpr_count 2
		.amdhsa_user_sgpr_dispatch_ptr 0
		.amdhsa_user_sgpr_queue_ptr 0
		.amdhsa_user_sgpr_kernarg_segment_ptr 1
		.amdhsa_user_sgpr_dispatch_id 0
		.amdhsa_user_sgpr_kernarg_preload_length 0
		.amdhsa_user_sgpr_kernarg_preload_offset 0
		.amdhsa_user_sgpr_private_segment_size 0
		.amdhsa_wavefront_size32 1
		.amdhsa_uses_dynamic_stack 0
		.amdhsa_enable_private_segment 0
		.amdhsa_system_sgpr_workgroup_id_x 1
		.amdhsa_system_sgpr_workgroup_id_y 0
		.amdhsa_system_sgpr_workgroup_id_z 1
		.amdhsa_system_sgpr_workgroup_info 0
		.amdhsa_system_vgpr_workitem_id 1
		.amdhsa_next_free_vgpr 80
		.amdhsa_next_free_sgpr 47
		.amdhsa_named_barrier_count 0
		.amdhsa_reserve_vcc 1
		.amdhsa_float_round_mode_32 0
		.amdhsa_float_round_mode_16_64 0
		.amdhsa_float_denorm_mode_32 3
		.amdhsa_float_denorm_mode_16_64 3
		.amdhsa_fp16_overflow 0
		.amdhsa_memory_ordered 1
		.amdhsa_forward_progress 1
		.amdhsa_inst_pref_size 25
		.amdhsa_round_robin_scheduling 0
		.amdhsa_exception_fp_ieee_invalid_op 0
		.amdhsa_exception_fp_denorm_src 0
		.amdhsa_exception_fp_ieee_div_zero 0
		.amdhsa_exception_fp_ieee_overflow 0
		.amdhsa_exception_fp_ieee_underflow 0
		.amdhsa_exception_fp_ieee_inexact 0
		.amdhsa_exception_int_div_zero 0
	.end_amdhsa_kernel
	.section	.text._ZL20rocblas_gemvn_kernelILi32ELi16ElPKDF16_fKPDF16_EviiT3_lPKT2_lT1_lS7_lS8_lS4_lPT4_lS8_li,"axG",@progbits,_ZL20rocblas_gemvn_kernelILi32ELi16ElPKDF16_fKPDF16_EviiT3_lPKT2_lT1_lS7_lS8_lS4_lPT4_lS8_li,comdat
.Lfunc_end433:
	.size	_ZL20rocblas_gemvn_kernelILi32ELi16ElPKDF16_fKPDF16_EviiT3_lPKT2_lT1_lS7_lS8_lS4_lPT4_lS8_li, .Lfunc_end433-_ZL20rocblas_gemvn_kernelILi32ELi16ElPKDF16_fKPDF16_EviiT3_lPKT2_lT1_lS7_lS8_lS4_lPT4_lS8_li
                                        ; -- End function
	.set _ZL20rocblas_gemvn_kernelILi32ELi16ElPKDF16_fKPDF16_EviiT3_lPKT2_lT1_lS7_lS8_lS4_lPT4_lS8_li.num_vgpr, 80
	.set _ZL20rocblas_gemvn_kernelILi32ELi16ElPKDF16_fKPDF16_EviiT3_lPKT2_lT1_lS7_lS8_lS4_lPT4_lS8_li.num_agpr, 0
	.set _ZL20rocblas_gemvn_kernelILi32ELi16ElPKDF16_fKPDF16_EviiT3_lPKT2_lT1_lS7_lS8_lS4_lPT4_lS8_li.numbered_sgpr, 47
	.set _ZL20rocblas_gemvn_kernelILi32ELi16ElPKDF16_fKPDF16_EviiT3_lPKT2_lT1_lS7_lS8_lS4_lPT4_lS8_li.num_named_barrier, 0
	.set _ZL20rocblas_gemvn_kernelILi32ELi16ElPKDF16_fKPDF16_EviiT3_lPKT2_lT1_lS7_lS8_lS4_lPT4_lS8_li.private_seg_size, 0
	.set _ZL20rocblas_gemvn_kernelILi32ELi16ElPKDF16_fKPDF16_EviiT3_lPKT2_lT1_lS7_lS8_lS4_lPT4_lS8_li.uses_vcc, 1
	.set _ZL20rocblas_gemvn_kernelILi32ELi16ElPKDF16_fKPDF16_EviiT3_lPKT2_lT1_lS7_lS8_lS4_lPT4_lS8_li.uses_flat_scratch, 1
	.set _ZL20rocblas_gemvn_kernelILi32ELi16ElPKDF16_fKPDF16_EviiT3_lPKT2_lT1_lS7_lS8_lS4_lPT4_lS8_li.has_dyn_sized_stack, 0
	.set _ZL20rocblas_gemvn_kernelILi32ELi16ElPKDF16_fKPDF16_EviiT3_lPKT2_lT1_lS7_lS8_lS4_lPT4_lS8_li.has_recursion, 0
	.set _ZL20rocblas_gemvn_kernelILi32ELi16ElPKDF16_fKPDF16_EviiT3_lPKT2_lT1_lS7_lS8_lS4_lPT4_lS8_li.has_indirect_call, 0
	.section	.AMDGPU.csdata,"",@progbits
; Kernel info:
; codeLenInByte = 3076
; TotalNumSgprs: 49
; NumVgprs: 80
; ScratchSize: 0
; MemoryBound: 0
; FloatMode: 240
; IeeeMode: 1
; LDSByteSize: 8192 bytes/workgroup (compile time only)
; SGPRBlocks: 0
; VGPRBlocks: 4
; NumSGPRsForWavesPerEU: 49
; NumVGPRsForWavesPerEU: 80
; NamedBarCnt: 0
; Occupancy: 12
; WaveLimiterHint : 1
; COMPUTE_PGM_RSRC2:SCRATCH_EN: 0
; COMPUTE_PGM_RSRC2:USER_SGPR: 2
; COMPUTE_PGM_RSRC2:TRAP_HANDLER: 0
; COMPUTE_PGM_RSRC2:TGID_X_EN: 1
; COMPUTE_PGM_RSRC2:TGID_Y_EN: 0
; COMPUTE_PGM_RSRC2:TGID_Z_EN: 1
; COMPUTE_PGM_RSRC2:TIDIG_COMP_CNT: 1
	.section	.text._ZL20rocblas_gemvn_kernelILi64ELi16EiPKDF16_PKfKPDF16_EviiT3_lPKT2_lT1_lS9_lSA_lS6_lPT4_lSA_li,"axG",@progbits,_ZL20rocblas_gemvn_kernelILi64ELi16EiPKDF16_PKfKPDF16_EviiT3_lPKT2_lT1_lS9_lSA_lS6_lPT4_lSA_li,comdat
	.globl	_ZL20rocblas_gemvn_kernelILi64ELi16EiPKDF16_PKfKPDF16_EviiT3_lPKT2_lT1_lS9_lSA_lS6_lPT4_lSA_li ; -- Begin function _ZL20rocblas_gemvn_kernelILi64ELi16EiPKDF16_PKfKPDF16_EviiT3_lPKT2_lT1_lS9_lSA_lS6_lPT4_lSA_li
	.p2align	8
	.type	_ZL20rocblas_gemvn_kernelILi64ELi16EiPKDF16_PKfKPDF16_EviiT3_lPKT2_lT1_lS9_lSA_lS6_lPT4_lSA_li,@function
_ZL20rocblas_gemvn_kernelILi64ELi16EiPKDF16_PKfKPDF16_EviiT3_lPKT2_lT1_lS9_lSA_lS6_lPT4_lSA_li: ; @_ZL20rocblas_gemvn_kernelILi64ELi16EiPKDF16_PKfKPDF16_EviiT3_lPKT2_lT1_lS9_lSA_lS6_lPT4_lSA_li
; %bb.0:
	s_clause 0x1
	s_load_b64 s[4:5], s[0:1], 0x9c
	s_load_b32 s33, s[0:1], 0x88
	s_bfe_u32 s2, ttmp6, 0x40014
	s_lshr_b32 s3, ttmp7, 16
	s_add_co_i32 s2, s2, 1
	s_bfe_u32 s6, ttmp6, 0x40008
	s_mul_i32 s7, s3, s2
	s_getreg_b32 s2, hwreg(HW_REG_IB_STS2, 6, 4)
	s_add_co_i32 s6, s6, s7
	s_mov_b32 s11, 0
	s_wait_kmcnt 0x0
	s_lshr_b32 s7, s4, 16
	s_and_b32 s4, s4, 0xffff
	s_and_b32 s5, s5, 0xffff
	s_mul_i32 s4, s7, s4
	s_cmp_eq_u32 s2, 0
	s_mul_i32 s4, s4, s5
	s_cselect_b32 s10, s3, s6
	s_cmp_lg_u32 s4, 0x400
	s_cselect_b32 s3, -1, 0
	s_cmp_ge_u32 s10, s33
	s_cselect_b32 s4, -1, 0
	s_delay_alu instid0(SALU_CYCLE_1) | instskip(NEXT) | instid1(SALU_CYCLE_1)
	s_or_b32 s3, s3, s4
	s_and_b32 vcc_lo, exec_lo, s3
	s_cbranch_vccnz .LBB434_56
; %bb.1:
	s_clause 0x6
	s_load_b32 s4, s[0:1], 0x78
	s_load_b64 s[8:9], s[0:1], 0x0
	s_load_b256 s[12:19], s[0:1], 0x8
	s_load_b32 s34, s[0:1], 0x28
	s_load_b128 s[28:31], s[0:1], 0x38
	s_load_b32 s35, s[0:1], 0x48
	s_load_b256 s[20:27], s[0:1], 0x58
	s_wait_xcnt 0x0
	s_bfe_u32 s0, ttmp6, 0x4000c
	v_and_b32_e32 v6, 0x3ff, v0
	s_add_co_i32 s0, s0, 1
	v_bfe_u32 v7, v0, 10, 10
	s_and_b32 s1, ttmp6, 15
	s_mul_i32 s0, ttmp9, s0
	v_mov_b32_e32 v1, 0
	s_add_co_i32 s1, s1, s0
	v_lshl_add_u32 v5, v7, 6, v6
	v_lshlrev_b32_e32 v20, 2, v7
	s_wait_kmcnt 0x0
	s_ashr_i32 s5, s4, 31
	s_cmp_eq_u32 s2, 0
	s_mov_b32 s2, s8
	s_cselect_b32 s0, ttmp9, s1
	s_ashr_i32 s3, s8, 31
	s_lshl_b32 s36, s0, 8
	s_ashr_i32 s1, s9, 31
	v_dual_add_nc_u32 v0, s36, v5 :: v_dual_add_nc_u32 v21, s36, v6
	v_or_b32_e32 v8, s36, v5
	s_lshr_b32 s0, s1, 26
	v_mul_lo_u32 v11, v7, s34
	s_delay_alu instid0(VALU_DEP_3)
	v_mul_u64_e32 v[2:3], s[4:5], v[0:1]
	v_add_nc_u32_e32 v9, 0x80, v21
	v_add_nc_u32_e32 v4, 64, v21
	v_cmp_gt_i64_e32 vcc_lo, s[2:3], v[0:1]
	v_add_nc_u32_e32 v0, 0xc0, v21
	s_add_co_i32 s37, s9, s0
	v_cmp_gt_i32_e64 s3, s8, v9
	v_lshlrev_b32_e32 v9, 2, v6
	v_cmp_gt_i32_e64 s2, s8, v4
	v_mul_lo_u32 v4, s4, v8
	v_cmp_gt_i32_e64 s4, s8, v0
	s_and_not1_b32 s37, s37, 63
	v_lshl_add_u32 v0, v7, 10, v9
	v_lshl_add_u32 v22, v7, 8, v9
	v_mul_lo_u32 v7, v7, s35
	s_sub_co_i32 s6, s9, s37
	v_or_b32_e32 v9, 2, v20
	s_cmp_gt_i32 s6, 0
	v_cmp_gt_i32_e64 s6, s8, v8
	v_mul_lo_u32 v8, s34, v20
	v_or_b32_e32 v10, 3, v20
	v_mad_u32 v23, s34, v9, v6
	v_mad_u32 v25, s35, v20, s35
	v_mul_lo_u32 v26, s35, v9
	v_cmp_gt_u32_e64 s5, 0x100, v5
	v_lshlrev_b32_e32 v30, 2, v7
	v_mad_u32 v24, s34, v10, v6
	v_mul_lo_u32 v27, s35, v10
	v_cmp_gt_i32_e64 s0, s37, v20
	v_cmp_gt_i32_e64 s1, s8, v21
	v_ashrrev_i32_e32 v5, 31, v4
	v_add3_u32 v28, v8, s34, v6
	v_lshl_add_u32 v29, v11, 2, v6
	s_cselect_b32 s38, -1, 0
	s_and_b32 s39, s5, vcc_lo
	s_lshl_b32 s40, s34, 6
	s_lshl_b32 s41, s35, 6
	s_lshl_b64 s[18:19], s[18:19], 1
	s_lshl_b64 s[30:31], s[30:31], 1
	;; [unrolled: 1-line block ×3, first 2 shown]
	s_branch .LBB434_4
.LBB434_2:                              ;   in Loop: Header=BB434_4 Depth=1
	s_wait_xcnt 0x0
	s_or_b32 exec_lo, exec_lo, s7
.LBB434_3:                              ;   in Loop: Header=BB434_4 Depth=1
	s_add_co_i32 s10, s10, 0x10000
	s_delay_alu instid0(SALU_CYCLE_1)
	s_cmp_lt_u32 s10, s33
	s_cbranch_scc0 .LBB434_56
.LBB434_4:                              ; =>This Loop Header: Depth=1
                                        ;     Child Loop BB434_24 Depth 2
	s_mul_u64 s[42:43], s[14:15], s[10:11]
	s_wait_xcnt 0x0
	s_mul_u64 s[44:45], s[22:23], s[10:11]
	s_lshl_b64 s[42:43], s[42:43], 2
	s_lshl_b64 s[44:45], s[44:45], 2
	s_add_nc_u64 s[42:43], s[12:13], s[42:43]
	s_add_nc_u64 s[44:45], s[20:21], s[44:45]
	s_clause 0x1
	global_load_b32 v31, v1, s[42:43]
	global_load_b32 v6, v1, s[44:45]
	s_wait_loadcnt 0x1
	v_cmp_eq_f32_e64 s7, 0, v31
	s_wait_loadcnt 0x0
	v_cmp_eq_f32_e32 vcc_lo, 1.0, v6
	s_wait_xcnt 0x1
	v_readfirstlane_b32 s42, v6
	s_and_b32 s8, s7, vcc_lo
	s_delay_alu instid0(SALU_CYCLE_1)
	s_and_b32 vcc_lo, exec_lo, s8
	s_cbranch_vccnz .LBB434_3
; %bb.5:                                ;   in Loop: Header=BB434_4 Depth=1
	v_mov_b64_e32 v[10:11], 0
	v_mov_b64_e32 v[8:9], 0
	v_cmp_neq_f32_e64 s8, 0, v31
	s_and_b32 vcc_lo, exec_lo, s7
	s_cbranch_vccnz .LBB434_7
; %bb.6:                                ;   in Loop: Header=BB434_4 Depth=1
	s_wait_xcnt 0x0
	s_lshl_b64 s[44:45], s[10:11], 3
	s_delay_alu instid0(SALU_CYCLE_1)
	s_add_nc_u64 s[44:45], s[16:17], s[44:45]
	global_load_b64 v[6:7], v1, s[44:45]
	s_wait_loadcnt 0x0
	v_add_nc_u64_e32 v[8:9], s[18:19], v[6:7]
.LBB434_7:                              ;   in Loop: Header=BB434_4 Depth=1
	s_and_not1_b32 vcc_lo, exec_lo, s8
	s_cbranch_vccnz .LBB434_9
; %bb.8:                                ;   in Loop: Header=BB434_4 Depth=1
	s_wait_xcnt 0x0
	s_lshl_b64 s[44:45], s[10:11], 3
	s_delay_alu instid0(SALU_CYCLE_1)
	s_add_nc_u64 s[44:45], s[28:29], s[44:45]
	global_load_b64 v[6:7], v1, s[44:45]
	s_wait_loadcnt 0x0
	v_add_nc_u64_e32 v[10:11], s[30:31], v[6:7]
.LBB434_9:                              ;   in Loop: Header=BB434_4 Depth=1
	s_wait_xcnt 0x0
	s_lshl_b64 s[44:45], s[10:11], 3
	s_and_not1_b32 vcc_lo, exec_lo, s7
	s_add_nc_u64 s[44:45], s[24:25], s[44:45]
	global_load_b64 v[6:7], v1, s[44:45]
	s_wait_loadcnt 0x0
	v_add_nc_u64_e32 v[6:7], s[26:27], v[6:7]
	s_cbranch_vccnz .LBB434_13
; %bb.10:                               ;   in Loop: Header=BB434_4 Depth=1
	s_mov_b32 s7, 0
	s_mov_b32 s8, 0
                                        ; implicit-def: $vgpr12
	s_wait_xcnt 0x0
	s_and_saveexec_b32 s43, s39
	s_cbranch_execz .LBB434_14
; %bb.11:                               ;   in Loop: Header=BB434_4 Depth=1
	s_cmp_eq_f32 s42, 0
	s_cbranch_scc1 .LBB434_16
; %bb.12:                               ;   in Loop: Header=BB434_4 Depth=1
	v_lshl_add_u64 v[12:13], v[2:3], 1, v[6:7]
	flat_load_u16 v12, v[12:13]
	s_wait_loadcnt_dscnt 0x0
	s_wait_xcnt 0x0
	v_fma_mixlo_f16 v12, s42, v12, 0 op_sel_hi:[0,1,0]
	s_branch .LBB434_17
.LBB434_13:                             ;   in Loop: Header=BB434_4 Depth=1
	s_mov_b32 s8, 0
                                        ; implicit-def: $vgpr12
	s_cbranch_execz .LBB434_15
	s_branch .LBB434_18
.LBB434_14:                             ;   in Loop: Header=BB434_4 Depth=1
	s_or_b32 exec_lo, exec_lo, s43
	s_delay_alu instid0(SALU_CYCLE_1)
	s_and_b32 vcc_lo, exec_lo, s7
	s_cbranch_vccnz .LBB434_18
.LBB434_15:                             ;   in Loop: Header=BB434_4 Depth=1
	v_mov_b64_e32 v[8:9], v[2:3]
	s_wait_xcnt 0x0
	s_and_saveexec_b32 s7, s8
	s_cbranch_execz .LBB434_2
	s_branch .LBB434_55
.LBB434_16:                             ;   in Loop: Header=BB434_4 Depth=1
	v_mov_b32_e32 v12, 0
.LBB434_17:                             ;   in Loop: Header=BB434_4 Depth=1
	s_mov_b32 s8, exec_lo
	s_or_b32 exec_lo, exec_lo, s43
	s_delay_alu instid0(SALU_CYCLE_1)
	s_and_b32 vcc_lo, exec_lo, s7
	s_cbranch_vccz .LBB434_15
.LBB434_18:                             ;   in Loop: Header=BB434_4 Depth=1
	v_dual_mov_b32 v32, 0 :: v_dual_mov_b32 v36, v20
	v_dual_mov_b32 v33, 0 :: v_dual_mov_b32 v34, 0
	v_mov_b32_e32 v35, 0
	s_wait_xcnt 0x0
	s_and_saveexec_b32 s7, s0
	s_cbranch_execz .LBB434_30
; %bb.19:                               ;   in Loop: Header=BB434_4 Depth=1
	v_dual_mov_b32 v32, 0 :: v_dual_mov_b32 v37, v29
	v_dual_mov_b32 v38, v24 :: v_dual_mov_b32 v39, v23
	;; [unrolled: 1-line block ×4, first 2 shown]
	v_mov_b32_e32 v35, 0
	s_mov_b32 s43, 0
	s_mov_b32 s44, 0
	s_branch .LBB434_24
.LBB434_20:                             ;   in Loop: Header=BB434_24 Depth=2
	s_wait_xcnt 0x0
	s_or_b32 exec_lo, exec_lo, s48
	s_wait_loadcnt_dscnt 0x303
	v_fma_mix_f32 v12, v53, v57, v34 op_sel_hi:[0,1,0]
	s_wait_loadcnt_dscnt 0x202
	s_delay_alu instid0(VALU_DEP_1) | instskip(SKIP_1) | instid1(VALU_DEP_1)
	v_fma_mix_f32 v12, v54, v58, v12 op_sel_hi:[0,1,0]
	s_wait_loadcnt_dscnt 0x101
	v_fma_mix_f32 v12, v55, v59, v12 op_sel_hi:[0,1,0]
	s_wait_loadcnt_dscnt 0x0
	s_delay_alu instid0(VALU_DEP_1)
	v_fma_mix_f32 v34, v56, v60, v12 op_sel_hi:[0,1,0]
.LBB434_21:                             ;   in Loop: Header=BB434_24 Depth=2
	s_or_b32 exec_lo, exec_lo, s47
	s_wait_loadcnt_dscnt 0x303
	v_fma_mix_f32 v12, v53, v49, v33 op_sel_hi:[0,1,0]
	s_wait_loadcnt_dscnt 0x202
	s_delay_alu instid0(VALU_DEP_1) | instskip(SKIP_1) | instid1(VALU_DEP_1)
	v_fma_mix_f32 v12, v54, v50, v12 op_sel_hi:[0,1,0]
	s_wait_loadcnt_dscnt 0x101
	v_fma_mix_f32 v12, v55, v51, v12 op_sel_hi:[0,1,0]
	s_wait_loadcnt_dscnt 0x0
	s_delay_alu instid0(VALU_DEP_1)
	v_fma_mix_f32 v33, v56, v52, v12 op_sel_hi:[0,1,0]
.LBB434_22:                             ;   in Loop: Header=BB434_24 Depth=2
	s_or_b32 exec_lo, exec_lo, s46
	s_wait_loadcnt_dscnt 0x303
	v_fma_mix_f32 v12, v41, v45, v32 op_sel_hi:[1,1,0]
	s_wait_loadcnt_dscnt 0x202
	s_delay_alu instid0(VALU_DEP_1) | instskip(SKIP_1) | instid1(VALU_DEP_1)
	v_fma_mix_f32 v12, v42, v46, v12 op_sel_hi:[1,1,0]
	s_wait_loadcnt_dscnt 0x101
	v_fma_mix_f32 v12, v43, v47, v12 op_sel_hi:[1,1,0]
	s_wait_loadcnt_dscnt 0x0
	s_delay_alu instid0(VALU_DEP_1)
	v_fma_mix_f32 v32, v44, v48, v12 op_sel_hi:[1,1,0]
.LBB434_23:                             ;   in Loop: Header=BB434_24 Depth=2
	s_or_b32 exec_lo, exec_lo, s45
	v_dual_add_nc_u32 v36, 64, v36 :: v_dual_add_nc_u32 v39, s40, v39
	v_dual_add_nc_u32 v40, s40, v40 :: v_dual_add_nc_u32 v38, s40, v38
	v_add_nc_u32_e32 v37, s40, v37
	s_delay_alu instid0(VALU_DEP_3) | instskip(SKIP_2) | instid1(SALU_CYCLE_1)
	v_cmp_le_i32_e32 vcc_lo, s37, v36
	s_add_co_i32 s44, s44, s41
	s_or_b32 s43, vcc_lo, s43
	s_and_not1_b32 exec_lo, exec_lo, s43
	s_cbranch_execz .LBB434_29
.LBB434_24:                             ;   Parent Loop BB434_4 Depth=1
                                        ; =>  This Inner Loop Header: Depth=2
	s_and_saveexec_b32 s45, s1
	s_cbranch_execz .LBB434_23
; %bb.25:                               ;   in Loop: Header=BB434_24 Depth=2
	v_dual_add_nc_u32 v13, s44, v30 :: v_dual_add_nc_u32 v15, s44, v25
	v_readfirstlane_b32 s46, v10
	v_readfirstlane_b32 s47, v11
	v_dual_add_nc_u32 v17, s44, v26 :: v_dual_add_nc_u32 v19, s44, v27
	v_dual_add_nc_u32 v12, s36, v37 :: v_dual_add_nc_u32 v14, s36, v40
	v_readfirstlane_b32 s48, v8
	v_readfirstlane_b32 s49, v9
	v_dual_add_nc_u32 v18, s36, v39 :: v_dual_add_nc_u32 v16, s36, v38
	s_clause 0x3
	flat_load_u16 v41, v13, s[46:47] scale_offset
	flat_load_u16 v42, v15, s[46:47] scale_offset
	flat_load_u16 v43, v17, s[46:47] scale_offset
	flat_load_u16 v44, v19, s[46:47] scale_offset
	s_clause 0x3
	flat_load_u16 v45, v12, s[48:49] scale_offset
	flat_load_u16 v46, v14, s[48:49] scale_offset
	;; [unrolled: 1-line block ×4, first 2 shown]
	s_wait_xcnt 0x0
	s_and_saveexec_b32 s46, s2
	s_cbranch_execz .LBB434_22
; %bb.26:                               ;   in Loop: Header=BB434_24 Depth=2
	v_dual_ashrrev_i32 v13, 31, v12 :: v_dual_ashrrev_i32 v15, 31, v14
	v_dual_ashrrev_i32 v19, 31, v18 :: v_dual_ashrrev_i32 v17, 31, v16
	s_wait_loadcnt_dscnt 0x707
	v_cvt_f32_f16_e32 v53, v41
	s_delay_alu instid0(VALU_DEP_3)
	v_lshl_add_u64 v[12:13], v[12:13], 1, v[8:9]
	v_lshl_add_u64 v[14:15], v[14:15], 1, v[8:9]
	;; [unrolled: 1-line block ×4, first 2 shown]
	s_wait_loadcnt_dscnt 0x606
	v_cvt_f32_f16_e32 v54, v42
	s_clause 0x3
	flat_load_u16 v49, v[12:13] offset:128
	flat_load_u16 v50, v[14:15] offset:128
	;; [unrolled: 1-line block ×4, first 2 shown]
	s_wait_loadcnt_dscnt 0x909
	v_cvt_f32_f16_e32 v55, v43
	s_wait_loadcnt_dscnt 0x808
	v_cvt_f32_f16_e32 v56, v44
	s_wait_xcnt 0x0
	s_and_saveexec_b32 s47, s3
	s_cbranch_execz .LBB434_21
; %bb.27:                               ;   in Loop: Header=BB434_24 Depth=2
	s_clause 0x3
	flat_load_u16 v57, v[12:13] offset:256
	flat_load_u16 v58, v[14:15] offset:256
	;; [unrolled: 1-line block ×4, first 2 shown]
	s_wait_xcnt 0x0
	s_and_saveexec_b32 s48, s4
	s_cbranch_execz .LBB434_20
; %bb.28:                               ;   in Loop: Header=BB434_24 Depth=2
	s_clause 0x3
	flat_load_u16 v61, v[12:13] offset:384
	flat_load_u16 v62, v[14:15] offset:384
	;; [unrolled: 1-line block ×3, first 2 shown]
	; meta instruction
	; meta instruction
	;; [unrolled: 1-line block ×3, first 2 shown]
	flat_load_u16 v12, v[16:17] offset:384
	s_wait_loadcnt_dscnt 0x303
	v_fma_mix_f32 v13, v53, v61, v35 op_sel_hi:[0,1,0]
	s_wait_loadcnt_dscnt 0x202
	s_delay_alu instid0(VALU_DEP_1) | instskip(SKIP_1) | instid1(VALU_DEP_1)
	v_fma_mix_f32 v13, v54, v62, v13 op_sel_hi:[0,1,0]
	s_wait_loadcnt_dscnt 0x101
	v_fma_mix_f32 v13, v55, v63, v13 op_sel_hi:[0,1,0]
	s_wait_loadcnt_dscnt 0x0
	s_delay_alu instid0(VALU_DEP_1)
	v_fma_mix_f32 v35, v56, v12, v13 op_sel_hi:[0,1,0]
	s_branch .LBB434_20
.LBB434_29:                             ;   in Loop: Header=BB434_4 Depth=1
	s_or_b32 exec_lo, exec_lo, s43
.LBB434_30:                             ;   in Loop: Header=BB434_4 Depth=1
	s_delay_alu instid0(SALU_CYCLE_1) | instskip(NEXT) | instid1(SALU_CYCLE_1)
	s_or_b32 exec_lo, exec_lo, s7
	s_and_not1_b32 vcc_lo, exec_lo, s38
	s_cbranch_vccnz .LBB434_48
; %bb.31:                               ;   in Loop: Header=BB434_4 Depth=1
	v_cmp_gt_i32_e32 vcc_lo, s9, v36
	v_dual_mov_b32 v37, 0 :: v_dual_bitop2_b32 v12, 1, v36 bitop3:0x54
	v_dual_mov_b32 v38, 0 :: v_dual_mov_b32 v39, 0
	v_mov_b32_e32 v40, 0
	s_and_saveexec_b32 s43, vcc_lo
	s_cbranch_execz .LBB434_39
; %bb.32:                               ;   in Loop: Header=BB434_4 Depth=1
	v_mul_lo_u32 v13, v36, s35
	v_readfirstlane_b32 s44, v10
	v_readfirstlane_b32 s45, v11
	v_dual_mov_b32 v39, 0 :: v_dual_mov_b32 v38, 0
	v_mov_b32_e32 v37, 0
	flat_load_u16 v13, v13, s[44:45] scale_offset
	s_wait_xcnt 0x0
	s_mov_b32 s44, exec_lo
	v_cmpx_gt_i32_e64 s9, v12
	s_cbranch_execz .LBB434_38
; %bb.33:                               ;   in Loop: Header=BB434_4 Depth=1
	v_mul_lo_u32 v14, v12, s35
	v_readfirstlane_b32 s46, v10
	v_readfirstlane_b32 s47, v11
	v_dual_mov_b32 v38, 0 :: v_dual_bitop2_b32 v15, 2, v36 bitop3:0x54
	v_mov_b32_e32 v37, 0
	s_mov_b32 s45, exec_lo
	flat_load_u16 v14, v14, s[46:47] scale_offset
	s_wait_xcnt 0x0
	v_cmpx_gt_i32_e64 s9, v15
	s_cbranch_execz .LBB434_37
; %bb.34:                               ;   in Loop: Header=BB434_4 Depth=1
	v_mul_lo_u32 v15, v15, s35
	v_readfirstlane_b32 s46, v10
	v_readfirstlane_b32 s47, v11
	v_dual_mov_b32 v37, 0 :: v_dual_bitop2_b32 v16, 3, v36 bitop3:0x54
	flat_load_u16 v15, v15, s[46:47] scale_offset
	s_wait_xcnt 0x0
	s_mov_b32 s46, exec_lo
	v_cmpx_gt_i32_e64 s9, v16
	s_cbranch_execz .LBB434_36
; %bb.35:                               ;   in Loop: Header=BB434_4 Depth=1
	v_mul_lo_u32 v16, v16, s35
	v_readfirstlane_b32 s48, v10
	v_readfirstlane_b32 s49, v11
	flat_load_u16 v10, v16, s[48:49] scale_offset
	s_wait_loadcnt_dscnt 0x0
	v_cvt_f32_f16_e32 v37, v10
.LBB434_36:                             ;   in Loop: Header=BB434_4 Depth=1
	s_wait_xcnt 0x0
	s_or_b32 exec_lo, exec_lo, s46
	s_wait_loadcnt_dscnt 0x0
	v_cvt_f32_f16_e32 v38, v15
.LBB434_37:                             ;   in Loop: Header=BB434_4 Depth=1
	s_or_b32 exec_lo, exec_lo, s45
	s_wait_loadcnt_dscnt 0x0
	v_cvt_f32_f16_e32 v39, v14
.LBB434_38:                             ;   in Loop: Header=BB434_4 Depth=1
	s_or_b32 exec_lo, exec_lo, s44
	s_wait_loadcnt_dscnt 0x0
	v_cvt_f32_f16_e32 v40, v13
.LBB434_39:                             ;   in Loop: Header=BB434_4 Depth=1
	s_or_b32 exec_lo, exec_lo, s43
	s_and_saveexec_b32 s7, s1
	s_cbranch_execz .LBB434_47
; %bb.40:                               ;   in Loop: Header=BB434_4 Depth=1
	v_mul_lo_u32 v11, v36, s34
	v_mul_lo_u32 v14, v12, s34
	v_or_b32_e32 v10, 2, v36
	v_readfirstlane_b32 s44, v8
	v_readfirstlane_b32 s45, v9
	v_cndmask_b32_e32 v11, 0, v11, vcc_lo
	s_delay_alu instid0(VALU_DEP_4) | instskip(SKIP_2) | instid1(VALU_DEP_1)
	v_mul_lo_u32 v15, v10, s34
	v_cmp_gt_i32_e32 vcc_lo, s9, v12
	v_dual_cndmask_b32 v12, 0, v14, vcc_lo :: v_dual_bitop2_b32 v13, 3, v36 bitop3:0x54
	v_mul_lo_u32 v16, v13, s34
	v_cmp_gt_i32_e32 vcc_lo, s9, v10
	s_delay_alu instid0(VALU_DEP_3) | instskip(SKIP_2) | instid1(VALU_DEP_2)
	v_dual_add_nc_u32 v10, v11, v21 :: v_dual_add_nc_u32 v14, v12, v21
	v_cndmask_b32_e32 v15, 0, v15, vcc_lo
	v_cmp_gt_i32_e32 vcc_lo, s9, v13
	v_dual_cndmask_b32 v13, 0, v16 :: v_dual_add_nc_u32 v18, v15, v21
	s_delay_alu instid0(VALU_DEP_1)
	v_add_nc_u32_e32 v16, v13, v21
	s_clause 0x3
	flat_load_u16 v36, v10, s[44:45] scale_offset
	flat_load_u16 v41, v14, s[44:45] scale_offset
	;; [unrolled: 1-line block ×4, first 2 shown]
	s_wait_xcnt 0x0
	s_and_saveexec_b32 s43, s2
	s_cbranch_execz .LBB434_46
; %bb.41:                               ;   in Loop: Header=BB434_4 Depth=1
	v_dual_ashrrev_i32 v11, 31, v10 :: v_dual_ashrrev_i32 v17, 31, v16
	v_ashrrev_i32_e32 v15, 31, v14
	v_ashrrev_i32_e32 v19, 31, v18
	s_delay_alu instid0(VALU_DEP_3) | instskip(NEXT) | instid1(VALU_DEP_3)
	v_lshl_add_u64 v[12:13], v[10:11], 1, v[8:9]
	v_lshl_add_u64 v[10:11], v[14:15], 1, v[8:9]
	s_delay_alu instid0(VALU_DEP_3)
	v_lshl_add_u64 v[14:15], v[18:19], 1, v[8:9]
	v_lshl_add_u64 v[8:9], v[16:17], 1, v[8:9]
	s_clause 0x3
	flat_load_u16 v16, v[12:13] offset:128
	flat_load_u16 v17, v[10:11] offset:128
	;; [unrolled: 1-line block ×4, first 2 shown]
	s_wait_xcnt 0x0
	s_and_saveexec_b32 s44, s3
	s_cbranch_execz .LBB434_45
; %bb.42:                               ;   in Loop: Header=BB434_4 Depth=1
	s_clause 0x3
	flat_load_u16 v44, v[12:13] offset:256
	flat_load_u16 v45, v[10:11] offset:256
	;; [unrolled: 1-line block ×4, first 2 shown]
	s_wait_xcnt 0x0
	s_and_saveexec_b32 s45, s4
	s_cbranch_execz .LBB434_44
; %bb.43:                               ;   in Loop: Header=BB434_4 Depth=1
	s_clause 0x3
	flat_load_u16 v48, v[12:13] offset:384
	flat_load_u16 v49, v[10:11] offset:384
	;; [unrolled: 1-line block ×4, first 2 shown]
	s_wait_loadcnt_dscnt 0x303
	s_wait_xcnt 0x0
	v_fma_mix_f32 v8, v40, v48, v35 op_sel_hi:[0,1,0]
	s_wait_loadcnt_dscnt 0x202
	s_delay_alu instid0(VALU_DEP_1) | instskip(SKIP_1) | instid1(VALU_DEP_1)
	v_fma_mix_f32 v8, v39, v49, v8 op_sel_hi:[0,1,0]
	s_wait_loadcnt_dscnt 0x101
	v_fma_mix_f32 v8, v38, v50, v8 op_sel_hi:[0,1,0]
	s_wait_loadcnt_dscnt 0x0
	s_delay_alu instid0(VALU_DEP_1)
	v_fma_mix_f32 v35, v37, v51, v8 op_sel_hi:[0,1,0]
.LBB434_44:                             ;   in Loop: Header=BB434_4 Depth=1
	s_or_b32 exec_lo, exec_lo, s45
	s_wait_loadcnt_dscnt 0x303
	v_fma_mix_f32 v8, v40, v44, v34 op_sel_hi:[0,1,0]
	s_wait_loadcnt_dscnt 0x202
	s_delay_alu instid0(VALU_DEP_1) | instskip(SKIP_1) | instid1(VALU_DEP_1)
	v_fma_mix_f32 v8, v39, v45, v8 op_sel_hi:[0,1,0]
	s_wait_loadcnt_dscnt 0x101
	v_fma_mix_f32 v8, v38, v46, v8 op_sel_hi:[0,1,0]
	s_wait_loadcnt_dscnt 0x0
	s_delay_alu instid0(VALU_DEP_1)
	v_fma_mix_f32 v34, v37, v47, v8 op_sel_hi:[0,1,0]
.LBB434_45:                             ;   in Loop: Header=BB434_4 Depth=1
	s_or_b32 exec_lo, exec_lo, s44
	s_wait_loadcnt_dscnt 0x303
	v_fma_mix_f32 v8, v40, v16, v33 op_sel_hi:[0,1,0]
	s_wait_loadcnt_dscnt 0x202
	s_delay_alu instid0(VALU_DEP_1) | instskip(SKIP_1) | instid1(VALU_DEP_1)
	v_fma_mix_f32 v8, v39, v17, v8 op_sel_hi:[0,1,0]
	s_wait_loadcnt_dscnt 0x101
	v_fma_mix_f32 v8, v38, v18, v8 op_sel_hi:[0,1,0]
	s_wait_loadcnt_dscnt 0x0
	s_delay_alu instid0(VALU_DEP_1)
	v_fma_mix_f32 v33, v37, v19, v8 op_sel_hi:[0,1,0]
.LBB434_46:                             ;   in Loop: Header=BB434_4 Depth=1
	s_or_b32 exec_lo, exec_lo, s43
	s_wait_loadcnt_dscnt 0x303
	v_fma_mix_f32 v8, v40, v36, v32 op_sel_hi:[0,1,0]
	s_wait_loadcnt_dscnt 0x202
	s_delay_alu instid0(VALU_DEP_1) | instskip(SKIP_1) | instid1(VALU_DEP_1)
	v_fma_mix_f32 v8, v39, v41, v8 op_sel_hi:[0,1,0]
	s_wait_loadcnt_dscnt 0x101
	v_fma_mix_f32 v8, v38, v42, v8 op_sel_hi:[0,1,0]
	s_wait_loadcnt_dscnt 0x0
	s_delay_alu instid0(VALU_DEP_1)
	v_fma_mix_f32 v32, v37, v43, v8 op_sel_hi:[0,1,0]
.LBB434_47:                             ;   in Loop: Header=BB434_4 Depth=1
	s_or_b32 exec_lo, exec_lo, s7
.LBB434_48:                             ;   in Loop: Header=BB434_4 Depth=1
	ds_store_2addr_stride64_b32 v0, v32, v33 offset1:1
	ds_store_2addr_stride64_b32 v0, v34, v35 offset0:2 offset1:3
	s_wait_dscnt 0x0
	s_barrier_signal -1
	s_barrier_wait -1
                                        ; implicit-def: $vgpr12
	s_and_saveexec_b32 s7, s5
	s_cbranch_execz .LBB434_54
; %bb.49:                               ;   in Loop: Header=BB434_4 Depth=1
	ds_load_2addr_stride64_b32 v[8:9], v22 offset1:4
	ds_load_2addr_stride64_b32 v[10:11], v22 offset0:8 offset1:12
	ds_load_2addr_stride64_b32 v[12:13], v22 offset0:16 offset1:20
	s_mov_b32 s44, s8
	s_wait_dscnt 0x2
	v_add_f32_e32 v14, v8, v9
	ds_load_2addr_stride64_b32 v[8:9], v22 offset0:24 offset1:28
	s_wait_dscnt 0x2
	v_add_f32_e32 v10, v10, v14
	s_delay_alu instid0(VALU_DEP_1) | instskip(SKIP_3) | instid1(VALU_DEP_1)
	v_add_f32_e32 v14, v11, v10
	ds_load_2addr_stride64_b32 v[10:11], v22 offset0:32 offset1:36
	s_wait_dscnt 0x2
	v_add_f32_e32 v12, v12, v14
	v_add_f32_e32 v14, v13, v12
	ds_load_2addr_stride64_b32 v[12:13], v22 offset0:40 offset1:44
	s_wait_dscnt 0x2
	v_add_f32_e32 v8, v8, v14
	s_delay_alu instid0(VALU_DEP_1) | instskip(SKIP_1) | instid1(VALU_DEP_1)
	v_add_f32_e32 v8, v9, v8
	s_wait_dscnt 0x1
	v_add_f32_e32 v10, v10, v8
	ds_load_2addr_stride64_b32 v[8:9], v22 offset0:48 offset1:52
	v_add_f32_e32 v10, v11, v10
	s_wait_dscnt 0x1
	s_delay_alu instid0(VALU_DEP_1) | instskip(SKIP_3) | instid1(VALU_DEP_1)
	v_add_f32_e32 v12, v12, v10
	ds_load_2addr_stride64_b32 v[10:11], v22 offset0:56 offset1:60
	v_add_f32_e32 v12, v13, v12
	s_wait_dscnt 0x1
	v_add_f32_e32 v8, v8, v12
                                        ; implicit-def: $vgpr12
	s_delay_alu instid0(VALU_DEP_1) | instskip(SKIP_1) | instid1(VALU_DEP_1)
	v_add_f32_e32 v8, v9, v8
	s_wait_dscnt 0x0
	v_add_f32_e32 v8, v10, v8
	s_delay_alu instid0(VALU_DEP_1)
	v_add_f32_e32 v8, v11, v8
	ds_store_b32 v22, v8
	s_and_saveexec_b32 s43, s6
	s_cbranch_execz .LBB434_53
; %bb.50:                               ;   in Loop: Header=BB434_4 Depth=1
	v_mul_f32_e32 v8, v31, v8
	s_cmp_eq_f32 s42, 0
	s_cbranch_scc1 .LBB434_52
; %bb.51:                               ;   in Loop: Header=BB434_4 Depth=1
	v_lshl_add_u64 v[10:11], v[4:5], 1, v[6:7]
	flat_load_u16 v9, v[10:11]
	s_wait_loadcnt_dscnt 0x0
	v_fma_mix_f32 v8, s42, v9, v8 op_sel_hi:[0,1,0]
.LBB434_52:                             ;   in Loop: Header=BB434_4 Depth=1
	s_delay_alu instid0(VALU_DEP_1)
	v_cvt_f16_f32_e32 v12, v8
	s_or_b32 s44, s8, exec_lo
.LBB434_53:                             ;   in Loop: Header=BB434_4 Depth=1
	s_wait_xcnt 0x0
	s_or_b32 exec_lo, exec_lo, s43
	s_delay_alu instid0(SALU_CYCLE_1) | instskip(SKIP_1) | instid1(SALU_CYCLE_1)
	s_and_not1_b32 s8, s8, exec_lo
	s_and_b32 s42, s44, exec_lo
	s_or_b32 s8, s8, s42
.LBB434_54:                             ;   in Loop: Header=BB434_4 Depth=1
	s_or_b32 exec_lo, exec_lo, s7
	v_mov_b64_e32 v[8:9], v[4:5]
	s_and_saveexec_b32 s7, s8
	s_cbranch_execz .LBB434_2
.LBB434_55:                             ;   in Loop: Header=BB434_4 Depth=1
	s_delay_alu instid0(VALU_DEP_1)
	v_lshl_add_u64 v[6:7], v[8:9], 1, v[6:7]
	flat_store_b16 v[6:7], v12
	s_branch .LBB434_2
.LBB434_56:
	s_endpgm
	.section	.rodata,"a",@progbits
	.p2align	6, 0x0
	.amdhsa_kernel _ZL20rocblas_gemvn_kernelILi64ELi16EiPKDF16_PKfKPDF16_EviiT3_lPKT2_lT1_lS9_lSA_lS6_lPT4_lSA_li
		.amdhsa_group_segment_fixed_size 16384
		.amdhsa_private_segment_fixed_size 0
		.amdhsa_kernarg_size 400
		.amdhsa_user_sgpr_count 2
		.amdhsa_user_sgpr_dispatch_ptr 0
		.amdhsa_user_sgpr_queue_ptr 0
		.amdhsa_user_sgpr_kernarg_segment_ptr 1
		.amdhsa_user_sgpr_dispatch_id 0
		.amdhsa_user_sgpr_kernarg_preload_length 0
		.amdhsa_user_sgpr_kernarg_preload_offset 0
		.amdhsa_user_sgpr_private_segment_size 0
		.amdhsa_wavefront_size32 1
		.amdhsa_uses_dynamic_stack 0
		.amdhsa_enable_private_segment 0
		.amdhsa_system_sgpr_workgroup_id_x 1
		.amdhsa_system_sgpr_workgroup_id_y 0
		.amdhsa_system_sgpr_workgroup_id_z 1
		.amdhsa_system_sgpr_workgroup_info 0
		.amdhsa_system_vgpr_workitem_id 1
		.amdhsa_next_free_vgpr 64
		.amdhsa_next_free_sgpr 50
		.amdhsa_named_barrier_count 0
		.amdhsa_reserve_vcc 1
		.amdhsa_float_round_mode_32 0
		.amdhsa_float_round_mode_16_64 0
		.amdhsa_float_denorm_mode_32 3
		.amdhsa_float_denorm_mode_16_64 3
		.amdhsa_fp16_overflow 0
		.amdhsa_memory_ordered 1
		.amdhsa_forward_progress 1
		.amdhsa_inst_pref_size 25
		.amdhsa_round_robin_scheduling 0
		.amdhsa_exception_fp_ieee_invalid_op 0
		.amdhsa_exception_fp_denorm_src 0
		.amdhsa_exception_fp_ieee_div_zero 0
		.amdhsa_exception_fp_ieee_overflow 0
		.amdhsa_exception_fp_ieee_underflow 0
		.amdhsa_exception_fp_ieee_inexact 0
		.amdhsa_exception_int_div_zero 0
	.end_amdhsa_kernel
	.section	.text._ZL20rocblas_gemvn_kernelILi64ELi16EiPKDF16_PKfKPDF16_EviiT3_lPKT2_lT1_lS9_lSA_lS6_lPT4_lSA_li,"axG",@progbits,_ZL20rocblas_gemvn_kernelILi64ELi16EiPKDF16_PKfKPDF16_EviiT3_lPKT2_lT1_lS9_lSA_lS6_lPT4_lSA_li,comdat
.Lfunc_end434:
	.size	_ZL20rocblas_gemvn_kernelILi64ELi16EiPKDF16_PKfKPDF16_EviiT3_lPKT2_lT1_lS9_lSA_lS6_lPT4_lSA_li, .Lfunc_end434-_ZL20rocblas_gemvn_kernelILi64ELi16EiPKDF16_PKfKPDF16_EviiT3_lPKT2_lT1_lS9_lSA_lS6_lPT4_lSA_li
                                        ; -- End function
	.set _ZL20rocblas_gemvn_kernelILi64ELi16EiPKDF16_PKfKPDF16_EviiT3_lPKT2_lT1_lS9_lSA_lS6_lPT4_lSA_li.num_vgpr, 64
	.set _ZL20rocblas_gemvn_kernelILi64ELi16EiPKDF16_PKfKPDF16_EviiT3_lPKT2_lT1_lS9_lSA_lS6_lPT4_lSA_li.num_agpr, 0
	.set _ZL20rocblas_gemvn_kernelILi64ELi16EiPKDF16_PKfKPDF16_EviiT3_lPKT2_lT1_lS9_lSA_lS6_lPT4_lSA_li.numbered_sgpr, 50
	.set _ZL20rocblas_gemvn_kernelILi64ELi16EiPKDF16_PKfKPDF16_EviiT3_lPKT2_lT1_lS9_lSA_lS6_lPT4_lSA_li.num_named_barrier, 0
	.set _ZL20rocblas_gemvn_kernelILi64ELi16EiPKDF16_PKfKPDF16_EviiT3_lPKT2_lT1_lS9_lSA_lS6_lPT4_lSA_li.private_seg_size, 0
	.set _ZL20rocblas_gemvn_kernelILi64ELi16EiPKDF16_PKfKPDF16_EviiT3_lPKT2_lT1_lS9_lSA_lS6_lPT4_lSA_li.uses_vcc, 1
	.set _ZL20rocblas_gemvn_kernelILi64ELi16EiPKDF16_PKfKPDF16_EviiT3_lPKT2_lT1_lS9_lSA_lS6_lPT4_lSA_li.uses_flat_scratch, 1
	.set _ZL20rocblas_gemvn_kernelILi64ELi16EiPKDF16_PKfKPDF16_EviiT3_lPKT2_lT1_lS9_lSA_lS6_lPT4_lSA_li.has_dyn_sized_stack, 0
	.set _ZL20rocblas_gemvn_kernelILi64ELi16EiPKDF16_PKfKPDF16_EviiT3_lPKT2_lT1_lS9_lSA_lS6_lPT4_lSA_li.has_recursion, 0
	.set _ZL20rocblas_gemvn_kernelILi64ELi16EiPKDF16_PKfKPDF16_EviiT3_lPKT2_lT1_lS9_lSA_lS6_lPT4_lSA_li.has_indirect_call, 0
	.section	.AMDGPU.csdata,"",@progbits
; Kernel info:
; codeLenInByte = 3180
; TotalNumSgprs: 52
; NumVgprs: 64
; ScratchSize: 0
; MemoryBound: 0
; FloatMode: 240
; IeeeMode: 1
; LDSByteSize: 16384 bytes/workgroup (compile time only)
; SGPRBlocks: 0
; VGPRBlocks: 3
; NumSGPRsForWavesPerEU: 52
; NumVGPRsForWavesPerEU: 64
; NamedBarCnt: 0
; Occupancy: 16
; WaveLimiterHint : 1
; COMPUTE_PGM_RSRC2:SCRATCH_EN: 0
; COMPUTE_PGM_RSRC2:USER_SGPR: 2
; COMPUTE_PGM_RSRC2:TRAP_HANDLER: 0
; COMPUTE_PGM_RSRC2:TGID_X_EN: 1
; COMPUTE_PGM_RSRC2:TGID_Y_EN: 0
; COMPUTE_PGM_RSRC2:TGID_Z_EN: 1
; COMPUTE_PGM_RSRC2:TIDIG_COMP_CNT: 1
	.section	.text._ZL20rocblas_gemvn_kernelILi64ELi16ElPKDF16_PKfKPDF16_EviiT3_lPKT2_lT1_lS9_lSA_lS6_lPT4_lSA_li,"axG",@progbits,_ZL20rocblas_gemvn_kernelILi64ELi16ElPKDF16_PKfKPDF16_EviiT3_lPKT2_lT1_lS9_lSA_lS6_lPT4_lSA_li,comdat
	.globl	_ZL20rocblas_gemvn_kernelILi64ELi16ElPKDF16_PKfKPDF16_EviiT3_lPKT2_lT1_lS9_lSA_lS6_lPT4_lSA_li ; -- Begin function _ZL20rocblas_gemvn_kernelILi64ELi16ElPKDF16_PKfKPDF16_EviiT3_lPKT2_lT1_lS9_lSA_lS6_lPT4_lSA_li
	.p2align	8
	.type	_ZL20rocblas_gemvn_kernelILi64ELi16ElPKDF16_PKfKPDF16_EviiT3_lPKT2_lT1_lS9_lSA_lS6_lPT4_lSA_li,@function
_ZL20rocblas_gemvn_kernelILi64ELi16ElPKDF16_PKfKPDF16_EviiT3_lPKT2_lT1_lS9_lSA_lS6_lPT4_lSA_li: ; @_ZL20rocblas_gemvn_kernelILi64ELi16ElPKDF16_PKfKPDF16_EviiT3_lPKT2_lT1_lS9_lSA_lS6_lPT4_lSA_li
; %bb.0:
	s_clause 0x1
	s_load_b64 s[4:5], s[0:1], 0x9c
	s_load_b32 s33, s[0:1], 0x88
	s_bfe_u32 s2, ttmp6, 0x40014
	s_lshr_b32 s3, ttmp7, 16
	s_add_co_i32 s2, s2, 1
	s_bfe_u32 s6, ttmp6, 0x40008
	s_mul_i32 s7, s3, s2
	s_getreg_b32 s2, hwreg(HW_REG_IB_STS2, 6, 4)
	s_add_co_i32 s6, s6, s7
	s_mov_b32 s11, 0
	s_wait_kmcnt 0x0
	s_lshr_b32 s7, s4, 16
	s_and_b32 s4, s4, 0xffff
	s_and_b32 s5, s5, 0xffff
	s_mul_i32 s4, s7, s4
	s_cmp_eq_u32 s2, 0
	s_mul_i32 s4, s4, s5
	s_cselect_b32 s10, s3, s6
	s_cmp_lg_u32 s4, 0x400
	s_cselect_b32 s3, -1, 0
	s_cmp_ge_u32 s10, s33
	s_cselect_b32 s4, -1, 0
	s_delay_alu instid0(SALU_CYCLE_1) | instskip(NEXT) | instid1(SALU_CYCLE_1)
	s_or_b32 s3, s3, s4
	s_and_b32 vcc_lo, exec_lo, s3
	s_cbranch_vccnz .LBB435_56
; %bb.1:
	s_clause 0x2
	s_load_b64 s[34:35], s[0:1], 0x0
	s_load_b64 s[36:37], s[0:1], 0x28
	;; [unrolled: 1-line block ×3, first 2 shown]
	s_bfe_u32 s3, ttmp6, 0x4000c
	v_and_b32_e32 v28, 0x3ff, v0
	s_add_co_i32 s3, s3, 1
	v_bfe_u32 v6, v0, 10, 10
	s_clause 0x1
	s_load_b64 s[38:39], s[0:1], 0x48
	s_load_b128 s[28:31], s[0:1], 0x38
	s_and_b32 s6, ttmp6, 15
	s_mul_i32 s3, ttmp9, s3
	v_lshl_add_u32 v29, v6, 6, v28
	s_add_co_i32 s6, s6, s3
	s_cmp_eq_u32 s2, 0
	s_load_b256 s[12:19], s[0:1], 0x8
	s_cselect_b32 s2, ttmp9, s6
	s_load_b256 s[20:27], s[0:1], 0x58
	s_lshl_b32 s6, s2, 8
	s_delay_alu instid0(SALU_CYCLE_1)
	v_dual_mov_b32 v1, 0 :: v_dual_add_nc_u32 v0, s6, v29
	v_lshlrev_b32_e32 v48, 2, v6
	s_wait_kmcnt 0x0
	s_ashr_i32 s3, s34, 31
	s_mov_b32 s2, s34
	v_mov_b32_e32 v7, v1
	v_cmp_gt_i64_e32 vcc_lo, s[2:3], v[0:1]
	v_mul_u64_e32 v[2:3], s[4:5], v[0:1]
	v_dual_add_nc_u32 v14, s6, v28 :: v_dual_bitop2_b32 v16, s6, v29 bitop3:0x54
	v_or_b32_e32 v0, 3, v48
	v_mul_u64_e32 v[8:9], s[38:39], v[6:7]
	v_mul_u64_e32 v[18:19], s[36:37], v[6:7]
	s_delay_alu instid0(VALU_DEP_4) | instskip(NEXT) | instid1(VALU_DEP_4)
	v_dual_ashrrev_i32 v15, 31, v14 :: v_dual_ashrrev_i32 v17, 31, v16
	v_mul_u64_e32 v[10:11], s[36:37], v[0:1]
	v_mul_u64_e32 v[12:13], s[38:39], v[0:1]
	v_or_b32_e32 v0, 2, v48
	v_mad_nc_u64_u32 v[24:25], s38, v48, s[38:39]
	v_mul_u64_e32 v[4:5], s[4:5], v[16:17]
	v_mad_nc_u64_u32 v[26:27], s36, v48, s[36:37]
	s_ashr_i32 s2, s35, 31
	v_mul_u64_e32 v[20:21], s[36:37], v[0:1]
	v_mul_u64_e32 v[22:23], s[38:39], v[0:1]
	v_add_nc_u32_e32 v0, 64, v14
	s_lshr_b32 s2, s2, 26
	v_add_nc_u32_e32 v7, 0xc0, v14
	s_add_co_i32 s44, s35, s2
	v_lshlrev_b32_e32 v17, 2, v28
	v_mad_u32 v25, s39, v48, v25
	s_and_not1_b32 s44, s44, 63
	v_mad_u32 v27, s37, v48, v27
	v_cmp_gt_i32_e64 s2, s34, v0
	v_add_nc_u32_e32 v0, 0x80, v14
	s_sub_co_i32 s6, s35, s44
	v_cmp_gt_i32_e64 s1, s34, v14
	s_cmp_gt_i32 s6, 0
	v_cmp_gt_i32_e64 s4, s34, v7
	v_lshl_add_u32 v49, v6, 10, v17
	v_cmp_gt_u32_e64 s5, 0x100, v29
	v_lshl_add_u32 v50, v6, 8, v17
	v_cmp_gt_i32_e64 s6, s34, v16
	v_cmp_gt_i32_e64 s0, s44, v48
	v_lshlrev_b64_e32 v[6:7], 3, v[8:9]
	v_lshlrev_b64_e32 v[8:9], 1, v[14:15]
	;; [unrolled: 1-line block ×3, first 2 shown]
	v_cmp_gt_i32_e64 s3, s34, v0
	v_lshlrev_b64_e32 v[10:11], 1, v[10:11]
	v_lshlrev_b64_e32 v[12:13], 1, v[12:13]
	s_cselect_b32 s45, -1, 0
	s_and_b32 s34, s5, vcc_lo
	s_lshl_b64 s[40:41], s[38:39], 7
	s_lshl_b64 s[42:43], s[36:37], 7
	;; [unrolled: 1-line block ×3, first 2 shown]
	v_lshlrev_b64_e32 v[16:17], 1, v[20:21]
	v_lshlrev_b64_e32 v[18:19], 1, v[22:23]
	;; [unrolled: 1-line block ×4, first 2 shown]
	s_lshl_b64 s[30:31], s[30:31], 1
	s_lshl_b64 s[26:27], s[26:27], 1
	s_branch .LBB435_4
.LBB435_2:                              ;   in Loop: Header=BB435_4 Depth=1
	s_wait_xcnt 0x0
	s_or_b32 exec_lo, exec_lo, s7
.LBB435_3:                              ;   in Loop: Header=BB435_4 Depth=1
	s_add_co_i32 s10, s10, 0x10000
	s_delay_alu instid0(SALU_CYCLE_1)
	s_cmp_lt_u32 s10, s33
	s_cbranch_scc0 .LBB435_56
.LBB435_4:                              ; =>This Loop Header: Depth=1
                                        ;     Child Loop BB435_24 Depth 2
	s_mul_u64 s[8:9], s[14:15], s[10:11]
	s_mul_u64 s[46:47], s[22:23], s[10:11]
	s_lshl_b64 s[8:9], s[8:9], 2
	s_lshl_b64 s[46:47], s[46:47], 2
	s_add_nc_u64 s[8:9], s[12:13], s[8:9]
	s_add_nc_u64 s[46:47], s[20:21], s[46:47]
	s_clause 0x1
	global_load_b32 v51, v1, s[8:9]
	global_load_b32 v0, v1, s[46:47]
	s_wait_loadcnt 0x1
	v_cmp_eq_f32_e64 s7, 0, v51
	s_wait_loadcnt 0x0
	v_cmp_eq_f32_e32 vcc_lo, 1.0, v0
	s_wait_xcnt 0x0
	v_readfirstlane_b32 s46, v0
	s_and_b32 s8, s7, vcc_lo
	s_delay_alu instid0(SALU_CYCLE_1)
	s_and_b32 vcc_lo, exec_lo, s8
	s_cbranch_vccnz .LBB435_3
; %bb.5:                                ;   in Loop: Header=BB435_4 Depth=1
	v_mov_b64_e32 v[28:29], 0
	v_mov_b64_e32 v[26:27], 0
	v_cmp_neq_f32_e64 s8, 0, v51
	s_and_b32 vcc_lo, exec_lo, s7
	s_cbranch_vccnz .LBB435_7
; %bb.6:                                ;   in Loop: Header=BB435_4 Depth=1
	s_lshl_b64 s[48:49], s[10:11], 3
	s_delay_alu instid0(SALU_CYCLE_1)
	s_add_nc_u64 s[48:49], s[16:17], s[48:49]
	global_load_b64 v[24:25], v1, s[48:49]
	s_wait_loadcnt 0x0
	v_add_nc_u64_e32 v[26:27], s[18:19], v[24:25]
.LBB435_7:                              ;   in Loop: Header=BB435_4 Depth=1
	s_and_not1_b32 vcc_lo, exec_lo, s8
	s_cbranch_vccnz .LBB435_9
; %bb.8:                                ;   in Loop: Header=BB435_4 Depth=1
	s_lshl_b64 s[8:9], s[10:11], 3
	s_delay_alu instid0(SALU_CYCLE_1)
	s_add_nc_u64 s[8:9], s[28:29], s[8:9]
	global_load_b64 v[24:25], v1, s[8:9]
	s_wait_loadcnt 0x0
	v_add_nc_u64_e32 v[28:29], s[30:31], v[24:25]
.LBB435_9:                              ;   in Loop: Header=BB435_4 Depth=1
	s_wait_xcnt 0x0
	s_lshl_b64 s[8:9], s[10:11], 3
	s_and_not1_b32 vcc_lo, exec_lo, s7
	s_add_nc_u64 s[8:9], s[24:25], s[8:9]
	global_load_b64 v[24:25], v1, s[8:9]
	s_wait_loadcnt 0x0
	v_add_nc_u64_e32 v[24:25], s[26:27], v[24:25]
	s_cbranch_vccnz .LBB435_13
; %bb.10:                               ;   in Loop: Header=BB435_4 Depth=1
	s_mov_b32 s7, 0
	s_mov_b32 s47, 0
                                        ; implicit-def: $vgpr0
	s_wait_xcnt 0x0
	s_and_saveexec_b32 s8, s34
	s_cbranch_execz .LBB435_14
; %bb.11:                               ;   in Loop: Header=BB435_4 Depth=1
	s_cmp_eq_f32 s46, 0
	s_cbranch_scc1 .LBB435_16
; %bb.12:                               ;   in Loop: Header=BB435_4 Depth=1
	v_lshl_add_u64 v[30:31], v[2:3], 1, v[24:25]
	flat_load_u16 v0, v[30:31]
	s_wait_loadcnt_dscnt 0x0
	v_fma_mixlo_f16 v0, s46, v0, 0 op_sel_hi:[0,1,0]
	s_branch .LBB435_17
.LBB435_13:                             ;   in Loop: Header=BB435_4 Depth=1
	s_mov_b32 s47, 0
                                        ; implicit-def: $vgpr0
	s_cbranch_execz .LBB435_15
	s_branch .LBB435_18
.LBB435_14:                             ;   in Loop: Header=BB435_4 Depth=1
	s_or_b32 exec_lo, exec_lo, s8
	s_delay_alu instid0(SALU_CYCLE_1)
	s_and_b32 vcc_lo, exec_lo, s7
	s_cbranch_vccnz .LBB435_18
.LBB435_15:                             ;   in Loop: Header=BB435_4 Depth=1
	v_mov_b64_e32 v[26:27], v[2:3]
	s_wait_xcnt 0x0
	s_and_saveexec_b32 s7, s47
	s_cbranch_execz .LBB435_2
	s_branch .LBB435_55
.LBB435_16:                             ;   in Loop: Header=BB435_4 Depth=1
	v_mov_b32_e32 v0, 0
.LBB435_17:                             ;   in Loop: Header=BB435_4 Depth=1
	s_mov_b32 s47, exec_lo
	s_wait_xcnt 0x0
	s_or_b32 exec_lo, exec_lo, s8
	s_delay_alu instid0(SALU_CYCLE_1)
	s_and_b32 vcc_lo, exec_lo, s7
	s_cbranch_vccz .LBB435_15
.LBB435_18:                             ;   in Loop: Header=BB435_4 Depth=1
	v_dual_mov_b32 v52, 0 :: v_dual_mov_b32 v0, v48
	v_dual_mov_b32 v53, 0 :: v_dual_mov_b32 v54, 0
	v_mov_b32_e32 v55, 0
	s_wait_xcnt 0x0
	s_and_saveexec_b32 s7, s0
	s_cbranch_execz .LBB435_30
; %bb.19:                               ;   in Loop: Header=BB435_4 Depth=1
	v_add_nc_u64_e32 v[30:31], v[26:27], v[10:11]
	v_add_nc_u64_e32 v[32:33], v[26:27], v[14:15]
	;; [unrolled: 1-line block ×4, first 2 shown]
	v_mov_b64_e32 v[38:39], v[28:29]
	v_dual_mov_b32 v52, 0 :: v_dual_mov_b32 v0, v48
	v_dual_mov_b32 v53, 0 :: v_dual_mov_b32 v54, 0
	v_mov_b32_e32 v55, 0
	s_mov_b32 s8, 0
	s_branch .LBB435_24
.LBB435_20:                             ;   in Loop: Header=BB435_24 Depth=2
	s_wait_xcnt 0x0
	s_or_b32 exec_lo, exec_lo, s50
	s_wait_loadcnt_dscnt 0x303
	v_fma_mix_f32 v40, v68, v72, v54 op_sel_hi:[0,1,0]
	s_wait_loadcnt_dscnt 0x202
	s_delay_alu instid0(VALU_DEP_1) | instskip(SKIP_1) | instid1(VALU_DEP_1)
	v_fma_mix_f32 v40, v69, v73, v40 op_sel_hi:[0,1,0]
	s_wait_loadcnt_dscnt 0x101
	v_fma_mix_f32 v40, v70, v74, v40 op_sel_hi:[0,1,0]
	s_wait_loadcnt_dscnt 0x0
	s_delay_alu instid0(VALU_DEP_1)
	v_fma_mix_f32 v54, v71, v75, v40 op_sel_hi:[0,1,0]
.LBB435_21:                             ;   in Loop: Header=BB435_24 Depth=2
	s_or_b32 exec_lo, exec_lo, s49
	s_wait_loadcnt_dscnt 0x303
	v_fma_mix_f32 v40, v68, v64, v53 op_sel_hi:[0,1,0]
	s_wait_loadcnt_dscnt 0x202
	s_delay_alu instid0(VALU_DEP_1) | instskip(SKIP_1) | instid1(VALU_DEP_1)
	v_fma_mix_f32 v40, v69, v65, v40 op_sel_hi:[0,1,0]
	s_wait_loadcnt_dscnt 0x101
	v_fma_mix_f32 v40, v70, v66, v40 op_sel_hi:[0,1,0]
	s_wait_loadcnt_dscnt 0x0
	s_delay_alu instid0(VALU_DEP_1)
	v_fma_mix_f32 v53, v71, v67, v40 op_sel_hi:[0,1,0]
.LBB435_22:                             ;   in Loop: Header=BB435_24 Depth=2
	s_or_b32 exec_lo, exec_lo, s48
	s_wait_loadcnt_dscnt 0x303
	v_fma_mix_f32 v40, v56, v60, v52 op_sel_hi:[1,1,0]
	s_wait_loadcnt_dscnt 0x202
	s_delay_alu instid0(VALU_DEP_1) | instskip(SKIP_1) | instid1(VALU_DEP_1)
	v_fma_mix_f32 v40, v57, v61, v40 op_sel_hi:[1,1,0]
	s_wait_loadcnt_dscnt 0x101
	v_fma_mix_f32 v40, v58, v62, v40 op_sel_hi:[1,1,0]
	s_wait_loadcnt_dscnt 0x0
	s_delay_alu instid0(VALU_DEP_1)
	v_fma_mix_f32 v52, v59, v63, v40 op_sel_hi:[1,1,0]
.LBB435_23:                             ;   in Loop: Header=BB435_24 Depth=2
	s_or_b32 exec_lo, exec_lo, s9
	v_add_nc_u32_e32 v0, 64, v0
	v_add_nc_u64_e32 v[38:39], s[40:41], v[38:39]
	v_add_nc_u64_e32 v[30:31], s[42:43], v[30:31]
	;; [unrolled: 1-line block ×4, first 2 shown]
	v_cmp_le_i32_e32 vcc_lo, s44, v0
	v_add_nc_u64_e32 v[36:37], s[42:43], v[36:37]
	s_or_b32 s8, vcc_lo, s8
	s_delay_alu instid0(SALU_CYCLE_1)
	s_and_not1_b32 exec_lo, exec_lo, s8
	s_cbranch_execz .LBB435_29
.LBB435_24:                             ;   Parent Loop BB435_4 Depth=1
                                        ; =>  This Inner Loop Header: Depth=2
	s_and_saveexec_b32 s9, s1
	s_cbranch_execz .LBB435_23
; %bb.25:                               ;   in Loop: Header=BB435_24 Depth=2
	v_add_nc_u64_e32 v[56:57], v[38:39], v[6:7]
	v_add_nc_u64_e32 v[58:59], v[38:39], v[20:21]
	;; [unrolled: 1-line block ×8, first 2 shown]
	s_clause 0x3
	flat_load_u16 v56, v[56:57]
	flat_load_u16 v57, v[58:59]
	;; [unrolled: 1-line block ×4, first 2 shown]
                                        ; kill: killed $vgpr62_vgpr63
                                        ; kill: killed $vgpr60_vgpr61
	flat_load_u16 v60, v[40:41]
	flat_load_u16 v61, v[42:43]
	;; [unrolled: 1-line block ×4, first 2 shown]
	s_wait_xcnt 0x0
	s_and_saveexec_b32 s48, s2
	s_cbranch_execz .LBB435_22
; %bb.26:                               ;   in Loop: Header=BB435_24 Depth=2
	flat_load_u16 v64, v[40:41] offset:128
	flat_load_u16 v65, v[42:43] offset:128
	;; [unrolled: 1-line block ×4, first 2 shown]
	s_wait_loadcnt_dscnt 0xb0b
	v_cvt_f32_f16_e32 v68, v56
	s_wait_loadcnt_dscnt 0xa0a
	v_cvt_f32_f16_e32 v69, v57
	;; [unrolled: 2-line block ×4, first 2 shown]
	s_wait_xcnt 0x0
	s_and_saveexec_b32 s49, s3
	s_cbranch_execz .LBB435_21
; %bb.27:                               ;   in Loop: Header=BB435_24 Depth=2
	flat_load_u16 v72, v[40:41] offset:256
	flat_load_u16 v73, v[42:43] offset:256
	;; [unrolled: 1-line block ×4, first 2 shown]
	s_wait_xcnt 0x0
	s_and_saveexec_b32 s50, s4
	s_cbranch_execz .LBB435_20
; %bb.28:                               ;   in Loop: Header=BB435_24 Depth=2
	flat_load_u16 v40, v[40:41] offset:384
	flat_load_u16 v41, v[42:43] offset:384
	;; [unrolled: 1-line block ×4, first 2 shown]
	s_wait_loadcnt_dscnt 0x303
	v_fma_mix_f32 v40, v68, v40, v55 op_sel_hi:[0,1,0]
	s_wait_loadcnt_dscnt 0x202
	s_delay_alu instid0(VALU_DEP_1) | instskip(SKIP_1) | instid1(VALU_DEP_1)
	v_fma_mix_f32 v40, v69, v41, v40 op_sel_hi:[0,1,0]
	s_wait_loadcnt_dscnt 0x101
	v_fma_mix_f32 v40, v70, v42, v40 op_sel_hi:[0,1,0]
	s_wait_loadcnt_dscnt 0x0
	s_delay_alu instid0(VALU_DEP_1)
	v_fma_mix_f32 v55, v71, v43, v40 op_sel_hi:[0,1,0]
	s_branch .LBB435_20
.LBB435_29:                             ;   in Loop: Header=BB435_4 Depth=1
	s_or_b32 exec_lo, exec_lo, s8
.LBB435_30:                             ;   in Loop: Header=BB435_4 Depth=1
	s_delay_alu instid0(SALU_CYCLE_1) | instskip(NEXT) | instid1(SALU_CYCLE_1)
	s_or_b32 exec_lo, exec_lo, s7
	s_and_not1_b32 vcc_lo, exec_lo, s45
	s_cbranch_vccnz .LBB435_48
; %bb.31:                               ;   in Loop: Header=BB435_4 Depth=1
	v_cmp_gt_i32_e32 vcc_lo, s35, v0
	v_dual_mov_b32 v34, 0 :: v_dual_bitop2_b32 v30, 1, v0 bitop3:0x54
	v_dual_mov_b32 v35, 0 :: v_dual_mov_b32 v36, 0
	v_mov_b32_e32 v37, 0
	s_and_saveexec_b32 s8, vcc_lo
	s_cbranch_execz .LBB435_39
; %bb.32:                               ;   in Loop: Header=BB435_4 Depth=1
	v_mul_u64_e32 v[32:33], s[38:39], v[0:1]
	v_dual_mov_b32 v36, 0 :: v_dual_mov_b32 v35, 0
	v_mov_b32_e32 v34, 0
	s_mov_b32 s9, exec_lo
	s_delay_alu instid0(VALU_DEP_3)
	v_lshl_add_u64 v[32:33], v[32:33], 1, v[28:29]
	flat_load_u16 v37, v[32:33]
	s_wait_xcnt 0x0
	v_cmpx_gt_i32_e64 s35, v30
	s_cbranch_execz .LBB435_38
; %bb.33:                               ;   in Loop: Header=BB435_4 Depth=1
	v_dual_mov_b32 v31, v1 :: v_dual_mov_b32 v35, 0
	v_mov_b32_e32 v34, 0
	s_mov_b32 s48, exec_lo
	s_delay_alu instid0(VALU_DEP_2) | instskip(NEXT) | instid1(VALU_DEP_1)
	v_mul_u64_e32 v[32:33], s[38:39], v[30:31]
	v_lshl_add_u64 v[32:33], v[32:33], 1, v[28:29]
	flat_load_u16 v31, v[32:33]
	s_wait_xcnt 0x0
	v_or_b32_e32 v32, 2, v0
	s_delay_alu instid0(VALU_DEP_1)
	v_cmpx_gt_i32_e64 s35, v32
	s_cbranch_execz .LBB435_37
; %bb.34:                               ;   in Loop: Header=BB435_4 Depth=1
	v_dual_mov_b32 v33, v1 :: v_dual_mov_b32 v34, 0
	s_mov_b32 s49, exec_lo
	s_delay_alu instid0(VALU_DEP_1) | instskip(NEXT) | instid1(VALU_DEP_1)
	v_mul_u64_e32 v[32:33], s[38:39], v[32:33]
	v_lshl_add_u64 v[32:33], v[32:33], 1, v[28:29]
	flat_load_u16 v35, v[32:33]
	s_wait_xcnt 0x0
	v_or_b32_e32 v32, 3, v0
	s_delay_alu instid0(VALU_DEP_1)
	v_cmpx_gt_i32_e64 s35, v32
	s_cbranch_execz .LBB435_36
; %bb.35:                               ;   in Loop: Header=BB435_4 Depth=1
	v_mov_b32_e32 v33, v1
	s_delay_alu instid0(VALU_DEP_1) | instskip(NEXT) | instid1(VALU_DEP_1)
	v_mul_u64_e32 v[32:33], s[38:39], v[32:33]
	v_lshl_add_u64 v[28:29], v[32:33], 1, v[28:29]
	flat_load_u16 v28, v[28:29]
	s_wait_loadcnt_dscnt 0x0
	v_cvt_f32_f16_e32 v34, v28
.LBB435_36:                             ;   in Loop: Header=BB435_4 Depth=1
	s_wait_xcnt 0x0
	s_or_b32 exec_lo, exec_lo, s49
	s_wait_loadcnt_dscnt 0x0
	v_cvt_f32_f16_e32 v35, v35
.LBB435_37:                             ;   in Loop: Header=BB435_4 Depth=1
	s_or_b32 exec_lo, exec_lo, s48
	s_wait_loadcnt_dscnt 0x0
	v_cvt_f32_f16_e32 v36, v31
.LBB435_38:                             ;   in Loop: Header=BB435_4 Depth=1
	s_or_b32 exec_lo, exec_lo, s9
	s_wait_loadcnt_dscnt 0x0
	v_cvt_f32_f16_e32 v37, v37
.LBB435_39:                             ;   in Loop: Header=BB435_4 Depth=1
	s_or_b32 exec_lo, exec_lo, s8
	s_and_saveexec_b32 s48, s1
	s_cbranch_execz .LBB435_47
; %bb.40:                               ;   in Loop: Header=BB435_4 Depth=1
	v_dual_mov_b32 v31, v1 :: v_dual_bitop2_b32 v28, 2, v0 bitop3:0x54
	v_mov_b32_e32 v29, v1
	v_mul_u64_e32 v[32:33], s[36:37], v[0:1]
	v_or_b32_e32 v0, 3, v0
	s_delay_alu instid0(VALU_DEP_4)
	v_mul_u64_e32 v[38:39], s[36:37], v[30:31]
	v_cmp_gt_i32_e64 s7, s35, v30
	v_mul_u64_e32 v[40:41], s[36:37], v[28:29]
	v_cmp_gt_i32_e64 s8, s35, v28
	;; [unrolled: 2-line block ×3, first 2 shown]
	v_dual_cndmask_b32 v29, 0, v33 :: v_dual_cndmask_b32 v28, 0, v32
	v_dual_cndmask_b32 v31, 0, v39, s7 :: v_dual_cndmask_b32 v30, 0, v38, s7
	v_dual_cndmask_b32 v33, 0, v41, s8 :: v_dual_cndmask_b32 v32, 0, v40, s8
	s_delay_alu instid0(VALU_DEP_4) | instskip(NEXT) | instid1(VALU_DEP_4)
	v_dual_cndmask_b32 v39, 0, v43, s9 :: v_dual_cndmask_b32 v38, 0, v42, s9
	v_lshl_add_u64 v[28:29], v[28:29], 1, v[26:27]
	s_delay_alu instid0(VALU_DEP_4) | instskip(NEXT) | instid1(VALU_DEP_4)
	v_lshl_add_u64 v[40:41], v[30:31], 1, v[26:27]
	v_lshl_add_u64 v[32:33], v[32:33], 1, v[26:27]
	s_delay_alu instid0(VALU_DEP_4) | instskip(NEXT) | instid1(VALU_DEP_4)
	v_lshl_add_u64 v[38:39], v[38:39], 1, v[26:27]
	v_add_nc_u64_e32 v[30:31], v[28:29], v[8:9]
	s_delay_alu instid0(VALU_DEP_4) | instskip(NEXT) | instid1(VALU_DEP_4)
	v_add_nc_u64_e32 v[26:27], v[40:41], v[8:9]
	v_add_nc_u64_e32 v[28:29], v[32:33], v[8:9]
	s_delay_alu instid0(VALU_DEP_4)
	v_add_nc_u64_e32 v[32:33], v[38:39], v[8:9]
	s_clause 0x3
	flat_load_u16 v0, v[30:31]
	flat_load_u16 v38, v[26:27]
	;; [unrolled: 1-line block ×4, first 2 shown]
	s_wait_xcnt 0x0
	s_and_saveexec_b32 s7, s2
	s_cbranch_execz .LBB435_46
; %bb.41:                               ;   in Loop: Header=BB435_4 Depth=1
	s_clause 0x3
	flat_load_u16 v41, v[30:31] offset:128
	flat_load_u16 v42, v[26:27] offset:128
	flat_load_u16 v43, v[28:29] offset:128
	flat_load_u16 v44, v[32:33] offset:128
	s_wait_xcnt 0x0
	s_and_saveexec_b32 s8, s3
	s_cbranch_execz .LBB435_45
; %bb.42:                               ;   in Loop: Header=BB435_4 Depth=1
	s_clause 0x3
	flat_load_u16 v45, v[30:31] offset:256
	flat_load_u16 v46, v[26:27] offset:256
	flat_load_u16 v47, v[28:29] offset:256
	flat_load_u16 v56, v[32:33] offset:256
	;; [unrolled: 9-line block ×3, first 2 shown]
	s_wait_loadcnt_dscnt 0x303
	s_wait_xcnt 0x2
	v_fma_mix_f32 v26, v37, v57, v55 op_sel_hi:[0,1,0]
	s_wait_loadcnt_dscnt 0x202
	s_delay_alu instid0(VALU_DEP_1) | instskip(SKIP_1) | instid1(VALU_DEP_1)
	v_fma_mix_f32 v26, v36, v58, v26 op_sel_hi:[0,1,0]
	s_wait_loadcnt_dscnt 0x101
	v_fma_mix_f32 v26, v35, v59, v26 op_sel_hi:[0,1,0]
	s_wait_loadcnt_dscnt 0x0
	s_delay_alu instid0(VALU_DEP_1)
	v_fma_mix_f32 v55, v34, v60, v26 op_sel_hi:[0,1,0]
.LBB435_44:                             ;   in Loop: Header=BB435_4 Depth=1
	s_wait_xcnt 0x0
	s_or_b32 exec_lo, exec_lo, s9
	s_wait_loadcnt_dscnt 0x303
	v_fma_mix_f32 v26, v37, v45, v54 op_sel_hi:[0,1,0]
	s_wait_loadcnt_dscnt 0x202
	s_delay_alu instid0(VALU_DEP_1) | instskip(SKIP_1) | instid1(VALU_DEP_1)
	v_fma_mix_f32 v26, v36, v46, v26 op_sel_hi:[0,1,0]
	s_wait_loadcnt_dscnt 0x101
	v_fma_mix_f32 v26, v35, v47, v26 op_sel_hi:[0,1,0]
	s_wait_loadcnt_dscnt 0x0
	s_delay_alu instid0(VALU_DEP_1)
	v_fma_mix_f32 v54, v34, v56, v26 op_sel_hi:[0,1,0]
.LBB435_45:                             ;   in Loop: Header=BB435_4 Depth=1
	s_or_b32 exec_lo, exec_lo, s8
	s_wait_loadcnt_dscnt 0x303
	v_fma_mix_f32 v26, v37, v41, v53 op_sel_hi:[0,1,0]
	s_wait_loadcnt_dscnt 0x202
	s_delay_alu instid0(VALU_DEP_1) | instskip(SKIP_1) | instid1(VALU_DEP_1)
	v_fma_mix_f32 v26, v36, v42, v26 op_sel_hi:[0,1,0]
	s_wait_loadcnt_dscnt 0x101
	v_fma_mix_f32 v26, v35, v43, v26 op_sel_hi:[0,1,0]
	s_wait_loadcnt_dscnt 0x0
	s_delay_alu instid0(VALU_DEP_1)
	v_fma_mix_f32 v53, v34, v44, v26 op_sel_hi:[0,1,0]
.LBB435_46:                             ;   in Loop: Header=BB435_4 Depth=1
	s_or_b32 exec_lo, exec_lo, s7
	s_wait_loadcnt_dscnt 0x303
	v_fma_mix_f32 v0, v37, v0, v52 op_sel_hi:[0,1,0]
	s_wait_loadcnt_dscnt 0x202
	s_delay_alu instid0(VALU_DEP_1) | instskip(SKIP_1) | instid1(VALU_DEP_1)
	v_fma_mix_f32 v0, v36, v38, v0 op_sel_hi:[0,1,0]
	s_wait_loadcnt_dscnt 0x101
	v_fma_mix_f32 v0, v35, v39, v0 op_sel_hi:[0,1,0]
	s_wait_loadcnt_dscnt 0x0
	s_delay_alu instid0(VALU_DEP_1)
	v_fma_mix_f32 v52, v34, v40, v0 op_sel_hi:[0,1,0]
.LBB435_47:                             ;   in Loop: Header=BB435_4 Depth=1
	s_or_b32 exec_lo, exec_lo, s48
.LBB435_48:                             ;   in Loop: Header=BB435_4 Depth=1
	ds_store_2addr_stride64_b32 v49, v52, v53 offset1:1
	ds_store_2addr_stride64_b32 v49, v54, v55 offset0:2 offset1:3
	s_wait_dscnt 0x0
	s_barrier_signal -1
	s_barrier_wait -1
                                        ; implicit-def: $vgpr0
	s_and_saveexec_b32 s7, s5
	s_cbranch_execz .LBB435_54
; %bb.49:                               ;   in Loop: Header=BB435_4 Depth=1
	ds_load_2addr_stride64_b32 v[26:27], v50 offset1:4
	ds_load_2addr_stride64_b32 v[28:29], v50 offset0:8 offset1:12
	ds_load_2addr_stride64_b32 v[30:31], v50 offset0:16 offset1:20
	s_mov_b32 s9, s47
	s_wait_dscnt 0x2
	v_add_f32_e32 v0, v26, v27
	ds_load_2addr_stride64_b32 v[26:27], v50 offset0:24 offset1:28
	s_wait_dscnt 0x2
	v_add_f32_e32 v0, v28, v0
	s_delay_alu instid0(VALU_DEP_1) | instskip(SKIP_3) | instid1(VALU_DEP_1)
	v_add_f32_e32 v0, v29, v0
	ds_load_2addr_stride64_b32 v[28:29], v50 offset0:32 offset1:36
	s_wait_dscnt 0x2
	v_add_f32_e32 v0, v30, v0
	v_add_f32_e32 v0, v31, v0
	ds_load_2addr_stride64_b32 v[30:31], v50 offset0:40 offset1:44
	s_wait_dscnt 0x2
	v_add_f32_e32 v0, v26, v0
	s_delay_alu instid0(VALU_DEP_1) | instskip(SKIP_3) | instid1(VALU_DEP_1)
	v_add_f32_e32 v0, v27, v0
	ds_load_2addr_stride64_b32 v[26:27], v50 offset0:48 offset1:52
	s_wait_dscnt 0x2
	v_add_f32_e32 v0, v28, v0
	v_add_f32_e32 v0, v29, v0
	ds_load_2addr_stride64_b32 v[28:29], v50 offset0:56 offset1:60
	s_wait_dscnt 0x2
	v_add_f32_e32 v0, v30, v0
	s_delay_alu instid0(VALU_DEP_1) | instskip(SKIP_1) | instid1(VALU_DEP_1)
	v_add_f32_e32 v0, v31, v0
	s_wait_dscnt 0x1
	v_add_f32_e32 v0, v26, v0
	s_delay_alu instid0(VALU_DEP_1) | instskip(SKIP_1) | instid1(VALU_DEP_1)
	v_add_f32_e32 v0, v27, v0
	s_wait_dscnt 0x0
	v_add_f32_e32 v0, v28, v0
	s_delay_alu instid0(VALU_DEP_1)
	v_add_f32_e32 v26, v29, v0
                                        ; implicit-def: $vgpr0
	ds_store_b32 v50, v26
	s_and_saveexec_b32 s8, s6
	s_cbranch_execz .LBB435_53
; %bb.50:                               ;   in Loop: Header=BB435_4 Depth=1
	v_mul_f32_e32 v0, v51, v26
	s_cmp_eq_f32 s46, 0
	s_cbranch_scc1 .LBB435_52
; %bb.51:                               ;   in Loop: Header=BB435_4 Depth=1
	v_lshl_add_u64 v[26:27], v[4:5], 1, v[24:25]
	flat_load_u16 v26, v[26:27]
	s_wait_loadcnt_dscnt 0x0
	v_fma_mix_f32 v0, s46, v26, v0 op_sel_hi:[0,1,0]
.LBB435_52:                             ;   in Loop: Header=BB435_4 Depth=1
	s_delay_alu instid0(VALU_DEP_1)
	v_cvt_f16_f32_e32 v0, v0
	s_or_b32 s9, s47, exec_lo
.LBB435_53:                             ;   in Loop: Header=BB435_4 Depth=1
	s_wait_xcnt 0x0
	s_or_b32 exec_lo, exec_lo, s8
	s_delay_alu instid0(SALU_CYCLE_1) | instskip(SKIP_1) | instid1(SALU_CYCLE_1)
	s_and_not1_b32 s8, s47, exec_lo
	s_and_b32 s9, s9, exec_lo
	s_or_b32 s47, s8, s9
.LBB435_54:                             ;   in Loop: Header=BB435_4 Depth=1
	s_or_b32 exec_lo, exec_lo, s7
	v_mov_b64_e32 v[26:27], v[4:5]
	s_and_saveexec_b32 s7, s47
	s_cbranch_execz .LBB435_2
.LBB435_55:                             ;   in Loop: Header=BB435_4 Depth=1
	s_delay_alu instid0(VALU_DEP_1)
	v_lshl_add_u64 v[24:25], v[26:27], 1, v[24:25]
	flat_store_b16 v[24:25], v0
	s_branch .LBB435_2
.LBB435_56:
	s_sendmsg sendmsg(MSG_DEALLOC_VGPRS)
	s_endpgm
	.section	.rodata,"a",@progbits
	.p2align	6, 0x0
	.amdhsa_kernel _ZL20rocblas_gemvn_kernelILi64ELi16ElPKDF16_PKfKPDF16_EviiT3_lPKT2_lT1_lS9_lSA_lS6_lPT4_lSA_li
		.amdhsa_group_segment_fixed_size 16384
		.amdhsa_private_segment_fixed_size 0
		.amdhsa_kernarg_size 400
		.amdhsa_user_sgpr_count 2
		.amdhsa_user_sgpr_dispatch_ptr 0
		.amdhsa_user_sgpr_queue_ptr 0
		.amdhsa_user_sgpr_kernarg_segment_ptr 1
		.amdhsa_user_sgpr_dispatch_id 0
		.amdhsa_user_sgpr_kernarg_preload_length 0
		.amdhsa_user_sgpr_kernarg_preload_offset 0
		.amdhsa_user_sgpr_private_segment_size 0
		.amdhsa_wavefront_size32 1
		.amdhsa_uses_dynamic_stack 0
		.amdhsa_enable_private_segment 0
		.amdhsa_system_sgpr_workgroup_id_x 1
		.amdhsa_system_sgpr_workgroup_id_y 0
		.amdhsa_system_sgpr_workgroup_id_z 1
		.amdhsa_system_sgpr_workgroup_info 0
		.amdhsa_system_vgpr_workitem_id 1
		.amdhsa_next_free_vgpr 76
		.amdhsa_next_free_sgpr 51
		.amdhsa_named_barrier_count 0
		.amdhsa_reserve_vcc 1
		.amdhsa_float_round_mode_32 0
		.amdhsa_float_round_mode_16_64 0
		.amdhsa_float_denorm_mode_32 3
		.amdhsa_float_denorm_mode_16_64 3
		.amdhsa_fp16_overflow 0
		.amdhsa_memory_ordered 1
		.amdhsa_forward_progress 1
		.amdhsa_inst_pref_size 25
		.amdhsa_round_robin_scheduling 0
		.amdhsa_exception_fp_ieee_invalid_op 0
		.amdhsa_exception_fp_denorm_src 0
		.amdhsa_exception_fp_ieee_div_zero 0
		.amdhsa_exception_fp_ieee_overflow 0
		.amdhsa_exception_fp_ieee_underflow 0
		.amdhsa_exception_fp_ieee_inexact 0
		.amdhsa_exception_int_div_zero 0
	.end_amdhsa_kernel
	.section	.text._ZL20rocblas_gemvn_kernelILi64ELi16ElPKDF16_PKfKPDF16_EviiT3_lPKT2_lT1_lS9_lSA_lS6_lPT4_lSA_li,"axG",@progbits,_ZL20rocblas_gemvn_kernelILi64ELi16ElPKDF16_PKfKPDF16_EviiT3_lPKT2_lT1_lS9_lSA_lS6_lPT4_lSA_li,comdat
.Lfunc_end435:
	.size	_ZL20rocblas_gemvn_kernelILi64ELi16ElPKDF16_PKfKPDF16_EviiT3_lPKT2_lT1_lS9_lSA_lS6_lPT4_lSA_li, .Lfunc_end435-_ZL20rocblas_gemvn_kernelILi64ELi16ElPKDF16_PKfKPDF16_EviiT3_lPKT2_lT1_lS9_lSA_lS6_lPT4_lSA_li
                                        ; -- End function
	.set _ZL20rocblas_gemvn_kernelILi64ELi16ElPKDF16_PKfKPDF16_EviiT3_lPKT2_lT1_lS9_lSA_lS6_lPT4_lSA_li.num_vgpr, 76
	.set _ZL20rocblas_gemvn_kernelILi64ELi16ElPKDF16_PKfKPDF16_EviiT3_lPKT2_lT1_lS9_lSA_lS6_lPT4_lSA_li.num_agpr, 0
	.set _ZL20rocblas_gemvn_kernelILi64ELi16ElPKDF16_PKfKPDF16_EviiT3_lPKT2_lT1_lS9_lSA_lS6_lPT4_lSA_li.numbered_sgpr, 51
	.set _ZL20rocblas_gemvn_kernelILi64ELi16ElPKDF16_PKfKPDF16_EviiT3_lPKT2_lT1_lS9_lSA_lS6_lPT4_lSA_li.num_named_barrier, 0
	.set _ZL20rocblas_gemvn_kernelILi64ELi16ElPKDF16_PKfKPDF16_EviiT3_lPKT2_lT1_lS9_lSA_lS6_lPT4_lSA_li.private_seg_size, 0
	.set _ZL20rocblas_gemvn_kernelILi64ELi16ElPKDF16_PKfKPDF16_EviiT3_lPKT2_lT1_lS9_lSA_lS6_lPT4_lSA_li.uses_vcc, 1
	.set _ZL20rocblas_gemvn_kernelILi64ELi16ElPKDF16_PKfKPDF16_EviiT3_lPKT2_lT1_lS9_lSA_lS6_lPT4_lSA_li.uses_flat_scratch, 1
	.set _ZL20rocblas_gemvn_kernelILi64ELi16ElPKDF16_PKfKPDF16_EviiT3_lPKT2_lT1_lS9_lSA_lS6_lPT4_lSA_li.has_dyn_sized_stack, 0
	.set _ZL20rocblas_gemvn_kernelILi64ELi16ElPKDF16_PKfKPDF16_EviiT3_lPKT2_lT1_lS9_lSA_lS6_lPT4_lSA_li.has_recursion, 0
	.set _ZL20rocblas_gemvn_kernelILi64ELi16ElPKDF16_PKfKPDF16_EviiT3_lPKT2_lT1_lS9_lSA_lS6_lPT4_lSA_li.has_indirect_call, 0
	.section	.AMDGPU.csdata,"",@progbits
; Kernel info:
; codeLenInByte = 3096
; TotalNumSgprs: 53
; NumVgprs: 76
; ScratchSize: 0
; MemoryBound: 0
; FloatMode: 240
; IeeeMode: 1
; LDSByteSize: 16384 bytes/workgroup (compile time only)
; SGPRBlocks: 0
; VGPRBlocks: 4
; NumSGPRsForWavesPerEU: 53
; NumVGPRsForWavesPerEU: 76
; NamedBarCnt: 0
; Occupancy: 12
; WaveLimiterHint : 1
; COMPUTE_PGM_RSRC2:SCRATCH_EN: 0
; COMPUTE_PGM_RSRC2:USER_SGPR: 2
; COMPUTE_PGM_RSRC2:TRAP_HANDLER: 0
; COMPUTE_PGM_RSRC2:TGID_X_EN: 1
; COMPUTE_PGM_RSRC2:TGID_Y_EN: 0
; COMPUTE_PGM_RSRC2:TGID_Z_EN: 1
; COMPUTE_PGM_RSRC2:TIDIG_COMP_CNT: 1
	.section	.text._ZL20rocblas_gemvn_kernelILi64ELi16EiPKDF16_fKPDF16_EviiT3_lPKT2_lT1_lS7_lS8_lS4_lPT4_lS8_li,"axG",@progbits,_ZL20rocblas_gemvn_kernelILi64ELi16EiPKDF16_fKPDF16_EviiT3_lPKT2_lT1_lS7_lS8_lS4_lPT4_lS8_li,comdat
	.globl	_ZL20rocblas_gemvn_kernelILi64ELi16EiPKDF16_fKPDF16_EviiT3_lPKT2_lT1_lS7_lS8_lS4_lPT4_lS8_li ; -- Begin function _ZL20rocblas_gemvn_kernelILi64ELi16EiPKDF16_fKPDF16_EviiT3_lPKT2_lT1_lS7_lS8_lS4_lPT4_lS8_li
	.p2align	8
	.type	_ZL20rocblas_gemvn_kernelILi64ELi16EiPKDF16_fKPDF16_EviiT3_lPKT2_lT1_lS7_lS8_lS4_lPT4_lS8_li,@function
_ZL20rocblas_gemvn_kernelILi64ELi16EiPKDF16_fKPDF16_EviiT3_lPKT2_lT1_lS7_lS8_lS4_lPT4_lS8_li: ; @_ZL20rocblas_gemvn_kernelILi64ELi16EiPKDF16_fKPDF16_EviiT3_lPKT2_lT1_lS7_lS8_lS4_lPT4_lS8_li
; %bb.0:
	s_clause 0x1
	s_load_b64 s[2:3], s[0:1], 0x9c
	s_load_b32 s23, s[0:1], 0x88
	s_bfe_u32 s4, ttmp6, 0x40014
	s_lshr_b32 s5, ttmp7, 16
	s_add_co_i32 s4, s4, 1
	s_bfe_u32 s6, ttmp6, 0x40008
	s_mul_i32 s7, s5, s4
	s_getreg_b32 s4, hwreg(HW_REG_IB_STS2, 6, 4)
	s_add_co_i32 s6, s6, s7
	s_mov_b32 s25, 0
	s_wait_kmcnt 0x0
	s_lshr_b32 s7, s2, 16
	s_and_b32 s2, s2, 0xffff
	s_and_b32 s3, s3, 0xffff
	s_mul_i32 s2, s7, s2
	s_cmp_eq_u32 s4, 0
	s_mul_i32 s2, s2, s3
	s_cselect_b32 s24, s5, s6
	s_cmp_lg_u32 s2, 0x400
	s_cselect_b32 s2, -1, 0
	s_cmp_ge_u32 s24, s23
	s_cselect_b32 s3, -1, 0
	s_delay_alu instid0(SALU_CYCLE_1) | instskip(NEXT) | instid1(SALU_CYCLE_1)
	s_or_b32 s2, s2, s3
	s_and_b32 vcc_lo, exec_lo, s2
	s_cbranch_vccnz .LBB436_58
; %bb.1:
	s_clause 0x7
	s_load_b32 s2, s[0:1], 0x78
	s_load_b96 s[20:22], s[0:1], 0x0
	s_load_b32 s26, s[0:1], 0x58
	s_load_b128 s[8:11], s[0:1], 0x68
	s_load_b32 s27, s[0:1], 0x28
	s_load_b128 s[12:15], s[0:1], 0x38
	;; [unrolled: 2-line block ×3, first 2 shown]
	v_and_b32_e32 v6, 0x3ff, v0
	v_bfe_u32 v7, v0, 10, 10
	s_delay_alu instid0(VALU_DEP_2) | instskip(NEXT) | instid1(VALU_DEP_2)
	v_dual_mov_b32 v1, 0 :: v_dual_lshlrev_b32 v0, 2, v6
	v_lshl_add_u32 v2, v7, 6, v6
	s_delay_alu instid0(VALU_DEP_2)
	v_lshl_add_u32 v21, v7, 10, v0
	v_lshl_add_u32 v22, v7, 8, v0
	s_wait_kmcnt 0x0
	s_ashr_i32 s3, s2, 31
	s_cmp_eq_f32 s22, 0
	v_cmp_gt_u32_e64 s0, 0x100, v2
	s_mov_b32 s6, s20
	v_mul_lo_u32 v9, v7, s27
	s_cselect_b32 s29, -1, 0
	s_cmp_neq_f32 s26, 1.0
	s_cselect_b32 s1, -1, 0
	s_cmp_neq_f32 s22, 0
	s_cselect_b32 s5, -1, 0
	s_bfe_u32 s7, ttmp6, 0x4000c
	s_and_b32 s31, ttmp6, 15
	s_add_co_i32 s7, s7, 1
	s_or_b32 s30, s5, s1
	s_mul_i32 s7, ttmp9, s7
	v_cndmask_b32_e64 v23, 0, 1, s5
	s_add_co_i32 s31, s31, s7
	s_cmp_eq_u32 s4, 0
	v_lshl_add_u32 v27, v9, 2, v6
	s_cselect_b32 s1, ttmp9, s31
	s_ashr_i32 s7, s20, 31
	s_lshl_b32 s31, s1, 8
	s_delay_alu instid0(SALU_CYCLE_1) | instskip(SKIP_3) | instid1(VALU_DEP_3)
	v_dual_lshlrev_b32 v20, 2, v7 :: v_dual_add_nc_u32 v0, s31, v2
	v_or_b32_e32 v5, s31, v2
	v_mul_lo_u32 v7, v7, s28
	s_cmp_neq_f32 s26, 0
	v_mul_lo_u32 v8, s27, v20
	v_mul_u64_e32 v[2:3], s[2:3], v[0:1]
	v_mul_lo_u32 v4, s2, v5
	v_add_nc_u32_e32 v24, s31, v6
	v_cmp_gt_i32_e64 s2, s20, v5
	s_cselect_b32 s33, -1, 0
	s_ashr_i32 s1, s21, 31
	v_mad_u32 v28, s28, v20, s28
	s_lshr_b32 s3, s1, 26
	v_cmp_gt_i64_e32 vcc_lo, s[6:7], v[0:1]
	s_add_co_i32 s34, s21, s3
	v_lshlrev_b32_e32 v31, 2, v7
	s_and_not1_b32 s34, s34, 63
	v_ashrrev_i32_e32 v5, 31, v4
	v_add_nc_u32_e32 v10, 0x80, v24
	v_add_nc_u32_e32 v11, 0xc0, v24
	;; [unrolled: 1-line block ×3, first 2 shown]
	s_sub_co_i32 s6, s21, s34
	v_cmp_gt_i32_e64 s1, s20, v24
	v_cmp_gt_i32_e64 s4, s20, v10
	v_cmp_gt_i32_e64 s5, s20, v11
	v_or_b32_e32 v10, 2, v20
	v_or_b32_e32 v11, 3, v20
	v_cmp_gt_i32_e64 s3, s20, v0
	s_cmp_gt_i32 s6, 0
	v_cmp_gt_i32_e64 s6, s34, v20
	v_mad_u32 v25, s27, v10, v6
	v_mad_u32 v26, s27, v11, v6
	v_mul_lo_u32 v29, s28, v10
	v_mul_lo_u32 v30, s28, v11
	v_add3_u32 v0, v8, s27, v6
	s_cselect_b32 s20, -1, 0
	s_and_b32 s35, s0, vcc_lo
	s_lshl_b32 s36, s27, 6
	s_lshl_b32 s37, s28, 6
	s_lshl_b64 s[18:19], s[18:19], 1
	s_lshl_b64 s[14:15], s[14:15], 1
	;; [unrolled: 1-line block ×3, first 2 shown]
	s_branch .LBB436_4
.LBB436_2:                              ;   in Loop: Header=BB436_4 Depth=1
	s_wait_xcnt 0x0
	s_or_b32 exec_lo, exec_lo, s7
.LBB436_3:                              ;   in Loop: Header=BB436_4 Depth=1
	s_add_co_i32 s24, s24, 0x10000
	s_delay_alu instid0(SALU_CYCLE_1)
	s_cmp_lt_u32 s24, s23
	s_cbranch_scc0 .LBB436_58
.LBB436_4:                              ; =>This Loop Header: Depth=1
                                        ;     Child Loop BB436_26 Depth 2
	s_and_not1_b32 vcc_lo, exec_lo, s30
	s_cbranch_vccnz .LBB436_3
; %bb.5:                                ;   in Loop: Header=BB436_4 Depth=1
	s_and_not1_b32 vcc_lo, exec_lo, s29
	s_cbranch_vccnz .LBB436_7
; %bb.6:                                ;   in Loop: Header=BB436_4 Depth=1
	v_mov_b64_e32 v[10:11], 0
	v_mov_b64_e32 v[8:9], 0
	s_cbranch_execz .LBB436_8
	s_branch .LBB436_9
.LBB436_7:                              ;   in Loop: Header=BB436_4 Depth=1
	v_mov_b64_e32 v[10:11], 0
	v_mov_b64_e32 v[8:9], 0
.LBB436_8:                              ;   in Loop: Header=BB436_4 Depth=1
	s_lshl_b64 s[38:39], s[24:25], 3
	s_delay_alu instid0(SALU_CYCLE_1)
	s_add_nc_u64 s[38:39], s[16:17], s[38:39]
	global_load_b64 v[6:7], v1, s[38:39]
	s_wait_loadcnt 0x0
	v_add_nc_u64_e32 v[8:9], s[18:19], v[6:7]
.LBB436_9:                              ;   in Loop: Header=BB436_4 Depth=1
	v_cmp_ne_u32_e32 vcc_lo, 1, v23
	s_cbranch_vccnz .LBB436_11
; %bb.10:                               ;   in Loop: Header=BB436_4 Depth=1
	s_wait_xcnt 0x0
	s_lshl_b64 s[38:39], s[24:25], 3
	s_delay_alu instid0(SALU_CYCLE_1)
	s_add_nc_u64 s[38:39], s[12:13], s[38:39]
	global_load_b64 v[6:7], v1, s[38:39]
	s_wait_loadcnt 0x0
	v_add_nc_u64_e32 v[10:11], s[14:15], v[6:7]
.LBB436_11:                             ;   in Loop: Header=BB436_4 Depth=1
	s_wait_xcnt 0x0
	s_lshl_b64 s[38:39], s[24:25], 3
	s_and_not1_b32 vcc_lo, exec_lo, s29
	s_add_nc_u64 s[38:39], s[8:9], s[38:39]
	global_load_b64 v[6:7], v1, s[38:39]
	s_wait_loadcnt 0x0
	v_add_nc_u64_e32 v[6:7], s[10:11], v[6:7]
	s_cbranch_vccnz .LBB436_15
; %bb.12:                               ;   in Loop: Header=BB436_4 Depth=1
	s_mov_b32 s7, 0
	s_wait_xcnt 0x0
	s_mov_b32 s38, 0
                                        ; implicit-def: $vgpr12
	s_and_saveexec_b32 s39, s35
	s_cbranch_execz .LBB436_16
; %bb.13:                               ;   in Loop: Header=BB436_4 Depth=1
	s_and_not1_b32 vcc_lo, exec_lo, s33
	s_cbranch_vccnz .LBB436_18
; %bb.14:                               ;   in Loop: Header=BB436_4 Depth=1
	v_lshl_add_u64 v[12:13], v[2:3], 1, v[6:7]
	flat_load_u16 v12, v[12:13]
	s_wait_loadcnt_dscnt 0x0
	s_wait_xcnt 0x0
	v_fma_mixlo_f16 v12, s26, v12, 0 op_sel_hi:[0,1,0]
	s_branch .LBB436_19
.LBB436_15:                             ;   in Loop: Header=BB436_4 Depth=1
	s_wait_xcnt 0x0
	s_mov_b32 s38, 0
                                        ; implicit-def: $vgpr12
	s_cbranch_execz .LBB436_17
	s_branch .LBB436_20
.LBB436_16:                             ;   in Loop: Header=BB436_4 Depth=1
	s_or_b32 exec_lo, exec_lo, s39
	s_delay_alu instid0(SALU_CYCLE_1)
	s_and_b32 vcc_lo, exec_lo, s7
	s_cbranch_vccnz .LBB436_20
.LBB436_17:                             ;   in Loop: Header=BB436_4 Depth=1
	v_mov_b64_e32 v[8:9], v[2:3]
	s_and_saveexec_b32 s7, s38
	s_cbranch_execz .LBB436_2
	s_branch .LBB436_57
.LBB436_18:                             ;   in Loop: Header=BB436_4 Depth=1
	v_mov_b32_e32 v12, 0
.LBB436_19:                             ;   in Loop: Header=BB436_4 Depth=1
	s_mov_b32 s38, exec_lo
	s_or_b32 exec_lo, exec_lo, s39
	s_delay_alu instid0(SALU_CYCLE_1)
	s_and_b32 vcc_lo, exec_lo, s7
	s_cbranch_vccz .LBB436_17
.LBB436_20:                             ;   in Loop: Header=BB436_4 Depth=1
	v_dual_mov_b32 v32, 0 :: v_dual_mov_b32 v36, v20
	v_dual_mov_b32 v33, 0 :: v_dual_mov_b32 v34, 0
	v_mov_b32_e32 v35, 0
	s_and_saveexec_b32 s7, s6
	s_cbranch_execz .LBB436_32
; %bb.21:                               ;   in Loop: Header=BB436_4 Depth=1
	v_dual_mov_b32 v32, 0 :: v_dual_mov_b32 v37, v27
	v_dual_mov_b32 v38, v26 :: v_dual_mov_b32 v39, v25
	;; [unrolled: 1-line block ×4, first 2 shown]
	v_mov_b32_e32 v35, 0
	s_mov_b32 s39, 0
	s_mov_b32 s40, 0
	s_branch .LBB436_26
.LBB436_22:                             ;   in Loop: Header=BB436_26 Depth=2
	s_wait_xcnt 0x0
	s_or_b32 exec_lo, exec_lo, s44
	s_wait_loadcnt_dscnt 0x303
	v_fma_mix_f32 v12, v53, v57, v34 op_sel_hi:[0,1,0]
	s_wait_loadcnt_dscnt 0x202
	s_delay_alu instid0(VALU_DEP_1) | instskip(SKIP_1) | instid1(VALU_DEP_1)
	v_fma_mix_f32 v12, v54, v58, v12 op_sel_hi:[0,1,0]
	s_wait_loadcnt_dscnt 0x101
	v_fma_mix_f32 v12, v55, v59, v12 op_sel_hi:[0,1,0]
	s_wait_loadcnt_dscnt 0x0
	s_delay_alu instid0(VALU_DEP_1)
	v_fma_mix_f32 v34, v56, v60, v12 op_sel_hi:[0,1,0]
.LBB436_23:                             ;   in Loop: Header=BB436_26 Depth=2
	s_or_b32 exec_lo, exec_lo, s43
	s_wait_loadcnt_dscnt 0x303
	v_fma_mix_f32 v12, v53, v49, v33 op_sel_hi:[0,1,0]
	s_wait_loadcnt_dscnt 0x202
	s_delay_alu instid0(VALU_DEP_1) | instskip(SKIP_1) | instid1(VALU_DEP_1)
	v_fma_mix_f32 v12, v54, v50, v12 op_sel_hi:[0,1,0]
	s_wait_loadcnt_dscnt 0x101
	v_fma_mix_f32 v12, v55, v51, v12 op_sel_hi:[0,1,0]
	s_wait_loadcnt_dscnt 0x0
	s_delay_alu instid0(VALU_DEP_1)
	v_fma_mix_f32 v33, v56, v52, v12 op_sel_hi:[0,1,0]
.LBB436_24:                             ;   in Loop: Header=BB436_26 Depth=2
	s_or_b32 exec_lo, exec_lo, s42
	s_wait_loadcnt_dscnt 0x303
	v_fma_mix_f32 v12, v41, v45, v32 op_sel_hi:[1,1,0]
	s_wait_loadcnt_dscnt 0x202
	s_delay_alu instid0(VALU_DEP_1) | instskip(SKIP_1) | instid1(VALU_DEP_1)
	v_fma_mix_f32 v12, v42, v46, v12 op_sel_hi:[1,1,0]
	s_wait_loadcnt_dscnt 0x101
	v_fma_mix_f32 v12, v43, v47, v12 op_sel_hi:[1,1,0]
	s_wait_loadcnt_dscnt 0x0
	s_delay_alu instid0(VALU_DEP_1)
	v_fma_mix_f32 v32, v44, v48, v12 op_sel_hi:[1,1,0]
.LBB436_25:                             ;   in Loop: Header=BB436_26 Depth=2
	s_or_b32 exec_lo, exec_lo, s41
	v_dual_add_nc_u32 v36, 64, v36 :: v_dual_add_nc_u32 v39, s36, v39
	v_dual_add_nc_u32 v40, s36, v40 :: v_dual_add_nc_u32 v38, s36, v38
	v_add_nc_u32_e32 v37, s36, v37
	s_delay_alu instid0(VALU_DEP_3) | instskip(SKIP_2) | instid1(SALU_CYCLE_1)
	v_cmp_le_i32_e32 vcc_lo, s34, v36
	s_add_co_i32 s40, s40, s37
	s_or_b32 s39, vcc_lo, s39
	s_and_not1_b32 exec_lo, exec_lo, s39
	s_cbranch_execz .LBB436_31
.LBB436_26:                             ;   Parent Loop BB436_4 Depth=1
                                        ; =>  This Inner Loop Header: Depth=2
	s_and_saveexec_b32 s41, s1
	s_cbranch_execz .LBB436_25
; %bb.27:                               ;   in Loop: Header=BB436_26 Depth=2
	v_dual_add_nc_u32 v13, s40, v31 :: v_dual_add_nc_u32 v15, s40, v28
	v_readfirstlane_b32 s42, v10
	v_readfirstlane_b32 s43, v11
	v_dual_add_nc_u32 v17, s40, v29 :: v_dual_add_nc_u32 v19, s40, v30
	v_dual_add_nc_u32 v12, s31, v37 :: v_dual_add_nc_u32 v14, s31, v40
	v_readfirstlane_b32 s44, v8
	v_readfirstlane_b32 s45, v9
	v_dual_add_nc_u32 v18, s31, v39 :: v_dual_add_nc_u32 v16, s31, v38
	s_clause 0x3
	flat_load_u16 v41, v13, s[42:43] scale_offset
	flat_load_u16 v42, v15, s[42:43] scale_offset
	flat_load_u16 v43, v17, s[42:43] scale_offset
	flat_load_u16 v44, v19, s[42:43] scale_offset
	s_clause 0x3
	flat_load_u16 v45, v12, s[44:45] scale_offset
	flat_load_u16 v46, v14, s[44:45] scale_offset
	;; [unrolled: 1-line block ×4, first 2 shown]
	s_wait_xcnt 0x0
	s_and_saveexec_b32 s42, s3
	s_cbranch_execz .LBB436_24
; %bb.28:                               ;   in Loop: Header=BB436_26 Depth=2
	v_dual_ashrrev_i32 v13, 31, v12 :: v_dual_ashrrev_i32 v15, 31, v14
	v_dual_ashrrev_i32 v19, 31, v18 :: v_dual_ashrrev_i32 v17, 31, v16
	s_wait_loadcnt_dscnt 0x707
	v_cvt_f32_f16_e32 v53, v41
	s_delay_alu instid0(VALU_DEP_3)
	v_lshl_add_u64 v[12:13], v[12:13], 1, v[8:9]
	v_lshl_add_u64 v[14:15], v[14:15], 1, v[8:9]
	;; [unrolled: 1-line block ×4, first 2 shown]
	s_wait_loadcnt_dscnt 0x606
	v_cvt_f32_f16_e32 v54, v42
	s_clause 0x3
	flat_load_u16 v49, v[12:13] offset:128
	flat_load_u16 v50, v[14:15] offset:128
	;; [unrolled: 1-line block ×4, first 2 shown]
	s_wait_loadcnt_dscnt 0x909
	v_cvt_f32_f16_e32 v55, v43
	s_wait_loadcnt_dscnt 0x808
	v_cvt_f32_f16_e32 v56, v44
	s_wait_xcnt 0x0
	s_and_saveexec_b32 s43, s4
	s_cbranch_execz .LBB436_23
; %bb.29:                               ;   in Loop: Header=BB436_26 Depth=2
	s_clause 0x3
	flat_load_u16 v57, v[12:13] offset:256
	flat_load_u16 v58, v[14:15] offset:256
	;; [unrolled: 1-line block ×4, first 2 shown]
	s_wait_xcnt 0x0
	s_and_saveexec_b32 s44, s5
	s_cbranch_execz .LBB436_22
; %bb.30:                               ;   in Loop: Header=BB436_26 Depth=2
	s_clause 0x3
	flat_load_u16 v61, v[12:13] offset:384
	flat_load_u16 v62, v[14:15] offset:384
	;; [unrolled: 1-line block ×3, first 2 shown]
	; meta instruction
	; meta instruction
	;; [unrolled: 1-line block ×3, first 2 shown]
	flat_load_u16 v12, v[16:17] offset:384
	s_wait_loadcnt_dscnt 0x303
	v_fma_mix_f32 v13, v53, v61, v35 op_sel_hi:[0,1,0]
	s_wait_loadcnt_dscnt 0x202
	s_delay_alu instid0(VALU_DEP_1) | instskip(SKIP_1) | instid1(VALU_DEP_1)
	v_fma_mix_f32 v13, v54, v62, v13 op_sel_hi:[0,1,0]
	s_wait_loadcnt_dscnt 0x101
	v_fma_mix_f32 v13, v55, v63, v13 op_sel_hi:[0,1,0]
	s_wait_loadcnt_dscnt 0x0
	s_delay_alu instid0(VALU_DEP_1)
	v_fma_mix_f32 v35, v56, v12, v13 op_sel_hi:[0,1,0]
	s_branch .LBB436_22
.LBB436_31:                             ;   in Loop: Header=BB436_4 Depth=1
	s_or_b32 exec_lo, exec_lo, s39
.LBB436_32:                             ;   in Loop: Header=BB436_4 Depth=1
	s_delay_alu instid0(SALU_CYCLE_1) | instskip(NEXT) | instid1(SALU_CYCLE_1)
	s_or_b32 exec_lo, exec_lo, s7
	s_and_not1_b32 vcc_lo, exec_lo, s20
	s_cbranch_vccnz .LBB436_50
; %bb.33:                               ;   in Loop: Header=BB436_4 Depth=1
	v_cmp_gt_i32_e32 vcc_lo, s21, v36
	v_dual_mov_b32 v18, 0 :: v_dual_bitop2_b32 v12, 1, v36 bitop3:0x54
	v_dual_mov_b32 v19, 0 :: v_dual_mov_b32 v37, 0
	v_mov_b32_e32 v38, 0
	s_and_saveexec_b32 s39, vcc_lo
	s_cbranch_execz .LBB436_41
; %bb.34:                               ;   in Loop: Header=BB436_4 Depth=1
	v_mul_lo_u32 v13, v36, s28
	v_readfirstlane_b32 s40, v10
	v_readfirstlane_b32 s41, v11
	v_dual_mov_b32 v37, 0 :: v_dual_mov_b32 v19, 0
	v_mov_b32_e32 v18, 0
	flat_load_u16 v13, v13, s[40:41] scale_offset
	s_wait_xcnt 0x0
	s_mov_b32 s40, exec_lo
	v_cmpx_gt_i32_e64 s21, v12
	s_cbranch_execz .LBB436_40
; %bb.35:                               ;   in Loop: Header=BB436_4 Depth=1
	v_mul_lo_u32 v14, v12, s28
	v_readfirstlane_b32 s42, v10
	v_readfirstlane_b32 s43, v11
	v_dual_mov_b32 v19, 0 :: v_dual_bitop2_b32 v15, 2, v36 bitop3:0x54
	v_mov_b32_e32 v18, 0
	s_mov_b32 s41, exec_lo
	flat_load_u16 v14, v14, s[42:43] scale_offset
	s_wait_xcnt 0x0
	v_cmpx_gt_i32_e64 s21, v15
	s_cbranch_execz .LBB436_39
; %bb.36:                               ;   in Loop: Header=BB436_4 Depth=1
	v_mul_lo_u32 v15, v15, s28
	v_readfirstlane_b32 s42, v10
	v_readfirstlane_b32 s43, v11
	v_dual_mov_b32 v18, 0 :: v_dual_bitop2_b32 v16, 3, v36 bitop3:0x54
	flat_load_u16 v15, v15, s[42:43] scale_offset
	s_wait_xcnt 0x0
	s_mov_b32 s42, exec_lo
	v_cmpx_gt_i32_e64 s21, v16
	s_cbranch_execz .LBB436_38
; %bb.37:                               ;   in Loop: Header=BB436_4 Depth=1
	v_mul_lo_u32 v16, v16, s28
	v_readfirstlane_b32 s44, v10
	v_readfirstlane_b32 s45, v11
	flat_load_u16 v10, v16, s[44:45] scale_offset
	s_wait_loadcnt_dscnt 0x0
	v_cvt_f32_f16_e32 v18, v10
.LBB436_38:                             ;   in Loop: Header=BB436_4 Depth=1
	s_wait_xcnt 0x0
	s_or_b32 exec_lo, exec_lo, s42
	s_wait_loadcnt_dscnt 0x0
	v_cvt_f32_f16_e32 v19, v15
.LBB436_39:                             ;   in Loop: Header=BB436_4 Depth=1
	s_or_b32 exec_lo, exec_lo, s41
	s_wait_loadcnt_dscnt 0x0
	v_cvt_f32_f16_e32 v37, v14
.LBB436_40:                             ;   in Loop: Header=BB436_4 Depth=1
	s_or_b32 exec_lo, exec_lo, s40
	s_wait_loadcnt_dscnt 0x0
	v_cvt_f32_f16_e32 v38, v13
.LBB436_41:                             ;   in Loop: Header=BB436_4 Depth=1
	s_or_b32 exec_lo, exec_lo, s39
	s_and_saveexec_b32 s7, s1
	s_cbranch_execz .LBB436_49
; %bb.42:                               ;   in Loop: Header=BB436_4 Depth=1
	v_mul_lo_u32 v11, v36, s27
	v_mul_lo_u32 v14, v12, s27
	v_or_b32_e32 v10, 2, v36
	v_readfirstlane_b32 s40, v8
	v_readfirstlane_b32 s41, v9
	v_cndmask_b32_e32 v11, 0, v11, vcc_lo
	s_delay_alu instid0(VALU_DEP_4) | instskip(SKIP_2) | instid1(VALU_DEP_1)
	v_mul_lo_u32 v15, v10, s27
	v_cmp_gt_i32_e32 vcc_lo, s21, v12
	v_dual_cndmask_b32 v12, 0, v14, vcc_lo :: v_dual_bitop2_b32 v13, 3, v36 bitop3:0x54
	v_mul_lo_u32 v16, v13, s27
	v_cmp_gt_i32_e32 vcc_lo, s21, v10
	s_delay_alu instid0(VALU_DEP_3) | instskip(SKIP_3) | instid1(VALU_DEP_1)
	v_dual_add_nc_u32 v10, v11, v24 :: v_dual_add_nc_u32 v12, v12, v24
	v_cndmask_b32_e32 v14, 0, v15, vcc_lo
	v_cmp_gt_i32_e32 vcc_lo, s21, v13
	v_cndmask_b32_e32 v13, 0, v16, vcc_lo
	v_dual_add_nc_u32 v14, v14, v24 :: v_dual_add_nc_u32 v16, v13, v24
	s_clause 0x3
	flat_load_u16 v36, v10, s[40:41] scale_offset
	flat_load_u16 v39, v12, s[40:41] scale_offset
	;; [unrolled: 1-line block ×4, first 2 shown]
	s_wait_xcnt 0x0
	s_and_saveexec_b32 s39, s3
	s_cbranch_execz .LBB436_48
; %bb.43:                               ;   in Loop: Header=BB436_4 Depth=1
	v_dual_ashrrev_i32 v11, 31, v10 :: v_dual_ashrrev_i32 v13, 31, v12
	v_dual_ashrrev_i32 v15, 31, v14 :: v_dual_ashrrev_i32 v17, 31, v16
	s_delay_alu instid0(VALU_DEP_2) | instskip(NEXT) | instid1(VALU_DEP_3)
	v_lshl_add_u64 v[10:11], v[10:11], 1, v[8:9]
	v_lshl_add_u64 v[12:13], v[12:13], 1, v[8:9]
	s_delay_alu instid0(VALU_DEP_3) | instskip(NEXT) | instid1(VALU_DEP_4)
	v_lshl_add_u64 v[14:15], v[14:15], 1, v[8:9]
	v_lshl_add_u64 v[8:9], v[16:17], 1, v[8:9]
	s_clause 0x3
	flat_load_u16 v16, v[10:11] offset:128
	flat_load_u16 v17, v[12:13] offset:128
	;; [unrolled: 1-line block ×4, first 2 shown]
	s_wait_xcnt 0x0
	s_and_saveexec_b32 s40, s4
	s_cbranch_execz .LBB436_47
; %bb.44:                               ;   in Loop: Header=BB436_4 Depth=1
	s_clause 0x3
	flat_load_u16 v44, v[10:11] offset:256
	flat_load_u16 v45, v[12:13] offset:256
	flat_load_u16 v46, v[14:15] offset:256
	flat_load_u16 v47, v[8:9] offset:256
	s_wait_xcnt 0x0
	s_and_saveexec_b32 s41, s5
	s_cbranch_execz .LBB436_46
; %bb.45:                               ;   in Loop: Header=BB436_4 Depth=1
	s_clause 0x3
	flat_load_u16 v48, v[10:11] offset:384
	flat_load_u16 v49, v[12:13] offset:384
	;; [unrolled: 1-line block ×4, first 2 shown]
	s_wait_loadcnt_dscnt 0x303
	s_wait_xcnt 0x0
	v_fma_mix_f32 v8, v38, v48, v35 op_sel_hi:[0,1,0]
	s_wait_loadcnt_dscnt 0x202
	s_delay_alu instid0(VALU_DEP_1) | instskip(SKIP_1) | instid1(VALU_DEP_1)
	v_fma_mix_f32 v8, v37, v49, v8 op_sel_hi:[0,1,0]
	s_wait_loadcnt_dscnt 0x101
	v_fma_mix_f32 v8, v19, v50, v8 op_sel_hi:[0,1,0]
	s_wait_loadcnt_dscnt 0x0
	s_delay_alu instid0(VALU_DEP_1)
	v_fma_mix_f32 v35, v18, v51, v8 op_sel_hi:[0,1,0]
.LBB436_46:                             ;   in Loop: Header=BB436_4 Depth=1
	s_or_b32 exec_lo, exec_lo, s41
	s_wait_loadcnt_dscnt 0x303
	v_fma_mix_f32 v8, v38, v44, v34 op_sel_hi:[0,1,0]
	s_wait_loadcnt_dscnt 0x202
	s_delay_alu instid0(VALU_DEP_1) | instskip(SKIP_1) | instid1(VALU_DEP_1)
	v_fma_mix_f32 v8, v37, v45, v8 op_sel_hi:[0,1,0]
	s_wait_loadcnt_dscnt 0x101
	v_fma_mix_f32 v8, v19, v46, v8 op_sel_hi:[0,1,0]
	s_wait_loadcnt_dscnt 0x0
	s_delay_alu instid0(VALU_DEP_1)
	v_fma_mix_f32 v34, v18, v47, v8 op_sel_hi:[0,1,0]
.LBB436_47:                             ;   in Loop: Header=BB436_4 Depth=1
	s_or_b32 exec_lo, exec_lo, s40
	s_wait_loadcnt_dscnt 0x303
	v_fma_mix_f32 v8, v38, v16, v33 op_sel_hi:[0,1,0]
	s_wait_loadcnt_dscnt 0x202
	s_delay_alu instid0(VALU_DEP_1) | instskip(SKIP_1) | instid1(VALU_DEP_1)
	v_fma_mix_f32 v8, v37, v17, v8 op_sel_hi:[0,1,0]
	s_wait_loadcnt_dscnt 0x101
	v_fma_mix_f32 v8, v19, v42, v8 op_sel_hi:[0,1,0]
	s_wait_loadcnt_dscnt 0x0
	s_delay_alu instid0(VALU_DEP_1)
	v_fma_mix_f32 v33, v18, v43, v8 op_sel_hi:[0,1,0]
.LBB436_48:                             ;   in Loop: Header=BB436_4 Depth=1
	s_or_b32 exec_lo, exec_lo, s39
	s_wait_loadcnt_dscnt 0x303
	v_fma_mix_f32 v8, v38, v36, v32 op_sel_hi:[0,1,0]
	s_wait_loadcnt_dscnt 0x202
	s_delay_alu instid0(VALU_DEP_1) | instskip(SKIP_1) | instid1(VALU_DEP_1)
	v_fma_mix_f32 v8, v37, v39, v8 op_sel_hi:[0,1,0]
	s_wait_loadcnt_dscnt 0x101
	v_fma_mix_f32 v8, v19, v40, v8 op_sel_hi:[0,1,0]
	s_wait_loadcnt_dscnt 0x0
	s_delay_alu instid0(VALU_DEP_1)
	v_fma_mix_f32 v32, v18, v41, v8 op_sel_hi:[0,1,0]
.LBB436_49:                             ;   in Loop: Header=BB436_4 Depth=1
	s_or_b32 exec_lo, exec_lo, s7
.LBB436_50:                             ;   in Loop: Header=BB436_4 Depth=1
	ds_store_2addr_stride64_b32 v21, v32, v33 offset1:1
	ds_store_2addr_stride64_b32 v21, v34, v35 offset0:2 offset1:3
	s_wait_dscnt 0x0
	s_barrier_signal -1
	s_barrier_wait -1
                                        ; implicit-def: $vgpr12
	s_and_saveexec_b32 s7, s0
	s_cbranch_execz .LBB436_56
; %bb.51:                               ;   in Loop: Header=BB436_4 Depth=1
	ds_load_2addr_stride64_b32 v[8:9], v22 offset1:4
	ds_load_2addr_stride64_b32 v[10:11], v22 offset0:8 offset1:12
	ds_load_2addr_stride64_b32 v[12:13], v22 offset0:16 offset1:20
	s_mov_b32 s40, s38
	s_wait_dscnt 0x2
	v_add_f32_e32 v14, v8, v9
	ds_load_2addr_stride64_b32 v[8:9], v22 offset0:24 offset1:28
	s_wait_dscnt 0x2
	v_add_f32_e32 v10, v10, v14
	s_delay_alu instid0(VALU_DEP_1) | instskip(SKIP_3) | instid1(VALU_DEP_1)
	v_add_f32_e32 v14, v11, v10
	ds_load_2addr_stride64_b32 v[10:11], v22 offset0:32 offset1:36
	s_wait_dscnt 0x2
	v_add_f32_e32 v12, v12, v14
	v_add_f32_e32 v14, v13, v12
	ds_load_2addr_stride64_b32 v[12:13], v22 offset0:40 offset1:44
	s_wait_dscnt 0x2
	v_add_f32_e32 v8, v8, v14
	s_delay_alu instid0(VALU_DEP_1) | instskip(SKIP_1) | instid1(VALU_DEP_1)
	v_add_f32_e32 v8, v9, v8
	s_wait_dscnt 0x1
	v_add_f32_e32 v10, v10, v8
	ds_load_2addr_stride64_b32 v[8:9], v22 offset0:48 offset1:52
	v_add_f32_e32 v10, v11, v10
	s_wait_dscnt 0x1
	s_delay_alu instid0(VALU_DEP_1) | instskip(SKIP_3) | instid1(VALU_DEP_1)
	v_add_f32_e32 v12, v12, v10
	ds_load_2addr_stride64_b32 v[10:11], v22 offset0:56 offset1:60
	v_add_f32_e32 v12, v13, v12
	s_wait_dscnt 0x1
	v_add_f32_e32 v8, v8, v12
                                        ; implicit-def: $vgpr12
	s_delay_alu instid0(VALU_DEP_1) | instskip(SKIP_1) | instid1(VALU_DEP_1)
	v_add_f32_e32 v8, v9, v8
	s_wait_dscnt 0x0
	v_add_f32_e32 v8, v10, v8
	s_delay_alu instid0(VALU_DEP_1)
	v_add_f32_e32 v8, v11, v8
	ds_store_b32 v22, v8
	s_and_saveexec_b32 s39, s2
	s_cbranch_execz .LBB436_55
; %bb.52:                               ;   in Loop: Header=BB436_4 Depth=1
	v_mul_f32_e32 v8, s22, v8
	s_and_not1_b32 vcc_lo, exec_lo, s33
	s_cbranch_vccnz .LBB436_54
; %bb.53:                               ;   in Loop: Header=BB436_4 Depth=1
	v_lshl_add_u64 v[10:11], v[4:5], 1, v[6:7]
	flat_load_u16 v9, v[10:11]
	s_wait_loadcnt_dscnt 0x0
	v_fma_mix_f32 v8, s26, v9, v8 op_sel_hi:[0,1,0]
.LBB436_54:                             ;   in Loop: Header=BB436_4 Depth=1
	s_delay_alu instid0(VALU_DEP_1)
	v_cvt_f16_f32_e32 v12, v8
	s_or_b32 s40, s38, exec_lo
.LBB436_55:                             ;   in Loop: Header=BB436_4 Depth=1
	s_wait_xcnt 0x0
	s_or_b32 exec_lo, exec_lo, s39
	s_delay_alu instid0(SALU_CYCLE_1) | instskip(SKIP_1) | instid1(SALU_CYCLE_1)
	s_and_not1_b32 s38, s38, exec_lo
	s_and_b32 s39, s40, exec_lo
	s_or_b32 s38, s38, s39
.LBB436_56:                             ;   in Loop: Header=BB436_4 Depth=1
	s_or_b32 exec_lo, exec_lo, s7
	v_mov_b64_e32 v[8:9], v[4:5]
	s_and_saveexec_b32 s7, s38
	s_cbranch_execz .LBB436_2
.LBB436_57:                             ;   in Loop: Header=BB436_4 Depth=1
	s_delay_alu instid0(VALU_DEP_1)
	v_lshl_add_u64 v[6:7], v[8:9], 1, v[6:7]
	flat_store_b16 v[6:7], v12
	s_branch .LBB436_2
.LBB436_58:
	s_endpgm
	.section	.rodata,"a",@progbits
	.p2align	6, 0x0
	.amdhsa_kernel _ZL20rocblas_gemvn_kernelILi64ELi16EiPKDF16_fKPDF16_EviiT3_lPKT2_lT1_lS7_lS8_lS4_lPT4_lS8_li
		.amdhsa_group_segment_fixed_size 16384
		.amdhsa_private_segment_fixed_size 0
		.amdhsa_kernarg_size 400
		.amdhsa_user_sgpr_count 2
		.amdhsa_user_sgpr_dispatch_ptr 0
		.amdhsa_user_sgpr_queue_ptr 0
		.amdhsa_user_sgpr_kernarg_segment_ptr 1
		.amdhsa_user_sgpr_dispatch_id 0
		.amdhsa_user_sgpr_kernarg_preload_length 0
		.amdhsa_user_sgpr_kernarg_preload_offset 0
		.amdhsa_user_sgpr_private_segment_size 0
		.amdhsa_wavefront_size32 1
		.amdhsa_uses_dynamic_stack 0
		.amdhsa_enable_private_segment 0
		.amdhsa_system_sgpr_workgroup_id_x 1
		.amdhsa_system_sgpr_workgroup_id_y 0
		.amdhsa_system_sgpr_workgroup_id_z 1
		.amdhsa_system_sgpr_workgroup_info 0
		.amdhsa_system_vgpr_workitem_id 1
		.amdhsa_next_free_vgpr 64
		.amdhsa_next_free_sgpr 46
		.amdhsa_named_barrier_count 0
		.amdhsa_reserve_vcc 1
		.amdhsa_float_round_mode_32 0
		.amdhsa_float_round_mode_16_64 0
		.amdhsa_float_denorm_mode_32 3
		.amdhsa_float_denorm_mode_16_64 3
		.amdhsa_fp16_overflow 0
		.amdhsa_memory_ordered 1
		.amdhsa_forward_progress 1
		.amdhsa_inst_pref_size 25
		.amdhsa_round_robin_scheduling 0
		.amdhsa_exception_fp_ieee_invalid_op 0
		.amdhsa_exception_fp_denorm_src 0
		.amdhsa_exception_fp_ieee_div_zero 0
		.amdhsa_exception_fp_ieee_overflow 0
		.amdhsa_exception_fp_ieee_underflow 0
		.amdhsa_exception_fp_ieee_inexact 0
		.amdhsa_exception_int_div_zero 0
	.end_amdhsa_kernel
	.section	.text._ZL20rocblas_gemvn_kernelILi64ELi16EiPKDF16_fKPDF16_EviiT3_lPKT2_lT1_lS7_lS8_lS4_lPT4_lS8_li,"axG",@progbits,_ZL20rocblas_gemvn_kernelILi64ELi16EiPKDF16_fKPDF16_EviiT3_lPKT2_lT1_lS7_lS8_lS4_lPT4_lS8_li,comdat
.Lfunc_end436:
	.size	_ZL20rocblas_gemvn_kernelILi64ELi16EiPKDF16_fKPDF16_EviiT3_lPKT2_lT1_lS7_lS8_lS4_lPT4_lS8_li, .Lfunc_end436-_ZL20rocblas_gemvn_kernelILi64ELi16EiPKDF16_fKPDF16_EviiT3_lPKT2_lT1_lS7_lS8_lS4_lPT4_lS8_li
                                        ; -- End function
	.set _ZL20rocblas_gemvn_kernelILi64ELi16EiPKDF16_fKPDF16_EviiT3_lPKT2_lT1_lS7_lS8_lS4_lPT4_lS8_li.num_vgpr, 64
	.set _ZL20rocblas_gemvn_kernelILi64ELi16EiPKDF16_fKPDF16_EviiT3_lPKT2_lT1_lS7_lS8_lS4_lPT4_lS8_li.num_agpr, 0
	.set _ZL20rocblas_gemvn_kernelILi64ELi16EiPKDF16_fKPDF16_EviiT3_lPKT2_lT1_lS7_lS8_lS4_lPT4_lS8_li.numbered_sgpr, 46
	.set _ZL20rocblas_gemvn_kernelILi64ELi16EiPKDF16_fKPDF16_EviiT3_lPKT2_lT1_lS7_lS8_lS4_lPT4_lS8_li.num_named_barrier, 0
	.set _ZL20rocblas_gemvn_kernelILi64ELi16EiPKDF16_fKPDF16_EviiT3_lPKT2_lT1_lS7_lS8_lS4_lPT4_lS8_li.private_seg_size, 0
	.set _ZL20rocblas_gemvn_kernelILi64ELi16EiPKDF16_fKPDF16_EviiT3_lPKT2_lT1_lS7_lS8_lS4_lPT4_lS8_li.uses_vcc, 1
	.set _ZL20rocblas_gemvn_kernelILi64ELi16EiPKDF16_fKPDF16_EviiT3_lPKT2_lT1_lS7_lS8_lS4_lPT4_lS8_li.uses_flat_scratch, 1
	.set _ZL20rocblas_gemvn_kernelILi64ELi16EiPKDF16_fKPDF16_EviiT3_lPKT2_lT1_lS7_lS8_lS4_lPT4_lS8_li.has_dyn_sized_stack, 0
	.set _ZL20rocblas_gemvn_kernelILi64ELi16EiPKDF16_fKPDF16_EviiT3_lPKT2_lT1_lS7_lS8_lS4_lPT4_lS8_li.has_recursion, 0
	.set _ZL20rocblas_gemvn_kernelILi64ELi16EiPKDF16_fKPDF16_EviiT3_lPKT2_lT1_lS7_lS8_lS4_lPT4_lS8_li.has_indirect_call, 0
	.section	.AMDGPU.csdata,"",@progbits
; Kernel info:
; codeLenInByte = 3156
; TotalNumSgprs: 48
; NumVgprs: 64
; ScratchSize: 0
; MemoryBound: 0
; FloatMode: 240
; IeeeMode: 1
; LDSByteSize: 16384 bytes/workgroup (compile time only)
; SGPRBlocks: 0
; VGPRBlocks: 3
; NumSGPRsForWavesPerEU: 48
; NumVGPRsForWavesPerEU: 64
; NamedBarCnt: 0
; Occupancy: 16
; WaveLimiterHint : 1
; COMPUTE_PGM_RSRC2:SCRATCH_EN: 0
; COMPUTE_PGM_RSRC2:USER_SGPR: 2
; COMPUTE_PGM_RSRC2:TRAP_HANDLER: 0
; COMPUTE_PGM_RSRC2:TGID_X_EN: 1
; COMPUTE_PGM_RSRC2:TGID_Y_EN: 0
; COMPUTE_PGM_RSRC2:TGID_Z_EN: 1
; COMPUTE_PGM_RSRC2:TIDIG_COMP_CNT: 1
	.section	.text._ZL20rocblas_gemvn_kernelILi64ELi16ElPKDF16_fKPDF16_EviiT3_lPKT2_lT1_lS7_lS8_lS4_lPT4_lS8_li,"axG",@progbits,_ZL20rocblas_gemvn_kernelILi64ELi16ElPKDF16_fKPDF16_EviiT3_lPKT2_lT1_lS7_lS8_lS4_lPT4_lS8_li,comdat
	.globl	_ZL20rocblas_gemvn_kernelILi64ELi16ElPKDF16_fKPDF16_EviiT3_lPKT2_lT1_lS7_lS8_lS4_lPT4_lS8_li ; -- Begin function _ZL20rocblas_gemvn_kernelILi64ELi16ElPKDF16_fKPDF16_EviiT3_lPKT2_lT1_lS7_lS8_lS4_lPT4_lS8_li
	.p2align	8
	.type	_ZL20rocblas_gemvn_kernelILi64ELi16ElPKDF16_fKPDF16_EviiT3_lPKT2_lT1_lS7_lS8_lS4_lPT4_lS8_li,@function
_ZL20rocblas_gemvn_kernelILi64ELi16ElPKDF16_fKPDF16_EviiT3_lPKT2_lT1_lS7_lS8_lS4_lPT4_lS8_li: ; @_ZL20rocblas_gemvn_kernelILi64ELi16ElPKDF16_fKPDF16_EviiT3_lPKT2_lT1_lS7_lS8_lS4_lPT4_lS8_li
; %bb.0:
	s_clause 0x1
	s_load_b64 s[2:3], s[0:1], 0x9c
	s_load_b32 s27, s[0:1], 0x88
	s_bfe_u32 s4, ttmp6, 0x40014
	s_lshr_b32 s5, ttmp7, 16
	s_add_co_i32 s4, s4, 1
	s_bfe_u32 s6, ttmp6, 0x40008
	s_mul_i32 s7, s5, s4
	s_getreg_b32 s4, hwreg(HW_REG_IB_STS2, 6, 4)
	s_add_co_i32 s6, s6, s7
	s_mov_b32 s11, 0
	s_wait_kmcnt 0x0
	s_lshr_b32 s7, s2, 16
	s_and_b32 s2, s2, 0xffff
	s_and_b32 s3, s3, 0xffff
	s_mul_i32 s2, s7, s2
	s_cmp_eq_u32 s4, 0
	s_mul_i32 s2, s2, s3
	s_cselect_b32 s10, s5, s6
	s_cmp_lg_u32 s2, 0x400
	s_cselect_b32 s2, -1, 0
	s_cmp_ge_u32 s10, s27
	s_cselect_b32 s3, -1, 0
	s_delay_alu instid0(SALU_CYCLE_1) | instskip(NEXT) | instid1(SALU_CYCLE_1)
	s_or_b32 s2, s2, s3
	s_and_b32 vcc_lo, exec_lo, s2
	s_cbranch_vccnz .LBB437_58
; %bb.1:
	s_clause 0x7
	s_load_b96 s[24:26], s[0:1], 0x0
	s_load_b32 s33, s[0:1], 0x58
	s_load_b64 s[28:29], s[0:1], 0x48
	s_load_b128 s[12:15], s[0:1], 0x18
	s_load_b64 s[30:31], s[0:1], 0x28
	s_load_b128 s[16:19], s[0:1], 0x38
	;; [unrolled: 2-line block ×3, first 2 shown]
	v_bfe_u32 v4, v0, 10, 10
	v_and_b32_e32 v15, 0x3ff, v0
	s_delay_alu instid0(VALU_DEP_2) | instskip(NEXT) | instid1(VALU_DEP_2)
	v_dual_mov_b32 v1, 0 :: v_dual_lshlrev_b32 v48, 2, v4
	v_lshl_add_u32 v14, v4, 6, v15
	s_delay_alu instid0(VALU_DEP_2) | instskip(NEXT) | instid1(VALU_DEP_1)
	v_dual_mov_b32 v5, v1 :: v_dual_lshlrev_b32 v16, 2, v15
	v_lshl_add_u32 v50, v4, 10, v16
	s_wait_kmcnt 0x0
	s_cmp_eq_f32 s26, 0
	v_lshl_add_u32 v51, v4, 8, v16
	v_mad_nc_u64_u32 v[6:7], s28, v48, s[28:29]
	v_mul_u64_e32 v[10:11], s[28:29], v[4:5]
	s_cselect_b32 s38, -1, 0
	s_cmp_neq_f32 s33, 1.0
	v_mad_nc_u64_u32 v[8:9], s30, v48, s[30:31]
	v_mul_u64_e32 v[12:13], s[30:31], v[4:5]
	s_cselect_b32 s0, -1, 0
	s_cmp_neq_f32 s26, 0
	s_delay_alu instid0(VALU_DEP_4)
	v_mad_u32 v7, s29, v48, v7
	s_cselect_b32 s1, -1, 0
	s_bfe_u32 s5, ttmp6, 0x4000c
	s_and_b32 s6, ttmp6, 15
	s_add_co_i32 s5, s5, 1
	s_or_b32 s39, s1, s0
	s_mul_i32 s5, ttmp9, s5
	v_cndmask_b32_e64 v49, 0, 1, s1
	s_add_co_i32 s6, s6, s5
	s_cmp_eq_u32 s4, 0
	s_mov_b32 s0, s24
	s_cselect_b32 s1, ttmp9, s6
	v_mad_u32 v9, s31, v48, v9
	s_lshl_b32 s4, s1, 8
	s_ashr_i32 s1, s24, 31
	v_add_nc_u32_e32 v0, s4, v14
	v_lshlrev_b64_e32 v[4:5], 1, v[6:7]
	v_add_nc_u32_e32 v24, s4, v15
	s_cmp_neq_f32 s33, 0
	s_delay_alu instid0(VALU_DEP_3)
	v_cmp_gt_i64_e32 vcc_lo, s[0:1], v[0:1]
	v_cmp_gt_u32_e64 s0, 0x100, v14
	v_or_b32_e32 v14, s4, v14
	v_mul_u64_e32 v[2:3], s[2:3], v[0:1]
	v_or_b32_e32 v0, 3, v48
	v_lshlrev_b64_e32 v[6:7], 1, v[8:9]
	s_cselect_b32 s40, -1, 0
	v_ashrrev_i32_e32 v15, 31, v14
	s_ashr_i32 s1, s25, 31
	v_mul_u64_e32 v[16:17], s[30:31], v[0:1]
	v_mul_u64_e32 v[18:19], s[28:29], v[0:1]
	v_or_b32_e32 v0, 2, v48
	v_mul_u64_e32 v[8:9], s[2:3], v[14:15]
	s_lshr_b32 s4, s1, 26
	v_ashrrev_i32_e32 v25, 31, v24
	v_add_nc_u32_e32 v15, 0x80, v24
	v_mul_u64_e32 v[20:21], s[30:31], v[0:1]
	v_mul_u64_e32 v[22:23], s[28:29], v[0:1]
	s_add_co_i32 s41, s25, s4
	v_add_nc_u32_e32 v0, 64, v24
	v_add_nc_u32_e32 v26, 0xc0, v24
	s_and_not1_b32 s41, s41, 63
	v_cmp_gt_i32_e64 s2, s24, v14
	v_lshlrev_b64_e32 v[10:11], 3, v[10:11]
	v_lshlrev_b64_e32 v[12:13], 3, v[12:13]
	v_cmp_gt_i32_e64 s4, s24, v15
	s_sub_co_i32 s6, s25, s41
	v_lshlrev_b64_e32 v[14:15], 1, v[24:25]
	v_cmp_gt_i32_e64 s1, s24, v24
	v_cmp_gt_i32_e64 s3, s24, v0
	;; [unrolled: 1-line block ×3, first 2 shown]
	s_cmp_gt_i32 s6, 0
	v_cmp_gt_i32_e64 s6, s41, v48
	s_cselect_b32 s24, -1, 0
	s_and_b32 s42, s0, vcc_lo
	s_lshl_b64 s[34:35], s[28:29], 7
	s_lshl_b64 s[36:37], s[30:31], 7
	;; [unrolled: 1-line block ×5, first 2 shown]
	v_lshlrev_b64_e32 v[16:17], 1, v[16:17]
	v_lshlrev_b64_e32 v[18:19], 1, v[18:19]
	;; [unrolled: 1-line block ×4, first 2 shown]
	s_branch .LBB437_4
.LBB437_2:                              ;   in Loop: Header=BB437_4 Depth=1
	s_wait_xcnt 0x0
	s_or_b32 exec_lo, exec_lo, s7
.LBB437_3:                              ;   in Loop: Header=BB437_4 Depth=1
	s_add_co_i32 s10, s10, 0x10000
	s_delay_alu instid0(SALU_CYCLE_1)
	s_cmp_lt_u32 s10, s27
	s_cbranch_scc0 .LBB437_58
.LBB437_4:                              ; =>This Loop Header: Depth=1
                                        ;     Child Loop BB437_26 Depth 2
	s_and_not1_b32 vcc_lo, exec_lo, s39
	s_cbranch_vccnz .LBB437_3
; %bb.5:                                ;   in Loop: Header=BB437_4 Depth=1
	s_and_not1_b32 vcc_lo, exec_lo, s38
	s_cbranch_vccnz .LBB437_7
; %bb.6:                                ;   in Loop: Header=BB437_4 Depth=1
	v_mov_b64_e32 v[28:29], 0
	v_mov_b64_e32 v[26:27], 0
	s_cbranch_execz .LBB437_8
	s_branch .LBB437_9
.LBB437_7:                              ;   in Loop: Header=BB437_4 Depth=1
	v_mov_b64_e32 v[28:29], 0
	v_mov_b64_e32 v[26:27], 0
.LBB437_8:                              ;   in Loop: Header=BB437_4 Depth=1
	s_lshl_b64 s[8:9], s[10:11], 3
	s_delay_alu instid0(SALU_CYCLE_1)
	s_add_nc_u64 s[8:9], s[12:13], s[8:9]
	global_load_b64 v[24:25], v1, s[8:9]
	s_wait_loadcnt 0x0
	v_add_nc_u64_e32 v[26:27], s[14:15], v[24:25]
.LBB437_9:                              ;   in Loop: Header=BB437_4 Depth=1
	v_cmp_ne_u32_e32 vcc_lo, 1, v49
	s_cbranch_vccnz .LBB437_11
; %bb.10:                               ;   in Loop: Header=BB437_4 Depth=1
	s_wait_xcnt 0x0
	s_lshl_b64 s[8:9], s[10:11], 3
	s_delay_alu instid0(SALU_CYCLE_1)
	s_add_nc_u64 s[8:9], s[16:17], s[8:9]
	global_load_b64 v[24:25], v1, s[8:9]
	s_wait_loadcnt 0x0
	v_add_nc_u64_e32 v[28:29], s[18:19], v[24:25]
.LBB437_11:                             ;   in Loop: Header=BB437_4 Depth=1
	s_wait_xcnt 0x0
	s_lshl_b64 s[8:9], s[10:11], 3
	s_and_not1_b32 vcc_lo, exec_lo, s38
	s_add_nc_u64 s[8:9], s[20:21], s[8:9]
	global_load_b64 v[24:25], v1, s[8:9]
	s_wait_loadcnt 0x0
	v_add_nc_u64_e32 v[24:25], s[22:23], v[24:25]
	s_cbranch_vccnz .LBB437_15
; %bb.12:                               ;   in Loop: Header=BB437_4 Depth=1
	s_mov_b32 s7, 0
	s_mov_b32 s43, 0
                                        ; implicit-def: $vgpr0
	s_wait_xcnt 0x0
	s_and_saveexec_b32 s8, s42
	s_cbranch_execz .LBB437_16
; %bb.13:                               ;   in Loop: Header=BB437_4 Depth=1
	s_and_not1_b32 vcc_lo, exec_lo, s40
	s_cbranch_vccnz .LBB437_18
; %bb.14:                               ;   in Loop: Header=BB437_4 Depth=1
	v_lshl_add_u64 v[30:31], v[2:3], 1, v[24:25]
	flat_load_u16 v0, v[30:31]
	s_wait_loadcnt_dscnt 0x0
	v_fma_mixlo_f16 v0, s33, v0, 0 op_sel_hi:[0,1,0]
	s_branch .LBB437_19
.LBB437_15:                             ;   in Loop: Header=BB437_4 Depth=1
	s_mov_b32 s43, 0
                                        ; implicit-def: $vgpr0
	s_cbranch_execz .LBB437_17
	s_branch .LBB437_20
.LBB437_16:                             ;   in Loop: Header=BB437_4 Depth=1
	s_or_b32 exec_lo, exec_lo, s8
	s_delay_alu instid0(SALU_CYCLE_1)
	s_and_b32 vcc_lo, exec_lo, s7
	s_cbranch_vccnz .LBB437_20
.LBB437_17:                             ;   in Loop: Header=BB437_4 Depth=1
	v_mov_b64_e32 v[26:27], v[2:3]
	s_wait_xcnt 0x0
	s_and_saveexec_b32 s7, s43
	s_cbranch_execz .LBB437_2
	s_branch .LBB437_57
.LBB437_18:                             ;   in Loop: Header=BB437_4 Depth=1
	v_mov_b32_e32 v0, 0
.LBB437_19:                             ;   in Loop: Header=BB437_4 Depth=1
	s_mov_b32 s43, exec_lo
	s_wait_xcnt 0x0
	s_or_b32 exec_lo, exec_lo, s8
	s_delay_alu instid0(SALU_CYCLE_1)
	s_and_b32 vcc_lo, exec_lo, s7
	s_cbranch_vccz .LBB437_17
.LBB437_20:                             ;   in Loop: Header=BB437_4 Depth=1
	v_dual_mov_b32 v52, 0 :: v_dual_mov_b32 v0, v48
	v_dual_mov_b32 v53, 0 :: v_dual_mov_b32 v54, 0
	v_mov_b32_e32 v55, 0
	s_wait_xcnt 0x0
	s_and_saveexec_b32 s7, s6
	s_cbranch_execz .LBB437_32
; %bb.21:                               ;   in Loop: Header=BB437_4 Depth=1
	v_add_nc_u64_e32 v[30:31], v[26:27], v[16:17]
	v_add_nc_u64_e32 v[32:33], v[26:27], v[12:13]
	;; [unrolled: 1-line block ×4, first 2 shown]
	v_mov_b64_e32 v[38:39], v[28:29]
	v_dual_mov_b32 v52, 0 :: v_dual_mov_b32 v0, v48
	v_dual_mov_b32 v53, 0 :: v_dual_mov_b32 v54, 0
	v_mov_b32_e32 v55, 0
	s_mov_b32 s8, 0
	s_branch .LBB437_26
.LBB437_22:                             ;   in Loop: Header=BB437_26 Depth=2
	s_wait_xcnt 0x0
	s_or_b32 exec_lo, exec_lo, s46
	s_wait_loadcnt_dscnt 0x303
	v_fma_mix_f32 v40, v68, v72, v54 op_sel_hi:[0,1,0]
	s_wait_loadcnt_dscnt 0x202
	s_delay_alu instid0(VALU_DEP_1) | instskip(SKIP_1) | instid1(VALU_DEP_1)
	v_fma_mix_f32 v40, v69, v73, v40 op_sel_hi:[0,1,0]
	s_wait_loadcnt_dscnt 0x101
	v_fma_mix_f32 v40, v70, v74, v40 op_sel_hi:[0,1,0]
	s_wait_loadcnt_dscnt 0x0
	s_delay_alu instid0(VALU_DEP_1)
	v_fma_mix_f32 v54, v71, v75, v40 op_sel_hi:[0,1,0]
.LBB437_23:                             ;   in Loop: Header=BB437_26 Depth=2
	s_or_b32 exec_lo, exec_lo, s45
	s_wait_loadcnt_dscnt 0x303
	v_fma_mix_f32 v40, v68, v64, v53 op_sel_hi:[0,1,0]
	s_wait_loadcnt_dscnt 0x202
	s_delay_alu instid0(VALU_DEP_1) | instskip(SKIP_1) | instid1(VALU_DEP_1)
	v_fma_mix_f32 v40, v69, v65, v40 op_sel_hi:[0,1,0]
	s_wait_loadcnt_dscnt 0x101
	v_fma_mix_f32 v40, v70, v66, v40 op_sel_hi:[0,1,0]
	s_wait_loadcnt_dscnt 0x0
	s_delay_alu instid0(VALU_DEP_1)
	v_fma_mix_f32 v53, v71, v67, v40 op_sel_hi:[0,1,0]
.LBB437_24:                             ;   in Loop: Header=BB437_26 Depth=2
	s_or_b32 exec_lo, exec_lo, s44
	s_wait_loadcnt_dscnt 0x303
	v_fma_mix_f32 v40, v56, v60, v52 op_sel_hi:[1,1,0]
	s_wait_loadcnt_dscnt 0x202
	s_delay_alu instid0(VALU_DEP_1) | instskip(SKIP_1) | instid1(VALU_DEP_1)
	v_fma_mix_f32 v40, v57, v61, v40 op_sel_hi:[1,1,0]
	s_wait_loadcnt_dscnt 0x101
	v_fma_mix_f32 v40, v58, v62, v40 op_sel_hi:[1,1,0]
	s_wait_loadcnt_dscnt 0x0
	s_delay_alu instid0(VALU_DEP_1)
	v_fma_mix_f32 v52, v59, v63, v40 op_sel_hi:[1,1,0]
.LBB437_25:                             ;   in Loop: Header=BB437_26 Depth=2
	s_or_b32 exec_lo, exec_lo, s9
	v_add_nc_u32_e32 v0, 64, v0
	v_add_nc_u64_e32 v[38:39], s[34:35], v[38:39]
	v_add_nc_u64_e32 v[30:31], s[36:37], v[30:31]
	;; [unrolled: 1-line block ×4, first 2 shown]
	v_cmp_le_i32_e32 vcc_lo, s41, v0
	v_add_nc_u64_e32 v[36:37], s[36:37], v[36:37]
	s_or_b32 s8, vcc_lo, s8
	s_delay_alu instid0(SALU_CYCLE_1)
	s_and_not1_b32 exec_lo, exec_lo, s8
	s_cbranch_execz .LBB437_31
.LBB437_26:                             ;   Parent Loop BB437_4 Depth=1
                                        ; =>  This Inner Loop Header: Depth=2
	s_and_saveexec_b32 s9, s1
	s_cbranch_execz .LBB437_25
; %bb.27:                               ;   in Loop: Header=BB437_26 Depth=2
	v_add_nc_u64_e32 v[56:57], v[38:39], v[10:11]
	v_add_nc_u64_e32 v[58:59], v[38:39], v[4:5]
	;; [unrolled: 1-line block ×8, first 2 shown]
	s_clause 0x3
	flat_load_u16 v56, v[56:57]
	flat_load_u16 v57, v[58:59]
	;; [unrolled: 1-line block ×4, first 2 shown]
                                        ; kill: killed $vgpr62_vgpr63
                                        ; kill: killed $vgpr60_vgpr61
	flat_load_u16 v60, v[40:41]
	flat_load_u16 v61, v[42:43]
	;; [unrolled: 1-line block ×4, first 2 shown]
	s_wait_xcnt 0x0
	s_and_saveexec_b32 s44, s3
	s_cbranch_execz .LBB437_24
; %bb.28:                               ;   in Loop: Header=BB437_26 Depth=2
	flat_load_u16 v64, v[40:41] offset:128
	flat_load_u16 v65, v[42:43] offset:128
	;; [unrolled: 1-line block ×4, first 2 shown]
	s_wait_loadcnt_dscnt 0xb0b
	v_cvt_f32_f16_e32 v68, v56
	s_wait_loadcnt_dscnt 0xa0a
	v_cvt_f32_f16_e32 v69, v57
	;; [unrolled: 2-line block ×4, first 2 shown]
	s_wait_xcnt 0x0
	s_and_saveexec_b32 s45, s4
	s_cbranch_execz .LBB437_23
; %bb.29:                               ;   in Loop: Header=BB437_26 Depth=2
	flat_load_u16 v72, v[40:41] offset:256
	flat_load_u16 v73, v[42:43] offset:256
	;; [unrolled: 1-line block ×4, first 2 shown]
	s_wait_xcnt 0x0
	s_and_saveexec_b32 s46, s5
	s_cbranch_execz .LBB437_22
; %bb.30:                               ;   in Loop: Header=BB437_26 Depth=2
	flat_load_u16 v40, v[40:41] offset:384
	flat_load_u16 v41, v[42:43] offset:384
	;; [unrolled: 1-line block ×4, first 2 shown]
	s_wait_loadcnt_dscnt 0x303
	v_fma_mix_f32 v40, v68, v40, v55 op_sel_hi:[0,1,0]
	s_wait_loadcnt_dscnt 0x202
	s_delay_alu instid0(VALU_DEP_1) | instskip(SKIP_1) | instid1(VALU_DEP_1)
	v_fma_mix_f32 v40, v69, v41, v40 op_sel_hi:[0,1,0]
	s_wait_loadcnt_dscnt 0x101
	v_fma_mix_f32 v40, v70, v42, v40 op_sel_hi:[0,1,0]
	s_wait_loadcnt_dscnt 0x0
	s_delay_alu instid0(VALU_DEP_1)
	v_fma_mix_f32 v55, v71, v43, v40 op_sel_hi:[0,1,0]
	s_branch .LBB437_22
.LBB437_31:                             ;   in Loop: Header=BB437_4 Depth=1
	s_or_b32 exec_lo, exec_lo, s8
.LBB437_32:                             ;   in Loop: Header=BB437_4 Depth=1
	s_delay_alu instid0(SALU_CYCLE_1) | instskip(NEXT) | instid1(SALU_CYCLE_1)
	s_or_b32 exec_lo, exec_lo, s7
	s_and_not1_b32 vcc_lo, exec_lo, s24
	s_cbranch_vccnz .LBB437_50
; %bb.33:                               ;   in Loop: Header=BB437_4 Depth=1
	v_cmp_gt_i32_e32 vcc_lo, s25, v0
	v_dual_mov_b32 v34, 0 :: v_dual_bitop2_b32 v30, 1, v0 bitop3:0x54
	v_dual_mov_b32 v35, 0 :: v_dual_mov_b32 v36, 0
	v_mov_b32_e32 v37, 0
	s_and_saveexec_b32 s8, vcc_lo
	s_cbranch_execz .LBB437_41
; %bb.34:                               ;   in Loop: Header=BB437_4 Depth=1
	v_mul_u64_e32 v[32:33], s[28:29], v[0:1]
	v_dual_mov_b32 v36, 0 :: v_dual_mov_b32 v35, 0
	v_mov_b32_e32 v34, 0
	s_mov_b32 s9, exec_lo
	s_delay_alu instid0(VALU_DEP_3)
	v_lshl_add_u64 v[32:33], v[32:33], 1, v[28:29]
	flat_load_u16 v37, v[32:33]
	s_wait_xcnt 0x0
	v_cmpx_gt_i32_e64 s25, v30
	s_cbranch_execz .LBB437_40
; %bb.35:                               ;   in Loop: Header=BB437_4 Depth=1
	v_dual_mov_b32 v31, v1 :: v_dual_mov_b32 v35, 0
	v_mov_b32_e32 v34, 0
	s_mov_b32 s44, exec_lo
	s_delay_alu instid0(VALU_DEP_2) | instskip(NEXT) | instid1(VALU_DEP_1)
	v_mul_u64_e32 v[32:33], s[28:29], v[30:31]
	v_lshl_add_u64 v[32:33], v[32:33], 1, v[28:29]
	flat_load_u16 v31, v[32:33]
	s_wait_xcnt 0x0
	v_or_b32_e32 v32, 2, v0
	s_delay_alu instid0(VALU_DEP_1)
	v_cmpx_gt_i32_e64 s25, v32
	s_cbranch_execz .LBB437_39
; %bb.36:                               ;   in Loop: Header=BB437_4 Depth=1
	v_dual_mov_b32 v33, v1 :: v_dual_mov_b32 v34, 0
	s_mov_b32 s45, exec_lo
	s_delay_alu instid0(VALU_DEP_1) | instskip(NEXT) | instid1(VALU_DEP_1)
	v_mul_u64_e32 v[32:33], s[28:29], v[32:33]
	v_lshl_add_u64 v[32:33], v[32:33], 1, v[28:29]
	flat_load_u16 v35, v[32:33]
	s_wait_xcnt 0x0
	v_or_b32_e32 v32, 3, v0
	s_delay_alu instid0(VALU_DEP_1)
	v_cmpx_gt_i32_e64 s25, v32
	s_cbranch_execz .LBB437_38
; %bb.37:                               ;   in Loop: Header=BB437_4 Depth=1
	v_mov_b32_e32 v33, v1
	s_delay_alu instid0(VALU_DEP_1) | instskip(NEXT) | instid1(VALU_DEP_1)
	v_mul_u64_e32 v[32:33], s[28:29], v[32:33]
	v_lshl_add_u64 v[28:29], v[32:33], 1, v[28:29]
	flat_load_u16 v28, v[28:29]
	s_wait_loadcnt_dscnt 0x0
	v_cvt_f32_f16_e32 v34, v28
.LBB437_38:                             ;   in Loop: Header=BB437_4 Depth=1
	s_wait_xcnt 0x0
	s_or_b32 exec_lo, exec_lo, s45
	s_wait_loadcnt_dscnt 0x0
	v_cvt_f32_f16_e32 v35, v35
.LBB437_39:                             ;   in Loop: Header=BB437_4 Depth=1
	s_or_b32 exec_lo, exec_lo, s44
	s_wait_loadcnt_dscnt 0x0
	v_cvt_f32_f16_e32 v36, v31
.LBB437_40:                             ;   in Loop: Header=BB437_4 Depth=1
	s_or_b32 exec_lo, exec_lo, s9
	s_wait_loadcnt_dscnt 0x0
	v_cvt_f32_f16_e32 v37, v37
.LBB437_41:                             ;   in Loop: Header=BB437_4 Depth=1
	s_or_b32 exec_lo, exec_lo, s8
	s_and_saveexec_b32 s44, s1
	s_cbranch_execz .LBB437_49
; %bb.42:                               ;   in Loop: Header=BB437_4 Depth=1
	v_dual_mov_b32 v31, v1 :: v_dual_bitop2_b32 v28, 2, v0 bitop3:0x54
	v_mov_b32_e32 v29, v1
	v_mul_u64_e32 v[32:33], s[30:31], v[0:1]
	v_or_b32_e32 v0, 3, v0
	s_delay_alu instid0(VALU_DEP_4)
	v_mul_u64_e32 v[38:39], s[30:31], v[30:31]
	v_cmp_gt_i32_e64 s7, s25, v30
	v_mul_u64_e32 v[40:41], s[30:31], v[28:29]
	v_cmp_gt_i32_e64 s8, s25, v28
	;; [unrolled: 2-line block ×3, first 2 shown]
	v_dual_cndmask_b32 v29, 0, v33 :: v_dual_cndmask_b32 v28, 0, v32
	v_dual_cndmask_b32 v31, 0, v39, s7 :: v_dual_cndmask_b32 v30, 0, v38, s7
	v_dual_cndmask_b32 v33, 0, v41, s8 :: v_dual_cndmask_b32 v32, 0, v40, s8
	s_delay_alu instid0(VALU_DEP_4) | instskip(NEXT) | instid1(VALU_DEP_4)
	v_dual_cndmask_b32 v39, 0, v43, s9 :: v_dual_cndmask_b32 v38, 0, v42, s9
	v_lshl_add_u64 v[28:29], v[28:29], 1, v[26:27]
	s_delay_alu instid0(VALU_DEP_4) | instskip(NEXT) | instid1(VALU_DEP_4)
	v_lshl_add_u64 v[30:31], v[30:31], 1, v[26:27]
	v_lshl_add_u64 v[32:33], v[32:33], 1, v[26:27]
	s_delay_alu instid0(VALU_DEP_4) | instskip(NEXT) | instid1(VALU_DEP_4)
	v_lshl_add_u64 v[38:39], v[38:39], 1, v[26:27]
	v_add_nc_u64_e32 v[28:29], v[28:29], v[14:15]
	s_delay_alu instid0(VALU_DEP_4) | instskip(NEXT) | instid1(VALU_DEP_4)
	v_add_nc_u64_e32 v[26:27], v[30:31], v[14:15]
	v_add_nc_u64_e32 v[32:33], v[32:33], v[14:15]
	s_delay_alu instid0(VALU_DEP_4)
	v_add_nc_u64_e32 v[30:31], v[38:39], v[14:15]
	s_clause 0x3
	flat_load_u16 v0, v[28:29]
	flat_load_u16 v38, v[26:27]
	;; [unrolled: 1-line block ×4, first 2 shown]
	s_wait_xcnt 0x0
	s_and_saveexec_b32 s7, s3
	s_cbranch_execz .LBB437_48
; %bb.43:                               ;   in Loop: Header=BB437_4 Depth=1
	s_clause 0x3
	flat_load_u16 v41, v[28:29] offset:128
	flat_load_u16 v42, v[26:27] offset:128
	flat_load_u16 v43, v[32:33] offset:128
	flat_load_u16 v44, v[30:31] offset:128
	s_wait_xcnt 0x0
	s_and_saveexec_b32 s8, s4
	s_cbranch_execz .LBB437_47
; %bb.44:                               ;   in Loop: Header=BB437_4 Depth=1
	s_clause 0x3
	flat_load_u16 v45, v[28:29] offset:256
	flat_load_u16 v46, v[26:27] offset:256
	flat_load_u16 v47, v[32:33] offset:256
	flat_load_u16 v56, v[30:31] offset:256
	;; [unrolled: 9-line block ×3, first 2 shown]
	s_wait_loadcnt_dscnt 0x303
	s_wait_xcnt 0x2
	v_fma_mix_f32 v26, v37, v57, v55 op_sel_hi:[0,1,0]
	s_wait_loadcnt_dscnt 0x202
	s_delay_alu instid0(VALU_DEP_1) | instskip(SKIP_1) | instid1(VALU_DEP_1)
	v_fma_mix_f32 v26, v36, v58, v26 op_sel_hi:[0,1,0]
	s_wait_loadcnt_dscnt 0x101
	v_fma_mix_f32 v26, v35, v59, v26 op_sel_hi:[0,1,0]
	s_wait_loadcnt_dscnt 0x0
	s_delay_alu instid0(VALU_DEP_1)
	v_fma_mix_f32 v55, v34, v60, v26 op_sel_hi:[0,1,0]
.LBB437_46:                             ;   in Loop: Header=BB437_4 Depth=1
	s_wait_xcnt 0x0
	s_or_b32 exec_lo, exec_lo, s9
	s_wait_loadcnt_dscnt 0x303
	v_fma_mix_f32 v26, v37, v45, v54 op_sel_hi:[0,1,0]
	s_wait_loadcnt_dscnt 0x202
	s_delay_alu instid0(VALU_DEP_1) | instskip(SKIP_1) | instid1(VALU_DEP_1)
	v_fma_mix_f32 v26, v36, v46, v26 op_sel_hi:[0,1,0]
	s_wait_loadcnt_dscnt 0x101
	v_fma_mix_f32 v26, v35, v47, v26 op_sel_hi:[0,1,0]
	s_wait_loadcnt_dscnt 0x0
	s_delay_alu instid0(VALU_DEP_1)
	v_fma_mix_f32 v54, v34, v56, v26 op_sel_hi:[0,1,0]
.LBB437_47:                             ;   in Loop: Header=BB437_4 Depth=1
	s_or_b32 exec_lo, exec_lo, s8
	s_wait_loadcnt_dscnt 0x303
	v_fma_mix_f32 v26, v37, v41, v53 op_sel_hi:[0,1,0]
	s_wait_loadcnt_dscnt 0x202
	s_delay_alu instid0(VALU_DEP_1) | instskip(SKIP_1) | instid1(VALU_DEP_1)
	v_fma_mix_f32 v26, v36, v42, v26 op_sel_hi:[0,1,0]
	s_wait_loadcnt_dscnt 0x101
	v_fma_mix_f32 v26, v35, v43, v26 op_sel_hi:[0,1,0]
	s_wait_loadcnt_dscnt 0x0
	s_delay_alu instid0(VALU_DEP_1)
	v_fma_mix_f32 v53, v34, v44, v26 op_sel_hi:[0,1,0]
.LBB437_48:                             ;   in Loop: Header=BB437_4 Depth=1
	s_or_b32 exec_lo, exec_lo, s7
	s_wait_loadcnt_dscnt 0x303
	v_fma_mix_f32 v0, v37, v0, v52 op_sel_hi:[0,1,0]
	s_wait_loadcnt_dscnt 0x202
	s_delay_alu instid0(VALU_DEP_1) | instskip(SKIP_1) | instid1(VALU_DEP_1)
	v_fma_mix_f32 v0, v36, v38, v0 op_sel_hi:[0,1,0]
	s_wait_loadcnt_dscnt 0x101
	v_fma_mix_f32 v0, v35, v39, v0 op_sel_hi:[0,1,0]
	s_wait_loadcnt_dscnt 0x0
	s_delay_alu instid0(VALU_DEP_1)
	v_fma_mix_f32 v52, v34, v40, v0 op_sel_hi:[0,1,0]
.LBB437_49:                             ;   in Loop: Header=BB437_4 Depth=1
	s_or_b32 exec_lo, exec_lo, s44
.LBB437_50:                             ;   in Loop: Header=BB437_4 Depth=1
	ds_store_2addr_stride64_b32 v50, v52, v53 offset1:1
	ds_store_2addr_stride64_b32 v50, v54, v55 offset0:2 offset1:3
	s_wait_dscnt 0x0
	s_barrier_signal -1
	s_barrier_wait -1
                                        ; implicit-def: $vgpr0
	s_and_saveexec_b32 s7, s0
	s_cbranch_execz .LBB437_56
; %bb.51:                               ;   in Loop: Header=BB437_4 Depth=1
	ds_load_2addr_stride64_b32 v[26:27], v51 offset1:4
	ds_load_2addr_stride64_b32 v[28:29], v51 offset0:8 offset1:12
	ds_load_2addr_stride64_b32 v[30:31], v51 offset0:16 offset1:20
	s_mov_b32 s9, s43
	s_wait_dscnt 0x2
	v_add_f32_e32 v0, v26, v27
	ds_load_2addr_stride64_b32 v[26:27], v51 offset0:24 offset1:28
	s_wait_dscnt 0x2
	v_add_f32_e32 v0, v28, v0
	s_delay_alu instid0(VALU_DEP_1) | instskip(SKIP_3) | instid1(VALU_DEP_1)
	v_add_f32_e32 v0, v29, v0
	ds_load_2addr_stride64_b32 v[28:29], v51 offset0:32 offset1:36
	s_wait_dscnt 0x2
	v_add_f32_e32 v0, v30, v0
	v_add_f32_e32 v0, v31, v0
	ds_load_2addr_stride64_b32 v[30:31], v51 offset0:40 offset1:44
	s_wait_dscnt 0x2
	v_add_f32_e32 v0, v26, v0
	s_delay_alu instid0(VALU_DEP_1) | instskip(SKIP_3) | instid1(VALU_DEP_1)
	v_add_f32_e32 v0, v27, v0
	ds_load_2addr_stride64_b32 v[26:27], v51 offset0:48 offset1:52
	s_wait_dscnt 0x2
	v_add_f32_e32 v0, v28, v0
	v_add_f32_e32 v0, v29, v0
	ds_load_2addr_stride64_b32 v[28:29], v51 offset0:56 offset1:60
	s_wait_dscnt 0x2
	v_add_f32_e32 v0, v30, v0
	s_delay_alu instid0(VALU_DEP_1) | instskip(SKIP_1) | instid1(VALU_DEP_1)
	v_add_f32_e32 v0, v31, v0
	s_wait_dscnt 0x1
	v_add_f32_e32 v0, v26, v0
	s_delay_alu instid0(VALU_DEP_1) | instskip(SKIP_1) | instid1(VALU_DEP_1)
	v_add_f32_e32 v0, v27, v0
	s_wait_dscnt 0x0
	v_add_f32_e32 v0, v28, v0
	s_delay_alu instid0(VALU_DEP_1)
	v_add_f32_e32 v26, v29, v0
                                        ; implicit-def: $vgpr0
	ds_store_b32 v51, v26
	s_and_saveexec_b32 s8, s2
	s_cbranch_execz .LBB437_55
; %bb.52:                               ;   in Loop: Header=BB437_4 Depth=1
	v_mul_f32_e32 v0, s26, v26
	s_and_not1_b32 vcc_lo, exec_lo, s40
	s_cbranch_vccnz .LBB437_54
; %bb.53:                               ;   in Loop: Header=BB437_4 Depth=1
	v_lshl_add_u64 v[26:27], v[8:9], 1, v[24:25]
	flat_load_u16 v26, v[26:27]
	s_wait_loadcnt_dscnt 0x0
	v_fma_mix_f32 v0, s33, v26, v0 op_sel_hi:[0,1,0]
.LBB437_54:                             ;   in Loop: Header=BB437_4 Depth=1
	s_delay_alu instid0(VALU_DEP_1)
	v_cvt_f16_f32_e32 v0, v0
	s_or_b32 s9, s43, exec_lo
.LBB437_55:                             ;   in Loop: Header=BB437_4 Depth=1
	s_wait_xcnt 0x0
	s_or_b32 exec_lo, exec_lo, s8
	s_delay_alu instid0(SALU_CYCLE_1) | instskip(SKIP_1) | instid1(SALU_CYCLE_1)
	s_and_not1_b32 s8, s43, exec_lo
	s_and_b32 s9, s9, exec_lo
	s_or_b32 s43, s8, s9
.LBB437_56:                             ;   in Loop: Header=BB437_4 Depth=1
	s_or_b32 exec_lo, exec_lo, s7
	v_mov_b64_e32 v[26:27], v[8:9]
	s_and_saveexec_b32 s7, s43
	s_cbranch_execz .LBB437_2
.LBB437_57:                             ;   in Loop: Header=BB437_4 Depth=1
	s_delay_alu instid0(VALU_DEP_1)
	v_lshl_add_u64 v[24:25], v[26:27], 1, v[24:25]
	flat_store_b16 v[24:25], v0
	s_branch .LBB437_2
.LBB437_58:
	s_sendmsg sendmsg(MSG_DEALLOC_VGPRS)
	s_endpgm
	.section	.rodata,"a",@progbits
	.p2align	6, 0x0
	.amdhsa_kernel _ZL20rocblas_gemvn_kernelILi64ELi16ElPKDF16_fKPDF16_EviiT3_lPKT2_lT1_lS7_lS8_lS4_lPT4_lS8_li
		.amdhsa_group_segment_fixed_size 16384
		.amdhsa_private_segment_fixed_size 0
		.amdhsa_kernarg_size 400
		.amdhsa_user_sgpr_count 2
		.amdhsa_user_sgpr_dispatch_ptr 0
		.amdhsa_user_sgpr_queue_ptr 0
		.amdhsa_user_sgpr_kernarg_segment_ptr 1
		.amdhsa_user_sgpr_dispatch_id 0
		.amdhsa_user_sgpr_kernarg_preload_length 0
		.amdhsa_user_sgpr_kernarg_preload_offset 0
		.amdhsa_user_sgpr_private_segment_size 0
		.amdhsa_wavefront_size32 1
		.amdhsa_uses_dynamic_stack 0
		.amdhsa_enable_private_segment 0
		.amdhsa_system_sgpr_workgroup_id_x 1
		.amdhsa_system_sgpr_workgroup_id_y 0
		.amdhsa_system_sgpr_workgroup_id_z 1
		.amdhsa_system_sgpr_workgroup_info 0
		.amdhsa_system_vgpr_workitem_id 1
		.amdhsa_next_free_vgpr 76
		.amdhsa_next_free_sgpr 47
		.amdhsa_named_barrier_count 0
		.amdhsa_reserve_vcc 1
		.amdhsa_float_round_mode_32 0
		.amdhsa_float_round_mode_16_64 0
		.amdhsa_float_denorm_mode_32 3
		.amdhsa_float_denorm_mode_16_64 3
		.amdhsa_fp16_overflow 0
		.amdhsa_memory_ordered 1
		.amdhsa_forward_progress 1
		.amdhsa_inst_pref_size 24
		.amdhsa_round_robin_scheduling 0
		.amdhsa_exception_fp_ieee_invalid_op 0
		.amdhsa_exception_fp_denorm_src 0
		.amdhsa_exception_fp_ieee_div_zero 0
		.amdhsa_exception_fp_ieee_overflow 0
		.amdhsa_exception_fp_ieee_underflow 0
		.amdhsa_exception_fp_ieee_inexact 0
		.amdhsa_exception_int_div_zero 0
	.end_amdhsa_kernel
	.section	.text._ZL20rocblas_gemvn_kernelILi64ELi16ElPKDF16_fKPDF16_EviiT3_lPKT2_lT1_lS7_lS8_lS4_lPT4_lS8_li,"axG",@progbits,_ZL20rocblas_gemvn_kernelILi64ELi16ElPKDF16_fKPDF16_EviiT3_lPKT2_lT1_lS7_lS8_lS4_lPT4_lS8_li,comdat
.Lfunc_end437:
	.size	_ZL20rocblas_gemvn_kernelILi64ELi16ElPKDF16_fKPDF16_EviiT3_lPKT2_lT1_lS7_lS8_lS4_lPT4_lS8_li, .Lfunc_end437-_ZL20rocblas_gemvn_kernelILi64ELi16ElPKDF16_fKPDF16_EviiT3_lPKT2_lT1_lS7_lS8_lS4_lPT4_lS8_li
                                        ; -- End function
	.set _ZL20rocblas_gemvn_kernelILi64ELi16ElPKDF16_fKPDF16_EviiT3_lPKT2_lT1_lS7_lS8_lS4_lPT4_lS8_li.num_vgpr, 76
	.set _ZL20rocblas_gemvn_kernelILi64ELi16ElPKDF16_fKPDF16_EviiT3_lPKT2_lT1_lS7_lS8_lS4_lPT4_lS8_li.num_agpr, 0
	.set _ZL20rocblas_gemvn_kernelILi64ELi16ElPKDF16_fKPDF16_EviiT3_lPKT2_lT1_lS7_lS8_lS4_lPT4_lS8_li.numbered_sgpr, 47
	.set _ZL20rocblas_gemvn_kernelILi64ELi16ElPKDF16_fKPDF16_EviiT3_lPKT2_lT1_lS7_lS8_lS4_lPT4_lS8_li.num_named_barrier, 0
	.set _ZL20rocblas_gemvn_kernelILi64ELi16ElPKDF16_fKPDF16_EviiT3_lPKT2_lT1_lS7_lS8_lS4_lPT4_lS8_li.private_seg_size, 0
	.set _ZL20rocblas_gemvn_kernelILi64ELi16ElPKDF16_fKPDF16_EviiT3_lPKT2_lT1_lS7_lS8_lS4_lPT4_lS8_li.uses_vcc, 1
	.set _ZL20rocblas_gemvn_kernelILi64ELi16ElPKDF16_fKPDF16_EviiT3_lPKT2_lT1_lS7_lS8_lS4_lPT4_lS8_li.uses_flat_scratch, 1
	.set _ZL20rocblas_gemvn_kernelILi64ELi16ElPKDF16_fKPDF16_EviiT3_lPKT2_lT1_lS7_lS8_lS4_lPT4_lS8_li.has_dyn_sized_stack, 0
	.set _ZL20rocblas_gemvn_kernelILi64ELi16ElPKDF16_fKPDF16_EviiT3_lPKT2_lT1_lS7_lS8_lS4_lPT4_lS8_li.has_recursion, 0
	.set _ZL20rocblas_gemvn_kernelILi64ELi16ElPKDF16_fKPDF16_EviiT3_lPKT2_lT1_lS7_lS8_lS4_lPT4_lS8_li.has_indirect_call, 0
	.section	.AMDGPU.csdata,"",@progbits
; Kernel info:
; codeLenInByte = 3068
; TotalNumSgprs: 49
; NumVgprs: 76
; ScratchSize: 0
; MemoryBound: 0
; FloatMode: 240
; IeeeMode: 1
; LDSByteSize: 16384 bytes/workgroup (compile time only)
; SGPRBlocks: 0
; VGPRBlocks: 4
; NumSGPRsForWavesPerEU: 49
; NumVGPRsForWavesPerEU: 76
; NamedBarCnt: 0
; Occupancy: 12
; WaveLimiterHint : 1
; COMPUTE_PGM_RSRC2:SCRATCH_EN: 0
; COMPUTE_PGM_RSRC2:USER_SGPR: 2
; COMPUTE_PGM_RSRC2:TRAP_HANDLER: 0
; COMPUTE_PGM_RSRC2:TGID_X_EN: 1
; COMPUTE_PGM_RSRC2:TGID_Y_EN: 0
; COMPUTE_PGM_RSRC2:TGID_Z_EN: 1
; COMPUTE_PGM_RSRC2:TIDIG_COMP_CNT: 1
	.section	.text._ZL22rocblas_gemvtsm_kernelILb0ELi256EPKDF16_PKfKPDF16_EviiT2_lPKT1_lilS9_lilS6_lPT3_lil,"axG",@progbits,_ZL22rocblas_gemvtsm_kernelILb0ELi256EPKDF16_PKfKPDF16_EviiT2_lPKT1_lilS9_lilS6_lPT3_lil,comdat
	.globl	_ZL22rocblas_gemvtsm_kernelILb0ELi256EPKDF16_PKfKPDF16_EviiT2_lPKT1_lilS9_lilS6_lPT3_lil ; -- Begin function _ZL22rocblas_gemvtsm_kernelILb0ELi256EPKDF16_PKfKPDF16_EviiT2_lPKT1_lilS9_lilS6_lPT3_lil
	.p2align	8
	.type	_ZL22rocblas_gemvtsm_kernelILb0ELi256EPKDF16_PKfKPDF16_EviiT2_lPKT1_lilS9_lilS6_lPT3_lil,@function
_ZL22rocblas_gemvtsm_kernelILb0ELi256EPKDF16_PKfKPDF16_EviiT2_lPKT1_lilS9_lilS6_lPT3_lil: ; @_ZL22rocblas_gemvtsm_kernelILb0ELi256EPKDF16_PKfKPDF16_EviiT2_lPKT1_lilS9_lilS6_lPT3_lil
; %bb.0:
	s_clause 0x1
	s_load_b256 s[12:19], s[0:1], 0x8
	s_load_b256 s[4:11], s[0:1], 0x58
	s_bfe_u32 s2, ttmp6, 0x4000c
	s_and_b32 s3, ttmp6, 15
	s_add_co_i32 s2, s2, 1
	s_getreg_b32 s20, hwreg(HW_REG_IB_STS2, 6, 4)
	s_mul_i32 s2, ttmp9, s2
	s_delay_alu instid0(SALU_CYCLE_1)
	s_add_co_i32 s2, s3, s2
	s_cmp_eq_u32 s20, 0
	s_mov_b32 s3, 0
	s_cselect_b32 s2, ttmp9, s2
	s_wait_kmcnt 0x0
	s_mul_u64 s[14:15], s[14:15], s[2:3]
	s_mul_u64 s[6:7], s[6:7], s[2:3]
	s_lshl_b64 s[14:15], s[14:15], 2
	s_lshl_b64 s[6:7], s[6:7], 2
	s_add_nc_u64 s[12:13], s[12:13], s[14:15]
	s_add_nc_u64 s[4:5], s[4:5], s[6:7]
	s_load_b32 s21, s[12:13], 0x0
	s_load_b32 s20, s[4:5], 0x0
	s_wait_kmcnt 0x0
	s_cmp_eq_f32 s21, 0
	s_cselect_b32 s4, -1, 0
	s_cmp_eq_f32 s20, 1.0
	s_cselect_b32 s5, -1, 0
	s_delay_alu instid0(SALU_CYCLE_1) | instskip(NEXT) | instid1(SALU_CYCLE_1)
	s_and_b32 s4, s4, s5
	s_and_b32 vcc_lo, exec_lo, s4
	s_cbranch_vccnz .LBB438_38
; %bb.1:
	s_cmp_neq_f32 s21, 0
	s_mov_b64 s[12:13], 0
	s_mov_b64 s[6:7], 0
	s_cselect_b32 s4, -1, 0
	s_cmp_eq_f32 s21, 0
	s_cselect_b32 s5, -1, 0
	s_delay_alu instid0(SALU_CYCLE_1)
	s_and_b32 vcc_lo, exec_lo, s5
	s_cbranch_vccnz .LBB438_3
; %bb.2:
	s_lshl_b64 s[6:7], s[2:3], 3
	s_lshl_b64 s[14:15], s[18:19], 1
	s_add_nc_u64 s[6:7], s[16:17], s[6:7]
	s_load_b64 s[6:7], s[6:7], 0x0
	s_wait_kmcnt 0x0
	s_add_nc_u64 s[6:7], s[6:7], s[14:15]
.LBB438_3:
	s_and_not1_b32 vcc_lo, exec_lo, s4
	s_cbranch_vccnz .LBB438_5
; %bb.4:
	s_load_b128 s[12:15], s[0:1], 0x38
	s_lshl_b64 s[16:17], s[2:3], 3
	s_wait_kmcnt 0x0
	s_add_nc_u64 s[12:13], s[12:13], s[16:17]
	s_lshl_b64 s[14:15], s[14:15], 1
	s_load_b64 s[12:13], s[12:13], 0x0
	s_wait_kmcnt 0x0
	s_add_nc_u64 s[12:13], s[12:13], s[14:15]
.LBB438_5:
	s_lshl_b64 s[2:3], s[2:3], 3
	s_and_not1_b32 vcc_lo, exec_lo, s5
	s_add_nc_u64 s[14:15], s[8:9], s[2:3]
	s_clause 0x1
	s_load_b64 s[2:3], s[0:1], 0x0
	s_load_b32 s4, s[0:1], 0x78
	s_load_b64 s[8:9], s[14:15], 0x0
	s_mov_b32 s5, -1
	s_cbranch_vccnz .LBB438_20
; %bb.6:
	s_wait_kmcnt 0x0
	s_cmp_gt_i32 s3, 0
	s_cselect_b32 s16, -1, 0
	s_cmp_neq_f32 s20, 0
	v_cndmask_b32_e64 v1, 0, 1, s16
	s_delay_alu instid0(VALU_DEP_1)
	v_cmp_ne_u32_e32 vcc_lo, 1, v1
	s_cbranch_scc1 .LBB438_13
; %bb.7:
	s_and_b32 vcc_lo, exec_lo, vcc_lo
	s_cbranch_vccnz .LBB438_12
; %bb.8:
	v_mov_b32_e32 v1, 0
	s_ashr_i32 s5, s4, 31
	s_lshl_b64 s[14:15], s[10:11], 1
	s_delay_alu instid0(SALU_CYCLE_1) | instskip(NEXT) | instid1(VALU_DEP_1)
	s_add_nc_u64 s[14:15], s[8:9], s[14:15]
	v_mul_u64_e32 v[2:3], s[4:5], v[0:1]
	s_delay_alu instid0(VALU_DEP_1)
	v_lshl_add_u64 v[2:3], v[2:3], 1, s[14:15]
	s_lshl_b64 s[14:15], s[4:5], 9
	s_mov_b32 s5, 0
	s_branch .LBB438_10
.LBB438_9:                              ;   in Loop: Header=BB438_10 Depth=1
	s_wait_xcnt 0x0
	s_or_b32 exec_lo, exec_lo, s17
	v_add_nc_u64_e32 v[2:3], s[14:15], v[2:3]
	s_addk_co_i32 s5, 0x100
	s_delay_alu instid0(SALU_CYCLE_1)
	s_cmp_ge_i32 s5, s3
	s_cbranch_scc1 .LBB438_12
.LBB438_10:                             ; =>This Inner Loop Header: Depth=1
	v_add_nc_u32_e32 v4, s5, v0
	s_mov_b32 s17, exec_lo
	s_delay_alu instid0(VALU_DEP_1)
	v_cmpx_gt_i32_e64 s3, v4
	s_cbranch_execz .LBB438_9
; %bb.11:                               ;   in Loop: Header=BB438_10 Depth=1
	flat_store_b16 v[2:3], v1
	s_branch .LBB438_9
.LBB438_12:
	s_mov_b32 s5, 0
.LBB438_13:
	s_delay_alu instid0(SALU_CYCLE_1)
	s_and_not1_b32 vcc_lo, exec_lo, s5
	s_cbranch_vccnz .LBB438_19
; %bb.14:
	s_and_not1_b32 vcc_lo, exec_lo, s16
	s_cbranch_vccnz .LBB438_19
; %bb.15:
	v_mov_b32_e32 v1, 0
	s_ashr_i32 s5, s4, 31
	s_lshl_b64 s[14:15], s[10:11], 1
	s_delay_alu instid0(SALU_CYCLE_1) | instskip(NEXT) | instid1(VALU_DEP_1)
	s_add_nc_u64 s[14:15], s[8:9], s[14:15]
	v_mul_u64_e32 v[2:3], s[4:5], v[0:1]
	s_delay_alu instid0(VALU_DEP_1)
	v_lshl_add_u64 v[2:3], v[2:3], 1, s[14:15]
	s_lshl_b64 s[14:15], s[4:5], 9
	s_mov_b32 s5, 0
	s_branch .LBB438_17
.LBB438_16:                             ;   in Loop: Header=BB438_17 Depth=1
	s_wait_xcnt 0x0
	s_or_b32 exec_lo, exec_lo, s16
	v_add_nc_u64_e32 v[2:3], s[14:15], v[2:3]
	s_addk_co_i32 s5, 0x100
	s_delay_alu instid0(SALU_CYCLE_1)
	s_cmp_ge_i32 s5, s3
	s_cbranch_scc1 .LBB438_19
.LBB438_17:                             ; =>This Inner Loop Header: Depth=1
	v_add_nc_u32_e32 v1, s5, v0
	s_mov_b32 s16, exec_lo
	s_delay_alu instid0(VALU_DEP_1)
	v_cmpx_gt_i32_e64 s3, v1
	s_cbranch_execz .LBB438_16
; %bb.18:                               ;   in Loop: Header=BB438_17 Depth=1
	flat_load_u16 v1, v[2:3]
	s_wait_loadcnt_dscnt 0x0
	v_fma_mixlo_f16 v1, s20, v1, 0 op_sel_hi:[0,1,0]
	flat_store_b16 v[2:3], v1
	s_branch .LBB438_16
.LBB438_19:
	s_mov_b32 s5, 0
.LBB438_20:
	s_delay_alu instid0(SALU_CYCLE_1)
	s_and_not1_b32 vcc_lo, exec_lo, s5
	s_cbranch_vccnz .LBB438_38
; %bb.21:
	s_mov_b32 s5, exec_lo
	s_wait_kmcnt 0x0
	v_cmpx_gt_i32_e64 s2, v0
	s_cbranch_execz .LBB438_23
; %bb.22:
	s_load_b32 s14, s[0:1], 0x48
	v_mov_b32_e32 v1, 0
	s_wait_kmcnt 0x0
	s_ashr_i32 s15, s14, 31
	s_delay_alu instid0(VALU_DEP_1) | instid1(SALU_CYCLE_1)
	v_mul_u64_e32 v[2:3], s[14:15], v[0:1]
	s_delay_alu instid0(VALU_DEP_1)
	v_lshl_add_u64 v[2:3], v[2:3], 1, s[12:13]
	flat_load_u16 v1, v[2:3]
	s_wait_xcnt 0x0
	v_lshlrev_b32_e32 v2, 2, v0
	s_wait_loadcnt_dscnt 0x0
	v_cvt_f32_f16_e32 v1, v1
	s_delay_alu instid0(VALU_DEP_1)
	v_mul_f32_e32 v1, s21, v1
	ds_store_b32 v2, v1
.LBB438_23:
	s_or_b32 exec_lo, exec_lo, s5
	s_cmp_lt_i32 s3, 1
	s_wait_storecnt_dscnt 0x0
	s_barrier_signal -1
	s_barrier_wait -1
	s_cbranch_scc1 .LBB438_38
; %bb.24:
	s_load_b32 s16, s[0:1], 0x28
	v_mov_b32_e32 v3, 0
	s_wait_xcnt 0x0
	s_lshl_b64 s[0:1], s[10:11], 1
	s_ashr_i32 s5, s4, 31
	s_add_nc_u64 s[0:1], s[8:9], s[0:1]
	s_mov_b32 s15, 0
	v_mov_b32_e32 v1, v3
	s_wait_kmcnt 0x0
	s_ashr_i32 s17, s16, 31
	s_cmp_neq_f32 s20, 0
	s_delay_alu instid0(VALU_DEP_1)
	v_mul_u64_e32 v[4:5], s[16:17], v[0:1]
	s_cselect_b32 s10, -1, 0
	s_cmp_gt_i32 s2, 0
	s_cselect_b32 s11, -1, 0
	s_and_b32 s12, s2, 7
	s_cmp_gt_u32 s2, 7
	s_cselect_b32 s13, -1, 0
	s_and_b32 s2, s2, 0x7ffffff8
	s_cmp_lg_u32 s12, 0
	s_cselect_b32 s14, -1, 0
	s_lshl_b64 s[8:9], s[16:17], 9
	s_delay_alu instid0(VALU_DEP_1) | instskip(SKIP_1) | instid1(VALU_DEP_1)
	v_lshl_add_u64 v[4:5], v[4:5], 1, s[6:7]
	s_mov_b32 s7, 0
	v_add_nc_u64_e32 v[6:7], 14, v[4:5]
	s_branch .LBB438_27
.LBB438_25:                             ;   in Loop: Header=BB438_27 Depth=1
	s_delay_alu instid0(VALU_DEP_1)
	v_cvt_f16_f32_e32 v1, v1
	flat_store_b16 v[8:9], v1
.LBB438_26:                             ;   in Loop: Header=BB438_27 Depth=1
	s_wait_xcnt 0x0
	s_or_b32 exec_lo, exec_lo, s16
	v_add_nc_u64_e32 v[6:7], s[8:9], v[6:7]
	v_add_nc_u64_e32 v[4:5], s[8:9], v[4:5]
	s_addk_co_i32 s15, 0x100
	s_delay_alu instid0(SALU_CYCLE_1)
	s_cmp_ge_i32 s15, s3
	s_cbranch_scc1 .LBB438_38
.LBB438_27:                             ; =>This Loop Header: Depth=1
                                        ;     Child Loop BB438_33 Depth 2
                                        ;     Child Loop BB438_37 Depth 2
	v_add_nc_u32_e32 v2, s15, v0
	s_mov_b32 s16, exec_lo
	s_delay_alu instid0(VALU_DEP_1)
	v_cmpx_gt_i32_e64 s3, v2
	s_cbranch_execz .LBB438_26
; %bb.28:                               ;   in Loop: Header=BB438_27 Depth=1
	v_mul_u64_e32 v[8:9], s[4:5], v[2:3]
	s_and_not1_b32 vcc_lo, exec_lo, s10
	s_delay_alu instid0(VALU_DEP_1)
	v_lshl_add_u64 v[8:9], v[8:9], 1, s[0:1]
	s_cbranch_vccnz .LBB438_30
; %bb.29:                               ;   in Loop: Header=BB438_27 Depth=1
	flat_load_u16 v1, v[8:9]
	s_wait_loadcnt_dscnt 0x0
	v_cvt_f32_f16_e32 v1, v1
	s_delay_alu instid0(VALU_DEP_1)
	v_mul_f32_e32 v1, s20, v1
	s_and_not1_b32 vcc_lo, exec_lo, s11
	s_cbranch_vccz .LBB438_31
	s_branch .LBB438_25
.LBB438_30:                             ;   in Loop: Header=BB438_27 Depth=1
	v_mov_b32_e32 v1, 0
	s_and_not1_b32 vcc_lo, exec_lo, s11
	s_cbranch_vccnz .LBB438_25
.LBB438_31:                             ;   in Loop: Header=BB438_27 Depth=1
	s_and_not1_b32 vcc_lo, exec_lo, s13
	s_mov_b32 s17, 0
	s_cbranch_vccnz .LBB438_35
; %bb.32:                               ;   in Loop: Header=BB438_27 Depth=1
	v_mov_b64_e32 v[10:11], v[6:7]
	s_mov_b32 s6, 0
.LBB438_33:                             ;   Parent Loop BB438_27 Depth=1
                                        ; =>  This Inner Loop Header: Depth=2
	flat_load_b128 v[12:15], v[10:11] offset:-14
	v_mov_b32_e32 v2, s6
	s_wait_xcnt 0x0
	v_add_nc_u64_e32 v[10:11], 16, v[10:11]
	s_add_co_i32 s17, s17, 8
	s_add_co_i32 s6, s6, 32
	ds_load_b128 v[16:19], v2
	ds_load_b128 v[20:23], v2 offset:16
	s_cmp_eq_u32 s2, s17
	s_wait_loadcnt_dscnt 0x1
	v_fma_mix_f32 v1, v16, v12, v1 op_sel_hi:[0,1,0]
	s_delay_alu instid0(VALU_DEP_1) | instskip(NEXT) | instid1(VALU_DEP_1)
	v_fma_mix_f32 v1, v17, v12, v1 op_sel:[0,1,0] op_sel_hi:[0,1,0]
	v_fma_mix_f32 v1, v18, v13, v1 op_sel_hi:[0,1,0]
	s_delay_alu instid0(VALU_DEP_1) | instskip(SKIP_1) | instid1(VALU_DEP_1)
	v_fma_mix_f32 v1, v19, v13, v1 op_sel:[0,1,0] op_sel_hi:[0,1,0]
	s_wait_dscnt 0x0
	v_fma_mix_f32 v1, v20, v14, v1 op_sel_hi:[0,1,0]
	s_delay_alu instid0(VALU_DEP_1) | instskip(NEXT) | instid1(VALU_DEP_1)
	v_fma_mix_f32 v1, v21, v14, v1 op_sel:[0,1,0] op_sel_hi:[0,1,0]
	v_fma_mix_f32 v1, v22, v15, v1 op_sel_hi:[0,1,0]
	s_delay_alu instid0(VALU_DEP_1)
	v_fma_mix_f32 v1, v23, v15, v1 op_sel:[0,1,0] op_sel_hi:[0,1,0]
	s_cbranch_scc0 .LBB438_33
; %bb.34:                               ;   in Loop: Header=BB438_27 Depth=1
	s_mov_b32 s17, s2
.LBB438_35:                             ;   in Loop: Header=BB438_27 Depth=1
	s_and_not1_b32 vcc_lo, exec_lo, s14
	s_cbranch_vccnz .LBB438_25
; %bb.36:                               ;   in Loop: Header=BB438_27 Depth=1
	s_lshl_b32 s6, s17, 1
	s_delay_alu instid0(SALU_CYCLE_1)
	v_add_nc_u64_e32 v[10:11], s[6:7], v[4:5]
	s_lshl_b32 s6, s17, 2
	s_mov_b32 s17, s12
.LBB438_37:                             ;   Parent Loop BB438_27 Depth=1
                                        ; =>  This Inner Loop Header: Depth=2
	flat_load_u16 v2, v[10:11]
	v_mov_b32_e32 v12, s6
	s_wait_xcnt 0x0
	v_add_nc_u64_e32 v[10:11], 2, v[10:11]
	s_add_co_i32 s17, s17, -1
	s_add_co_i32 s6, s6, 4
	s_cmp_lg_u32 s17, 0
	ds_load_b32 v12, v12
	s_wait_loadcnt_dscnt 0x0
	v_fma_mix_f32 v1, v12, v2, v1 op_sel_hi:[0,1,0]
	s_cbranch_scc1 .LBB438_37
	s_branch .LBB438_25
.LBB438_38:
	s_endpgm
	.section	.rodata,"a",@progbits
	.p2align	6, 0x0
	.amdhsa_kernel _ZL22rocblas_gemvtsm_kernelILb0ELi256EPKDF16_PKfKPDF16_EviiT2_lPKT1_lilS9_lilS6_lPT3_lil
		.amdhsa_group_segment_fixed_size 256
		.amdhsa_private_segment_fixed_size 0
		.amdhsa_kernarg_size 136
		.amdhsa_user_sgpr_count 2
		.amdhsa_user_sgpr_dispatch_ptr 0
		.amdhsa_user_sgpr_queue_ptr 0
		.amdhsa_user_sgpr_kernarg_segment_ptr 1
		.amdhsa_user_sgpr_dispatch_id 0
		.amdhsa_user_sgpr_kernarg_preload_length 0
		.amdhsa_user_sgpr_kernarg_preload_offset 0
		.amdhsa_user_sgpr_private_segment_size 0
		.amdhsa_wavefront_size32 1
		.amdhsa_uses_dynamic_stack 0
		.amdhsa_enable_private_segment 0
		.amdhsa_system_sgpr_workgroup_id_x 1
		.amdhsa_system_sgpr_workgroup_id_y 0
		.amdhsa_system_sgpr_workgroup_id_z 0
		.amdhsa_system_sgpr_workgroup_info 0
		.amdhsa_system_vgpr_workitem_id 0
		.amdhsa_next_free_vgpr 24
		.amdhsa_next_free_sgpr 22
		.amdhsa_named_barrier_count 0
		.amdhsa_reserve_vcc 1
		.amdhsa_float_round_mode_32 0
		.amdhsa_float_round_mode_16_64 0
		.amdhsa_float_denorm_mode_32 3
		.amdhsa_float_denorm_mode_16_64 3
		.amdhsa_fp16_overflow 0
		.amdhsa_memory_ordered 1
		.amdhsa_forward_progress 1
		.amdhsa_inst_pref_size 11
		.amdhsa_round_robin_scheduling 0
		.amdhsa_exception_fp_ieee_invalid_op 0
		.amdhsa_exception_fp_denorm_src 0
		.amdhsa_exception_fp_ieee_div_zero 0
		.amdhsa_exception_fp_ieee_overflow 0
		.amdhsa_exception_fp_ieee_underflow 0
		.amdhsa_exception_fp_ieee_inexact 0
		.amdhsa_exception_int_div_zero 0
	.end_amdhsa_kernel
	.section	.text._ZL22rocblas_gemvtsm_kernelILb0ELi256EPKDF16_PKfKPDF16_EviiT2_lPKT1_lilS9_lilS6_lPT3_lil,"axG",@progbits,_ZL22rocblas_gemvtsm_kernelILb0ELi256EPKDF16_PKfKPDF16_EviiT2_lPKT1_lilS9_lilS6_lPT3_lil,comdat
.Lfunc_end438:
	.size	_ZL22rocblas_gemvtsm_kernelILb0ELi256EPKDF16_PKfKPDF16_EviiT2_lPKT1_lilS9_lilS6_lPT3_lil, .Lfunc_end438-_ZL22rocblas_gemvtsm_kernelILb0ELi256EPKDF16_PKfKPDF16_EviiT2_lPKT1_lilS9_lilS6_lPT3_lil
                                        ; -- End function
	.set _ZL22rocblas_gemvtsm_kernelILb0ELi256EPKDF16_PKfKPDF16_EviiT2_lPKT1_lilS9_lilS6_lPT3_lil.num_vgpr, 24
	.set _ZL22rocblas_gemvtsm_kernelILb0ELi256EPKDF16_PKfKPDF16_EviiT2_lPKT1_lilS9_lilS6_lPT3_lil.num_agpr, 0
	.set _ZL22rocblas_gemvtsm_kernelILb0ELi256EPKDF16_PKfKPDF16_EviiT2_lPKT1_lilS9_lilS6_lPT3_lil.numbered_sgpr, 22
	.set _ZL22rocblas_gemvtsm_kernelILb0ELi256EPKDF16_PKfKPDF16_EviiT2_lPKT1_lilS9_lilS6_lPT3_lil.num_named_barrier, 0
	.set _ZL22rocblas_gemvtsm_kernelILb0ELi256EPKDF16_PKfKPDF16_EviiT2_lPKT1_lilS9_lilS6_lPT3_lil.private_seg_size, 0
	.set _ZL22rocblas_gemvtsm_kernelILb0ELi256EPKDF16_PKfKPDF16_EviiT2_lPKT1_lilS9_lilS6_lPT3_lil.uses_vcc, 1
	.set _ZL22rocblas_gemvtsm_kernelILb0ELi256EPKDF16_PKfKPDF16_EviiT2_lPKT1_lilS9_lilS6_lPT3_lil.uses_flat_scratch, 0
	.set _ZL22rocblas_gemvtsm_kernelILb0ELi256EPKDF16_PKfKPDF16_EviiT2_lPKT1_lilS9_lilS6_lPT3_lil.has_dyn_sized_stack, 0
	.set _ZL22rocblas_gemvtsm_kernelILb0ELi256EPKDF16_PKfKPDF16_EviiT2_lPKT1_lilS9_lilS6_lPT3_lil.has_recursion, 0
	.set _ZL22rocblas_gemvtsm_kernelILb0ELi256EPKDF16_PKfKPDF16_EviiT2_lPKT1_lilS9_lilS6_lPT3_lil.has_indirect_call, 0
	.section	.AMDGPU.csdata,"",@progbits
; Kernel info:
; codeLenInByte = 1312
; TotalNumSgprs: 24
; NumVgprs: 24
; ScratchSize: 0
; MemoryBound: 0
; FloatMode: 240
; IeeeMode: 1
; LDSByteSize: 256 bytes/workgroup (compile time only)
; SGPRBlocks: 0
; VGPRBlocks: 1
; NumSGPRsForWavesPerEU: 24
; NumVGPRsForWavesPerEU: 24
; NamedBarCnt: 0
; Occupancy: 16
; WaveLimiterHint : 1
; COMPUTE_PGM_RSRC2:SCRATCH_EN: 0
; COMPUTE_PGM_RSRC2:USER_SGPR: 2
; COMPUTE_PGM_RSRC2:TRAP_HANDLER: 0
; COMPUTE_PGM_RSRC2:TGID_X_EN: 1
; COMPUTE_PGM_RSRC2:TGID_Y_EN: 0
; COMPUTE_PGM_RSRC2:TGID_Z_EN: 0
; COMPUTE_PGM_RSRC2:TIDIG_COMP_CNT: 0
	.section	.text._ZL22rocblas_gemvtsm_kernelILb0ELi256EPKDF16_fKPDF16_EviiT2_lPKT1_lilS7_lilS4_lPT3_lil,"axG",@progbits,_ZL22rocblas_gemvtsm_kernelILb0ELi256EPKDF16_fKPDF16_EviiT2_lPKT1_lilS7_lilS4_lPT3_lil,comdat
	.globl	_ZL22rocblas_gemvtsm_kernelILb0ELi256EPKDF16_fKPDF16_EviiT2_lPKT1_lilS7_lilS4_lPT3_lil ; -- Begin function _ZL22rocblas_gemvtsm_kernelILb0ELi256EPKDF16_fKPDF16_EviiT2_lPKT1_lilS7_lilS4_lPT3_lil
	.p2align	8
	.type	_ZL22rocblas_gemvtsm_kernelILb0ELi256EPKDF16_fKPDF16_EviiT2_lPKT1_lilS7_lilS4_lPT3_lil,@function
_ZL22rocblas_gemvtsm_kernelILb0ELi256EPKDF16_fKPDF16_EviiT2_lPKT1_lilS7_lilS4_lPT3_lil: ; @_ZL22rocblas_gemvtsm_kernelILb0ELi256EPKDF16_fKPDF16_EviiT2_lPKT1_lilS7_lilS4_lPT3_lil
; %bb.0:
	s_clause 0x1
	s_load_b96 s[8:10], s[0:1], 0x0
	s_load_b32 s11, s[0:1], 0x58
	s_mov_b32 s5, 0
	s_wait_kmcnt 0x0
	s_cmp_eq_f32 s10, 0
	s_cselect_b32 s2, -1, 0
	s_cmp_eq_f32 s11, 1.0
	s_cselect_b32 s3, -1, 0
	s_delay_alu instid0(SALU_CYCLE_1) | instskip(NEXT) | instid1(SALU_CYCLE_1)
	s_and_b32 s2, s2, s3
	s_and_b32 vcc_lo, exec_lo, s2
	s_cbranch_vccnz .LBB439_40
; %bb.1:
	s_bfe_u32 s2, ttmp6, 0x4000c
	s_and_b32 s3, ttmp6, 15
	s_add_co_i32 s2, s2, 1
	s_getreg_b32 s4, hwreg(HW_REG_IB_STS2, 6, 4)
	s_mul_i32 s2, ttmp9, s2
	s_delay_alu instid0(SALU_CYCLE_1)
	s_add_co_i32 s3, s3, s2
	s_cmp_eq_u32 s4, 0
	s_cselect_b32 s4, ttmp9, s3
	s_cmp_neq_f32 s10, 0
	s_cselect_b32 s6, -1, 0
	s_cmp_eq_f32 s10, 0
	s_cselect_b32 s16, -1, 0
	s_and_b32 vcc_lo, exec_lo, s6
	s_cbranch_vccnz .LBB439_3
; %bb.2:
	s_mov_b32 s3, 0
	s_mov_b32 s2, s4
	;; [unrolled: 1-line block ×3, first 2 shown]
	s_mov_b64 s[14:15], 0
	s_and_not1_b32 vcc_lo, exec_lo, s7
	s_mov_b64 s[12:13], 0
	s_cbranch_vccz .LBB439_4
	s_branch .LBB439_5
.LBB439_3:
	s_mov_b64 s[2:3], s[4:5]
	s_mov_b64 s[14:15], 0
	;; [unrolled: 1-line block ×3, first 2 shown]
.LBB439_4:
	s_load_b128 s[20:23], s[0:1], 0x18
	s_lshl_b64 s[4:5], s[4:5], 3
	s_wait_kmcnt 0x0
	s_add_nc_u64 s[4:5], s[20:21], s[4:5]
	s_lshl_b64 s[12:13], s[22:23], 1
	s_load_b64 s[4:5], s[4:5], 0x0
	s_wait_kmcnt 0x0
	s_add_nc_u64 s[12:13], s[4:5], s[12:13]
.LBB439_5:
	s_and_not1_b32 vcc_lo, exec_lo, s6
	s_cbranch_vccnz .LBB439_7
; %bb.6:
	s_load_b128 s[4:7], s[0:1], 0x38
	s_lshl_b64 s[14:15], s[2:3], 3
	s_wait_kmcnt 0x0
	s_add_nc_u64 s[4:5], s[4:5], s[14:15]
	s_lshl_b64 s[6:7], s[6:7], 1
	s_load_b64 s[4:5], s[4:5], 0x0
	s_wait_kmcnt 0x0
	s_add_nc_u64 s[14:15], s[4:5], s[6:7]
.LBB439_7:
	s_load_b128 s[4:7], s[0:1], 0x68
	s_lshl_b64 s[18:19], s[2:3], 3
	s_load_b32 s2, s[0:1], 0x78
	s_and_not1_b32 vcc_lo, exec_lo, s16
	s_mov_b32 s3, -1
	s_wait_kmcnt 0x0
	s_add_nc_u64 s[4:5], s[4:5], s[18:19]
	s_load_b64 s[4:5], s[4:5], 0x0
	s_cbranch_vccnz .LBB439_22
; %bb.8:
	s_cmp_gt_i32 s9, 0
	s_cselect_b32 s18, -1, 0
	s_cmp_neq_f32 s11, 0
	v_cndmask_b32_e64 v1, 0, 1, s18
	s_delay_alu instid0(VALU_DEP_1)
	v_cmp_ne_u32_e32 vcc_lo, 1, v1
	s_cbranch_scc1 .LBB439_15
; %bb.9:
	s_and_b32 vcc_lo, exec_lo, vcc_lo
	s_cbranch_vccnz .LBB439_14
; %bb.10:
	v_mov_b32_e32 v1, 0
	s_ashr_i32 s3, s2, 31
	s_lshl_b64 s[16:17], s[6:7], 1
	s_wait_kmcnt 0x0
	s_add_nc_u64 s[16:17], s[4:5], s[16:17]
	v_mul_u64_e32 v[2:3], s[2:3], v[0:1]
	s_delay_alu instid0(VALU_DEP_1)
	v_lshl_add_u64 v[2:3], v[2:3], 1, s[16:17]
	s_lshl_b64 s[16:17], s[2:3], 9
	s_mov_b32 s3, 0
	s_branch .LBB439_12
.LBB439_11:                             ;   in Loop: Header=BB439_12 Depth=1
	s_wait_xcnt 0x0
	s_or_b32 exec_lo, exec_lo, s19
	v_add_nc_u64_e32 v[2:3], s[16:17], v[2:3]
	s_addk_co_i32 s3, 0x100
	s_delay_alu instid0(SALU_CYCLE_1)
	s_cmp_ge_i32 s3, s9
	s_cbranch_scc1 .LBB439_14
.LBB439_12:                             ; =>This Inner Loop Header: Depth=1
	v_add_nc_u32_e32 v4, s3, v0
	s_mov_b32 s19, exec_lo
	s_delay_alu instid0(VALU_DEP_1)
	v_cmpx_gt_i32_e64 s9, v4
	s_cbranch_execz .LBB439_11
; %bb.13:                               ;   in Loop: Header=BB439_12 Depth=1
	flat_store_b16 v[2:3], v1
	s_branch .LBB439_11
.LBB439_14:
	s_mov_b32 s3, 0
.LBB439_15:
	s_delay_alu instid0(SALU_CYCLE_1)
	s_and_not1_b32 vcc_lo, exec_lo, s3
	s_cbranch_vccnz .LBB439_21
; %bb.16:
	s_and_not1_b32 vcc_lo, exec_lo, s18
	s_cbranch_vccnz .LBB439_21
; %bb.17:
	v_mov_b32_e32 v1, 0
	s_ashr_i32 s3, s2, 31
	s_lshl_b64 s[16:17], s[6:7], 1
	s_wait_kmcnt 0x0
	s_add_nc_u64 s[16:17], s[4:5], s[16:17]
	v_mul_u64_e32 v[2:3], s[2:3], v[0:1]
	s_delay_alu instid0(VALU_DEP_1)
	v_lshl_add_u64 v[2:3], v[2:3], 1, s[16:17]
	s_lshl_b64 s[16:17], s[2:3], 9
	s_mov_b32 s3, 0
	s_branch .LBB439_19
.LBB439_18:                             ;   in Loop: Header=BB439_19 Depth=1
	s_wait_xcnt 0x0
	s_or_b32 exec_lo, exec_lo, s18
	v_add_nc_u64_e32 v[2:3], s[16:17], v[2:3]
	s_addk_co_i32 s3, 0x100
	s_delay_alu instid0(SALU_CYCLE_1)
	s_cmp_ge_i32 s3, s9
	s_cbranch_scc1 .LBB439_21
.LBB439_19:                             ; =>This Inner Loop Header: Depth=1
	v_add_nc_u32_e32 v1, s3, v0
	s_mov_b32 s18, exec_lo
	s_delay_alu instid0(VALU_DEP_1)
	v_cmpx_gt_i32_e64 s9, v1
	s_cbranch_execz .LBB439_18
; %bb.20:                               ;   in Loop: Header=BB439_19 Depth=1
	flat_load_u16 v1, v[2:3]
	s_wait_loadcnt_dscnt 0x0
	v_fma_mixlo_f16 v1, s11, v1, 0 op_sel_hi:[0,1,0]
	flat_store_b16 v[2:3], v1
	s_branch .LBB439_18
.LBB439_21:
	s_mov_b32 s3, 0
.LBB439_22:
	s_delay_alu instid0(SALU_CYCLE_1)
	s_and_not1_b32 vcc_lo, exec_lo, s3
	s_cbranch_vccnz .LBB439_40
; %bb.23:
	s_mov_b32 s3, exec_lo
	v_cmpx_gt_i32_e64 s8, v0
	s_cbranch_execz .LBB439_25
; %bb.24:
	s_load_b32 s16, s[0:1], 0x48
	v_mov_b32_e32 v1, 0
	s_wait_kmcnt 0x0
	s_ashr_i32 s17, s16, 31
	s_delay_alu instid0(VALU_DEP_1) | instid1(SALU_CYCLE_1)
	v_mul_u64_e32 v[2:3], s[16:17], v[0:1]
	s_delay_alu instid0(VALU_DEP_1)
	v_lshl_add_u64 v[2:3], v[2:3], 1, s[14:15]
	flat_load_u16 v1, v[2:3]
	s_wait_xcnt 0x0
	v_lshlrev_b32_e32 v2, 2, v0
	s_wait_loadcnt_dscnt 0x0
	v_cvt_f32_f16_e32 v1, v1
	s_delay_alu instid0(VALU_DEP_1)
	v_mul_f32_e32 v1, s10, v1
	ds_store_b32 v2, v1
.LBB439_25:
	s_or_b32 exec_lo, exec_lo, s3
	s_cmp_lt_i32 s9, 1
	s_wait_storecnt_dscnt 0x0
	s_barrier_signal -1
	s_barrier_wait -1
	s_cbranch_scc1 .LBB439_40
; %bb.26:
	s_load_b32 s16, s[0:1], 0x28
	v_mov_b32_e32 v3, 0
	s_wait_xcnt 0x0
	s_lshl_b64 s[0:1], s[6:7], 1
	s_ashr_i32 s3, s2, 31
	s_wait_kmcnt 0x0
	s_add_nc_u64 s[0:1], s[4:5], s[0:1]
	s_mov_b32 s5, 0
	v_mov_b32_e32 v1, v3
	s_ashr_i32 s17, s16, 31
	s_cmp_neq_f32 s11, 0
	s_delay_alu instid0(VALU_DEP_1)
	v_mul_u64_e32 v[4:5], s[16:17], v[0:1]
	s_cselect_b32 s10, -1, 0
	s_cmp_gt_i32 s8, 0
	s_cselect_b32 s14, -1, 0
	s_and_b32 s15, s8, 7
	s_cmp_gt_u32 s8, 7
	s_delay_alu instid0(VALU_DEP_1)
	v_lshl_add_u64 v[4:5], v[4:5], 1, s[12:13]
	s_cselect_b32 s12, -1, 0
	s_and_b32 s8, s8, 0x7ffffff8
	s_cmp_lg_u32 s15, 0
	s_cselect_b32 s13, -1, 0
	v_add_nc_u64_e32 v[6:7], 14, v[4:5]
	s_lshl_b64 s[6:7], s[16:17], 9
	s_mov_b32 s16, 0
	s_branch .LBB439_29
.LBB439_27:                             ;   in Loop: Header=BB439_29 Depth=1
	s_delay_alu instid0(VALU_DEP_1)
	v_cvt_f16_f32_e32 v1, v1
	flat_store_b16 v[8:9], v1
.LBB439_28:                             ;   in Loop: Header=BB439_29 Depth=1
	s_wait_xcnt 0x0
	s_or_b32 exec_lo, exec_lo, s17
	v_add_nc_u64_e32 v[6:7], s[6:7], v[6:7]
	v_add_nc_u64_e32 v[4:5], s[6:7], v[4:5]
	s_addk_co_i32 s16, 0x100
	s_delay_alu instid0(SALU_CYCLE_1)
	s_cmp_ge_i32 s16, s9
	s_cbranch_scc1 .LBB439_40
.LBB439_29:                             ; =>This Loop Header: Depth=1
                                        ;     Child Loop BB439_35 Depth 2
                                        ;     Child Loop BB439_39 Depth 2
	v_add_nc_u32_e32 v2, s16, v0
	s_mov_b32 s17, exec_lo
	s_delay_alu instid0(VALU_DEP_1)
	v_cmpx_gt_i32_e64 s9, v2
	s_cbranch_execz .LBB439_28
; %bb.30:                               ;   in Loop: Header=BB439_29 Depth=1
	v_mul_u64_e32 v[8:9], s[2:3], v[2:3]
	s_and_not1_b32 vcc_lo, exec_lo, s10
	s_delay_alu instid0(VALU_DEP_1)
	v_lshl_add_u64 v[8:9], v[8:9], 1, s[0:1]
	s_cbranch_vccnz .LBB439_32
; %bb.31:                               ;   in Loop: Header=BB439_29 Depth=1
	flat_load_u16 v1, v[8:9]
	s_wait_loadcnt_dscnt 0x0
	v_cvt_f32_f16_e32 v1, v1
	s_delay_alu instid0(VALU_DEP_1)
	v_mul_f32_e32 v1, s11, v1
	s_and_not1_b32 vcc_lo, exec_lo, s14
	s_cbranch_vccz .LBB439_33
	s_branch .LBB439_27
.LBB439_32:                             ;   in Loop: Header=BB439_29 Depth=1
	v_mov_b32_e32 v1, 0
	s_and_not1_b32 vcc_lo, exec_lo, s14
	s_cbranch_vccnz .LBB439_27
.LBB439_33:                             ;   in Loop: Header=BB439_29 Depth=1
	s_and_not1_b32 vcc_lo, exec_lo, s12
	s_mov_b32 s18, 0
	s_cbranch_vccnz .LBB439_37
; %bb.34:                               ;   in Loop: Header=BB439_29 Depth=1
	v_mov_b64_e32 v[10:11], v[6:7]
	s_mov_b32 s4, 0
.LBB439_35:                             ;   Parent Loop BB439_29 Depth=1
                                        ; =>  This Inner Loop Header: Depth=2
	flat_load_b128 v[12:15], v[10:11] offset:-14
	v_mov_b32_e32 v2, s4
	s_wait_xcnt 0x0
	v_add_nc_u64_e32 v[10:11], 16, v[10:11]
	s_add_co_i32 s18, s18, 8
	s_add_co_i32 s4, s4, 32
	ds_load_b128 v[16:19], v2
	ds_load_b128 v[20:23], v2 offset:16
	s_cmp_eq_u32 s8, s18
	s_wait_loadcnt_dscnt 0x1
	v_fma_mix_f32 v1, v16, v12, v1 op_sel_hi:[0,1,0]
	s_delay_alu instid0(VALU_DEP_1) | instskip(NEXT) | instid1(VALU_DEP_1)
	v_fma_mix_f32 v1, v17, v12, v1 op_sel:[0,1,0] op_sel_hi:[0,1,0]
	v_fma_mix_f32 v1, v18, v13, v1 op_sel_hi:[0,1,0]
	s_delay_alu instid0(VALU_DEP_1) | instskip(SKIP_1) | instid1(VALU_DEP_1)
	v_fma_mix_f32 v1, v19, v13, v1 op_sel:[0,1,0] op_sel_hi:[0,1,0]
	s_wait_dscnt 0x0
	v_fma_mix_f32 v1, v20, v14, v1 op_sel_hi:[0,1,0]
	s_delay_alu instid0(VALU_DEP_1) | instskip(NEXT) | instid1(VALU_DEP_1)
	v_fma_mix_f32 v1, v21, v14, v1 op_sel:[0,1,0] op_sel_hi:[0,1,0]
	v_fma_mix_f32 v1, v22, v15, v1 op_sel_hi:[0,1,0]
	s_delay_alu instid0(VALU_DEP_1)
	v_fma_mix_f32 v1, v23, v15, v1 op_sel:[0,1,0] op_sel_hi:[0,1,0]
	s_cbranch_scc0 .LBB439_35
; %bb.36:                               ;   in Loop: Header=BB439_29 Depth=1
	s_mov_b32 s18, s8
.LBB439_37:                             ;   in Loop: Header=BB439_29 Depth=1
	s_and_not1_b32 vcc_lo, exec_lo, s13
	s_cbranch_vccnz .LBB439_27
; %bb.38:                               ;   in Loop: Header=BB439_29 Depth=1
	s_lshl_b32 s4, s18, 1
	s_delay_alu instid0(SALU_CYCLE_1)
	v_add_nc_u64_e32 v[10:11], s[4:5], v[4:5]
	s_lshl_b32 s4, s18, 2
	s_mov_b32 s18, s15
.LBB439_39:                             ;   Parent Loop BB439_29 Depth=1
                                        ; =>  This Inner Loop Header: Depth=2
	flat_load_u16 v2, v[10:11]
	v_mov_b32_e32 v12, s4
	s_wait_xcnt 0x0
	v_add_nc_u64_e32 v[10:11], 2, v[10:11]
	s_add_co_i32 s18, s18, -1
	s_add_co_i32 s4, s4, 4
	s_cmp_lg_u32 s18, 0
	ds_load_b32 v12, v12
	s_wait_loadcnt_dscnt 0x0
	v_fma_mix_f32 v1, v12, v2, v1 op_sel_hi:[0,1,0]
	s_cbranch_scc1 .LBB439_39
	s_branch .LBB439_27
.LBB439_40:
	s_endpgm
	.section	.rodata,"a",@progbits
	.p2align	6, 0x0
	.amdhsa_kernel _ZL22rocblas_gemvtsm_kernelILb0ELi256EPKDF16_fKPDF16_EviiT2_lPKT1_lilS7_lilS4_lPT3_lil
		.amdhsa_group_segment_fixed_size 256
		.amdhsa_private_segment_fixed_size 0
		.amdhsa_kernarg_size 136
		.amdhsa_user_sgpr_count 2
		.amdhsa_user_sgpr_dispatch_ptr 0
		.amdhsa_user_sgpr_queue_ptr 0
		.amdhsa_user_sgpr_kernarg_segment_ptr 1
		.amdhsa_user_sgpr_dispatch_id 0
		.amdhsa_user_sgpr_kernarg_preload_length 0
		.amdhsa_user_sgpr_kernarg_preload_offset 0
		.amdhsa_user_sgpr_private_segment_size 0
		.amdhsa_wavefront_size32 1
		.amdhsa_uses_dynamic_stack 0
		.amdhsa_enable_private_segment 0
		.amdhsa_system_sgpr_workgroup_id_x 1
		.amdhsa_system_sgpr_workgroup_id_y 0
		.amdhsa_system_sgpr_workgroup_id_z 0
		.amdhsa_system_sgpr_workgroup_info 0
		.amdhsa_system_vgpr_workitem_id 0
		.amdhsa_next_free_vgpr 24
		.amdhsa_next_free_sgpr 24
		.amdhsa_named_barrier_count 0
		.amdhsa_reserve_vcc 1
		.amdhsa_float_round_mode_32 0
		.amdhsa_float_round_mode_16_64 0
		.amdhsa_float_denorm_mode_32 3
		.amdhsa_float_denorm_mode_16_64 3
		.amdhsa_fp16_overflow 0
		.amdhsa_memory_ordered 1
		.amdhsa_forward_progress 1
		.amdhsa_inst_pref_size 11
		.amdhsa_round_robin_scheduling 0
		.amdhsa_exception_fp_ieee_invalid_op 0
		.amdhsa_exception_fp_denorm_src 0
		.amdhsa_exception_fp_ieee_div_zero 0
		.amdhsa_exception_fp_ieee_overflow 0
		.amdhsa_exception_fp_ieee_underflow 0
		.amdhsa_exception_fp_ieee_inexact 0
		.amdhsa_exception_int_div_zero 0
	.end_amdhsa_kernel
	.section	.text._ZL22rocblas_gemvtsm_kernelILb0ELi256EPKDF16_fKPDF16_EviiT2_lPKT1_lilS7_lilS4_lPT3_lil,"axG",@progbits,_ZL22rocblas_gemvtsm_kernelILb0ELi256EPKDF16_fKPDF16_EviiT2_lPKT1_lilS7_lilS4_lPT3_lil,comdat
.Lfunc_end439:
	.size	_ZL22rocblas_gemvtsm_kernelILb0ELi256EPKDF16_fKPDF16_EviiT2_lPKT1_lilS7_lilS4_lPT3_lil, .Lfunc_end439-_ZL22rocblas_gemvtsm_kernelILb0ELi256EPKDF16_fKPDF16_EviiT2_lPKT1_lilS7_lilS4_lPT3_lil
                                        ; -- End function
	.set _ZL22rocblas_gemvtsm_kernelILb0ELi256EPKDF16_fKPDF16_EviiT2_lPKT1_lilS7_lilS4_lPT3_lil.num_vgpr, 24
	.set _ZL22rocblas_gemvtsm_kernelILb0ELi256EPKDF16_fKPDF16_EviiT2_lPKT1_lilS7_lilS4_lPT3_lil.num_agpr, 0
	.set _ZL22rocblas_gemvtsm_kernelILb0ELi256EPKDF16_fKPDF16_EviiT2_lPKT1_lilS7_lilS4_lPT3_lil.numbered_sgpr, 24
	.set _ZL22rocblas_gemvtsm_kernelILb0ELi256EPKDF16_fKPDF16_EviiT2_lPKT1_lilS7_lilS4_lPT3_lil.num_named_barrier, 0
	.set _ZL22rocblas_gemvtsm_kernelILb0ELi256EPKDF16_fKPDF16_EviiT2_lPKT1_lilS7_lilS4_lPT3_lil.private_seg_size, 0
	.set _ZL22rocblas_gemvtsm_kernelILb0ELi256EPKDF16_fKPDF16_EviiT2_lPKT1_lilS7_lilS4_lPT3_lil.uses_vcc, 1
	.set _ZL22rocblas_gemvtsm_kernelILb0ELi256EPKDF16_fKPDF16_EviiT2_lPKT1_lilS7_lilS4_lPT3_lil.uses_flat_scratch, 0
	.set _ZL22rocblas_gemvtsm_kernelILb0ELi256EPKDF16_fKPDF16_EviiT2_lPKT1_lilS7_lilS4_lPT3_lil.has_dyn_sized_stack, 0
	.set _ZL22rocblas_gemvtsm_kernelILb0ELi256EPKDF16_fKPDF16_EviiT2_lPKT1_lilS7_lilS4_lPT3_lil.has_recursion, 0
	.set _ZL22rocblas_gemvtsm_kernelILb0ELi256EPKDF16_fKPDF16_EviiT2_lPKT1_lilS7_lilS4_lPT3_lil.has_indirect_call, 0
	.section	.AMDGPU.csdata,"",@progbits
; Kernel info:
; codeLenInByte = 1304
; TotalNumSgprs: 26
; NumVgprs: 24
; ScratchSize: 0
; MemoryBound: 0
; FloatMode: 240
; IeeeMode: 1
; LDSByteSize: 256 bytes/workgroup (compile time only)
; SGPRBlocks: 0
; VGPRBlocks: 1
; NumSGPRsForWavesPerEU: 26
; NumVGPRsForWavesPerEU: 24
; NamedBarCnt: 0
; Occupancy: 16
; WaveLimiterHint : 1
; COMPUTE_PGM_RSRC2:SCRATCH_EN: 0
; COMPUTE_PGM_RSRC2:USER_SGPR: 2
; COMPUTE_PGM_RSRC2:TRAP_HANDLER: 0
; COMPUTE_PGM_RSRC2:TGID_X_EN: 1
; COMPUTE_PGM_RSRC2:TGID_Y_EN: 0
; COMPUTE_PGM_RSRC2:TGID_Z_EN: 0
; COMPUTE_PGM_RSRC2:TIDIG_COMP_CNT: 0
	.section	.text._ZL23rocblas_gemvt_sn_kernelILb0ELi256ELi4EiPKDF16_PKffEviiT4_lPKT3_lilS7_lilPT5_i,"axG",@progbits,_ZL23rocblas_gemvt_sn_kernelILb0ELi256ELi4EiPKDF16_PKffEviiT4_lPKT3_lilS7_lilPT5_i,comdat
	.globl	_ZL23rocblas_gemvt_sn_kernelILb0ELi256ELi4EiPKDF16_PKffEviiT4_lPKT3_lilS7_lilPT5_i ; -- Begin function _ZL23rocblas_gemvt_sn_kernelILb0ELi256ELi4EiPKDF16_PKffEviiT4_lPKT3_lilS7_lilPT5_i
	.p2align	8
	.type	_ZL23rocblas_gemvt_sn_kernelILb0ELi256ELi4EiPKDF16_PKffEviiT4_lPKT3_lilS7_lilPT5_i,@function
_ZL23rocblas_gemvt_sn_kernelILb0ELi256ELi4EiPKDF16_PKffEviiT4_lPKT3_lilS7_lilPT5_i: ; @_ZL23rocblas_gemvt_sn_kernelILb0ELi256ELi4EiPKDF16_PKffEviiT4_lPKT3_lilS7_lilPT5_i
; %bb.0:
	s_load_b32 s33, s[0:1], 0x60
	s_bfe_u32 s2, ttmp6, 0x40014
	s_lshr_b32 s3, ttmp7, 16
	s_add_co_i32 s2, s2, 1
	s_bfe_u32 s5, ttmp6, 0x40008
	s_mul_i32 s2, s3, s2
	s_getreg_b32 s4, hwreg(HW_REG_IB_STS2, 6, 4)
	s_add_co_i32 s5, s5, s2
	s_cmp_eq_u32 s4, 0
	s_mov_b32 s25, 0
	s_cselect_b32 s10, s3, s5
	s_wait_kmcnt 0x0
	s_cmp_ge_u32 s10, s33
	s_cbranch_scc1 .LBB440_92
; %bb.1:
	s_clause 0x6
	s_load_b64 s[26:27], s[0:1], 0x0
	s_load_b256 s[12:19], s[0:1], 0x8
	s_load_b32 s28, s[0:1], 0x28
	s_load_b128 s[20:23], s[0:1], 0x38
	s_load_b32 s66, s[0:1], 0x48
	s_load_b64 s[30:31], s[0:1], 0x58
	s_load_b32 s34, s[0:1], 0x68
	s_wait_xcnt 0x0
	v_cmp_eq_u32_e64 s0, 0, v0
	v_dual_lshrrev_b32 v2, 3, v0 :: v_dual_bitop2_b32 v1, 31, v0 bitop3:0x40
	v_cmp_gt_u32_e64 s1, 32, v0
	v_cmp_gt_u32_e64 s2, 8, v0
	v_mbcnt_lo_u32_b32 v42, -1, 0
	s_delay_alu instid0(VALU_DEP_4)
	v_cmp_eq_u32_e64 s3, 0, v1
	v_dual_lshlrev_b32 v40, 2, v1 :: v_dual_bitop2_b32 v41, 28, v2 bitop3:0x40
	v_mov_b64_e32 v[20:21], 0
	s_mov_b32 s35, s25
	s_mov_b32 s37, s25
	v_lshl_or_b32 v43, v42, 2, 64
	s_wait_kmcnt 0x0
	s_ashr_i32 s7, s27, 31
	s_cmp_gt_i32 s27, 0
	s_mov_b32 s6, s27
	s_cselect_b32 s5, -1, 0
	s_bfe_u32 s8, ttmp6, 0x4000c
	s_and_b32 s9, ttmp6, 15
	s_add_co_i32 s8, s8, 1
	s_and_b32 s67, s0, s5
	s_mul_i32 s8, ttmp9, s8
	s_mul_u64 s[38:39], s[6:7], s[34:35]
	s_add_co_i32 s9, s9, s8
	s_cmp_eq_u32 s4, 0
	s_mov_b32 s29, s25
	s_cselect_b32 s36, ttmp9, s9
	s_ashr_i32 s5, s26, 31
	s_lshl_b32 s8, s36, 10
	s_lshr_b32 s5, s5, 30
	v_lshl_or_b32 v8, v0, 2, s8
	s_add_co_i32 s5, s26, s5
	s_lshr_b32 s4, s7, 30
	s_and_b32 s5, s5, -4
	s_add_co_i32 s4, s27, s4
	v_mul_lo_u32 v10, s66, v8
	s_sub_co_i32 s69, s26, s5
	s_and_b32 s68, s4, -4
	v_add_nc_u32_e32 v1, s69, v8
	s_cmp_gt_i32 s68, 0
	v_dual_ashrrev_i32 v9, 31, v8 :: v_dual_add_nc_u32 v0, 4, v8
	s_cselect_b32 s70, -1, 0
	s_cmp_gt_i32 s69, 0
	s_mov_b32 s51, s25
	s_cselect_b32 s71, -1, 0
	s_delay_alu instid0(VALU_DEP_3)
	v_add_nc_u32_e32 v12, s66, v10
	s_cmp_gt_u32 s27, 1
	v_cmp_ge_i32_e64 s4, s26, v0
	s_cselect_b32 s8, -1, 0
	s_cmp_eq_u32 s34, 1
	v_dual_add_nc_u32 v14, s66, v12 :: v_dual_ashrrev_i32 v11, 31, v10
	s_cselect_b32 s9, -1, 0
	v_cmp_ge_i32_e64 s5, s26, v1
	s_and_b32 s26, s27, 0x7ffffffe
	v_dual_add_nc_u32 v16, s66, v14 :: v_dual_ashrrev_i32 v13, 31, v12
	s_and_b32 s72, s8, s9
	s_cmp_lg_u32 s27, s26
	v_lshlrev_b64_e32 v[18:19], 1, v[8:9]
	s_cselect_b32 s73, -1, 0
	s_lshl_b32 s24, s28, 1
	v_dual_ashrrev_i32 v15, 31, v14 :: v_dual_ashrrev_i32 v17, 31, v16
	v_mov_b32_e32 v0, 0
	s_lshl_b64 s[40:41], s[36:37], 2
	s_mov_b64 s[52:53], s[24:25]
	s_mul_i32 s24, s28, 3
	s_lshl_b64 s[42:43], s[38:39], 2
	s_add_nc_u64 s[44:45], s[30:31], s[40:41]
	s_lshl_b64 s[46:47], s[6:7], 2
	s_lshl_b64 s[48:49], s[34:35], 2
	s_lshl_b32 s50, s28, 2
	s_mov_b64 s[54:55], s[24:25]
	s_lshl_b64 s[18:19], s[18:19], 1
	s_lshl_b64 s[22:23], s[22:23], 1
	s_branch .LBB440_3
.LBB440_2:                              ;   in Loop: Header=BB440_3 Depth=1
	s_add_co_i32 s10, s10, 0x10000
	s_delay_alu instid0(SALU_CYCLE_1)
	s_cmp_lt_u32 s10, s33
	s_cbranch_scc0 .LBB440_92
.LBB440_3:                              ; =>This Loop Header: Depth=1
                                        ;     Child Loop BB440_11 Depth 2
                                        ;     Child Loop BB440_15 Depth 2
	;; [unrolled: 1-line block ×3, first 2 shown]
                                        ;       Child Loop BB440_52 Depth 3
                                        ;       Child Loop BB440_55 Depth 3
                                        ;     Child Loop BB440_71 Depth 2
                                        ;       Child Loop BB440_84 Depth 3
                                        ;       Child Loop BB440_87 Depth 3
	s_mov_b32 s11, s25
	v_mov_b64_e32 v[2:3], 0
	s_mul_u64 s[6:7], s[14:15], s[10:11]
	s_delay_alu instid0(SALU_CYCLE_1) | instskip(NEXT) | instid1(SALU_CYCLE_1)
	s_lshl_b64 s[6:7], s[6:7], 2
	s_add_nc_u64 s[6:7], s[12:13], s[6:7]
	global_load_b32 v44, v0, s[6:7]
	s_wait_loadcnt 0x0
	s_wait_xcnt 0x0
	v_cmp_eq_f32_e64 s6, 0, v44
	v_cmp_neq_f32_e64 s7, 0, v44
	s_and_b32 vcc_lo, exec_lo, s6
	s_cbranch_vccnz .LBB440_5
; %bb.4:                                ;   in Loop: Header=BB440_3 Depth=1
	s_lshl_b64 s[8:9], s[10:11], 3
	s_delay_alu instid0(SALU_CYCLE_1)
	s_add_nc_u64 s[8:9], s[16:17], s[8:9]
	global_load_b64 v[2:3], v0, s[8:9]
	s_wait_loadcnt 0x0
	v_add_nc_u64_e32 v[2:3], s[18:19], v[2:3]
.LBB440_5:                              ;   in Loop: Header=BB440_3 Depth=1
	v_mov_b64_e32 v[22:23], 0
	s_and_not1_b32 vcc_lo, exec_lo, s7
	s_cbranch_vccnz .LBB440_7
; %bb.6:                                ;   in Loop: Header=BB440_3 Depth=1
	s_wait_xcnt 0x0
	s_lshl_b64 s[8:9], s[10:11], 3
	s_delay_alu instid0(SALU_CYCLE_1)
	s_add_nc_u64 s[8:9], s[20:21], s[8:9]
	global_load_b64 v[4:5], v0, s[8:9]
	s_wait_loadcnt 0x0
	v_add_nc_u64_e32 v[22:23], s[22:23], v[4:5]
.LBB440_7:                              ;   in Loop: Header=BB440_3 Depth=1
	s_and_not1_b32 vcc_lo, exec_lo, s6
	s_mov_b32 s6, -1
	s_cbranch_vccnz .LBB440_17
; %bb.8:                                ;   in Loop: Header=BB440_3 Depth=1
	s_wait_xcnt 0x0
	s_and_saveexec_b32 s8, s67
	s_cbranch_execz .LBB440_16
; %bb.9:                                ;   in Loop: Header=BB440_3 Depth=1
	s_and_not1_b32 vcc_lo, exec_lo, s72
	s_cbranch_vccnz .LBB440_13
; %bb.10:                               ;   in Loop: Header=BB440_3 Depth=1
	s_mul_u64 s[6:7], s[42:43], s[10:11]
	s_mov_b32 s9, s26
	s_add_nc_u64 s[6:7], s[44:45], s[6:7]
.LBB440_11:                             ;   Parent Loop BB440_3 Depth=1
                                        ; =>  This Inner Loop Header: Depth=2
	s_add_co_i32 s9, s9, -2
	global_store_b64 v0, v[20:21], s[6:7]
	s_wait_xcnt 0x0
	s_add_nc_u64 s[6:7], s[6:7], 8
	s_mov_b32 s24, s26
	s_cmp_lg_u32 s9, 0
	s_mov_b32 s37, s73
	s_cbranch_scc1 .LBB440_11
; %bb.12:                               ;   in Loop: Header=BB440_3 Depth=1
	s_and_b32 vcc_lo, exec_lo, s37
	s_cbranch_vccnz .LBB440_14
	s_branch .LBB440_16
.LBB440_13:                             ;   in Loop: Header=BB440_3 Depth=1
	s_mov_b32 s24, 0
	s_cbranch_execz .LBB440_16
.LBB440_14:                             ;   in Loop: Header=BB440_3 Depth=1
	s_mul_u64 s[6:7], s[46:47], s[10:11]
	s_lshl_b64 s[56:57], s[24:25], 2
	s_sub_co_i32 s9, s27, s24
	s_add_nc_u64 s[6:7], s[6:7], s[56:57]
	s_delay_alu instid0(SALU_CYCLE_1) | instskip(NEXT) | instid1(SALU_CYCLE_1)
	s_mul_u64 s[6:7], s[34:35], s[6:7]
	s_add_nc_u64 s[6:7], s[44:45], s[6:7]
.LBB440_15:                             ;   Parent Loop BB440_3 Depth=1
                                        ; =>  This Inner Loop Header: Depth=2
	s_add_co_i32 s9, s9, -1
	global_store_b32 v0, v0, s[6:7]
	s_cmp_eq_u32 s9, 0
	s_wait_xcnt 0x0
	s_add_nc_u64 s[6:7], s[6:7], s[48:49]
	s_cbranch_scc0 .LBB440_15
.LBB440_16:                             ;   in Loop: Header=BB440_3 Depth=1
	s_or_b32 exec_lo, exec_lo, s8
	s_mov_b32 s6, 0
.LBB440_17:                             ;   in Loop: Header=BB440_3 Depth=1
	s_delay_alu instid0(SALU_CYCLE_1)
	s_and_not1_b32 vcc_lo, exec_lo, s6
	s_cbranch_vccnz .LBB440_2
; %bb.18:                               ;   in Loop: Header=BB440_3 Depth=1
	v_add_nc_u64_e32 v[34:35], v[2:3], v[18:19]
	s_mul_u64 s[56:57], s[38:39], s[10:11]
	v_lshl_add_u64 v[24:25], v[8:9], 1, v[2:3]
	v_lshl_add_u64 v[26:27], v[10:11], 1, v[22:23]
	;; [unrolled: 1-line block ×5, first 2 shown]
	s_wait_xcnt 0x0
	v_cmp_gt_u32_e64 s9, 24, v42
	v_cmp_gt_u32_e64 s8, 28, v42
	;; [unrolled: 1-line block ×3, first 2 shown]
	v_cmp_ne_u32_e64 s6, 31, v42
	s_lshl_b64 s[56:57], s[56:57], 2
	s_and_not1_b32 vcc_lo, exec_lo, s70
	s_add_nc_u64 s[56:57], s[30:31], s[56:57]
	s_cbranch_vccnz .LBB440_67
; %bb.19:                               ;   in Loop: Header=BB440_3 Depth=1
	v_cndmask_b32_e64 v1, 0, 8, s9
	v_cndmask_b32_e64 v4, 0, 4, s8
	;; [unrolled: 1-line block ×3, first 2 shown]
	s_wait_dscnt 0x0
	v_add_co_ci_u32_e64 v6, null, 0, v42, s6
	v_add_lshl_u32 v45, v1, v42, 2
	v_dual_mov_b32 v1, v0 :: v_dual_mov_b32 v2, v0
	s_delay_alu instid0(VALU_DEP_3) | instskip(SKIP_3) | instid1(VALU_DEP_3)
	v_dual_mov_b32 v3, v0 :: v_dual_lshlrev_b32 v48, 2, v6
	v_add_lshl_u32 v46, v4, v42, 2
	v_add_lshl_u32 v47, v5, v42, 2
	s_mov_b32 s58, 0
	v_mov_b64_e32 v[4:5], v[2:3]
	v_mov_b64_e32 v[2:3], v[0:1]
	s_mov_b64 s[8:9], s[54:55]
	s_mov_b64 s[60:61], s[52:53]
	s_mov_b64 s[62:63], s[28:29]
	s_mov_b32 s24, s58
	s_branch .LBB440_21
.LBB440_20:                             ;   in Loop: Header=BB440_21 Depth=2
	s_wait_xcnt 0x0
	s_or_b32 exec_lo, exec_lo, s6
	s_add_co_i32 s24, s24, 4
	s_add_co_i32 s58, s58, s50
	s_add_nc_u64 s[62:63], s[62:63], s[50:51]
	s_add_nc_u64 s[60:61], s[60:61], s[50:51]
	s_cmp_ge_i32 s24, s68
	s_add_nc_u64 s[8:9], s[8:9], s[50:51]
	s_cbranch_scc1 .LBB440_68
.LBB440_21:                             ;   Parent Loop BB440_3 Depth=1
                                        ; =>  This Loop Header: Depth=2
                                        ;       Child Loop BB440_52 Depth 3
                                        ;       Child Loop BB440_55 Depth 3
                                        ; implicit-def: $vgpr7
                                        ; implicit-def: $vgpr37
	s_and_saveexec_b32 s6, s4
	s_delay_alu instid0(SALU_CYCLE_1)
	s_xor_b32 s6, exec_lo, s6
	s_cbranch_execnz .LBB440_48
; %bb.22:                               ;   in Loop: Header=BB440_21 Depth=2
	s_and_not1_saveexec_b32 s11, s6
	s_cbranch_execnz .LBB440_49
.LBB440_23:                             ;   in Loop: Header=BB440_21 Depth=2
	s_or_b32 exec_lo, exec_lo, s11
	s_and_saveexec_b32 s6, s1
.LBB440_24:                             ;   in Loop: Header=BB440_21 Depth=2
	ds_store_b32 v40, v0
.LBB440_25:                             ;   in Loop: Header=BB440_21 Depth=2
	s_or_b32 exec_lo, exec_lo, s6
	ds_bpermute_b32 v1, v43, v36
	s_wait_storecnt_dscnt 0x0
	s_barrier_signal -1
	s_barrier_wait -1
	v_add_f32_e32 v1, v36, v1
	ds_bpermute_b32 v36, v45, v1
	s_wait_dscnt 0x0
	v_add_f32_e32 v1, v1, v36
	ds_bpermute_b32 v36, v46, v1
	s_wait_dscnt 0x0
	;; [unrolled: 3-line block ×3, first 2 shown]
	v_add_f32_e32 v1, v1, v36
	ds_bpermute_b32 v36, v48, v1
	s_and_saveexec_b32 s6, s3
	s_cbranch_execz .LBB440_27
; %bb.26:                               ;   in Loop: Header=BB440_21 Depth=2
	s_wait_dscnt 0x0
	v_add_f32_e32 v1, v1, v36
	ds_store_b32 v41, v1
.LBB440_27:                             ;   in Loop: Header=BB440_21 Depth=2
	s_or_b32 exec_lo, exec_lo, s6
	v_mov_b32_e32 v1, 0
	s_wait_dscnt 0x0
	s_barrier_signal -1
	s_barrier_wait -1
	s_and_saveexec_b32 s6, s2
	s_cbranch_execnz .LBB440_56
; %bb.28:                               ;   in Loop: Header=BB440_21 Depth=2
	s_or_b32 exec_lo, exec_lo, s6
	s_and_saveexec_b32 s6, s1
	s_cbranch_execnz .LBB440_57
.LBB440_29:                             ;   in Loop: Header=BB440_21 Depth=2
	s_or_b32 exec_lo, exec_lo, s6
	s_and_saveexec_b32 s6, s1
.LBB440_30:                             ;   in Loop: Header=BB440_21 Depth=2
	ds_store_b32 v40, v0
.LBB440_31:                             ;   in Loop: Header=BB440_21 Depth=2
	s_or_b32 exec_lo, exec_lo, s6
	ds_bpermute_b32 v36, v43, v37
	s_wait_dscnt 0x0
	s_barrier_signal -1
	s_barrier_wait -1
	v_add_f32_e32 v36, v37, v36
	ds_bpermute_b32 v37, v45, v36
	s_wait_dscnt 0x0
	v_add_f32_e32 v36, v36, v37
	ds_bpermute_b32 v37, v46, v36
	s_wait_dscnt 0x0
	;; [unrolled: 3-line block ×3, first 2 shown]
	v_add_f32_e32 v36, v36, v37
	ds_bpermute_b32 v37, v48, v36
	s_and_saveexec_b32 s6, s3
	s_cbranch_execz .LBB440_33
; %bb.32:                               ;   in Loop: Header=BB440_21 Depth=2
	s_wait_dscnt 0x0
	v_add_f32_e32 v36, v36, v37
	ds_store_b32 v41, v36
.LBB440_33:                             ;   in Loop: Header=BB440_21 Depth=2
	s_or_b32 exec_lo, exec_lo, s6
	v_mov_b32_e32 v36, 0
	s_wait_dscnt 0x0
	s_barrier_signal -1
	s_barrier_wait -1
	s_and_saveexec_b32 s6, s2
	s_cbranch_execnz .LBB440_58
; %bb.34:                               ;   in Loop: Header=BB440_21 Depth=2
	s_or_b32 exec_lo, exec_lo, s6
	s_and_saveexec_b32 s6, s1
	s_cbranch_execnz .LBB440_59
.LBB440_35:                             ;   in Loop: Header=BB440_21 Depth=2
	s_or_b32 exec_lo, exec_lo, s6
	s_and_saveexec_b32 s6, s1
.LBB440_36:                             ;   in Loop: Header=BB440_21 Depth=2
	ds_store_b32 v40, v0
.LBB440_37:                             ;   in Loop: Header=BB440_21 Depth=2
	s_or_b32 exec_lo, exec_lo, s6
	ds_bpermute_b32 v37, v43, v6
	s_wait_dscnt 0x0
	s_barrier_signal -1
	s_barrier_wait -1
	v_add_f32_e32 v6, v6, v37
	ds_bpermute_b32 v37, v45, v6
	s_wait_dscnt 0x0
	v_add_f32_e32 v6, v6, v37
	ds_bpermute_b32 v37, v46, v6
	s_wait_dscnt 0x0
	;; [unrolled: 3-line block ×3, first 2 shown]
	v_add_f32_e32 v6, v6, v37
	ds_bpermute_b32 v37, v48, v6
	s_and_saveexec_b32 s6, s3
	s_cbranch_execz .LBB440_39
; %bb.38:                               ;   in Loop: Header=BB440_21 Depth=2
	s_wait_dscnt 0x0
	v_add_f32_e32 v6, v6, v37
	ds_store_b32 v41, v6
.LBB440_39:                             ;   in Loop: Header=BB440_21 Depth=2
	s_or_b32 exec_lo, exec_lo, s6
	v_mov_b32_e32 v6, 0
	s_wait_dscnt 0x0
	s_barrier_signal -1
	s_barrier_wait -1
	s_and_saveexec_b32 s6, s2
	s_cbranch_execnz .LBB440_60
; %bb.40:                               ;   in Loop: Header=BB440_21 Depth=2
	s_or_b32 exec_lo, exec_lo, s6
	s_and_saveexec_b32 s6, s1
	s_cbranch_execnz .LBB440_61
.LBB440_41:                             ;   in Loop: Header=BB440_21 Depth=2
	s_or_b32 exec_lo, exec_lo, s6
	s_and_saveexec_b32 s6, s1
.LBB440_42:                             ;   in Loop: Header=BB440_21 Depth=2
	ds_store_b32 v40, v0
.LBB440_43:                             ;   in Loop: Header=BB440_21 Depth=2
	s_or_b32 exec_lo, exec_lo, s6
	ds_bpermute_b32 v37, v43, v7
	s_wait_dscnt 0x0
	s_barrier_signal -1
	s_barrier_wait -1
	v_add_f32_e32 v7, v7, v37
	ds_bpermute_b32 v37, v45, v7
	s_wait_dscnt 0x0
	v_add_f32_e32 v7, v7, v37
	ds_bpermute_b32 v37, v46, v7
	s_wait_dscnt 0x0
	;; [unrolled: 3-line block ×3, first 2 shown]
	v_add_f32_e32 v7, v7, v37
	ds_bpermute_b32 v37, v48, v7
	s_and_saveexec_b32 s6, s3
	s_cbranch_execz .LBB440_45
; %bb.44:                               ;   in Loop: Header=BB440_21 Depth=2
	s_wait_dscnt 0x0
	v_add_f32_e32 v7, v7, v37
	ds_store_b32 v41, v7
.LBB440_45:                             ;   in Loop: Header=BB440_21 Depth=2
	s_or_b32 exec_lo, exec_lo, s6
	v_mov_b32_e32 v7, 0
	s_wait_dscnt 0x0
	s_barrier_signal -1
	s_barrier_wait -1
	s_and_saveexec_b32 s6, s2
	s_cbranch_execnz .LBB440_62
; %bb.46:                               ;   in Loop: Header=BB440_21 Depth=2
	s_or_b32 exec_lo, exec_lo, s6
	s_and_saveexec_b32 s6, s1
	s_cbranch_execnz .LBB440_63
.LBB440_47:                             ;   in Loop: Header=BB440_21 Depth=2
	s_or_b32 exec_lo, exec_lo, s6
	s_and_saveexec_b32 s6, s0
	s_cbranch_execz .LBB440_20
	s_branch .LBB440_64
.LBB440_48:                             ;   in Loop: Header=BB440_21 Depth=2
	s_mul_i32 s64, s24, s28
	s_clause 0x1
	flat_load_u16 v1, v[28:29]
	flat_load_u16 v49, v[32:33]
	s_add_co_i32 s74, s64, s28
	s_ashr_i32 s65, s64, 31
	s_add_co_i32 s76, s74, s28
	v_lshl_add_u64 v[2:3], s[64:65], 1, v[24:25]
	s_ashr_i32 s77, s76, 31
	s_add_co_i32 s64, s76, s28
	v_lshl_add_u64 v[4:5], s[76:77], 1, v[24:25]
	s_ashr_i32 s65, s64, 31
	s_clause 0x1
	flat_load_u16 v50, v[26:27]
	flat_load_u16 v52, v[30:31]
	s_wait_dscnt 0x4
	flat_load_b64 v[6:7], v[2:3]
	s_ashr_i32 s75, s74, 31
	flat_load_b64 v[4:5], v[4:5]
	s_wait_xcnt 0x1
	v_lshl_add_u64 v[2:3], s[64:65], 1, v[24:25]
	flat_load_b64 v[36:37], v[2:3]
	s_wait_xcnt 0x0
	v_lshl_add_u64 v[2:3], s[74:75], 1, v[24:25]
	flat_load_b64 v[38:39], v[2:3]
	s_wait_loadcnt_dscnt 0x707
	v_cvt_f32_f16_e32 v51, v1
	s_wait_loadcnt_dscnt 0x606
	v_cvt_f32_f16_e32 v53, v49
	s_delay_alu instid0(VALU_DEP_1)
	v_dual_mov_b32 v56, v51 :: v_dual_mov_b32 v58, v53
	s_wait_loadcnt_dscnt 0x505
	s_wait_xcnt 0x0
	v_cvt_f32_f16_e32 v2, v50
	s_wait_loadcnt_dscnt 0x404
	v_cvt_f32_f16_e32 v54, v52
	s_wait_loadcnt_dscnt 0x303
	v_dual_lshrrev_b32 v1, 16, v6 :: v_dual_lshrrev_b32 v3, 16, v7
	s_wait_loadcnt_dscnt 0x202
	v_dual_lshrrev_b32 v49, 16, v4 :: v_dual_lshrrev_b32 v57, 16, v5
	v_cvt_f32_f16_e32 v55, v4
	s_delay_alu instid0(VALU_DEP_3)
	v_cvt_f32_f16_e32 v4, v1
	v_cvt_f32_f16_e32 v59, v5
	;; [unrolled: 1-line block ×3, first 2 shown]
	s_wait_loadcnt_dscnt 0x101
	v_dual_lshrrev_b32 v1, 16, v36 :: v_dual_lshrrev_b32 v5, 16, v37
	v_cvt_f32_f16_e32 v50, v36
	v_cvt_f32_f16_e32 v52, v37
	;; [unrolled: 1-line block ×3, first 2 shown]
	s_delay_alu instid0(VALU_DEP_4)
	v_cvt_f32_f16_e32 v3, v1
	v_cvt_f32_f16_e32 v6, v7
	s_wait_loadcnt_dscnt 0x0
	v_cvt_f32_f16_e32 v61, v38
	v_dual_lshrrev_b32 v1, 16, v38 :: v_dual_lshrrev_b32 v63, 16, v39
	v_pk_mul_f32 v[36:37], v[50:51], v[2:3]
	v_cvt_f32_f16_e32 v7, v39
	v_cvt_f32_f16_e32 v49, v49
	v_mul_f32_e32 v38, v2, v55
	v_cvt_f32_f16_e32 v55, v5
	v_dual_mov_b32 v39, v36 :: v_dual_mov_b32 v3, v51
	s_delay_alu instid0(VALU_DEP_4) | instskip(SKIP_1) | instid1(VALU_DEP_4)
	v_mul_f32_e32 v36, v51, v49
	v_cvt_f32_f16_e32 v5, v1
	v_pk_mul_f32 v[50:51], v[52:53], v[54:55]
	s_delay_alu instid0(VALU_DEP_4)
	v_pk_add_f32 v[38:39], v[38:39], 0 op_sel_hi:[1,0]
	v_pk_fma_f32 v[60:61], v[2:3], v[60:61], 0 op_sel_hi:[0,1,0]
	v_cvt_f32_f16_e32 v1, v57
	v_mul_f32_e32 v64, v54, v59
	v_mov_b32_e32 v65, v50
	v_pk_add_f32 v[36:37], v[38:39], v[36:37]
	v_pk_fma_f32 v[4:5], v[56:57], v[4:5], v[60:61] op_sel_hi:[0,1,1]
	v_cvt_f32_f16_e32 v63, v63
	v_mul_f32_e32 v50, v53, v1
	s_delay_alu instid0(VALU_DEP_3) | instskip(SKIP_3) | instid1(VALU_DEP_2)
	v_pk_fma_f32 v[38:39], v[54:55], v[6:7], v[4:5] op_sel_hi:[0,1,1]
	v_mov_b32_e32 v4, v54
	v_pk_add_f32 v[36:37], v[36:37], v[64:65]
	v_mov_b32_e32 v5, v53
	v_pk_add_f32 v[6:7], v[36:37], v[50:51]
	v_pk_fma_f32 v[36:37], v[58:59], v[62:63], v[38:39] op_sel_hi:[0,1,1]
	s_and_not1_saveexec_b32 s11, s6
	s_cbranch_execz .LBB440_23
.LBB440_49:                             ;   in Loop: Header=BB440_21 Depth=2
	s_wait_dscnt 0x0
	v_dual_mov_b32 v7, 0 :: v_dual_mov_b32 v6, 0
	v_dual_mov_b32 v37, 0 :: v_dual_mov_b32 v36, 0
	s_and_saveexec_b32 s37, s5
	s_cbranch_execz .LBB440_66
; %bb.50:                               ;   in Loop: Header=BB440_21 Depth=2
	s_and_not1_b32 vcc_lo, exec_lo, s71
	s_cbranch_vccnz .LBB440_53
; %bb.51:                               ;   in Loop: Header=BB440_21 Depth=2
	v_mov_b32_e32 v1, v10
	s_mov_b64 s[64:65], 0
.LBB440_52:                             ;   Parent Loop BB440_3 Depth=1
                                        ;     Parent Loop BB440_21 Depth=2
                                        ; =>    This Inner Loop Header: Depth=3
	v_readfirstlane_b32 s6, v22
	v_readfirstlane_b32 s7, v23
	s_cmp_eq_u32 s64, 3
	s_cselect_b32 vcc_lo, -1, 0
	s_cmp_eq_u32 s64, 2
	flat_load_u16 v6, v1, s[6:7] scale_offset
	s_wait_xcnt 0x0
	s_cselect_b32 s6, -1, 0
	s_cmp_eq_u32 s64, 1
	s_cselect_b32 s7, -1, 0
	s_cmp_eq_u32 s64, 0
	s_add_nc_u64 s[64:65], s[64:65], 1
	s_wait_loadcnt_dscnt 0x0
	v_cvt_f32_f16_e32 v6, v6
	s_delay_alu instid0(VALU_DEP_1)
	v_dual_add_nc_u32 v1, s66, v1 :: v_dual_cndmask_b32 v5, v5, v6, vcc_lo
	s_cselect_b32 vcc_lo, -1, 0
	v_dual_cndmask_b32 v4, v4, v6, s6 :: v_dual_cndmask_b32 v3, v3, v6, s7
	v_cndmask_b32_e32 v2, v2, v6, vcc_lo
	s_cmp_eq_u32 s69, s64
	s_cbranch_scc0 .LBB440_52
.LBB440_53:                             ;   in Loop: Header=BB440_21 Depth=2
	s_and_not1_b32 vcc_lo, exec_lo, s71
	s_cbranch_vccnz .LBB440_65
; %bb.54:                               ;   in Loop: Header=BB440_21 Depth=2
	v_mov_b32_e32 v36, 0
	s_ashr_i32 s59, s58, 31
	s_mov_b64 s[6:7], 0
	v_lshl_add_u64 v[38:39], s[58:59], 1, v[34:35]
	s_delay_alu instid0(VALU_DEP_2)
	v_dual_mov_b32 v37, v36 :: v_dual_mov_b32 v6, v36
	v_mov_b32_e32 v7, v36
.LBB440_55:                             ;   Parent Loop BB440_3 Depth=1
                                        ;     Parent Loop BB440_21 Depth=2
                                        ; =>    This Inner Loop Header: Depth=3
	s_cmp_eq_u32 s6, 1
	s_cselect_b32 vcc_lo, -1, 0
	s_cmp_eq_u32 s6, 2
	v_cndmask_b32_e32 v1, v2, v3, vcc_lo
	s_cselect_b32 vcc_lo, -1, 0
	s_cmp_eq_u32 s6, 3
	s_delay_alu instid0(VALU_DEP_1)
	v_cndmask_b32_e32 v1, v1, v4, vcc_lo
	s_cselect_b32 vcc_lo, -1, 0
	s_add_co_i32 s76, s8, s6
	s_add_co_i32 s74, s60, s6
	;; [unrolled: 1-line block ×3, first 2 shown]
	s_ashr_i32 s77, s76, 31
	s_ashr_i32 s75, s74, 31
	;; [unrolled: 1-line block ×3, first 2 shown]
	v_lshl_add_u64 v[50:51], s[76:77], 1, v[24:25]
	v_lshl_add_u64 v[52:53], s[74:75], 1, v[24:25]
	;; [unrolled: 1-line block ×3, first 2 shown]
	flat_load_u16 v49, v[38:39]
	s_clause 0x2
	flat_load_u16 v51, v[50:51]
	flat_load_u16 v53, v[52:53]
	;; [unrolled: 1-line block ×3, first 2 shown]
	s_wait_xcnt 0x2
	v_cndmask_b32_e32 v50, v1, v5, vcc_lo
	v_add_nc_u64_e32 v[38:39], 2, v[38:39]
	s_add_nc_u64 s[6:7], s[6:7], 1
	s_delay_alu instid0(SALU_CYCLE_1)
	s_cmp_lg_u32 s69, s6
	s_wait_loadcnt_dscnt 0x303
	s_wait_xcnt 0x1
	v_cvt_f32_f16_e32 v52, v49
	s_wait_loadcnt_dscnt 0x202
	s_wait_xcnt 0x0
	v_cvt_f32_f16_e32 v55, v51
	s_wait_loadcnt_dscnt 0x101
	v_cvt_f32_f16_e32 v54, v53
	s_wait_loadcnt_dscnt 0x0
	v_cvt_f32_f16_e32 v53, v56
	s_delay_alu instid0(VALU_DEP_2) | instskip(NEXT) | instid1(VALU_DEP_2)
	v_pk_fma_f32 v[6:7], v[50:51], v[54:55], v[6:7] op_sel_hi:[0,1,1]
	v_pk_fma_f32 v[36:37], v[50:51], v[52:53], v[36:37] op_sel_hi:[0,1,1]
	s_cbranch_scc1 .LBB440_55
	s_branch .LBB440_66
.LBB440_56:                             ;   in Loop: Header=BB440_21 Depth=2
	ds_load_b32 v1, v40
	s_or_b32 exec_lo, exec_lo, s6
	s_and_saveexec_b32 s6, s1
	s_cbranch_execz .LBB440_29
.LBB440_57:                             ;   in Loop: Header=BB440_21 Depth=2
	s_wait_dscnt 0x0
	ds_bpermute_b32 v36, v46, v1
	s_wait_dscnt 0x0
	v_add_f32_e32 v1, v1, v36
	ds_bpermute_b32 v36, v47, v1
	s_wait_dscnt 0x0
	v_add_f32_e32 v1, v1, v36
	;; [unrolled: 3-line block ×3, first 2 shown]
	s_or_b32 exec_lo, exec_lo, s6
	s_and_saveexec_b32 s6, s1
	s_cbranch_execnz .LBB440_30
	s_branch .LBB440_31
.LBB440_58:                             ;   in Loop: Header=BB440_21 Depth=2
	ds_load_b32 v36, v40
	s_or_b32 exec_lo, exec_lo, s6
	s_and_saveexec_b32 s6, s1
	s_cbranch_execz .LBB440_35
.LBB440_59:                             ;   in Loop: Header=BB440_21 Depth=2
	s_wait_dscnt 0x0
	ds_bpermute_b32 v37, v46, v36
	s_wait_dscnt 0x0
	v_add_f32_e32 v36, v36, v37
	ds_bpermute_b32 v37, v47, v36
	s_wait_dscnt 0x0
	v_add_f32_e32 v36, v36, v37
	;; [unrolled: 3-line block ×3, first 2 shown]
	s_or_b32 exec_lo, exec_lo, s6
	s_and_saveexec_b32 s6, s1
	s_cbranch_execnz .LBB440_36
	s_branch .LBB440_37
.LBB440_60:                             ;   in Loop: Header=BB440_21 Depth=2
	ds_load_b32 v6, v40
	s_or_b32 exec_lo, exec_lo, s6
	s_and_saveexec_b32 s6, s1
	s_cbranch_execz .LBB440_41
.LBB440_61:                             ;   in Loop: Header=BB440_21 Depth=2
	s_wait_dscnt 0x0
	ds_bpermute_b32 v37, v46, v6
	s_wait_dscnt 0x0
	v_add_f32_e32 v6, v6, v37
	ds_bpermute_b32 v37, v47, v6
	s_wait_dscnt 0x0
	v_add_f32_e32 v6, v6, v37
	;; [unrolled: 3-line block ×3, first 2 shown]
	s_or_b32 exec_lo, exec_lo, s6
	s_and_saveexec_b32 s6, s1
	s_cbranch_execnz .LBB440_42
	s_branch .LBB440_43
.LBB440_62:                             ;   in Loop: Header=BB440_21 Depth=2
	ds_load_b32 v7, v40
	s_or_b32 exec_lo, exec_lo, s6
	s_and_saveexec_b32 s6, s1
	s_cbranch_execz .LBB440_47
.LBB440_63:                             ;   in Loop: Header=BB440_21 Depth=2
	s_wait_dscnt 0x0
	ds_bpermute_b32 v37, v46, v7
	s_wait_dscnt 0x0
	v_add_f32_e32 v7, v7, v37
	ds_bpermute_b32 v37, v47, v7
	s_wait_dscnt 0x0
	v_add_f32_e32 v7, v7, v37
	ds_bpermute_b32 v37, v48, v7
	s_wait_dscnt 0x0
	v_add_f32_e32 v7, v7, v37
	s_or_b32 exec_lo, exec_lo, s6
	s_and_saveexec_b32 s6, s0
	s_cbranch_execz .LBB440_20
.LBB440_64:                             ;   in Loop: Header=BB440_21 Depth=2
	s_mul_i32 s7, s24, s34
	v_dual_mul_f32 v1, v44, v1 :: v_dual_mul_f32 v36, v44, v36
	s_add_co_i32 s7, s7, s36
	s_delay_alu instid0(SALU_CYCLE_1) | instskip(NEXT) | instid1(SALU_CYCLE_1)
	s_add_co_i32 s11, s7, s34
	v_dual_mov_b32 v37, s7 :: v_dual_mov_b32 v38, s11
	s_add_co_i32 s7, s11, s34
	s_delay_alu instid0(SALU_CYCLE_1)
	v_dual_mul_f32 v6, v44, v6 :: v_dual_mov_b32 v39, s7
	s_add_co_i32 s7, s7, s34
	s_wait_dscnt 0x0
	v_dual_mul_f32 v7, v44, v7 :: v_dual_mov_b32 v49, s7
	s_clause 0x3
	global_store_b32 v37, v1, s[56:57] scale_offset
	global_store_b32 v38, v36, s[56:57] scale_offset
	;; [unrolled: 1-line block ×4, first 2 shown]
	s_branch .LBB440_20
.LBB440_65:                             ;   in Loop: Header=BB440_21 Depth=2
	v_mov_b32_e32 v7, 0
	s_delay_alu instid0(VALU_DEP_1)
	v_dual_mov_b32 v6, v7 :: v_dual_mov_b32 v37, v7
	v_mov_b32_e32 v36, v7
.LBB440_66:                             ;   in Loop: Header=BB440_21 Depth=2
	s_or_b32 exec_lo, exec_lo, s37
	s_delay_alu instid0(SALU_CYCLE_1)
	s_or_b32 exec_lo, exec_lo, s11
	s_and_saveexec_b32 s6, s1
	s_cbranch_execnz .LBB440_24
	s_branch .LBB440_25
.LBB440_67:                             ;   in Loop: Header=BB440_3 Depth=1
	v_dual_mov_b32 v1, v0 :: v_dual_mov_b32 v2, v0
	v_mov_b32_e32 v3, v0
	s_mov_b32 s24, 0
	s_delay_alu instid0(VALU_DEP_1) | instskip(NEXT) | instid1(VALU_DEP_3)
	v_mov_b64_e32 v[4:5], v[2:3]
	v_mov_b64_e32 v[2:3], v[0:1]
.LBB440_68:                             ;   in Loop: Header=BB440_3 Depth=1
	s_cmp_ge_i32 s24, s27
	s_cbranch_scc1 .LBB440_2
; %bb.69:                               ;   in Loop: Header=BB440_3 Depth=1
	v_cmp_gt_u32_e32 vcc_lo, 24, v42
	s_add_nc_u64 s[8:9], s[56:57], s[40:41]
	s_mul_i32 s56, s28, s24
	v_cndmask_b32_e64 v1, 0, 8, vcc_lo
	v_cmp_gt_u32_e32 vcc_lo, 28, v42
	s_delay_alu instid0(VALU_DEP_2) | instskip(SKIP_4) | instid1(VALU_DEP_2)
	v_add_lshl_u32 v1, v1, v42, 2
	s_wait_dscnt 0x0
	v_cndmask_b32_e64 v6, 0, 4, vcc_lo
	v_cmp_gt_u32_e32 vcc_lo, 30, v42
	s_wait_dscnt 0x0
	v_add_lshl_u32 v7, v6, v42, 2
	v_cndmask_b32_e64 v36, 0, 2, vcc_lo
	v_cmp_ne_u32_e32 vcc_lo, 31, v42
	s_delay_alu instid0(VALU_DEP_2) | instskip(SKIP_1) | instid1(VALU_DEP_1)
	v_add_lshl_u32 v38, v36, v42, 2
	v_add_co_ci_u32_e64 v37, null, 0, v42, vcc_lo
	v_lshlrev_b32_e32 v39, 2, v37
	s_branch .LBB440_71
.LBB440_70:                             ;   in Loop: Header=BB440_71 Depth=2
	s_wait_xcnt 0x0
	s_or_b32 exec_lo, exec_lo, s6
	s_add_co_i32 s24, s24, 1
	s_add_co_i32 s56, s56, s28
	s_cmp_ge_i32 s24, s27
	s_cbranch_scc1 .LBB440_2
.LBB440_71:                             ;   Parent Loop BB440_3 Depth=1
                                        ; =>  This Loop Header: Depth=2
                                        ;       Child Loop BB440_84 Depth 3
                                        ;       Child Loop BB440_87 Depth 3
	s_wait_dscnt 0x0
	v_mov_b32_e32 v6, s25
	s_and_saveexec_b32 s6, s4
	s_delay_alu instid0(SALU_CYCLE_1)
	s_xor_b32 s6, exec_lo, s6
	s_cbranch_execnz .LBB440_80
; %bb.72:                               ;   in Loop: Header=BB440_71 Depth=2
	s_and_not1_saveexec_b32 s11, s6
	s_cbranch_execnz .LBB440_81
.LBB440_73:                             ;   in Loop: Header=BB440_71 Depth=2
	s_or_b32 exec_lo, exec_lo, s11
	s_and_saveexec_b32 s6, s1
.LBB440_74:                             ;   in Loop: Header=BB440_71 Depth=2
	ds_store_b32 v40, v0
.LBB440_75:                             ;   in Loop: Header=BB440_71 Depth=2
	s_or_b32 exec_lo, exec_lo, s6
	ds_bpermute_b32 v36, v43, v6
	s_wait_storecnt_dscnt 0x0
	s_barrier_signal -1
	s_barrier_wait -1
	v_add_f32_e32 v6, v6, v36
	ds_bpermute_b32 v36, v1, v6
	s_wait_dscnt 0x0
	v_add_f32_e32 v6, v6, v36
	ds_bpermute_b32 v36, v7, v6
	s_wait_dscnt 0x0
	;; [unrolled: 3-line block ×3, first 2 shown]
	v_add_f32_e32 v6, v6, v36
	ds_bpermute_b32 v36, v39, v6
	s_and_saveexec_b32 s6, s3
	s_cbranch_execz .LBB440_77
; %bb.76:                               ;   in Loop: Header=BB440_71 Depth=2
	s_wait_dscnt 0x0
	v_add_f32_e32 v6, v6, v36
	ds_store_b32 v41, v6
.LBB440_77:                             ;   in Loop: Header=BB440_71 Depth=2
	s_or_b32 exec_lo, exec_lo, s6
	v_mov_b32_e32 v6, 0
	s_wait_dscnt 0x0
	s_barrier_signal -1
	s_barrier_wait -1
	s_and_saveexec_b32 s6, s2
	s_cbranch_execnz .LBB440_89
; %bb.78:                               ;   in Loop: Header=BB440_71 Depth=2
	s_or_b32 exec_lo, exec_lo, s6
	s_and_saveexec_b32 s6, s1
	s_cbranch_execnz .LBB440_90
.LBB440_79:                             ;   in Loop: Header=BB440_71 Depth=2
	s_or_b32 exec_lo, exec_lo, s6
	s_and_saveexec_b32 s6, s0
	s_cbranch_execz .LBB440_70
	s_branch .LBB440_91
.LBB440_80:                             ;   in Loop: Header=BB440_71 Depth=2
	s_mul_i32 s58, s24, s28
	s_delay_alu instid0(SALU_CYCLE_1) | instskip(NEXT) | instid1(SALU_CYCLE_1)
	s_ashr_i32 s59, s58, 31
	v_lshl_add_u64 v[2:3], s[58:59], 1, v[24:25]
	flat_load_b64 v[36:37], v[2:3]
	s_clause 0x3
	flat_load_u16 v2, v[28:29]
	flat_load_u16 v4, v[26:27]
	;; [unrolled: 1-line block ×4, first 2 shown]
	s_wait_loadcnt_dscnt 0x404
	v_dual_lshrrev_b32 v5, 16, v36 :: v_dual_lshrrev_b32 v48, 16, v37
	s_wait_loadcnt_dscnt 0x303
	v_cvt_f32_f16_e32 v3, v2
	s_wait_loadcnt_dscnt 0x202
	v_cvt_f32_f16_e32 v2, v4
	v_cvt_f32_f16_e32 v4, v36
	;; [unrolled: 1-line block ×5, first 2 shown]
	s_delay_alu instid0(VALU_DEP_3)
	v_pk_mul_f32 v[46:47], v[2:3], v[4:5]
	s_wait_loadcnt_dscnt 0x101
	v_cvt_f32_f16_e32 v5, v6
	s_wait_loadcnt_dscnt 0x0
	v_cvt_f32_f16_e32 v4, v45
	v_add_f32_e32 v6, 0, v46
	s_delay_alu instid0(VALU_DEP_2) | instskip(NEXT) | instid1(VALU_DEP_2)
	v_pk_mul_f32 v[36:37], v[4:5], v[36:37]
	v_add_f32_e32 v6, v6, v47
	s_delay_alu instid0(VALU_DEP_1) | instskip(NEXT) | instid1(VALU_DEP_1)
	v_add_f32_e32 v6, v6, v36
	v_add_f32_e32 v6, v6, v37
	s_wait_xcnt 0x0
	s_and_not1_saveexec_b32 s11, s6
	s_cbranch_execz .LBB440_73
.LBB440_81:                             ;   in Loop: Header=BB440_71 Depth=2
	s_and_saveexec_b32 s37, s5
	s_cbranch_execz .LBB440_88
; %bb.82:                               ;   in Loop: Header=BB440_71 Depth=2
	s_and_not1_b32 vcc_lo, exec_lo, s71
	s_cbranch_vccnz .LBB440_85
; %bb.83:                               ;   in Loop: Header=BB440_71 Depth=2
	v_mov_b32_e32 v36, v10
	s_mov_b64 s[58:59], 0
.LBB440_84:                             ;   Parent Loop BB440_3 Depth=1
                                        ;     Parent Loop BB440_71 Depth=2
                                        ; =>    This Inner Loop Header: Depth=3
	v_readfirstlane_b32 s6, v22
	v_readfirstlane_b32 s7, v23
	s_cmp_eq_u32 s58, 3
	s_cselect_b32 vcc_lo, -1, 0
	s_cmp_eq_u32 s58, 2
	flat_load_u16 v37, v36, s[6:7] scale_offset
	s_wait_xcnt 0x0
	s_cselect_b32 s6, -1, 0
	s_cmp_eq_u32 s58, 1
	s_cselect_b32 s7, -1, 0
	s_cmp_eq_u32 s58, 0
	s_add_nc_u64 s[58:59], s[58:59], 1
	s_wait_loadcnt_dscnt 0x0
	v_cvt_f32_f16_e32 v37, v37
	s_delay_alu instid0(VALU_DEP_1)
	v_dual_cndmask_b32 v5, v5, v37 :: v_dual_add_nc_u32 v36, s66, v36
	s_cselect_b32 vcc_lo, -1, 0
	v_dual_cndmask_b32 v4, v4, v37, s6 :: v_dual_cndmask_b32 v3, v3, v37, s7
	v_cndmask_b32_e32 v2, v2, v37, vcc_lo
	s_cmp_eq_u32 s69, s58
	s_cbranch_scc0 .LBB440_84
.LBB440_85:                             ;   in Loop: Header=BB440_71 Depth=2
	s_and_not1_b32 vcc_lo, exec_lo, s71
	s_cbranch_vccnz .LBB440_88
; %bb.86:                               ;   in Loop: Header=BB440_71 Depth=2
	s_ashr_i32 s57, s56, 31
	s_mov_b64 s[6:7], 0
	v_lshl_add_u64 v[36:37], s[56:57], 1, v[34:35]
.LBB440_87:                             ;   Parent Loop BB440_3 Depth=1
                                        ;     Parent Loop BB440_71 Depth=2
                                        ; =>    This Inner Loop Header: Depth=3
	flat_load_u16 v45, v[36:37]
	s_cmp_eq_u32 s6, 1
	s_wait_xcnt 0x0
	v_add_nc_u64_e32 v[36:37], 2, v[36:37]
	s_cselect_b32 vcc_lo, -1, 0
	s_cmp_eq_u32 s6, 2
	v_cndmask_b32_e32 v46, v2, v3, vcc_lo
	s_cselect_b32 vcc_lo, -1, 0
	s_cmp_eq_u32 s6, 3
	s_add_nc_u64 s[6:7], s[6:7], 1
	s_delay_alu instid0(VALU_DEP_1) | instskip(SKIP_2) | instid1(VALU_DEP_1)
	v_cndmask_b32_e32 v46, v46, v4, vcc_lo
	s_cselect_b32 vcc_lo, -1, 0
	s_cmp_lg_u32 s69, s6
	v_cndmask_b32_e32 v46, v46, v5, vcc_lo
	s_wait_loadcnt_dscnt 0x0
	s_delay_alu instid0(VALU_DEP_1)
	v_fma_mix_f32 v6, v46, v45, v6 op_sel_hi:[0,1,0]
	s_cbranch_scc1 .LBB440_87
.LBB440_88:                             ;   in Loop: Header=BB440_71 Depth=2
	s_or_b32 exec_lo, exec_lo, s37
	s_delay_alu instid0(SALU_CYCLE_1)
	s_or_b32 exec_lo, exec_lo, s11
	s_and_saveexec_b32 s6, s1
	s_cbranch_execnz .LBB440_74
	s_branch .LBB440_75
.LBB440_89:                             ;   in Loop: Header=BB440_71 Depth=2
	ds_load_b32 v6, v40
	s_or_b32 exec_lo, exec_lo, s6
	s_and_saveexec_b32 s6, s1
	s_cbranch_execz .LBB440_79
.LBB440_90:                             ;   in Loop: Header=BB440_71 Depth=2
	s_wait_dscnt 0x0
	ds_bpermute_b32 v36, v7, v6
	s_wait_dscnt 0x0
	v_add_f32_e32 v6, v6, v36
	ds_bpermute_b32 v36, v38, v6
	s_wait_dscnt 0x0
	v_add_f32_e32 v6, v6, v36
	;; [unrolled: 3-line block ×3, first 2 shown]
	s_or_b32 exec_lo, exec_lo, s6
	s_and_saveexec_b32 s6, s0
	s_cbranch_execz .LBB440_70
.LBB440_91:                             ;   in Loop: Header=BB440_71 Depth=2
	s_mul_u64 s[58:59], s[24:25], s[34:35]
	s_wait_dscnt 0x0
	v_mul_f32_e32 v6, v44, v6
	s_lshl_b64 s[58:59], s[58:59], 2
	s_delay_alu instid0(SALU_CYCLE_1)
	s_add_nc_u64 s[58:59], s[8:9], s[58:59]
	global_store_b32 v0, v6, s[58:59]
	s_branch .LBB440_70
.LBB440_92:
	s_sendmsg sendmsg(MSG_DEALLOC_VGPRS)
	s_endpgm
	.section	.rodata,"a",@progbits
	.p2align	6, 0x0
	.amdhsa_kernel _ZL23rocblas_gemvt_sn_kernelILb0ELi256ELi4EiPKDF16_PKffEviiT4_lPKT3_lilS7_lilPT5_i
		.amdhsa_group_segment_fixed_size 128
		.amdhsa_private_segment_fixed_size 0
		.amdhsa_kernarg_size 360
		.amdhsa_user_sgpr_count 2
		.amdhsa_user_sgpr_dispatch_ptr 0
		.amdhsa_user_sgpr_queue_ptr 0
		.amdhsa_user_sgpr_kernarg_segment_ptr 1
		.amdhsa_user_sgpr_dispatch_id 0
		.amdhsa_user_sgpr_kernarg_preload_length 0
		.amdhsa_user_sgpr_kernarg_preload_offset 0
		.amdhsa_user_sgpr_private_segment_size 0
		.amdhsa_wavefront_size32 1
		.amdhsa_uses_dynamic_stack 0
		.amdhsa_enable_private_segment 0
		.amdhsa_system_sgpr_workgroup_id_x 1
		.amdhsa_system_sgpr_workgroup_id_y 0
		.amdhsa_system_sgpr_workgroup_id_z 1
		.amdhsa_system_sgpr_workgroup_info 0
		.amdhsa_system_vgpr_workitem_id 0
		.amdhsa_next_free_vgpr 66
		.amdhsa_next_free_sgpr 78
		.amdhsa_named_barrier_count 0
		.amdhsa_reserve_vcc 1
		.amdhsa_float_round_mode_32 0
		.amdhsa_float_round_mode_16_64 0
		.amdhsa_float_denorm_mode_32 3
		.amdhsa_float_denorm_mode_16_64 3
		.amdhsa_fp16_overflow 0
		.amdhsa_memory_ordered 1
		.amdhsa_forward_progress 1
		.amdhsa_inst_pref_size 34
		.amdhsa_round_robin_scheduling 0
		.amdhsa_exception_fp_ieee_invalid_op 0
		.amdhsa_exception_fp_denorm_src 0
		.amdhsa_exception_fp_ieee_div_zero 0
		.amdhsa_exception_fp_ieee_overflow 0
		.amdhsa_exception_fp_ieee_underflow 0
		.amdhsa_exception_fp_ieee_inexact 0
		.amdhsa_exception_int_div_zero 0
	.end_amdhsa_kernel
	.section	.text._ZL23rocblas_gemvt_sn_kernelILb0ELi256ELi4EiPKDF16_PKffEviiT4_lPKT3_lilS7_lilPT5_i,"axG",@progbits,_ZL23rocblas_gemvt_sn_kernelILb0ELi256ELi4EiPKDF16_PKffEviiT4_lPKT3_lilS7_lilPT5_i,comdat
.Lfunc_end440:
	.size	_ZL23rocblas_gemvt_sn_kernelILb0ELi256ELi4EiPKDF16_PKffEviiT4_lPKT3_lilS7_lilPT5_i, .Lfunc_end440-_ZL23rocblas_gemvt_sn_kernelILb0ELi256ELi4EiPKDF16_PKffEviiT4_lPKT3_lilS7_lilPT5_i
                                        ; -- End function
	.set _ZL23rocblas_gemvt_sn_kernelILb0ELi256ELi4EiPKDF16_PKffEviiT4_lPKT3_lilS7_lilPT5_i.num_vgpr, 66
	.set _ZL23rocblas_gemvt_sn_kernelILb0ELi256ELi4EiPKDF16_PKffEviiT4_lPKT3_lilS7_lilPT5_i.num_agpr, 0
	.set _ZL23rocblas_gemvt_sn_kernelILb0ELi256ELi4EiPKDF16_PKffEviiT4_lPKT3_lilS7_lilPT5_i.numbered_sgpr, 78
	.set _ZL23rocblas_gemvt_sn_kernelILb0ELi256ELi4EiPKDF16_PKffEviiT4_lPKT3_lilS7_lilPT5_i.num_named_barrier, 0
	.set _ZL23rocblas_gemvt_sn_kernelILb0ELi256ELi4EiPKDF16_PKffEviiT4_lPKT3_lilS7_lilPT5_i.private_seg_size, 0
	.set _ZL23rocblas_gemvt_sn_kernelILb0ELi256ELi4EiPKDF16_PKffEviiT4_lPKT3_lilS7_lilPT5_i.uses_vcc, 1
	.set _ZL23rocblas_gemvt_sn_kernelILb0ELi256ELi4EiPKDF16_PKffEviiT4_lPKT3_lilS7_lilPT5_i.uses_flat_scratch, 1
	.set _ZL23rocblas_gemvt_sn_kernelILb0ELi256ELi4EiPKDF16_PKffEviiT4_lPKT3_lilS7_lilPT5_i.has_dyn_sized_stack, 0
	.set _ZL23rocblas_gemvt_sn_kernelILb0ELi256ELi4EiPKDF16_PKffEviiT4_lPKT3_lilS7_lilPT5_i.has_recursion, 0
	.set _ZL23rocblas_gemvt_sn_kernelILb0ELi256ELi4EiPKDF16_PKffEviiT4_lPKT3_lilS7_lilPT5_i.has_indirect_call, 0
	.section	.AMDGPU.csdata,"",@progbits
; Kernel info:
; codeLenInByte = 4248
; TotalNumSgprs: 80
; NumVgprs: 66
; ScratchSize: 0
; MemoryBound: 0
; FloatMode: 240
; IeeeMode: 1
; LDSByteSize: 128 bytes/workgroup (compile time only)
; SGPRBlocks: 0
; VGPRBlocks: 4
; NumSGPRsForWavesPerEU: 80
; NumVGPRsForWavesPerEU: 66
; NamedBarCnt: 0
; Occupancy: 12
; WaveLimiterHint : 0
; COMPUTE_PGM_RSRC2:SCRATCH_EN: 0
; COMPUTE_PGM_RSRC2:USER_SGPR: 2
; COMPUTE_PGM_RSRC2:TRAP_HANDLER: 0
; COMPUTE_PGM_RSRC2:TGID_X_EN: 1
; COMPUTE_PGM_RSRC2:TGID_Y_EN: 0
; COMPUTE_PGM_RSRC2:TGID_Z_EN: 1
; COMPUTE_PGM_RSRC2:TIDIG_COMP_CNT: 0
	.section	.text._ZL23rocblas_gemvt_sn_kernelILb0ELi256ELi4ElPKDF16_PKffEviiT4_lPKT3_lilS7_lilPT5_i,"axG",@progbits,_ZL23rocblas_gemvt_sn_kernelILb0ELi256ELi4ElPKDF16_PKffEviiT4_lPKT3_lilS7_lilPT5_i,comdat
	.globl	_ZL23rocblas_gemvt_sn_kernelILb0ELi256ELi4ElPKDF16_PKffEviiT4_lPKT3_lilS7_lilPT5_i ; -- Begin function _ZL23rocblas_gemvt_sn_kernelILb0ELi256ELi4ElPKDF16_PKffEviiT4_lPKT3_lilS7_lilPT5_i
	.p2align	8
	.type	_ZL23rocblas_gemvt_sn_kernelILb0ELi256ELi4ElPKDF16_PKffEviiT4_lPKT3_lilS7_lilPT5_i,@function
_ZL23rocblas_gemvt_sn_kernelILb0ELi256ELi4ElPKDF16_PKffEviiT4_lPKT3_lilS7_lilPT5_i: ; @_ZL23rocblas_gemvt_sn_kernelILb0ELi256ELi4ElPKDF16_PKffEviiT4_lPKT3_lilS7_lilPT5_i
; %bb.0:
	s_load_b32 s33, s[0:1], 0x60
	s_bfe_u32 s2, ttmp6, 0x40014
	s_lshr_b32 s3, ttmp7, 16
	s_add_co_i32 s2, s2, 1
	s_bfe_u32 s5, ttmp6, 0x40008
	s_mul_i32 s2, s3, s2
	s_getreg_b32 s4, hwreg(HW_REG_IB_STS2, 6, 4)
	s_add_co_i32 s5, s5, s2
	s_cmp_eq_u32 s4, 0
	s_mov_b32 s25, 0
	s_cselect_b32 s10, s3, s5
	s_wait_kmcnt 0x0
	s_cmp_ge_u32 s10, s33
	s_cbranch_scc1 .LBB441_92
; %bb.1:
	s_clause 0x6
	s_load_b32 s26, s[0:1], 0x28
	s_load_b32 s6, s[0:1], 0x48
	s_load_b64 s[28:29], s[0:1], 0x0
	s_load_b32 s30, s[0:1], 0x68
	s_load_b256 s[12:19], s[0:1], 0x8
	s_load_b128 s[20:23], s[0:1], 0x38
	s_load_b64 s[34:35], s[0:1], 0x58
	s_wait_xcnt 0x0
	v_cmp_eq_u32_e64 s0, 0, v0
	v_dual_lshrrev_b32 v2, 3, v0 :: v_dual_bitop2_b32 v1, 31, v0 bitop3:0x40
	v_cmp_gt_u32_e64 s1, 32, v0
	v_cmp_gt_u32_e64 s2, 8, v0
	v_mbcnt_lo_u32_b32 v48, -1, 0
	s_delay_alu instid0(VALU_DEP_4)
	v_dual_lshlrev_b32 v46, 2, v1 :: v_dual_bitop2_b32 v47, 28, v2 bitop3:0x40
	v_cmp_eq_u32_e64 s3, 0, v1
	v_mov_b64_e32 v[22:23], 0
	s_mov_b32 s31, s25
	v_lshl_or_b32 v49, v48, 2, 64
	s_wait_kmcnt 0x0
	s_ashr_i32 s27, s26, 31
	s_ashr_i32 s7, s6, 31
	s_ashr_i32 s9, s29, 31
	s_cmp_gt_i32 s29, 0
	s_mov_b32 s8, s29
	s_cselect_b32 s5, -1, 0
	s_bfe_u32 s11, ttmp6, 0x4000c
	s_and_b32 s24, ttmp6, 15
	s_add_co_i32 s11, s11, 1
	s_and_b32 s60, s0, s5
	s_mul_i32 s11, ttmp9, s11
	s_mul_u64 s[36:37], s[8:9], s[30:31]
	s_add_co_i32 s24, s24, s11
	s_cmp_eq_u32 s4, 0
	s_mul_u64 s[38:39], s[26:27], 6
	s_cselect_b32 s24, ttmp9, s24
	s_ashr_i32 s5, s28, 31
	s_lshl_b32 s11, s24, 10
	s_lshr_b32 s4, s9, 30
	v_lshl_or_b32 v8, v0, 2, s11
	s_lshr_b32 s5, s5, 30
	s_add_co_i32 s4, s29, s4
	s_add_co_i32 s5, s28, s5
	s_and_b32 s61, s4, -4
	s_and_b32 s4, s5, -4
	v_dual_ashrrev_i32 v9, 31, v8 :: v_dual_bitop2_b32 v0, 1, v8 bitop3:0x54
	s_sub_co_i32 s62, s28, s4
	v_dual_add_nc_u32 v6, 4, v8 :: v_dual_bitop2_b32 v2, 2, v8 bitop3:0x54
	v_dual_add_nc_u32 v7, s62, v8 :: v_dual_bitop2_b32 v4, 3, v8 bitop3:0x54
	s_delay_alu instid0(VALU_DEP_3) | instskip(NEXT) | instid1(VALU_DEP_3)
	v_mul_u64_e32 v[10:11], s[6:7], v[8:9]
	v_dual_ashrrev_i32 v1, 31, v0 :: v_dual_ashrrev_i32 v3, 31, v2
	s_delay_alu instid0(VALU_DEP_3) | instskip(SKIP_2) | instid1(VALU_DEP_3)
	v_ashrrev_i32_e32 v5, 31, v4
	s_cmp_gt_i32 s61, 0
	v_lshlrev_b64_e32 v[18:19], 1, v[8:9]
	v_mul_u64_e32 v[12:13], s[6:7], v[0:1]
	v_mul_u64_e32 v[14:15], s[6:7], v[2:3]
	v_mov_b32_e32 v0, 0
	v_mul_u64_e32 v[16:17], s[6:7], v[4:5]
	s_cselect_b32 s63, -1, 0
	s_cmp_gt_i32 s62, 0
	v_cmp_ge_i32_e64 s4, s28, v6
	s_cselect_b32 s64, -1, 0
	s_cmp_gt_u32 s29, 1
	s_cselect_b32 s5, -1, 0
	s_cmp_eq_u32 s30, 1
	s_cselect_b32 s11, -1, 0
	s_and_b32 s65, s29, 0x7ffffffe
	s_and_b32 s66, s5, s11
	s_cmp_lg_u32 s29, s65
	v_cmp_ge_i32_e64 s5, s28, v7
	s_cselect_b32 s28, -1, 0
	s_lshl_b64 s[40:41], s[24:25], 2
	s_lshl_b64 s[42:43], s[36:37], 2
	;; [unrolled: 1-line block ×7, first 2 shown]
	v_lshlrev_b64_e32 v[20:21], 1, v[10:11]
	s_add_nc_u64 s[54:55], s[34:35], s[40:41]
	s_lshl_b64 s[56:57], s[26:27], 1
	s_lshl_b64 s[18:19], s[18:19], 1
	;; [unrolled: 1-line block ×3, first 2 shown]
	s_branch .LBB441_3
.LBB441_2:                              ;   in Loop: Header=BB441_3 Depth=1
	s_add_co_i32 s10, s10, 0x10000
	s_delay_alu instid0(SALU_CYCLE_1)
	s_cmp_lt_u32 s10, s33
	s_cbranch_scc0 .LBB441_92
.LBB441_3:                              ; =>This Loop Header: Depth=1
                                        ;     Child Loop BB441_11 Depth 2
                                        ;     Child Loop BB441_15 Depth 2
	;; [unrolled: 1-line block ×3, first 2 shown]
                                        ;       Child Loop BB441_52 Depth 3
                                        ;       Child Loop BB441_55 Depth 3
                                        ;     Child Loop BB441_71 Depth 2
                                        ;       Child Loop BB441_84 Depth 3
                                        ;       Child Loop BB441_87 Depth 3
	s_mov_b32 s11, s25
	s_wait_dscnt 0x0
	v_mov_b64_e32 v[6:7], 0
	s_mul_u64 s[6:7], s[14:15], s[10:11]
	s_delay_alu instid0(SALU_CYCLE_1) | instskip(NEXT) | instid1(SALU_CYCLE_1)
	s_lshl_b64 s[6:7], s[6:7], 2
	s_add_nc_u64 s[6:7], s[12:13], s[6:7]
	global_load_b32 v50, v0, s[6:7]
	s_wait_loadcnt 0x0
	s_wait_xcnt 0x0
	v_cmp_eq_f32_e64 s6, 0, v50
	v_cmp_neq_f32_e64 s7, 0, v50
	s_and_b32 vcc_lo, exec_lo, s6
	s_cbranch_vccnz .LBB441_5
; %bb.4:                                ;   in Loop: Header=BB441_3 Depth=1
	s_lshl_b64 s[8:9], s[10:11], 3
	s_delay_alu instid0(SALU_CYCLE_1)
	s_add_nc_u64 s[8:9], s[16:17], s[8:9]
	global_load_b64 v[2:3], v0, s[8:9]
	s_wait_loadcnt 0x0
	v_add_nc_u64_e32 v[6:7], s[18:19], v[2:3]
.LBB441_5:                              ;   in Loop: Header=BB441_3 Depth=1
	v_mov_b64_e32 v[4:5], 0
	s_and_not1_b32 vcc_lo, exec_lo, s7
	s_cbranch_vccnz .LBB441_7
; %bb.6:                                ;   in Loop: Header=BB441_3 Depth=1
	s_wait_xcnt 0x0
	s_lshl_b64 s[8:9], s[10:11], 3
	s_delay_alu instid0(SALU_CYCLE_1)
	s_add_nc_u64 s[8:9], s[20:21], s[8:9]
	global_load_b64 v[2:3], v0, s[8:9]
	s_wait_loadcnt 0x0
	v_add_nc_u64_e32 v[4:5], s[22:23], v[2:3]
.LBB441_7:                              ;   in Loop: Header=BB441_3 Depth=1
	s_and_not1_b32 vcc_lo, exec_lo, s6
	s_mov_b32 s6, -1
	s_cbranch_vccnz .LBB441_17
; %bb.8:                                ;   in Loop: Header=BB441_3 Depth=1
	s_wait_xcnt 0x0
	s_and_saveexec_b32 s8, s60
	s_cbranch_execz .LBB441_16
; %bb.9:                                ;   in Loop: Header=BB441_3 Depth=1
	s_and_not1_b32 vcc_lo, exec_lo, s66
	s_cbranch_vccnz .LBB441_13
; %bb.10:                               ;   in Loop: Header=BB441_3 Depth=1
	s_mul_u64 s[6:7], s[42:43], s[10:11]
	s_mov_b32 s9, s65
	s_add_nc_u64 s[6:7], s[54:55], s[6:7]
.LBB441_11:                             ;   Parent Loop BB441_3 Depth=1
                                        ; =>  This Inner Loop Header: Depth=2
	s_add_co_i32 s9, s9, -2
	global_store_b64 v0, v[22:23], s[6:7]
	s_wait_xcnt 0x0
	s_add_nc_u64 s[6:7], s[6:7], 8
	s_mov_b32 s24, s65
	s_cmp_lg_u32 s9, 0
	s_mov_b32 s58, s28
	s_cbranch_scc1 .LBB441_11
; %bb.12:                               ;   in Loop: Header=BB441_3 Depth=1
	s_and_b32 vcc_lo, exec_lo, s58
	s_cbranch_vccnz .LBB441_14
	s_branch .LBB441_16
.LBB441_13:                             ;   in Loop: Header=BB441_3 Depth=1
	s_mov_b32 s24, 0
	s_cbranch_execz .LBB441_16
.LBB441_14:                             ;   in Loop: Header=BB441_3 Depth=1
	s_mul_u64 s[6:7], s[44:45], s[10:11]
	s_lshl_b64 s[58:59], s[24:25], 2
	s_sub_co_i32 s9, s29, s24
	s_add_nc_u64 s[6:7], s[6:7], s[58:59]
	s_delay_alu instid0(SALU_CYCLE_1) | instskip(NEXT) | instid1(SALU_CYCLE_1)
	s_mul_u64 s[6:7], s[30:31], s[6:7]
	s_add_nc_u64 s[6:7], s[54:55], s[6:7]
.LBB441_15:                             ;   Parent Loop BB441_3 Depth=1
                                        ; =>  This Inner Loop Header: Depth=2
	s_add_co_i32 s9, s9, -1
	global_store_b32 v0, v0, s[6:7]
	s_cmp_eq_u32 s9, 0
	s_wait_xcnt 0x0
	s_add_nc_u64 s[6:7], s[6:7], s[46:47]
	s_cbranch_scc0 .LBB441_15
.LBB441_16:                             ;   in Loop: Header=BB441_3 Depth=1
	s_or_b32 exec_lo, exec_lo, s8
	s_mov_b32 s6, 0
.LBB441_17:                             ;   in Loop: Header=BB441_3 Depth=1
	s_delay_alu instid0(SALU_CYCLE_1)
	s_and_not1_b32 vcc_lo, exec_lo, s6
	s_cbranch_vccnz .LBB441_2
; %bb.18:                               ;   in Loop: Header=BB441_3 Depth=1
	s_mul_u64 s[6:7], s[36:37], s[10:11]
	v_add_nc_u64_e32 v[34:35], v[4:5], v[20:21]
	s_lshl_b64 s[58:59], s[6:7], 2
	v_lshl_add_u64 v[24:25], v[8:9], 1, v[6:7]
	v_lshl_add_u64 v[26:27], v[10:11], 1, v[4:5]
	;; [unrolled: 1-line block ×5, first 2 shown]
	s_wait_xcnt 0x0
	v_cmp_gt_u32_e64 s8, 24, v48
	v_cmp_gt_u32_e64 s6, 28, v48
	v_cmp_gt_u32_e64 s9, 30, v48
	v_cmp_ne_u32_e64 s7, 31, v48
	s_add_nc_u64 s[58:59], s[34:35], s[58:59]
	s_and_not1_b32 vcc_lo, exec_lo, s63
	s_add_nc_u64 s[58:59], s[58:59], s[40:41]
	s_cbranch_vccnz .LBB441_67
; %bb.19:                               ;   in Loop: Header=BB441_3 Depth=1
	v_cndmask_b32_e64 v1, 0, 8, s8
	v_cndmask_b32_e64 v2, 0, 4, s6
	;; [unrolled: 1-line block ×3, first 2 shown]
	v_add_co_ci_u32_e64 v37, null, 0, v48, s7
	s_delay_alu instid0(VALU_DEP_4) | instskip(NEXT) | instid1(VALU_DEP_4)
	v_add_lshl_u32 v51, v1, v48, 2
	v_add_lshl_u32 v52, v2, v48, 2
	v_dual_mov_b32 v1, v0 :: v_dual_mov_b32 v2, v0
	s_delay_alu instid0(VALU_DEP_4) | instskip(SKIP_3) | instid1(VALU_DEP_4)
	v_dual_mov_b32 v3, v0 :: v_dual_lshlrev_b32 v54, 2, v37
	v_add_lshl_u32 v53, v36, v48, 2
	v_add_nc_u64_e32 v[36:37], v[4:5], v[20:21]
	v_mov_b64_e32 v[38:39], v[24:25]
	v_mov_b64_e32 v[4:5], v[2:3]
	;; [unrolled: 1-line block ×3, first 2 shown]
	s_mov_b32 s24, 0
	s_branch .LBB441_21
.LBB441_20:                             ;   in Loop: Header=BB441_21 Depth=2
	s_wait_xcnt 0x0
	s_or_b32 exec_lo, exec_lo, s6
	v_add_nc_u64_e32 v[38:39], s[50:51], v[38:39]
	s_add_co_i32 s24, s24, 4
	s_delay_alu instid0(SALU_CYCLE_1)
	s_cmp_ge_i32 s24, s61
	s_cbranch_scc1 .LBB441_68
.LBB441_21:                             ;   Parent Loop BB441_3 Depth=1
                                        ; =>  This Loop Header: Depth=2
                                        ;       Child Loop BB441_52 Depth 3
                                        ;       Child Loop BB441_55 Depth 3
                                        ; implicit-def: $vgpr41
                                        ; implicit-def: $vgpr43
	s_and_saveexec_b32 s6, s4
	s_delay_alu instid0(SALU_CYCLE_1)
	s_xor_b32 s6, exec_lo, s6
	s_cbranch_execnz .LBB441_48
; %bb.22:                               ;   in Loop: Header=BB441_21 Depth=2
	s_and_not1_saveexec_b32 s11, s6
	s_cbranch_execnz .LBB441_49
.LBB441_23:                             ;   in Loop: Header=BB441_21 Depth=2
	s_or_b32 exec_lo, exec_lo, s11
	s_and_saveexec_b32 s6, s1
.LBB441_24:                             ;   in Loop: Header=BB441_21 Depth=2
	ds_store_b32 v46, v0
.LBB441_25:                             ;   in Loop: Header=BB441_21 Depth=2
	s_or_b32 exec_lo, exec_lo, s6
	ds_bpermute_b32 v1, v49, v42
	s_wait_storecnt_dscnt 0x0
	s_barrier_signal -1
	s_barrier_wait -1
	v_add_f32_e32 v1, v42, v1
	ds_bpermute_b32 v42, v51, v1
	s_wait_dscnt 0x0
	v_add_f32_e32 v1, v1, v42
	ds_bpermute_b32 v42, v52, v1
	s_wait_dscnt 0x0
	;; [unrolled: 3-line block ×3, first 2 shown]
	v_add_f32_e32 v1, v1, v42
	ds_bpermute_b32 v42, v54, v1
	s_and_saveexec_b32 s6, s3
	s_cbranch_execz .LBB441_27
; %bb.26:                               ;   in Loop: Header=BB441_21 Depth=2
	s_wait_dscnt 0x0
	v_add_f32_e32 v1, v1, v42
	ds_store_b32 v47, v1
.LBB441_27:                             ;   in Loop: Header=BB441_21 Depth=2
	s_or_b32 exec_lo, exec_lo, s6
	v_mov_b32_e32 v1, 0
	s_wait_dscnt 0x0
	s_barrier_signal -1
	s_barrier_wait -1
	s_and_saveexec_b32 s6, s2
	s_cbranch_execnz .LBB441_56
; %bb.28:                               ;   in Loop: Header=BB441_21 Depth=2
	s_or_b32 exec_lo, exec_lo, s6
	s_and_saveexec_b32 s6, s1
	s_cbranch_execnz .LBB441_57
.LBB441_29:                             ;   in Loop: Header=BB441_21 Depth=2
	s_or_b32 exec_lo, exec_lo, s6
	s_and_saveexec_b32 s6, s1
.LBB441_30:                             ;   in Loop: Header=BB441_21 Depth=2
	ds_store_b32 v46, v0
.LBB441_31:                             ;   in Loop: Header=BB441_21 Depth=2
	s_or_b32 exec_lo, exec_lo, s6
	ds_bpermute_b32 v42, v49, v43
	s_wait_dscnt 0x0
	s_barrier_signal -1
	s_barrier_wait -1
	v_add_f32_e32 v42, v43, v42
	ds_bpermute_b32 v43, v51, v42
	s_wait_dscnt 0x0
	v_add_f32_e32 v42, v42, v43
	ds_bpermute_b32 v43, v52, v42
	s_wait_dscnt 0x0
	;; [unrolled: 3-line block ×3, first 2 shown]
	v_add_f32_e32 v42, v42, v43
	ds_bpermute_b32 v43, v54, v42
	s_and_saveexec_b32 s6, s3
	s_cbranch_execz .LBB441_33
; %bb.32:                               ;   in Loop: Header=BB441_21 Depth=2
	s_wait_dscnt 0x0
	v_add_f32_e32 v42, v42, v43
	ds_store_b32 v47, v42
.LBB441_33:                             ;   in Loop: Header=BB441_21 Depth=2
	s_or_b32 exec_lo, exec_lo, s6
	v_mov_b32_e32 v42, 0
	s_wait_dscnt 0x0
	s_barrier_signal -1
	s_barrier_wait -1
	s_and_saveexec_b32 s6, s2
	s_cbranch_execnz .LBB441_58
; %bb.34:                               ;   in Loop: Header=BB441_21 Depth=2
	s_or_b32 exec_lo, exec_lo, s6
	s_and_saveexec_b32 s6, s1
	s_cbranch_execnz .LBB441_59
.LBB441_35:                             ;   in Loop: Header=BB441_21 Depth=2
	s_or_b32 exec_lo, exec_lo, s6
	s_and_saveexec_b32 s6, s1
.LBB441_36:                             ;   in Loop: Header=BB441_21 Depth=2
	ds_store_b32 v46, v0
.LBB441_37:                             ;   in Loop: Header=BB441_21 Depth=2
	s_or_b32 exec_lo, exec_lo, s6
	ds_bpermute_b32 v43, v49, v40
	s_wait_dscnt 0x0
	s_barrier_signal -1
	s_barrier_wait -1
	v_add_f32_e32 v40, v40, v43
	ds_bpermute_b32 v43, v51, v40
	s_wait_dscnt 0x0
	v_add_f32_e32 v40, v40, v43
	ds_bpermute_b32 v43, v52, v40
	s_wait_dscnt 0x0
	;; [unrolled: 3-line block ×3, first 2 shown]
	v_add_f32_e32 v40, v40, v43
	ds_bpermute_b32 v43, v54, v40
	s_and_saveexec_b32 s6, s3
	s_cbranch_execz .LBB441_39
; %bb.38:                               ;   in Loop: Header=BB441_21 Depth=2
	s_wait_dscnt 0x0
	v_add_f32_e32 v40, v40, v43
	ds_store_b32 v47, v40
.LBB441_39:                             ;   in Loop: Header=BB441_21 Depth=2
	s_or_b32 exec_lo, exec_lo, s6
	v_mov_b32_e32 v40, 0
	s_wait_dscnt 0x0
	s_barrier_signal -1
	s_barrier_wait -1
	s_and_saveexec_b32 s6, s2
	s_cbranch_execnz .LBB441_60
; %bb.40:                               ;   in Loop: Header=BB441_21 Depth=2
	s_or_b32 exec_lo, exec_lo, s6
	s_and_saveexec_b32 s6, s1
	s_cbranch_execnz .LBB441_61
.LBB441_41:                             ;   in Loop: Header=BB441_21 Depth=2
	s_or_b32 exec_lo, exec_lo, s6
	s_and_saveexec_b32 s6, s1
.LBB441_42:                             ;   in Loop: Header=BB441_21 Depth=2
	ds_store_b32 v46, v0
.LBB441_43:                             ;   in Loop: Header=BB441_21 Depth=2
	s_or_b32 exec_lo, exec_lo, s6
	ds_bpermute_b32 v43, v49, v41
	s_wait_dscnt 0x0
	s_barrier_signal -1
	s_barrier_wait -1
	v_add_f32_e32 v41, v41, v43
	ds_bpermute_b32 v43, v51, v41
	s_wait_dscnt 0x0
	v_add_f32_e32 v41, v41, v43
	ds_bpermute_b32 v43, v52, v41
	s_wait_dscnt 0x0
	;; [unrolled: 3-line block ×3, first 2 shown]
	v_add_f32_e32 v41, v41, v43
	ds_bpermute_b32 v43, v54, v41
	s_and_saveexec_b32 s6, s3
	s_cbranch_execz .LBB441_45
; %bb.44:                               ;   in Loop: Header=BB441_21 Depth=2
	s_wait_dscnt 0x0
	v_add_f32_e32 v41, v41, v43
	ds_store_b32 v47, v41
.LBB441_45:                             ;   in Loop: Header=BB441_21 Depth=2
	s_or_b32 exec_lo, exec_lo, s6
	v_mov_b32_e32 v41, 0
	s_wait_dscnt 0x0
	s_barrier_signal -1
	s_barrier_wait -1
	s_and_saveexec_b32 s6, s2
	s_cbranch_execnz .LBB441_62
; %bb.46:                               ;   in Loop: Header=BB441_21 Depth=2
	s_or_b32 exec_lo, exec_lo, s6
	s_and_saveexec_b32 s6, s1
	s_cbranch_execnz .LBB441_63
.LBB441_47:                             ;   in Loop: Header=BB441_21 Depth=2
	s_or_b32 exec_lo, exec_lo, s6
	s_and_saveexec_b32 s6, s0
	s_cbranch_execz .LBB441_20
	s_branch .LBB441_64
.LBB441_48:                             ;   in Loop: Header=BB441_21 Depth=2
	s_mul_u64 s[8:9], s[24:25], s[26:27]
	s_or_b32 s70, s24, 3
	v_lshl_add_u64 v[2:3], s[8:9], 1, v[24:25]
	s_or_b32 s8, s24, 2
	s_mov_b32 s9, s25
	s_mov_b32 s71, s25
	s_mul_u64 s[8:9], s[8:9], s[26:27]
	s_or_b32 s68, s24, 1
	v_lshl_add_u64 v[4:5], s[8:9], 1, v[24:25]
	s_mul_u64 s[8:9], s[70:71], s[26:27]
	s_mov_b32 s69, s25
	s_clause 0x3
	flat_load_u16 v1, v[26:27]
	flat_load_u16 v55, v[28:29]
	;; [unrolled: 1-line block ×4, first 2 shown]
	s_wait_dscnt 0x4
	s_clause 0x1
	flat_load_b64 v[40:41], v[2:3]
	flat_load_b64 v[4:5], v[4:5]
	s_wait_xcnt 0x1
	v_lshl_add_u64 v[2:3], s[8:9], 1, v[24:25]
	s_mul_u64 s[8:9], s[68:69], s[26:27]
	s_delay_alu instid0(SALU_CYCLE_1)
	v_lshl_add_u64 v[42:43], s[8:9], 1, v[24:25]
	s_clause 0x1
	flat_load_b64 v[44:45], v[2:3]
	flat_load_b64 v[42:43], v[42:43]
	s_wait_loadcnt_dscnt 0x707
	s_wait_xcnt 0x1
	v_cvt_f32_f16_e32 v2, v1
	s_wait_loadcnt_dscnt 0x606
	v_cvt_f32_f16_e32 v57, v55
	s_wait_loadcnt_dscnt 0x505
	;; [unrolled: 2-line block ×4, first 2 shown]
	v_dual_lshrrev_b32 v1, 16, v40 :: v_dual_lshrrev_b32 v55, 16, v41
	s_wait_loadcnt_dscnt 0x202
	v_dual_lshrrev_b32 v61, 16, v4 :: v_dual_lshrrev_b32 v63, 16, v5
	v_cvt_f32_f16_e32 v70, v5
	v_cvt_f32_f16_e32 v65, v4
	;; [unrolled: 1-line block ×4, first 2 shown]
	s_wait_loadcnt_dscnt 0x101
	v_dual_lshrrev_b32 v3, 16, v44 :: v_dual_lshrrev_b32 v5, 16, v45
	v_cvt_f32_f16_e32 v56, v44
	v_cvt_f32_f16_e32 v58, v45
	s_wait_loadcnt_dscnt 0x0
	v_lshrrev_b32_e32 v69, 16, v42
	v_cvt_f32_f16_e32 v3, v3
	v_cvt_f32_f16_e32 v67, v42
	;; [unrolled: 1-line block ×3, first 2 shown]
	s_wait_xcnt 0x0
	v_lshrrev_b32_e32 v43, 16, v43
	v_cvt_f32_f16_e32 v4, v1
	v_pk_mul_f32 v[44:45], v[56:57], v[2:3]
	v_cvt_f32_f16_e32 v1, v61
	v_mul_f32_e32 v68, v2, v65
	v_cvt_f32_f16_e32 v61, v5
	v_cvt_f32_f16_e32 v5, v69
	v_dual_mov_b32 v69, v44 :: v_dual_mov_b32 v3, v57
	v_dual_mul_f32 v44, v57, v1 :: v_dual_mov_b32 v62, v57
	v_mov_b32_e32 v64, v59
	v_pk_mul_f32 v[56:57], v[58:59], v[60:61]
	s_delay_alu instid0(VALU_DEP_4)
	v_pk_add_f32 v[68:69], v[68:69], 0 op_sel_hi:[1,0]
	v_pk_fma_f32 v[66:67], v[2:3], v[66:67], 0 op_sel_hi:[0,1,0]
	v_cvt_f32_f16_e32 v1, v63
	v_mul_f32_e32 v70, v60, v70
	v_mov_b32_e32 v71, v56
	v_pk_add_f32 v[44:45], v[68:69], v[44:45]
	v_pk_fma_f32 v[4:5], v[62:63], v[4:5], v[66:67] op_sel_hi:[0,1,1]
	v_cvt_f32_f16_e32 v42, v55
	v_cvt_f32_f16_e32 v43, v43
	v_mul_f32_e32 v56, v59, v1
	s_delay_alu instid0(VALU_DEP_4) | instskip(SKIP_3) | instid1(VALU_DEP_4)
	v_pk_fma_f32 v[62:63], v[60:61], v[40:41], v[4:5] op_sel_hi:[0,1,1]
	v_mov_b32_e32 v4, v60
	v_pk_add_f32 v[44:45], v[44:45], v[70:71]
	v_mov_b32_e32 v5, v59
	v_pk_fma_f32 v[42:43], v[64:65], v[42:43], v[62:63] op_sel_hi:[0,1,1]
	s_delay_alu instid0(VALU_DEP_3)
	v_pk_add_f32 v[40:41], v[44:45], v[56:57]
	s_and_not1_saveexec_b32 s11, s6
	s_cbranch_execz .LBB441_23
.LBB441_49:                             ;   in Loop: Header=BB441_21 Depth=2
	s_wait_dscnt 0x0
	v_dual_mov_b32 v41, 0 :: v_dual_mov_b32 v40, 0
	v_dual_mov_b32 v43, 0 :: v_dual_mov_b32 v42, 0
	s_and_saveexec_b32 s67, s5
	s_cbranch_execz .LBB441_66
; %bb.50:                               ;   in Loop: Header=BB441_21 Depth=2
	s_and_not1_b32 vcc_lo, exec_lo, s64
	s_cbranch_vccnz .LBB441_53
; %bb.51:                               ;   in Loop: Header=BB441_21 Depth=2
	v_mov_b64_e32 v[40:41], v[36:37]
	s_mov_b64 s[8:9], 0
.LBB441_52:                             ;   Parent Loop BB441_3 Depth=1
                                        ;     Parent Loop BB441_21 Depth=2
                                        ; =>    This Inner Loop Header: Depth=3
	flat_load_u16 v1, v[40:41]
	s_cmp_eq_u32 s8, 3
	s_wait_xcnt 0x0
	v_add_nc_u64_e32 v[40:41], s[48:49], v[40:41]
	s_cselect_b32 vcc_lo, -1, 0
	s_cmp_eq_u32 s8, 2
	s_cselect_b32 s6, -1, 0
	s_cmp_eq_u32 s8, 1
	s_cselect_b32 s7, -1, 0
	s_cmp_eq_u32 s8, 0
	s_add_nc_u64 s[8:9], s[8:9], 1
	s_wait_loadcnt_dscnt 0x0
	v_cvt_f32_f16_e32 v1, v1
	s_delay_alu instid0(VALU_DEP_1) | instskip(SKIP_1) | instid1(SALU_CYCLE_1)
	v_dual_cndmask_b32 v5, v5, v1, vcc_lo :: v_dual_cndmask_b32 v4, v4, v1, s6
	s_cselect_b32 vcc_lo, -1, 0
	v_dual_cndmask_b32 v3, v3, v1, s7 :: v_dual_cndmask_b32 v2, v2, v1, vcc_lo
	s_cmp_eq_u32 s62, s8
	s_cbranch_scc0 .LBB441_52
.LBB441_53:                             ;   in Loop: Header=BB441_21 Depth=2
	s_and_not1_b32 vcc_lo, exec_lo, s64
	s_cbranch_vccnz .LBB441_65
; %bb.54:                               ;   in Loop: Header=BB441_21 Depth=2
	v_mov_b32_e32 v42, 0
	v_mov_b64_e32 v[44:45], v[38:39]
	s_mov_b64 s[6:7], 0
	s_delay_alu instid0(VALU_DEP_2)
	v_dual_mov_b32 v43, v42 :: v_dual_mov_b32 v40, v42
	v_mov_b32_e32 v41, v42
.LBB441_55:                             ;   Parent Loop BB441_3 Depth=1
                                        ;     Parent Loop BB441_21 Depth=2
                                        ; =>    This Inner Loop Header: Depth=3
	s_delay_alu instid0(VALU_DEP_3)
	v_add_nc_u64_e32 v[56:57], s[38:39], v[44:45]
	v_add_nc_u64_e32 v[58:59], s[52:53], v[44:45]
	;; [unrolled: 1-line block ×3, first 2 shown]
	s_cmp_eq_u32 s6, 1
	s_clause 0x3
	flat_load_u16 v1, v[44:45]
	flat_load_u16 v55, v[56:57]
	;; [unrolled: 1-line block ×4, first 2 shown]
	s_cselect_b32 vcc_lo, -1, 0
	s_cmp_eq_u32 s6, 2
	v_cndmask_b32_e32 v56, v2, v3, vcc_lo
	s_cselect_b32 vcc_lo, -1, 0
	s_cmp_eq_u32 s6, 3
	v_add_nc_u64_e32 v[44:45], 2, v[44:45]
	s_add_nc_u64 s[6:7], s[6:7], 1
	v_cndmask_b32_e32 v56, v56, v4, vcc_lo
	s_cselect_b32 vcc_lo, -1, 0
	s_cmp_lg_u32 s62, s6
	s_delay_alu instid0(VALU_DEP_1)
	v_cndmask_b32_e32 v56, v56, v5, vcc_lo
	s_wait_loadcnt_dscnt 0x303
	v_cvt_f32_f16_e32 v58, v1
	s_wait_loadcnt_dscnt 0x202
	s_wait_xcnt 0x0
	v_cvt_f32_f16_e32 v61, v55
	s_wait_loadcnt_dscnt 0x101
	v_cvt_f32_f16_e32 v60, v57
	s_wait_loadcnt_dscnt 0x0
	v_cvt_f32_f16_e32 v59, v59
	s_delay_alu instid0(VALU_DEP_2) | instskip(NEXT) | instid1(VALU_DEP_2)
	v_pk_fma_f32 v[40:41], v[56:57], v[60:61], v[40:41] op_sel_hi:[0,1,1]
	v_pk_fma_f32 v[42:43], v[56:57], v[58:59], v[42:43] op_sel_hi:[0,1,1]
	s_cbranch_scc1 .LBB441_55
	s_branch .LBB441_66
.LBB441_56:                             ;   in Loop: Header=BB441_21 Depth=2
	ds_load_b32 v1, v46
	s_or_b32 exec_lo, exec_lo, s6
	s_and_saveexec_b32 s6, s1
	s_cbranch_execz .LBB441_29
.LBB441_57:                             ;   in Loop: Header=BB441_21 Depth=2
	s_wait_dscnt 0x0
	ds_bpermute_b32 v42, v52, v1
	s_wait_dscnt 0x0
	v_add_f32_e32 v1, v1, v42
	ds_bpermute_b32 v42, v53, v1
	s_wait_dscnt 0x0
	v_add_f32_e32 v1, v1, v42
	;; [unrolled: 3-line block ×3, first 2 shown]
	s_or_b32 exec_lo, exec_lo, s6
	s_and_saveexec_b32 s6, s1
	s_cbranch_execnz .LBB441_30
	s_branch .LBB441_31
.LBB441_58:                             ;   in Loop: Header=BB441_21 Depth=2
	ds_load_b32 v42, v46
	s_or_b32 exec_lo, exec_lo, s6
	s_and_saveexec_b32 s6, s1
	s_cbranch_execz .LBB441_35
.LBB441_59:                             ;   in Loop: Header=BB441_21 Depth=2
	s_wait_dscnt 0x0
	ds_bpermute_b32 v43, v52, v42
	s_wait_dscnt 0x0
	v_add_f32_e32 v42, v42, v43
	ds_bpermute_b32 v43, v53, v42
	s_wait_dscnt 0x0
	v_add_f32_e32 v42, v42, v43
	;; [unrolled: 3-line block ×3, first 2 shown]
	s_or_b32 exec_lo, exec_lo, s6
	s_and_saveexec_b32 s6, s1
	s_cbranch_execnz .LBB441_36
	s_branch .LBB441_37
.LBB441_60:                             ;   in Loop: Header=BB441_21 Depth=2
	ds_load_b32 v40, v46
	s_or_b32 exec_lo, exec_lo, s6
	s_and_saveexec_b32 s6, s1
	s_cbranch_execz .LBB441_41
.LBB441_61:                             ;   in Loop: Header=BB441_21 Depth=2
	s_wait_dscnt 0x0
	ds_bpermute_b32 v43, v52, v40
	s_wait_dscnt 0x0
	v_add_f32_e32 v40, v40, v43
	ds_bpermute_b32 v43, v53, v40
	s_wait_dscnt 0x0
	v_add_f32_e32 v40, v40, v43
	;; [unrolled: 3-line block ×3, first 2 shown]
	s_or_b32 exec_lo, exec_lo, s6
	s_and_saveexec_b32 s6, s1
	s_cbranch_execnz .LBB441_42
	s_branch .LBB441_43
.LBB441_62:                             ;   in Loop: Header=BB441_21 Depth=2
	ds_load_b32 v41, v46
	s_or_b32 exec_lo, exec_lo, s6
	s_and_saveexec_b32 s6, s1
	s_cbranch_execz .LBB441_47
.LBB441_63:                             ;   in Loop: Header=BB441_21 Depth=2
	s_wait_dscnt 0x0
	ds_bpermute_b32 v43, v52, v41
	s_wait_dscnt 0x0
	v_add_f32_e32 v41, v41, v43
	ds_bpermute_b32 v43, v53, v41
	s_wait_dscnt 0x0
	v_add_f32_e32 v41, v41, v43
	;; [unrolled: 3-line block ×3, first 2 shown]
	s_or_b32 exec_lo, exec_lo, s6
	s_and_saveexec_b32 s6, s0
	s_cbranch_execz .LBB441_20
.LBB441_64:                             ;   in Loop: Header=BB441_21 Depth=2
	s_or_b32 s68, s24, 1
	s_mov_b32 s69, s25
	s_mul_u64 s[8:9], s[24:25], s[30:31]
	v_dual_mul_f32 v1, v50, v1 :: v_dual_mul_f32 v42, v50, v42
	s_mul_u64 s[68:69], s[68:69], s[30:31]
	s_lshl_b64 s[8:9], s[8:9], 2
	s_lshl_b64 s[68:69], s[68:69], 2
	s_add_nc_u64 s[8:9], s[58:59], s[8:9]
	s_add_nc_u64 s[68:69], s[58:59], s[68:69]
	s_clause 0x1
	global_store_b32 v0, v1, s[8:9]
	global_store_b32 v0, v42, s[68:69]
	s_wait_xcnt 0x1
	s_or_b32 s8, s24, 2
	s_mov_b32 s9, s25
	s_wait_xcnt 0x0
	s_or_b32 s68, s24, 3
	s_mov_b32 s69, s25
	s_mul_u64 s[8:9], s[8:9], s[30:31]
	s_wait_dscnt 0x0
	v_dual_mul_f32 v1, v50, v40 :: v_dual_mul_f32 v40, v50, v41
	s_mul_u64 s[68:69], s[68:69], s[30:31]
	s_lshl_b64 s[8:9], s[8:9], 2
	s_lshl_b64 s[68:69], s[68:69], 2
	s_add_nc_u64 s[8:9], s[58:59], s[8:9]
	s_add_nc_u64 s[68:69], s[58:59], s[68:69]
	s_clause 0x1
	global_store_b32 v0, v1, s[8:9]
	global_store_b32 v0, v40, s[68:69]
	s_branch .LBB441_20
.LBB441_65:                             ;   in Loop: Header=BB441_21 Depth=2
	v_mov_b32_e32 v41, 0
	s_delay_alu instid0(VALU_DEP_1)
	v_dual_mov_b32 v40, v41 :: v_dual_mov_b32 v43, v41
	v_mov_b32_e32 v42, v41
.LBB441_66:                             ;   in Loop: Header=BB441_21 Depth=2
	s_or_b32 exec_lo, exec_lo, s67
	s_delay_alu instid0(SALU_CYCLE_1)
	s_or_b32 exec_lo, exec_lo, s11
	s_and_saveexec_b32 s6, s1
	s_cbranch_execnz .LBB441_24
	s_branch .LBB441_25
.LBB441_67:                             ;   in Loop: Header=BB441_3 Depth=1
	v_dual_mov_b32 v1, v0 :: v_dual_mov_b32 v2, v0
	v_mov_b32_e32 v3, v0
	s_mov_b32 s24, 0
	s_delay_alu instid0(VALU_DEP_1) | instskip(NEXT) | instid1(VALU_DEP_3)
	v_mov_b64_e32 v[4:5], v[2:3]
	v_mov_b64_e32 v[2:3], v[0:1]
.LBB441_68:                             ;   in Loop: Header=BB441_3 Depth=1
	s_cmp_ge_i32 s24, s29
	s_cbranch_scc1 .LBB441_2
; %bb.69:                               ;   in Loop: Header=BB441_3 Depth=1
	v_cmp_gt_u32_e32 vcc_lo, 24, v48
	v_add_nc_u64_e32 v[6:7], v[6:7], v[18:19]
	v_cndmask_b32_e64 v1, 0, 8, vcc_lo
	v_cmp_gt_u32_e32 vcc_lo, 28, v48
	s_delay_alu instid0(VALU_DEP_3) | instskip(NEXT) | instid1(VALU_DEP_3)
	v_mad_nc_u64_u32 v[36:37], s56, s24, v[6:7]
	v_add_lshl_u32 v1, v1, v48, 2
	v_cndmask_b32_e64 v6, 0, 4, vcc_lo
	v_cmp_gt_u32_e32 vcc_lo, 30, v48
	s_delay_alu instid0(VALU_DEP_2) | instskip(SKIP_3) | instid1(VALU_DEP_3)
	v_add_lshl_u32 v7, v6, v48, 2
	v_cndmask_b32_e64 v38, 0, 2, vcc_lo
	v_cmp_ne_u32_e32 vcc_lo, 31, v48
	v_mad_u32 v37, s57, s24, v37
	v_add_lshl_u32 v40, v38, v48, 2
	v_add_co_ci_u32_e64 v39, null, 0, v48, vcc_lo
	s_wait_dscnt 0x0
	s_delay_alu instid0(VALU_DEP_1)
	v_lshlrev_b32_e32 v41, 2, v39
	s_branch .LBB441_71
.LBB441_70:                             ;   in Loop: Header=BB441_71 Depth=2
	s_wait_xcnt 0x0
	s_or_b32 exec_lo, exec_lo, s6
	v_add_nc_u64_e32 v[36:37], s[56:57], v[36:37]
	s_add_co_i32 s24, s24, 1
	s_delay_alu instid0(SALU_CYCLE_1)
	s_cmp_ge_i32 s24, s29
	s_cbranch_scc1 .LBB441_2
.LBB441_71:                             ;   Parent Loop BB441_3 Depth=1
                                        ; =>  This Loop Header: Depth=2
                                        ;       Child Loop BB441_84 Depth 3
                                        ;       Child Loop BB441_87 Depth 3
	s_wait_dscnt 0x0
	v_mov_b32_e32 v6, s25
	s_and_saveexec_b32 s6, s4
	s_delay_alu instid0(SALU_CYCLE_1)
	s_xor_b32 s6, exec_lo, s6
	s_cbranch_execnz .LBB441_80
; %bb.72:                               ;   in Loop: Header=BB441_71 Depth=2
	s_and_not1_saveexec_b32 s11, s6
	s_cbranch_execnz .LBB441_81
.LBB441_73:                             ;   in Loop: Header=BB441_71 Depth=2
	s_or_b32 exec_lo, exec_lo, s11
	s_and_saveexec_b32 s6, s1
.LBB441_74:                             ;   in Loop: Header=BB441_71 Depth=2
	ds_store_b32 v46, v0
.LBB441_75:                             ;   in Loop: Header=BB441_71 Depth=2
	s_or_b32 exec_lo, exec_lo, s6
	ds_bpermute_b32 v38, v49, v6
	s_wait_storecnt_dscnt 0x0
	s_barrier_signal -1
	s_barrier_wait -1
	v_add_f32_e32 v6, v6, v38
	ds_bpermute_b32 v38, v1, v6
	s_wait_dscnt 0x0
	v_add_f32_e32 v6, v6, v38
	ds_bpermute_b32 v38, v7, v6
	s_wait_dscnt 0x0
	;; [unrolled: 3-line block ×3, first 2 shown]
	v_add_f32_e32 v6, v6, v38
	ds_bpermute_b32 v38, v41, v6
	s_and_saveexec_b32 s6, s3
	s_cbranch_execz .LBB441_77
; %bb.76:                               ;   in Loop: Header=BB441_71 Depth=2
	s_wait_dscnt 0x0
	v_add_f32_e32 v6, v6, v38
	ds_store_b32 v47, v6
.LBB441_77:                             ;   in Loop: Header=BB441_71 Depth=2
	s_or_b32 exec_lo, exec_lo, s6
	v_mov_b32_e32 v6, 0
	s_wait_dscnt 0x0
	s_barrier_signal -1
	s_barrier_wait -1
	s_and_saveexec_b32 s6, s2
	s_cbranch_execnz .LBB441_89
; %bb.78:                               ;   in Loop: Header=BB441_71 Depth=2
	s_or_b32 exec_lo, exec_lo, s6
	s_and_saveexec_b32 s6, s1
	s_cbranch_execnz .LBB441_90
.LBB441_79:                             ;   in Loop: Header=BB441_71 Depth=2
	s_or_b32 exec_lo, exec_lo, s6
	s_and_saveexec_b32 s6, s0
	s_cbranch_execz .LBB441_70
	s_branch .LBB441_91
.LBB441_80:                             ;   in Loop: Header=BB441_71 Depth=2
	s_mul_u64 s[8:9], s[24:25], s[26:27]
	s_delay_alu instid0(SALU_CYCLE_1)
	v_lshl_add_u64 v[2:3], s[8:9], 1, v[24:25]
	flat_load_b64 v[38:39], v[2:3]
	s_clause 0x3
	flat_load_u16 v2, v[28:29]
	flat_load_u16 v4, v[26:27]
	flat_load_u16 v6, v[32:33]
	flat_load_u16 v44, v[30:31]
	s_wait_loadcnt_dscnt 0x404
	v_dual_lshrrev_b32 v5, 16, v38 :: v_dual_lshrrev_b32 v45, 16, v39
	s_wait_loadcnt_dscnt 0x303
	v_cvt_f32_f16_e32 v3, v2
	s_wait_loadcnt_dscnt 0x202
	v_cvt_f32_f16_e32 v2, v4
	v_cvt_f32_f16_e32 v4, v38
	;; [unrolled: 1-line block ×5, first 2 shown]
	s_delay_alu instid0(VALU_DEP_3)
	v_pk_mul_f32 v[42:43], v[2:3], v[4:5]
	s_wait_loadcnt_dscnt 0x101
	v_cvt_f32_f16_e32 v5, v6
	s_wait_loadcnt_dscnt 0x0
	v_cvt_f32_f16_e32 v4, v44
	v_add_f32_e32 v6, 0, v42
	s_delay_alu instid0(VALU_DEP_2) | instskip(NEXT) | instid1(VALU_DEP_2)
	v_pk_mul_f32 v[38:39], v[4:5], v[38:39]
	v_add_f32_e32 v6, v6, v43
	s_delay_alu instid0(VALU_DEP_1) | instskip(NEXT) | instid1(VALU_DEP_1)
	v_add_f32_e32 v6, v6, v38
	v_add_f32_e32 v6, v6, v39
	s_wait_xcnt 0x0
	s_and_not1_saveexec_b32 s11, s6
	s_cbranch_execz .LBB441_73
.LBB441_81:                             ;   in Loop: Header=BB441_71 Depth=2
	s_and_saveexec_b32 s67, s5
	s_cbranch_execz .LBB441_88
; %bb.82:                               ;   in Loop: Header=BB441_71 Depth=2
	s_and_not1_b32 vcc_lo, exec_lo, s64
	s_cbranch_vccnz .LBB441_85
; %bb.83:                               ;   in Loop: Header=BB441_71 Depth=2
	v_mov_b64_e32 v[38:39], v[34:35]
	s_mov_b64 s[8:9], 0
.LBB441_84:                             ;   Parent Loop BB441_3 Depth=1
                                        ;     Parent Loop BB441_71 Depth=2
                                        ; =>    This Inner Loop Header: Depth=3
	flat_load_u16 v42, v[38:39]
	s_cmp_eq_u32 s8, 3
	s_wait_xcnt 0x0
	v_add_nc_u64_e32 v[38:39], s[48:49], v[38:39]
	s_cselect_b32 vcc_lo, -1, 0
	s_cmp_eq_u32 s8, 2
	s_cselect_b32 s6, -1, 0
	s_cmp_eq_u32 s8, 1
	s_cselect_b32 s7, -1, 0
	s_cmp_eq_u32 s8, 0
	s_add_nc_u64 s[8:9], s[8:9], 1
	s_wait_loadcnt_dscnt 0x0
	v_cvt_f32_f16_e32 v42, v42
	s_delay_alu instid0(VALU_DEP_1) | instskip(SKIP_1) | instid1(SALU_CYCLE_1)
	v_dual_cndmask_b32 v5, v5, v42, vcc_lo :: v_dual_cndmask_b32 v4, v4, v42, s6
	s_cselect_b32 vcc_lo, -1, 0
	v_dual_cndmask_b32 v3, v3, v42, s7 :: v_dual_cndmask_b32 v2, v2, v42, vcc_lo
	s_cmp_eq_u32 s62, s8
	s_cbranch_scc0 .LBB441_84
.LBB441_85:                             ;   in Loop: Header=BB441_71 Depth=2
	s_and_not1_b32 vcc_lo, exec_lo, s64
	s_cbranch_vccnz .LBB441_88
; %bb.86:                               ;   in Loop: Header=BB441_71 Depth=2
	v_mov_b64_e32 v[38:39], v[36:37]
	s_mov_b64 s[6:7], 0
.LBB441_87:                             ;   Parent Loop BB441_3 Depth=1
                                        ;     Parent Loop BB441_71 Depth=2
                                        ; =>    This Inner Loop Header: Depth=3
	flat_load_u16 v42, v[38:39]
	s_cmp_eq_u32 s6, 1
	s_wait_xcnt 0x0
	v_add_nc_u64_e32 v[38:39], 2, v[38:39]
	s_cselect_b32 vcc_lo, -1, 0
	s_cmp_eq_u32 s6, 2
	v_cndmask_b32_e32 v43, v2, v3, vcc_lo
	s_cselect_b32 vcc_lo, -1, 0
	s_cmp_eq_u32 s6, 3
	s_add_nc_u64 s[6:7], s[6:7], 1
	s_delay_alu instid0(VALU_DEP_1) | instskip(SKIP_2) | instid1(VALU_DEP_1)
	v_cndmask_b32_e32 v43, v43, v4, vcc_lo
	s_cselect_b32 vcc_lo, -1, 0
	s_cmp_lg_u32 s62, s6
	v_cndmask_b32_e32 v43, v43, v5, vcc_lo
	s_wait_loadcnt_dscnt 0x0
	s_delay_alu instid0(VALU_DEP_1)
	v_fma_mix_f32 v6, v43, v42, v6 op_sel_hi:[0,1,0]
	s_cbranch_scc1 .LBB441_87
.LBB441_88:                             ;   in Loop: Header=BB441_71 Depth=2
	s_or_b32 exec_lo, exec_lo, s67
	s_delay_alu instid0(SALU_CYCLE_1)
	s_or_b32 exec_lo, exec_lo, s11
	s_and_saveexec_b32 s6, s1
	s_cbranch_execnz .LBB441_74
	s_branch .LBB441_75
.LBB441_89:                             ;   in Loop: Header=BB441_71 Depth=2
	ds_load_b32 v6, v46
	s_or_b32 exec_lo, exec_lo, s6
	s_and_saveexec_b32 s6, s1
	s_cbranch_execz .LBB441_79
.LBB441_90:                             ;   in Loop: Header=BB441_71 Depth=2
	s_wait_dscnt 0x0
	ds_bpermute_b32 v38, v7, v6
	s_wait_dscnt 0x0
	v_add_f32_e32 v6, v6, v38
	ds_bpermute_b32 v38, v40, v6
	s_wait_dscnt 0x0
	v_add_f32_e32 v6, v6, v38
	;; [unrolled: 3-line block ×3, first 2 shown]
	s_or_b32 exec_lo, exec_lo, s6
	s_and_saveexec_b32 s6, s0
	s_cbranch_execz .LBB441_70
.LBB441_91:                             ;   in Loop: Header=BB441_71 Depth=2
	s_mul_u64 s[8:9], s[24:25], s[30:31]
	s_wait_dscnt 0x0
	v_mul_f32_e32 v6, v50, v6
	s_lshl_b64 s[8:9], s[8:9], 2
	s_delay_alu instid0(SALU_CYCLE_1)
	s_add_nc_u64 s[8:9], s[58:59], s[8:9]
	global_store_b32 v0, v6, s[8:9]
	s_branch .LBB441_70
.LBB441_92:
	s_sendmsg sendmsg(MSG_DEALLOC_VGPRS)
	s_endpgm
	.section	.rodata,"a",@progbits
	.p2align	6, 0x0
	.amdhsa_kernel _ZL23rocblas_gemvt_sn_kernelILb0ELi256ELi4ElPKDF16_PKffEviiT4_lPKT3_lilS7_lilPT5_i
		.amdhsa_group_segment_fixed_size 128
		.amdhsa_private_segment_fixed_size 0
		.amdhsa_kernarg_size 360
		.amdhsa_user_sgpr_count 2
		.amdhsa_user_sgpr_dispatch_ptr 0
		.amdhsa_user_sgpr_queue_ptr 0
		.amdhsa_user_sgpr_kernarg_segment_ptr 1
		.amdhsa_user_sgpr_dispatch_id 0
		.amdhsa_user_sgpr_kernarg_preload_length 0
		.amdhsa_user_sgpr_kernarg_preload_offset 0
		.amdhsa_user_sgpr_private_segment_size 0
		.amdhsa_wavefront_size32 1
		.amdhsa_uses_dynamic_stack 0
		.amdhsa_enable_private_segment 0
		.amdhsa_system_sgpr_workgroup_id_x 1
		.amdhsa_system_sgpr_workgroup_id_y 0
		.amdhsa_system_sgpr_workgroup_id_z 1
		.amdhsa_system_sgpr_workgroup_info 0
		.amdhsa_system_vgpr_workitem_id 0
		.amdhsa_next_free_vgpr 72
		.amdhsa_next_free_sgpr 72
		.amdhsa_named_barrier_count 0
		.amdhsa_reserve_vcc 1
		.amdhsa_float_round_mode_32 0
		.amdhsa_float_round_mode_16_64 0
		.amdhsa_float_denorm_mode_32 3
		.amdhsa_float_denorm_mode_16_64 3
		.amdhsa_fp16_overflow 0
		.amdhsa_memory_ordered 1
		.amdhsa_forward_progress 1
		.amdhsa_inst_pref_size 33
		.amdhsa_round_robin_scheduling 0
		.amdhsa_exception_fp_ieee_invalid_op 0
		.amdhsa_exception_fp_denorm_src 0
		.amdhsa_exception_fp_ieee_div_zero 0
		.amdhsa_exception_fp_ieee_overflow 0
		.amdhsa_exception_fp_ieee_underflow 0
		.amdhsa_exception_fp_ieee_inexact 0
		.amdhsa_exception_int_div_zero 0
	.end_amdhsa_kernel
	.section	.text._ZL23rocblas_gemvt_sn_kernelILb0ELi256ELi4ElPKDF16_PKffEviiT4_lPKT3_lilS7_lilPT5_i,"axG",@progbits,_ZL23rocblas_gemvt_sn_kernelILb0ELi256ELi4ElPKDF16_PKffEviiT4_lPKT3_lilS7_lilPT5_i,comdat
.Lfunc_end441:
	.size	_ZL23rocblas_gemvt_sn_kernelILb0ELi256ELi4ElPKDF16_PKffEviiT4_lPKT3_lilS7_lilPT5_i, .Lfunc_end441-_ZL23rocblas_gemvt_sn_kernelILb0ELi256ELi4ElPKDF16_PKffEviiT4_lPKT3_lilS7_lilPT5_i
                                        ; -- End function
	.set _ZL23rocblas_gemvt_sn_kernelILb0ELi256ELi4ElPKDF16_PKffEviiT4_lPKT3_lilS7_lilPT5_i.num_vgpr, 72
	.set _ZL23rocblas_gemvt_sn_kernelILb0ELi256ELi4ElPKDF16_PKffEviiT4_lPKT3_lilS7_lilPT5_i.num_agpr, 0
	.set _ZL23rocblas_gemvt_sn_kernelILb0ELi256ELi4ElPKDF16_PKffEviiT4_lPKT3_lilS7_lilPT5_i.numbered_sgpr, 72
	.set _ZL23rocblas_gemvt_sn_kernelILb0ELi256ELi4ElPKDF16_PKffEviiT4_lPKT3_lilS7_lilPT5_i.num_named_barrier, 0
	.set _ZL23rocblas_gemvt_sn_kernelILb0ELi256ELi4ElPKDF16_PKffEviiT4_lPKT3_lilS7_lilPT5_i.private_seg_size, 0
	.set _ZL23rocblas_gemvt_sn_kernelILb0ELi256ELi4ElPKDF16_PKffEviiT4_lPKT3_lilS7_lilPT5_i.uses_vcc, 1
	.set _ZL23rocblas_gemvt_sn_kernelILb0ELi256ELi4ElPKDF16_PKffEviiT4_lPKT3_lilS7_lilPT5_i.uses_flat_scratch, 1
	.set _ZL23rocblas_gemvt_sn_kernelILb0ELi256ELi4ElPKDF16_PKffEviiT4_lPKT3_lilS7_lilPT5_i.has_dyn_sized_stack, 0
	.set _ZL23rocblas_gemvt_sn_kernelILb0ELi256ELi4ElPKDF16_PKffEviiT4_lPKT3_lilS7_lilPT5_i.has_recursion, 0
	.set _ZL23rocblas_gemvt_sn_kernelILb0ELi256ELi4ElPKDF16_PKffEviiT4_lPKT3_lilS7_lilPT5_i.has_indirect_call, 0
	.section	.AMDGPU.csdata,"",@progbits
; Kernel info:
; codeLenInByte = 4224
; TotalNumSgprs: 74
; NumVgprs: 72
; ScratchSize: 0
; MemoryBound: 0
; FloatMode: 240
; IeeeMode: 1
; LDSByteSize: 128 bytes/workgroup (compile time only)
; SGPRBlocks: 0
; VGPRBlocks: 4
; NumSGPRsForWavesPerEU: 74
; NumVGPRsForWavesPerEU: 72
; NamedBarCnt: 0
; Occupancy: 12
; WaveLimiterHint : 0
; COMPUTE_PGM_RSRC2:SCRATCH_EN: 0
; COMPUTE_PGM_RSRC2:USER_SGPR: 2
; COMPUTE_PGM_RSRC2:TRAP_HANDLER: 0
; COMPUTE_PGM_RSRC2:TGID_X_EN: 1
; COMPUTE_PGM_RSRC2:TGID_Y_EN: 0
; COMPUTE_PGM_RSRC2:TGID_Z_EN: 1
; COMPUTE_PGM_RSRC2:TIDIG_COMP_CNT: 0
	.section	.text._ZL23rocblas_gemvt_sn_reduceILi256ELi8EfPKfKPDF16_EviT2_lPT3_lilPT1_i,"axG",@progbits,_ZL23rocblas_gemvt_sn_reduceILi256ELi8EfPKfKPDF16_EviT2_lPT3_lilPT1_i,comdat
	.globl	_ZL23rocblas_gemvt_sn_reduceILi256ELi8EfPKfKPDF16_EviT2_lPT3_lilPT1_i ; -- Begin function _ZL23rocblas_gemvt_sn_reduceILi256ELi8EfPKfKPDF16_EviT2_lPT3_lilPT1_i
	.p2align	8
	.type	_ZL23rocblas_gemvt_sn_reduceILi256ELi8EfPKfKPDF16_EviT2_lPT3_lilPT1_i,@function
_ZL23rocblas_gemvt_sn_reduceILi256ELi8EfPKfKPDF16_EviT2_lPT3_lilPT1_i: ; @_ZL23rocblas_gemvt_sn_reduceILi256ELi8EfPKfKPDF16_EviT2_lPT3_lilPT1_i
; %bb.0:
	s_load_b32 s28, s[0:1], 0x40
	s_bfe_u32 s2, ttmp6, 0x40014
	s_lshr_b32 s3, ttmp7, 16
	s_add_co_i32 s2, s2, 1
	s_bfe_u32 s5, ttmp6, 0x40008
	s_mul_i32 s4, s3, s2
	s_getreg_b32 s2, hwreg(HW_REG_IB_STS2, 6, 4)
	s_add_co_i32 s5, s5, s4
	s_cmp_eq_u32 s2, 0
	s_mov_b32 s7, 0
	s_cselect_b32 s6, s3, s5
	s_wait_kmcnt 0x0
	s_cmp_ge_u32 s6, s28
	s_cbranch_scc1 .LBB442_21
; %bb.1:
	s_clause 0x5
	s_load_b32 s16, s[0:1], 0x0
	s_load_b32 s29, s[0:1], 0x4c
	;; [unrolled: 1-line block ×4, first 2 shown]
	s_load_b64 s[18:19], s[0:1], 0x38
	s_load_b256 s[8:15], s[0:1], 0x8
	v_mbcnt_lo_u32_b32 v6, -1, 0
	s_wait_xcnt 0x0
	s_bfe_u32 s0, ttmp6, 0x40010
	v_dual_mov_b32 v3, 0 :: v_dual_lshlrev_b32 v8, 3, v0
	v_and_b32_e32 v1, 31, v0
	v_cmp_gt_u32_e32 vcc_lo, 24, v6
	s_and_b32 s1, ttmp7, 0xffff
	s_add_co_i32 s5, s0, 1
	s_bfe_u32 s4, ttmp6, 0x40004
	s_mul_i32 s5, s1, s5
	v_cndmask_b32_e64 v4, 0, 8, vcc_lo
	v_cmp_gt_u32_e32 vcc_lo, 28, v6
	s_add_co_i32 s4, s4, s5
	v_cmp_gt_u32_e64 s0, 32, v0
	v_mov_b32_e32 v5, v3
	v_add_lshl_u32 v11, v4, v6, 2
	v_cndmask_b32_e64 v7, 0, 4, vcc_lo
	v_cmp_gt_u32_e32 vcc_lo, 30, v6
	v_dual_lshlrev_b32 v4, 5, v0 :: v_dual_lshlrev_b32 v9, 2, v1
	s_wait_kmcnt 0x0
	s_ashr_i32 s17, s16, 31
	s_ashr_i32 s23, s22, 31
	s_cmp_eq_u32 s2, 0
	v_cndmask_b32_e64 v13, 0, 2, vcc_lo
	s_cselect_b32 s20, s1, s4
	s_lshr_b32 s1, s17, 29
	v_cmp_ne_u32_e32 vcc_lo, 31, v6
	v_add_nc_u64_e32 v[4:5], s[18:19], v[4:5]
	s_add_co_i32 s1, s16, s1
	v_add_lshl_u32 v12, v7, v6, 2
	s_and_b32 s30, s1, -8
	v_add_co_ci_u32_e64 v14, null, 0, v6, vcc_lo
	v_lshrrev_b32_e32 v7, 3, v0
	s_sub_co_i32 s2, s16, s30
	v_xad_u32 v2, v0, -1, s16
	s_and_b32 s24, s3, 0xffff
	v_cmp_gt_u32_e64 s2, s2, v0
	v_cmp_eq_u32_e64 s3, 0, v1
	v_cmp_gt_u32_e64 s4, 8, v0
	v_cmp_eq_u32_e64 s5, 0, v0
	v_add_nc_u64_e32 v[0:1], 28, v[4:5]
	s_mov_b32 s21, s7
	v_cmp_gt_i32_e64 s1, s30, v8
	v_lshl_or_b32 v10, v6, 2, 64
	v_add_lshl_u32 v13, v13, v6, 2
	v_dual_lshlrev_b32 v14, 2, v14 :: v_dual_bitop2_b32 v15, 28, v7 bitop3:0x40
	s_mul_u64 s[26:27], s[22:23], s[20:21]
	s_mul_i32 s21, s6, s29
	s_lshl_b32 s31, s24, 3
	s_lshl_b64 s[22:23], s[16:17], 2
	s_add_co_i32 s21, s20, s21
	s_lshl_b32 s33, s29, 16
	s_lshl_b32 s24, s24, 5
	s_mov_b32 s25, s7
	s_lshl_b64 s[14:15], s[14:15], 1
	s_lshl_b64 s[26:27], s[26:27], 1
	s_branch .LBB442_4
.LBB442_2:                              ;   in Loop: Header=BB442_4 Depth=1
	s_wait_dscnt 0x0
	s_delay_alu instid0(VALU_DEP_1)
	v_cvt_f16_f32_e32 v6, v6
	flat_store_b16 v[4:5], v6
.LBB442_3:                              ;   in Loop: Header=BB442_4 Depth=1
	s_wait_xcnt 0x0
	s_or_b32 exec_lo, exec_lo, s34
	s_add_co_i32 s6, s6, 0x10000
	s_add_co_i32 s21, s21, s33
	s_cmp_lt_u32 s6, s28
	s_cbranch_scc0 .LBB442_21
.LBB442_4:                              ; =>This Loop Header: Depth=1
                                        ;     Child Loop BB442_14 Depth 2
	s_wait_dscnt 0x0
	v_dual_mov_b32 v6, s6 :: v_dual_mov_b32 v17, 0
	s_mul_u64 s[34:35], s[10:11], s[6:7]
	s_delay_alu instid0(SALU_CYCLE_1) | instskip(NEXT) | instid1(SALU_CYCLE_1)
	s_lshl_b64 s[34:35], s[34:35], 2
	s_add_nc_u64 s[34:35], s[8:9], s[34:35]
	global_load_b64 v[4:5], v6, s[12:13] scale_offset
	global_load_b32 v16, v3, s[34:35]
	s_wait_xcnt 0x0
	s_and_saveexec_b32 s34, s1
	s_cbranch_execnz .LBB442_13
; %bb.5:                                ;   in Loop: Header=BB442_4 Depth=1
	s_or_b32 exec_lo, exec_lo, s34
	s_and_saveexec_b32 s34, s2
	s_cbranch_execnz .LBB442_16
.LBB442_6:                              ;   in Loop: Header=BB442_4 Depth=1
	s_or_b32 exec_lo, exec_lo, s34
	s_and_saveexec_b32 s34, s0
.LBB442_7:                              ;   in Loop: Header=BB442_4 Depth=1
	ds_store_b32 v9, v3
.LBB442_8:                              ;   in Loop: Header=BB442_4 Depth=1
	s_or_b32 exec_lo, exec_lo, s34
	ds_bpermute_b32 v6, v10, v17
	s_wait_loadcnt_dscnt 0x0
	s_barrier_signal -1
	s_barrier_wait -1
	v_add_f32_e32 v6, v17, v6
	ds_bpermute_b32 v7, v11, v6
	s_wait_dscnt 0x0
	v_add_f32_e32 v6, v6, v7
	ds_bpermute_b32 v7, v12, v6
	s_wait_dscnt 0x0
	;; [unrolled: 3-line block ×3, first 2 shown]
	v_add_f32_e32 v6, v6, v7
	ds_bpermute_b32 v7, v14, v6
	s_and_saveexec_b32 s34, s3
	s_cbranch_execz .LBB442_10
; %bb.9:                                ;   in Loop: Header=BB442_4 Depth=1
	s_wait_dscnt 0x0
	v_add_f32_e32 v6, v6, v7
	ds_store_b32 v15, v6
.LBB442_10:                             ;   in Loop: Header=BB442_4 Depth=1
	s_or_b32 exec_lo, exec_lo, s34
	v_mov_b32_e32 v6, 0
	s_wait_dscnt 0x0
	s_barrier_signal -1
	s_barrier_wait -1
	s_and_saveexec_b32 s34, s4
	s_cbranch_execnz .LBB442_17
; %bb.11:                               ;   in Loop: Header=BB442_4 Depth=1
	s_or_b32 exec_lo, exec_lo, s34
	s_and_saveexec_b32 s34, s0
	s_cbranch_execnz .LBB442_18
.LBB442_12:                             ;   in Loop: Header=BB442_4 Depth=1
	s_or_b32 exec_lo, exec_lo, s34
	s_and_saveexec_b32 s34, s5
	s_cbranch_execz .LBB442_3
	s_branch .LBB442_19
.LBB442_13:                             ;   in Loop: Header=BB442_4 Depth=1
	v_mad_nc_u64_u32 v[6:7], s22, s21, v[0:1]
	v_dual_mov_b32 v17, 0 :: v_dual_mov_b32 v18, v8
	s_mov_b32 s35, 0
	s_delay_alu instid0(VALU_DEP_2)
	v_mad_u32 v7, s23, s21, v7
.LBB442_14:                             ;   Parent Loop BB442_4 Depth=1
                                        ; =>  This Inner Loop Header: Depth=2
	s_clause 0x1
	global_load_b128 v[20:23], v[6:7], off offset:-28
	global_load_b128 v[24:27], v[6:7], off offset:-12
	s_wait_xcnt 0x0
	v_add_nc_u64_e32 v[6:7], s[24:25], v[6:7]
	v_add_nc_u32_e32 v18, s31, v18
	s_delay_alu instid0(VALU_DEP_1) | instskip(SKIP_3) | instid1(VALU_DEP_1)
	v_cmp_le_i32_e32 vcc_lo, s30, v18
	s_or_b32 s35, vcc_lo, s35
	s_wait_loadcnt 0x1
	v_add_f32_e32 v17, v17, v20
	v_add_f32_e32 v17, v17, v21
	s_delay_alu instid0(VALU_DEP_1) | instskip(NEXT) | instid1(VALU_DEP_1)
	v_add_f32_e32 v17, v17, v22
	v_add_f32_e32 v17, v17, v23
	s_wait_loadcnt 0x0
	s_delay_alu instid0(VALU_DEP_1) | instskip(NEXT) | instid1(VALU_DEP_1)
	v_add_f32_e32 v17, v17, v24
	v_add_f32_e32 v17, v17, v25
	s_delay_alu instid0(VALU_DEP_1) | instskip(NEXT) | instid1(VALU_DEP_1)
	v_add_f32_e32 v17, v17, v26
	v_add_f32_e32 v17, v17, v27
	s_and_not1_b32 exec_lo, exec_lo, s35
	s_cbranch_execnz .LBB442_14
; %bb.15:                               ;   in Loop: Header=BB442_4 Depth=1
	s_or_b32 exec_lo, exec_lo, s35
	s_delay_alu instid0(SALU_CYCLE_1)
	s_or_b32 exec_lo, exec_lo, s34
	s_and_saveexec_b32 s34, s2
	s_cbranch_execz .LBB442_6
.LBB442_16:                             ;   in Loop: Header=BB442_4 Depth=1
	s_mul_i32 s35, s29, s6
	s_mov_b32 s37, s7
	s_add_co_i32 s36, s35, s20
	s_delay_alu instid0(SALU_CYCLE_1) | instskip(NEXT) | instid1(SALU_CYCLE_1)
	s_mul_u64 s[36:37], s[36:37], s[16:17]
	s_lshl_b64 s[36:37], s[36:37], 2
	s_delay_alu instid0(SALU_CYCLE_1) | instskip(NEXT) | instid1(SALU_CYCLE_1)
	s_add_nc_u64 s[36:37], s[18:19], s[36:37]
	v_lshl_add_u64 v[6:7], v[2:3], 2, s[36:37]
	global_load_b32 v6, v[6:7], off
	s_wait_loadcnt 0x0
	v_add_f32_e32 v17, v17, v6
	s_wait_xcnt 0x0
	s_or_b32 exec_lo, exec_lo, s34
	s_and_saveexec_b32 s34, s0
	s_cbranch_execnz .LBB442_7
	s_branch .LBB442_8
.LBB442_17:                             ;   in Loop: Header=BB442_4 Depth=1
	ds_load_b32 v6, v9
	s_or_b32 exec_lo, exec_lo, s34
	s_and_saveexec_b32 s34, s0
	s_cbranch_execz .LBB442_12
.LBB442_18:                             ;   in Loop: Header=BB442_4 Depth=1
	s_wait_dscnt 0x0
	ds_bpermute_b32 v7, v12, v6
	s_wait_dscnt 0x0
	v_add_f32_e32 v6, v6, v7
	ds_bpermute_b32 v7, v13, v6
	s_wait_dscnt 0x0
	v_add_f32_e32 v6, v6, v7
	;; [unrolled: 3-line block ×3, first 2 shown]
	s_or_b32 exec_lo, exec_lo, s34
	s_and_saveexec_b32 s34, s5
	s_cbranch_execz .LBB442_3
.LBB442_19:                             ;   in Loop: Header=BB442_4 Depth=1
	v_add_nc_u64_e32 v[4:5], s[14:15], v[4:5]
	v_cmp_eq_f32_e32 vcc_lo, 0, v16
	s_delay_alu instid0(VALU_DEP_2)
	v_add_nc_u64_e32 v[4:5], s[26:27], v[4:5]
	s_cbranch_vccnz .LBB442_2
; %bb.20:                               ;   in Loop: Header=BB442_4 Depth=1
	flat_load_u16 v7, v[4:5]
	s_wait_loadcnt_dscnt 0x0
	v_fma_mix_f32 v6, v16, v7, v6 op_sel_hi:[0,1,0]
	s_branch .LBB442_2
.LBB442_21:
	s_endpgm
	.section	.rodata,"a",@progbits
	.p2align	6, 0x0
	.amdhsa_kernel _ZL23rocblas_gemvt_sn_reduceILi256ELi8EfPKfKPDF16_EviT2_lPT3_lilPT1_i
		.amdhsa_group_segment_fixed_size 128
		.amdhsa_private_segment_fixed_size 0
		.amdhsa_kernarg_size 328
		.amdhsa_user_sgpr_count 2
		.amdhsa_user_sgpr_dispatch_ptr 0
		.amdhsa_user_sgpr_queue_ptr 0
		.amdhsa_user_sgpr_kernarg_segment_ptr 1
		.amdhsa_user_sgpr_dispatch_id 0
		.amdhsa_user_sgpr_kernarg_preload_length 0
		.amdhsa_user_sgpr_kernarg_preload_offset 0
		.amdhsa_user_sgpr_private_segment_size 0
		.amdhsa_wavefront_size32 1
		.amdhsa_uses_dynamic_stack 0
		.amdhsa_enable_private_segment 0
		.amdhsa_system_sgpr_workgroup_id_x 1
		.amdhsa_system_sgpr_workgroup_id_y 1
		.amdhsa_system_sgpr_workgroup_id_z 1
		.amdhsa_system_sgpr_workgroup_info 0
		.amdhsa_system_vgpr_workitem_id 0
		.amdhsa_next_free_vgpr 28
		.amdhsa_next_free_sgpr 38
		.amdhsa_named_barrier_count 0
		.amdhsa_reserve_vcc 1
		.amdhsa_float_round_mode_32 0
		.amdhsa_float_round_mode_16_64 0
		.amdhsa_float_denorm_mode_32 3
		.amdhsa_float_denorm_mode_16_64 3
		.amdhsa_fp16_overflow 0
		.amdhsa_memory_ordered 1
		.amdhsa_forward_progress 1
		.amdhsa_inst_pref_size 9
		.amdhsa_round_robin_scheduling 0
		.amdhsa_exception_fp_ieee_invalid_op 0
		.amdhsa_exception_fp_denorm_src 0
		.amdhsa_exception_fp_ieee_div_zero 0
		.amdhsa_exception_fp_ieee_overflow 0
		.amdhsa_exception_fp_ieee_underflow 0
		.amdhsa_exception_fp_ieee_inexact 0
		.amdhsa_exception_int_div_zero 0
	.end_amdhsa_kernel
	.section	.text._ZL23rocblas_gemvt_sn_reduceILi256ELi8EfPKfKPDF16_EviT2_lPT3_lilPT1_i,"axG",@progbits,_ZL23rocblas_gemvt_sn_reduceILi256ELi8EfPKfKPDF16_EviT2_lPT3_lilPT1_i,comdat
.Lfunc_end442:
	.size	_ZL23rocblas_gemvt_sn_reduceILi256ELi8EfPKfKPDF16_EviT2_lPT3_lilPT1_i, .Lfunc_end442-_ZL23rocblas_gemvt_sn_reduceILi256ELi8EfPKfKPDF16_EviT2_lPT3_lilPT1_i
                                        ; -- End function
	.set _ZL23rocblas_gemvt_sn_reduceILi256ELi8EfPKfKPDF16_EviT2_lPT3_lilPT1_i.num_vgpr, 28
	.set _ZL23rocblas_gemvt_sn_reduceILi256ELi8EfPKfKPDF16_EviT2_lPT3_lilPT1_i.num_agpr, 0
	.set _ZL23rocblas_gemvt_sn_reduceILi256ELi8EfPKfKPDF16_EviT2_lPT3_lilPT1_i.numbered_sgpr, 38
	.set _ZL23rocblas_gemvt_sn_reduceILi256ELi8EfPKfKPDF16_EviT2_lPT3_lilPT1_i.num_named_barrier, 0
	.set _ZL23rocblas_gemvt_sn_reduceILi256ELi8EfPKfKPDF16_EviT2_lPT3_lilPT1_i.private_seg_size, 0
	.set _ZL23rocblas_gemvt_sn_reduceILi256ELi8EfPKfKPDF16_EviT2_lPT3_lilPT1_i.uses_vcc, 1
	.set _ZL23rocblas_gemvt_sn_reduceILi256ELi8EfPKfKPDF16_EviT2_lPT3_lilPT1_i.uses_flat_scratch, 0
	.set _ZL23rocblas_gemvt_sn_reduceILi256ELi8EfPKfKPDF16_EviT2_lPT3_lilPT1_i.has_dyn_sized_stack, 0
	.set _ZL23rocblas_gemvt_sn_reduceILi256ELi8EfPKfKPDF16_EviT2_lPT3_lilPT1_i.has_recursion, 0
	.set _ZL23rocblas_gemvt_sn_reduceILi256ELi8EfPKfKPDF16_EviT2_lPT3_lilPT1_i.has_indirect_call, 0
	.section	.AMDGPU.csdata,"",@progbits
; Kernel info:
; codeLenInByte = 1136
; TotalNumSgprs: 40
; NumVgprs: 28
; ScratchSize: 0
; MemoryBound: 0
; FloatMode: 240
; IeeeMode: 1
; LDSByteSize: 128 bytes/workgroup (compile time only)
; SGPRBlocks: 0
; VGPRBlocks: 1
; NumSGPRsForWavesPerEU: 40
; NumVGPRsForWavesPerEU: 28
; NamedBarCnt: 0
; Occupancy: 16
; WaveLimiterHint : 1
; COMPUTE_PGM_RSRC2:SCRATCH_EN: 0
; COMPUTE_PGM_RSRC2:USER_SGPR: 2
; COMPUTE_PGM_RSRC2:TRAP_HANDLER: 0
; COMPUTE_PGM_RSRC2:TGID_X_EN: 1
; COMPUTE_PGM_RSRC2:TGID_Y_EN: 1
; COMPUTE_PGM_RSRC2:TGID_Z_EN: 1
; COMPUTE_PGM_RSRC2:TIDIG_COMP_CNT: 0
	.section	.text._ZL23rocblas_gemvt_sn_kernelILb0ELi256ELi4EiPKDF16_ffEviiT4_lPKT3_lilS5_lilPT5_i,"axG",@progbits,_ZL23rocblas_gemvt_sn_kernelILb0ELi256ELi4EiPKDF16_ffEviiT4_lPKT3_lilS5_lilPT5_i,comdat
	.globl	_ZL23rocblas_gemvt_sn_kernelILb0ELi256ELi4EiPKDF16_ffEviiT4_lPKT3_lilS5_lilPT5_i ; -- Begin function _ZL23rocblas_gemvt_sn_kernelILb0ELi256ELi4EiPKDF16_ffEviiT4_lPKT3_lilS5_lilPT5_i
	.p2align	8
	.type	_ZL23rocblas_gemvt_sn_kernelILb0ELi256ELi4EiPKDF16_ffEviiT4_lPKT3_lilS5_lilPT5_i,@function
_ZL23rocblas_gemvt_sn_kernelILb0ELi256ELi4EiPKDF16_ffEviiT4_lPKT3_lilS5_lilPT5_i: ; @_ZL23rocblas_gemvt_sn_kernelILb0ELi256ELi4EiPKDF16_ffEviiT4_lPKT3_lilS5_lilPT5_i
; %bb.0:
	s_load_b32 s23, s[0:1], 0x60
	s_bfe_u32 s2, ttmp6, 0x40014
	s_lshr_b32 s3, ttmp7, 16
	s_add_co_i32 s2, s2, 1
	s_bfe_u32 s5, ttmp6, 0x40008
	s_mul_i32 s2, s3, s2
	s_getreg_b32 s4, hwreg(HW_REG_IB_STS2, 6, 4)
	s_add_co_i32 s5, s5, s2
	s_cmp_eq_u32 s4, 0
	s_mov_b32 s25, 0
	s_cselect_b32 s10, s3, s5
	s_wait_kmcnt 0x0
	s_cmp_ge_u32 s10, s23
	s_cbranch_scc1 .LBB443_94
; %bb.1:
	s_clause 0x6
	s_load_b96 s[20:22], s[0:1], 0x0
	s_load_b128 s[12:15], s[0:1], 0x18
	s_load_b32 s26, s[0:1], 0x28
	s_load_b128 s[16:19], s[0:1], 0x38
	s_load_b32 s33, s[0:1], 0x48
	s_load_b64 s[28:29], s[0:1], 0x58
	s_load_b32 s30, s[0:1], 0x68
	s_wait_xcnt 0x0
	v_cmp_eq_u32_e64 s0, 0, v0
	v_dual_lshrrev_b32 v2, 3, v0 :: v_dual_bitop2_b32 v1, 31, v0 bitop3:0x40
	v_cmp_gt_u32_e64 s1, 32, v0
	v_cmp_gt_u32_e64 s2, 8, v0
	v_mbcnt_lo_u32_b32 v40, -1, 0
	s_delay_alu instid0(VALU_DEP_4)
	v_cmp_eq_u32_e64 s3, 0, v1
	v_dual_lshlrev_b32 v38, 2, v1 :: v_dual_bitop2_b32 v39, 28, v2 bitop3:0x40
	v_mov_b64_e32 v[18:19], 0
	s_mov_b32 s35, s25
	v_lshl_or_b32 v41, v40, 2, 64
	s_mov_b32 s31, s25
	s_wait_kmcnt 0x0
	s_cmp_neq_f32 s22, 0
	s_mov_b32 s6, s21
	s_mov_b32 s27, s25
	s_mov_b32 s45, s25
	s_cselect_b32 s62, -1, 0
	s_cmp_eq_f32 s22, 0
	s_cselect_b32 s63, -1, 0
	s_ashr_i32 s7, s21, 31
	s_cmp_gt_i32 s21, 0
	s_mul_u64 s[36:37], s[6:7], s[30:31]
	s_cselect_b32 s5, -1, 0
	s_bfe_u32 s8, ttmp6, 0x4000c
	s_and_b32 s9, ttmp6, 15
	s_add_co_i32 s8, s8, 1
	s_and_b32 s64, s0, s5
	s_mul_i32 s8, ttmp9, s8
	s_delay_alu instid0(SALU_CYCLE_1)
	s_add_co_i32 s9, s9, s8
	s_cmp_eq_u32 s4, 0
	s_cselect_b32 s34, ttmp9, s9
	s_ashr_i32 s5, s20, 31
	s_lshl_b32 s8, s34, 10
	s_lshr_b32 s5, s5, 30
	v_lshl_or_b32 v8, v0, 2, s8
	s_add_co_i32 s5, s20, s5
	s_lshr_b32 s4, s7, 30
	s_and_b32 s5, s5, -4
	s_add_co_i32 s4, s21, s4
	v_mul_lo_u32 v10, s33, v8
	s_sub_co_i32 s66, s20, s5
	s_and_b32 s65, s4, -4
	v_add_nc_u32_e32 v1, s66, v8
	s_cmp_gt_i32 s65, 0
	v_dual_ashrrev_i32 v9, 31, v8 :: v_dual_add_nc_u32 v0, 4, v8
	s_cselect_b32 s67, -1, 0
	s_cmp_gt_i32 s66, 0
	s_cselect_b32 s68, -1, 0
	s_delay_alu instid0(VALU_DEP_3)
	v_add_nc_u32_e32 v12, s33, v10
	s_cmp_gt_u32 s21, 1
	v_ashrrev_i32_e32 v11, 31, v10
	s_cselect_b32 s8, -1, 0
	s_cmp_eq_u32 s30, 1
	v_add_nc_u32_e32 v14, s33, v12
	s_cselect_b32 s9, -1, 0
	v_cmp_ge_i32_e64 s4, s20, v0
	v_cmp_ge_i32_e64 s5, s20, v1
	s_and_b32 s20, s21, 0x7ffffffe
	v_dual_add_nc_u32 v16, s33, v14 :: v_dual_ashrrev_i32 v13, 31, v12
	s_and_b32 s69, s8, s9
	s_cmp_lg_u32 s21, s20
	s_delay_alu instid0(VALU_DEP_1)
	v_dual_ashrrev_i32 v15, 31, v14 :: v_dual_ashrrev_i32 v17, 31, v16
	s_cselect_b32 s70, -1, 0
	s_lshl_b32 s24, s26, 1
	v_mov_b32_e32 v0, 0
	s_lshl_b64 s[38:39], s[34:35], 2
	s_mov_b64 s[48:49], s[24:25]
	s_mul_i32 s24, s26, 3
	s_lshl_b64 s[40:41], s[6:7], 2
	s_lshl_b64 s[42:43], s[30:31], 2
	s_lshl_b32 s44, s26, 2
	s_add_nc_u64 s[46:47], s[28:29], s[38:39]
	s_mov_b64 s[50:51], s[24:25]
	s_lshl_b64 s[14:15], s[14:15], 1
	s_lshl_b64 s[18:19], s[18:19], 1
	s_branch .LBB443_3
.LBB443_2:                              ;   in Loop: Header=BB443_3 Depth=1
	s_add_co_i32 s10, s10, 0x10000
	s_delay_alu instid0(SALU_CYCLE_1)
	s_cmp_lt_u32 s10, s23
	s_cbranch_scc0 .LBB443_94
.LBB443_3:                              ; =>This Loop Header: Depth=1
                                        ;     Child Loop BB443_11 Depth 2
                                        ;     Child Loop BB443_17 Depth 2
	;; [unrolled: 1-line block ×3, first 2 shown]
                                        ;       Child Loop BB443_54 Depth 3
                                        ;       Child Loop BB443_57 Depth 3
                                        ;     Child Loop BB443_73 Depth 2
                                        ;       Child Loop BB443_86 Depth 3
                                        ;       Child Loop BB443_89 Depth 3
	s_mov_b32 s11, s25
	s_and_not1_b32 vcc_lo, exec_lo, s63
	s_mov_b32 s6, -1
	s_cbranch_vccz .LBB443_13
; %bb.4:                                ;   in Loop: Header=BB443_3 Depth=1
	v_mov_b64_e32 v[20:21], 0
	v_mov_b64_e32 v[2:3], 0
	s_and_not1_b32 vcc_lo, exec_lo, s6
	s_cbranch_vccz .LBB443_14
.LBB443_5:                              ;   in Loop: Header=BB443_3 Depth=1
	s_and_not1_b32 vcc_lo, exec_lo, s62
	s_cbranch_vccnz .LBB443_7
.LBB443_6:                              ;   in Loop: Header=BB443_3 Depth=1
	s_wait_xcnt 0x0
	s_lshl_b64 s[6:7], s[10:11], 3
	s_delay_alu instid0(SALU_CYCLE_1)
	s_add_nc_u64 s[6:7], s[16:17], s[6:7]
	global_load_b64 v[4:5], v0, s[6:7]
	s_wait_loadcnt 0x0
	v_add_nc_u64_e32 v[20:21], s[18:19], v[4:5]
.LBB443_7:                              ;   in Loop: Header=BB443_3 Depth=1
	s_wait_xcnt 0x0
	s_mul_u64 s[6:7], s[36:37], s[10:11]
	s_and_not1_b32 vcc_lo, exec_lo, s63
	s_lshl_b64 s[6:7], s[6:7], 2
	s_delay_alu instid0(SALU_CYCLE_1)
	s_add_nc_u64 s[52:53], s[28:29], s[6:7]
	s_mov_b32 s6, -1
	s_cbranch_vccnz .LBB443_19
; %bb.8:                                ;   in Loop: Header=BB443_3 Depth=1
	s_and_saveexec_b32 s8, s64
	s_cbranch_execz .LBB443_18
; %bb.9:                                ;   in Loop: Header=BB443_3 Depth=1
	s_and_not1_b32 vcc_lo, exec_lo, s69
	s_cbranch_vccnz .LBB443_15
; %bb.10:                               ;   in Loop: Header=BB443_3 Depth=1
	s_add_nc_u64 s[6:7], s[52:53], s[38:39]
	s_mov_b32 s9, s20
.LBB443_11:                             ;   Parent Loop BB443_3 Depth=1
                                        ; =>  This Inner Loop Header: Depth=2
	s_delay_alu instid0(SALU_CYCLE_1)
	s_add_co_i32 s9, s9, -2
	global_store_b64 v0, v[18:19], s[6:7]
	s_wait_xcnt 0x0
	s_add_nc_u64 s[6:7], s[6:7], 8
	s_mov_b32 s24, s20
	s_cmp_lg_u32 s9, 0
	s_mov_b32 s35, s70
	s_cbranch_scc1 .LBB443_11
; %bb.12:                               ;   in Loop: Header=BB443_3 Depth=1
	s_and_b32 vcc_lo, exec_lo, s35
	s_cbranch_vccnz .LBB443_16
	s_branch .LBB443_18
.LBB443_13:                             ;   in Loop: Header=BB443_3 Depth=1
	v_mov_b64_e32 v[20:21], 0
	v_mov_b64_e32 v[2:3], 0
	s_cbranch_execnz .LBB443_5
.LBB443_14:                             ;   in Loop: Header=BB443_3 Depth=1
	s_lshl_b64 s[6:7], s[10:11], 3
	s_delay_alu instid0(SALU_CYCLE_1)
	s_add_nc_u64 s[6:7], s[12:13], s[6:7]
	global_load_b64 v[2:3], v0, s[6:7]
	s_wait_loadcnt 0x0
	v_add_nc_u64_e32 v[2:3], s[14:15], v[2:3]
	s_and_not1_b32 vcc_lo, exec_lo, s62
	s_cbranch_vccz .LBB443_6
	s_branch .LBB443_7
.LBB443_15:                             ;   in Loop: Header=BB443_3 Depth=1
	s_mov_b32 s24, 0
	s_cbranch_execz .LBB443_18
.LBB443_16:                             ;   in Loop: Header=BB443_3 Depth=1
	s_mul_u64 s[6:7], s[40:41], s[10:11]
	s_lshl_b64 s[54:55], s[24:25], 2
	s_sub_co_i32 s9, s21, s24
	s_add_nc_u64 s[6:7], s[6:7], s[54:55]
	s_delay_alu instid0(SALU_CYCLE_1) | instskip(NEXT) | instid1(SALU_CYCLE_1)
	s_mul_u64 s[6:7], s[30:31], s[6:7]
	s_add_nc_u64 s[6:7], s[46:47], s[6:7]
.LBB443_17:                             ;   Parent Loop BB443_3 Depth=1
                                        ; =>  This Inner Loop Header: Depth=2
	s_add_co_i32 s9, s9, -1
	global_store_b32 v0, v0, s[6:7]
	s_cmp_eq_u32 s9, 0
	s_wait_xcnt 0x0
	s_add_nc_u64 s[6:7], s[6:7], s[42:43]
	s_cbranch_scc0 .LBB443_17
.LBB443_18:                             ;   in Loop: Header=BB443_3 Depth=1
	s_or_b32 exec_lo, exec_lo, s8
	s_mov_b32 s6, 0
.LBB443_19:                             ;   in Loop: Header=BB443_3 Depth=1
	s_delay_alu instid0(SALU_CYCLE_1)
	s_and_not1_b32 vcc_lo, exec_lo, s6
	s_cbranch_vccnz .LBB443_2
; %bb.20:                               ;   in Loop: Header=BB443_3 Depth=1
	v_lshlrev_b64_e32 v[4:5], 1, v[8:9]
	v_lshl_add_u64 v[22:23], v[8:9], 1, v[2:3]
	v_lshl_add_u64 v[24:25], v[10:11], 1, v[20:21]
	;; [unrolled: 1-line block ×5, first 2 shown]
	v_cmp_gt_u32_e64 s9, 24, v40
	v_add_nc_u64_e32 v[32:33], v[2:3], v[4:5]
	v_cmp_gt_u32_e64 s8, 28, v40
	v_cmp_gt_u32_e64 s7, 30, v40
	v_cmp_ne_u32_e64 s6, 31, v40
	s_and_not1_b32 vcc_lo, exec_lo, s67
	s_cbranch_vccnz .LBB443_69
; %bb.21:                               ;   in Loop: Header=BB443_3 Depth=1
	v_cndmask_b32_e64 v1, 0, 8, s9
	v_cndmask_b32_e64 v4, 0, 4, s8
	;; [unrolled: 1-line block ×3, first 2 shown]
	s_wait_dscnt 0x0
	v_add_co_ci_u32_e64 v6, null, 0, v40, s6
	v_add_lshl_u32 v42, v1, v40, 2
	v_dual_mov_b32 v1, v0 :: v_dual_mov_b32 v2, v0
	s_delay_alu instid0(VALU_DEP_3) | instskip(SKIP_3) | instid1(VALU_DEP_3)
	v_dual_mov_b32 v3, v0 :: v_dual_lshlrev_b32 v45, 2, v6
	v_add_lshl_u32 v43, v4, v40, 2
	v_add_lshl_u32 v44, v5, v40, 2
	s_mov_b32 s54, 0
	v_mov_b64_e32 v[4:5], v[2:3]
	v_mov_b64_e32 v[2:3], v[0:1]
	s_mov_b64 s[8:9], s[50:51]
	s_mov_b64 s[56:57], s[48:49]
	;; [unrolled: 1-line block ×3, first 2 shown]
	s_mov_b32 s24, s54
	s_branch .LBB443_23
.LBB443_22:                             ;   in Loop: Header=BB443_23 Depth=2
	s_wait_xcnt 0x0
	s_or_b32 exec_lo, exec_lo, s6
	s_add_co_i32 s24, s24, 4
	s_add_co_i32 s54, s54, s44
	s_add_nc_u64 s[58:59], s[58:59], s[44:45]
	s_add_nc_u64 s[56:57], s[56:57], s[44:45]
	s_cmp_ge_i32 s24, s65
	s_add_nc_u64 s[8:9], s[8:9], s[44:45]
	s_cbranch_scc1 .LBB443_70
.LBB443_23:                             ;   Parent Loop BB443_3 Depth=1
                                        ; =>  This Loop Header: Depth=2
                                        ;       Child Loop BB443_54 Depth 3
                                        ;       Child Loop BB443_57 Depth 3
                                        ; implicit-def: $vgpr7
                                        ; implicit-def: $vgpr35
	s_and_saveexec_b32 s6, s4
	s_delay_alu instid0(SALU_CYCLE_1)
	s_xor_b32 s6, exec_lo, s6
	s_cbranch_execnz .LBB443_50
; %bb.24:                               ;   in Loop: Header=BB443_23 Depth=2
	s_and_not1_saveexec_b32 s11, s6
	s_cbranch_execnz .LBB443_51
.LBB443_25:                             ;   in Loop: Header=BB443_23 Depth=2
	s_or_b32 exec_lo, exec_lo, s11
	s_and_saveexec_b32 s6, s1
.LBB443_26:                             ;   in Loop: Header=BB443_23 Depth=2
	ds_store_b32 v38, v0
.LBB443_27:                             ;   in Loop: Header=BB443_23 Depth=2
	s_or_b32 exec_lo, exec_lo, s6
	ds_bpermute_b32 v1, v41, v34
	s_wait_storecnt_dscnt 0x0
	s_barrier_signal -1
	s_barrier_wait -1
	v_add_f32_e32 v1, v34, v1
	ds_bpermute_b32 v34, v42, v1
	s_wait_dscnt 0x0
	v_add_f32_e32 v1, v1, v34
	ds_bpermute_b32 v34, v43, v1
	s_wait_dscnt 0x0
	;; [unrolled: 3-line block ×3, first 2 shown]
	v_add_f32_e32 v1, v1, v34
	ds_bpermute_b32 v34, v45, v1
	s_and_saveexec_b32 s6, s3
	s_cbranch_execz .LBB443_29
; %bb.28:                               ;   in Loop: Header=BB443_23 Depth=2
	s_wait_dscnt 0x0
	v_add_f32_e32 v1, v1, v34
	ds_store_b32 v39, v1
.LBB443_29:                             ;   in Loop: Header=BB443_23 Depth=2
	s_or_b32 exec_lo, exec_lo, s6
	v_mov_b32_e32 v1, 0
	s_wait_dscnt 0x0
	s_barrier_signal -1
	s_barrier_wait -1
	s_and_saveexec_b32 s6, s2
	s_cbranch_execnz .LBB443_58
; %bb.30:                               ;   in Loop: Header=BB443_23 Depth=2
	s_or_b32 exec_lo, exec_lo, s6
	s_and_saveexec_b32 s6, s1
	s_cbranch_execnz .LBB443_59
.LBB443_31:                             ;   in Loop: Header=BB443_23 Depth=2
	s_or_b32 exec_lo, exec_lo, s6
	s_and_saveexec_b32 s6, s1
.LBB443_32:                             ;   in Loop: Header=BB443_23 Depth=2
	ds_store_b32 v38, v0
.LBB443_33:                             ;   in Loop: Header=BB443_23 Depth=2
	s_or_b32 exec_lo, exec_lo, s6
	ds_bpermute_b32 v34, v41, v35
	s_wait_dscnt 0x0
	s_barrier_signal -1
	s_barrier_wait -1
	v_add_f32_e32 v34, v35, v34
	ds_bpermute_b32 v35, v42, v34
	s_wait_dscnt 0x0
	v_add_f32_e32 v34, v34, v35
	ds_bpermute_b32 v35, v43, v34
	s_wait_dscnt 0x0
	;; [unrolled: 3-line block ×3, first 2 shown]
	v_add_f32_e32 v34, v34, v35
	ds_bpermute_b32 v35, v45, v34
	s_and_saveexec_b32 s6, s3
	s_cbranch_execz .LBB443_35
; %bb.34:                               ;   in Loop: Header=BB443_23 Depth=2
	s_wait_dscnt 0x0
	v_add_f32_e32 v34, v34, v35
	ds_store_b32 v39, v34
.LBB443_35:                             ;   in Loop: Header=BB443_23 Depth=2
	s_or_b32 exec_lo, exec_lo, s6
	v_mov_b32_e32 v34, 0
	s_wait_dscnt 0x0
	s_barrier_signal -1
	s_barrier_wait -1
	s_and_saveexec_b32 s6, s2
	s_cbranch_execnz .LBB443_60
; %bb.36:                               ;   in Loop: Header=BB443_23 Depth=2
	s_or_b32 exec_lo, exec_lo, s6
	s_and_saveexec_b32 s6, s1
	s_cbranch_execnz .LBB443_61
.LBB443_37:                             ;   in Loop: Header=BB443_23 Depth=2
	s_or_b32 exec_lo, exec_lo, s6
	s_and_saveexec_b32 s6, s1
.LBB443_38:                             ;   in Loop: Header=BB443_23 Depth=2
	ds_store_b32 v38, v0
.LBB443_39:                             ;   in Loop: Header=BB443_23 Depth=2
	s_or_b32 exec_lo, exec_lo, s6
	ds_bpermute_b32 v35, v41, v6
	s_wait_dscnt 0x0
	s_barrier_signal -1
	s_barrier_wait -1
	v_add_f32_e32 v6, v6, v35
	ds_bpermute_b32 v35, v42, v6
	s_wait_dscnt 0x0
	v_add_f32_e32 v6, v6, v35
	ds_bpermute_b32 v35, v43, v6
	s_wait_dscnt 0x0
	;; [unrolled: 3-line block ×3, first 2 shown]
	v_add_f32_e32 v6, v6, v35
	ds_bpermute_b32 v35, v45, v6
	s_and_saveexec_b32 s6, s3
	s_cbranch_execz .LBB443_41
; %bb.40:                               ;   in Loop: Header=BB443_23 Depth=2
	s_wait_dscnt 0x0
	v_add_f32_e32 v6, v6, v35
	ds_store_b32 v39, v6
.LBB443_41:                             ;   in Loop: Header=BB443_23 Depth=2
	s_or_b32 exec_lo, exec_lo, s6
	v_mov_b32_e32 v6, 0
	s_wait_dscnt 0x0
	s_barrier_signal -1
	s_barrier_wait -1
	s_and_saveexec_b32 s6, s2
	s_cbranch_execnz .LBB443_62
; %bb.42:                               ;   in Loop: Header=BB443_23 Depth=2
	s_or_b32 exec_lo, exec_lo, s6
	s_and_saveexec_b32 s6, s1
	s_cbranch_execnz .LBB443_63
.LBB443_43:                             ;   in Loop: Header=BB443_23 Depth=2
	s_or_b32 exec_lo, exec_lo, s6
	s_and_saveexec_b32 s6, s1
.LBB443_44:                             ;   in Loop: Header=BB443_23 Depth=2
	ds_store_b32 v38, v0
.LBB443_45:                             ;   in Loop: Header=BB443_23 Depth=2
	s_or_b32 exec_lo, exec_lo, s6
	ds_bpermute_b32 v35, v41, v7
	s_wait_dscnt 0x0
	s_barrier_signal -1
	s_barrier_wait -1
	v_add_f32_e32 v7, v7, v35
	ds_bpermute_b32 v35, v42, v7
	s_wait_dscnt 0x0
	v_add_f32_e32 v7, v7, v35
	ds_bpermute_b32 v35, v43, v7
	s_wait_dscnt 0x0
	;; [unrolled: 3-line block ×3, first 2 shown]
	v_add_f32_e32 v7, v7, v35
	ds_bpermute_b32 v35, v45, v7
	s_and_saveexec_b32 s6, s3
	s_cbranch_execz .LBB443_47
; %bb.46:                               ;   in Loop: Header=BB443_23 Depth=2
	s_wait_dscnt 0x0
	v_add_f32_e32 v7, v7, v35
	ds_store_b32 v39, v7
.LBB443_47:                             ;   in Loop: Header=BB443_23 Depth=2
	s_or_b32 exec_lo, exec_lo, s6
	v_mov_b32_e32 v7, 0
	s_wait_dscnt 0x0
	s_barrier_signal -1
	s_barrier_wait -1
	s_and_saveexec_b32 s6, s2
	s_cbranch_execnz .LBB443_64
; %bb.48:                               ;   in Loop: Header=BB443_23 Depth=2
	s_or_b32 exec_lo, exec_lo, s6
	s_and_saveexec_b32 s6, s1
	s_cbranch_execnz .LBB443_65
.LBB443_49:                             ;   in Loop: Header=BB443_23 Depth=2
	s_or_b32 exec_lo, exec_lo, s6
	s_and_saveexec_b32 s6, s0
	s_cbranch_execz .LBB443_22
	s_branch .LBB443_66
.LBB443_50:                             ;   in Loop: Header=BB443_23 Depth=2
	s_mul_i32 s60, s24, s26
	s_clause 0x3
	flat_load_u16 v1, v[26:27]
	flat_load_u16 v46, v[30:31]
	flat_load_u16 v48, v[28:29]
	flat_load_u16 v50, v[24:25]
	s_add_co_i32 s72, s60, s26
	s_ashr_i32 s61, s60, 31
	s_add_co_i32 s74, s72, s26
	v_lshl_add_u64 v[2:3], s[60:61], 1, v[22:23]
	s_ashr_i32 s75, s74, 31
	s_add_co_i32 s60, s74, s26
	v_lshl_add_u64 v[4:5], s[74:75], 1, v[22:23]
	s_ashr_i32 s61, s60, 31
	s_wait_dscnt 0x4
	flat_load_b64 v[6:7], v[2:3]
	s_ashr_i32 s73, s72, 31
	flat_load_b64 v[4:5], v[4:5]
	s_wait_xcnt 0x1
	v_lshl_add_u64 v[2:3], s[60:61], 1, v[22:23]
	flat_load_b64 v[34:35], v[2:3]
	s_wait_xcnt 0x0
	v_lshl_add_u64 v[2:3], s[72:73], 1, v[22:23]
	flat_load_b64 v[36:37], v[2:3]
	s_wait_loadcnt_dscnt 0x707
	v_cvt_f32_f16_e32 v47, v1
	s_wait_loadcnt_dscnt 0x606
	v_cvt_f32_f16_e32 v49, v46
	s_wait_loadcnt_dscnt 0x404
	s_wait_xcnt 0x0
	v_cvt_f32_f16_e32 v2, v50
	v_cvt_f32_f16_e32 v50, v48
	v_dual_mov_b32 v52, v47 :: v_dual_mov_b32 v54, v49
	s_wait_loadcnt_dscnt 0x303
	v_dual_lshrrev_b32 v1, 16, v6 :: v_dual_lshrrev_b32 v3, 16, v7
	v_cvt_f32_f16_e32 v56, v6
	s_wait_loadcnt_dscnt 0x202
	v_dual_lshrrev_b32 v51, 16, v4 :: v_dual_lshrrev_b32 v53, 16, v5
	v_cvt_f32_f16_e32 v55, v4
	v_cvt_f32_f16_e32 v4, v1
	;; [unrolled: 1-line block ×4, first 2 shown]
	s_wait_loadcnt_dscnt 0x101
	v_dual_lshrrev_b32 v1, 16, v34 :: v_dual_lshrrev_b32 v5, 16, v35
	v_cvt_f32_f16_e32 v46, v34
	v_cvt_f32_f16_e32 v48, v35
	v_cvt_f32_f16_e32 v6, v7
	s_delay_alu instid0(VALU_DEP_4)
	v_cvt_f32_f16_e32 v3, v1
	s_wait_loadcnt_dscnt 0x0
	v_cvt_f32_f16_e32 v57, v36
	v_dual_lshrrev_b32 v1, 16, v36 :: v_dual_lshrrev_b32 v62, 16, v37
	v_cvt_f32_f16_e32 v7, v37
	v_pk_mul_f32 v[34:35], v[46:47], v[2:3]
	v_cvt_f32_f16_e32 v46, v51
	v_dual_mul_f32 v36, v2, v55 :: v_dual_mov_b32 v3, v47
	v_cvt_f32_f16_e32 v51, v5
	s_delay_alu instid0(VALU_DEP_3) | instskip(SKIP_1) | instid1(VALU_DEP_4)
	v_dual_mov_b32 v37, v34 :: v_dual_mul_f32 v34, v47, v46
	v_cvt_f32_f16_e32 v5, v1
	v_pk_fma_f32 v[56:57], v[2:3], v[56:57], 0 op_sel_hi:[0,1,0]
	s_delay_alu instid0(VALU_DEP_4) | instskip(NEXT) | instid1(VALU_DEP_4)
	v_pk_mul_f32 v[46:47], v[48:49], v[50:51]
	v_pk_add_f32 v[36:37], v[36:37], 0 op_sel_hi:[1,0]
	v_cvt_f32_f16_e32 v1, v53
	v_mul_f32_e32 v60, v50, v59
	v_pk_fma_f32 v[4:5], v[52:53], v[4:5], v[56:57] op_sel_hi:[0,1,1]
	v_mov_b32_e32 v61, v46
	v_pk_add_f32 v[34:35], v[36:37], v[34:35]
	v_cvt_f32_f16_e32 v59, v62
	v_mul_f32_e32 v46, v49, v1
	v_pk_fma_f32 v[36:37], v[50:51], v[6:7], v[4:5] op_sel_hi:[0,1,1]
	v_mov_b32_e32 v4, v50
	v_pk_add_f32 v[34:35], v[34:35], v[60:61]
	v_mov_b32_e32 v5, v49
	s_delay_alu instid0(VALU_DEP_2)
	v_pk_add_f32 v[6:7], v[34:35], v[46:47]
	v_pk_fma_f32 v[34:35], v[54:55], v[58:59], v[36:37] op_sel_hi:[0,1,1]
	s_and_not1_saveexec_b32 s11, s6
	s_cbranch_execz .LBB443_25
.LBB443_51:                             ;   in Loop: Header=BB443_23 Depth=2
	s_wait_dscnt 0x0
	v_dual_mov_b32 v7, 0 :: v_dual_mov_b32 v6, 0
	v_dual_mov_b32 v35, 0 :: v_dual_mov_b32 v34, 0
	s_and_saveexec_b32 s35, s5
	s_cbranch_execz .LBB443_68
; %bb.52:                               ;   in Loop: Header=BB443_23 Depth=2
	s_and_not1_b32 vcc_lo, exec_lo, s68
	s_cbranch_vccnz .LBB443_55
; %bb.53:                               ;   in Loop: Header=BB443_23 Depth=2
	v_mov_b32_e32 v1, v10
	s_mov_b64 s[60:61], 0
.LBB443_54:                             ;   Parent Loop BB443_3 Depth=1
                                        ;     Parent Loop BB443_23 Depth=2
                                        ; =>    This Inner Loop Header: Depth=3
	v_readfirstlane_b32 s6, v20
	v_readfirstlane_b32 s7, v21
	s_cmp_eq_u32 s60, 3
	s_cselect_b32 vcc_lo, -1, 0
	s_cmp_eq_u32 s60, 2
	flat_load_u16 v6, v1, s[6:7] scale_offset
	s_wait_xcnt 0x0
	s_cselect_b32 s6, -1, 0
	s_cmp_eq_u32 s60, 1
	s_cselect_b32 s7, -1, 0
	s_cmp_eq_u32 s60, 0
	s_add_nc_u64 s[60:61], s[60:61], 1
	s_wait_loadcnt_dscnt 0x0
	v_cvt_f32_f16_e32 v6, v6
	s_delay_alu instid0(VALU_DEP_1)
	v_dual_add_nc_u32 v1, s33, v1 :: v_dual_cndmask_b32 v5, v5, v6, vcc_lo
	s_cselect_b32 vcc_lo, -1, 0
	v_dual_cndmask_b32 v4, v4, v6, s6 :: v_dual_cndmask_b32 v3, v3, v6, s7
	v_cndmask_b32_e32 v2, v2, v6, vcc_lo
	s_cmp_eq_u32 s66, s60
	s_cbranch_scc0 .LBB443_54
.LBB443_55:                             ;   in Loop: Header=BB443_23 Depth=2
	s_and_not1_b32 vcc_lo, exec_lo, s68
	s_cbranch_vccnz .LBB443_67
; %bb.56:                               ;   in Loop: Header=BB443_23 Depth=2
	v_mov_b32_e32 v34, 0
	s_ashr_i32 s55, s54, 31
	s_mov_b64 s[6:7], 0
	v_lshl_add_u64 v[36:37], s[54:55], 1, v[32:33]
	s_delay_alu instid0(VALU_DEP_2)
	v_dual_mov_b32 v35, v34 :: v_dual_mov_b32 v6, v34
	v_mov_b32_e32 v7, v34
.LBB443_57:                             ;   Parent Loop BB443_3 Depth=1
                                        ;     Parent Loop BB443_23 Depth=2
                                        ; =>    This Inner Loop Header: Depth=3
	s_cmp_eq_u32 s6, 1
	s_cselect_b32 vcc_lo, -1, 0
	s_cmp_eq_u32 s6, 2
	v_cndmask_b32_e32 v1, v2, v3, vcc_lo
	s_cselect_b32 vcc_lo, -1, 0
	s_cmp_eq_u32 s6, 3
	s_delay_alu instid0(VALU_DEP_1)
	v_cndmask_b32_e32 v1, v1, v4, vcc_lo
	s_cselect_b32 vcc_lo, -1, 0
	s_add_co_i32 s74, s8, s6
	s_add_co_i32 s72, s56, s6
	;; [unrolled: 1-line block ×3, first 2 shown]
	s_ashr_i32 s75, s74, 31
	s_ashr_i32 s73, s72, 31
	;; [unrolled: 1-line block ×3, first 2 shown]
	v_lshl_add_u64 v[46:47], s[74:75], 1, v[22:23]
	v_lshl_add_u64 v[48:49], s[72:73], 1, v[22:23]
	;; [unrolled: 1-line block ×3, first 2 shown]
	flat_load_u16 v52, v[36:37]
	s_clause 0x2
	flat_load_u16 v47, v[46:47]
	flat_load_u16 v49, v[48:49]
	;; [unrolled: 1-line block ×3, first 2 shown]
	s_wait_xcnt 0x2
	v_cndmask_b32_e32 v46, v1, v5, vcc_lo
	v_add_nc_u64_e32 v[36:37], 2, v[36:37]
	s_add_nc_u64 s[6:7], s[6:7], 1
	s_delay_alu instid0(SALU_CYCLE_1)
	s_cmp_lg_u32 s66, s6
	s_wait_loadcnt_dscnt 0x303
	s_wait_xcnt 0x1
	v_cvt_f32_f16_e32 v48, v52
	s_wait_loadcnt_dscnt 0x202
	s_wait_xcnt 0x0
	v_cvt_f32_f16_e32 v51, v47
	s_wait_loadcnt_dscnt 0x101
	v_cvt_f32_f16_e32 v50, v49
	s_wait_loadcnt_dscnt 0x0
	v_cvt_f32_f16_e32 v49, v53
	s_delay_alu instid0(VALU_DEP_2) | instskip(NEXT) | instid1(VALU_DEP_2)
	v_pk_fma_f32 v[6:7], v[46:47], v[50:51], v[6:7] op_sel_hi:[0,1,1]
	v_pk_fma_f32 v[34:35], v[46:47], v[48:49], v[34:35] op_sel_hi:[0,1,1]
	s_cbranch_scc1 .LBB443_57
	s_branch .LBB443_68
.LBB443_58:                             ;   in Loop: Header=BB443_23 Depth=2
	ds_load_b32 v1, v38
	s_or_b32 exec_lo, exec_lo, s6
	s_and_saveexec_b32 s6, s1
	s_cbranch_execz .LBB443_31
.LBB443_59:                             ;   in Loop: Header=BB443_23 Depth=2
	s_wait_dscnt 0x0
	ds_bpermute_b32 v34, v43, v1
	s_wait_dscnt 0x0
	v_add_f32_e32 v1, v1, v34
	ds_bpermute_b32 v34, v44, v1
	s_wait_dscnt 0x0
	v_add_f32_e32 v1, v1, v34
	;; [unrolled: 3-line block ×3, first 2 shown]
	s_or_b32 exec_lo, exec_lo, s6
	s_and_saveexec_b32 s6, s1
	s_cbranch_execnz .LBB443_32
	s_branch .LBB443_33
.LBB443_60:                             ;   in Loop: Header=BB443_23 Depth=2
	ds_load_b32 v34, v38
	s_or_b32 exec_lo, exec_lo, s6
	s_and_saveexec_b32 s6, s1
	s_cbranch_execz .LBB443_37
.LBB443_61:                             ;   in Loop: Header=BB443_23 Depth=2
	s_wait_dscnt 0x0
	ds_bpermute_b32 v35, v43, v34
	s_wait_dscnt 0x0
	v_add_f32_e32 v34, v34, v35
	ds_bpermute_b32 v35, v44, v34
	s_wait_dscnt 0x0
	v_add_f32_e32 v34, v34, v35
	;; [unrolled: 3-line block ×3, first 2 shown]
	s_or_b32 exec_lo, exec_lo, s6
	s_and_saveexec_b32 s6, s1
	s_cbranch_execnz .LBB443_38
	s_branch .LBB443_39
.LBB443_62:                             ;   in Loop: Header=BB443_23 Depth=2
	ds_load_b32 v6, v38
	s_or_b32 exec_lo, exec_lo, s6
	s_and_saveexec_b32 s6, s1
	s_cbranch_execz .LBB443_43
.LBB443_63:                             ;   in Loop: Header=BB443_23 Depth=2
	s_wait_dscnt 0x0
	ds_bpermute_b32 v35, v43, v6
	s_wait_dscnt 0x0
	v_add_f32_e32 v6, v6, v35
	ds_bpermute_b32 v35, v44, v6
	s_wait_dscnt 0x0
	v_add_f32_e32 v6, v6, v35
	;; [unrolled: 3-line block ×3, first 2 shown]
	s_or_b32 exec_lo, exec_lo, s6
	s_and_saveexec_b32 s6, s1
	s_cbranch_execnz .LBB443_44
	s_branch .LBB443_45
.LBB443_64:                             ;   in Loop: Header=BB443_23 Depth=2
	ds_load_b32 v7, v38
	s_or_b32 exec_lo, exec_lo, s6
	s_and_saveexec_b32 s6, s1
	s_cbranch_execz .LBB443_49
.LBB443_65:                             ;   in Loop: Header=BB443_23 Depth=2
	s_wait_dscnt 0x0
	ds_bpermute_b32 v35, v43, v7
	s_wait_dscnt 0x0
	v_add_f32_e32 v7, v7, v35
	ds_bpermute_b32 v35, v44, v7
	s_wait_dscnt 0x0
	v_add_f32_e32 v7, v7, v35
	;; [unrolled: 3-line block ×3, first 2 shown]
	s_or_b32 exec_lo, exec_lo, s6
	s_and_saveexec_b32 s6, s0
	s_cbranch_execz .LBB443_22
.LBB443_66:                             ;   in Loop: Header=BB443_23 Depth=2
	s_mul_i32 s7, s24, s30
	v_dual_mul_f32 v1, s22, v1 :: v_dual_mul_f32 v34, s22, v34
	s_add_co_i32 s7, s7, s34
	s_delay_alu instid0(SALU_CYCLE_1) | instskip(NEXT) | instid1(SALU_CYCLE_1)
	s_add_co_i32 s11, s7, s30
	v_dual_mov_b32 v35, s7 :: v_dual_mov_b32 v36, s11
	s_add_co_i32 s7, s11, s30
	s_delay_alu instid0(SALU_CYCLE_1)
	v_dual_mul_f32 v6, s22, v6 :: v_dual_mov_b32 v37, s7
	s_add_co_i32 s7, s7, s30
	s_wait_dscnt 0x0
	v_dual_mul_f32 v7, s22, v7 :: v_dual_mov_b32 v46, s7
	s_clause 0x3
	global_store_b32 v35, v1, s[52:53] scale_offset
	global_store_b32 v36, v34, s[52:53] scale_offset
	;; [unrolled: 1-line block ×4, first 2 shown]
	s_branch .LBB443_22
.LBB443_67:                             ;   in Loop: Header=BB443_23 Depth=2
	v_mov_b32_e32 v7, 0
	s_delay_alu instid0(VALU_DEP_1)
	v_dual_mov_b32 v6, v7 :: v_dual_mov_b32 v35, v7
	v_mov_b32_e32 v34, v7
.LBB443_68:                             ;   in Loop: Header=BB443_23 Depth=2
	s_or_b32 exec_lo, exec_lo, s35
	s_delay_alu instid0(SALU_CYCLE_1)
	s_or_b32 exec_lo, exec_lo, s11
	s_and_saveexec_b32 s6, s1
	s_cbranch_execnz .LBB443_26
	s_branch .LBB443_27
.LBB443_69:                             ;   in Loop: Header=BB443_3 Depth=1
	v_dual_mov_b32 v1, v0 :: v_dual_mov_b32 v2, v0
	v_mov_b32_e32 v3, v0
	s_mov_b32 s24, 0
	s_delay_alu instid0(VALU_DEP_1) | instskip(NEXT) | instid1(VALU_DEP_3)
	v_mov_b64_e32 v[4:5], v[2:3]
	v_mov_b64_e32 v[2:3], v[0:1]
.LBB443_70:                             ;   in Loop: Header=BB443_3 Depth=1
	s_cmp_ge_i32 s24, s21
	s_cbranch_scc1 .LBB443_2
; %bb.71:                               ;   in Loop: Header=BB443_3 Depth=1
	v_cmp_gt_u32_e32 vcc_lo, 24, v40
	s_add_nc_u64 s[8:9], s[52:53], s[38:39]
	s_mul_i32 s52, s26, s24
	v_cndmask_b32_e64 v1, 0, 8, vcc_lo
	v_cmp_gt_u32_e32 vcc_lo, 28, v40
	s_delay_alu instid0(VALU_DEP_2) | instskip(SKIP_4) | instid1(VALU_DEP_2)
	v_add_lshl_u32 v1, v1, v40, 2
	s_wait_dscnt 0x0
	v_cndmask_b32_e64 v6, 0, 4, vcc_lo
	v_cmp_gt_u32_e32 vcc_lo, 30, v40
	s_wait_dscnt 0x0
	v_add_lshl_u32 v7, v6, v40, 2
	v_cndmask_b32_e64 v34, 0, 2, vcc_lo
	v_cmp_ne_u32_e32 vcc_lo, 31, v40
	s_delay_alu instid0(VALU_DEP_2) | instskip(SKIP_1) | instid1(VALU_DEP_1)
	v_add_lshl_u32 v36, v34, v40, 2
	v_add_co_ci_u32_e64 v35, null, 0, v40, vcc_lo
	v_lshlrev_b32_e32 v37, 2, v35
	s_branch .LBB443_73
.LBB443_72:                             ;   in Loop: Header=BB443_73 Depth=2
	s_wait_xcnt 0x0
	s_or_b32 exec_lo, exec_lo, s6
	s_add_co_i32 s24, s24, 1
	s_add_co_i32 s52, s52, s26
	s_cmp_ge_i32 s24, s21
	s_cbranch_scc1 .LBB443_2
.LBB443_73:                             ;   Parent Loop BB443_3 Depth=1
                                        ; =>  This Loop Header: Depth=2
                                        ;       Child Loop BB443_86 Depth 3
                                        ;       Child Loop BB443_89 Depth 3
	s_wait_dscnt 0x0
	v_mov_b32_e32 v6, s25
	s_and_saveexec_b32 s6, s4
	s_delay_alu instid0(SALU_CYCLE_1)
	s_xor_b32 s6, exec_lo, s6
	s_cbranch_execnz .LBB443_82
; %bb.74:                               ;   in Loop: Header=BB443_73 Depth=2
	s_and_not1_saveexec_b32 s11, s6
	s_cbranch_execnz .LBB443_83
.LBB443_75:                             ;   in Loop: Header=BB443_73 Depth=2
	s_or_b32 exec_lo, exec_lo, s11
	s_and_saveexec_b32 s6, s1
.LBB443_76:                             ;   in Loop: Header=BB443_73 Depth=2
	ds_store_b32 v38, v0
.LBB443_77:                             ;   in Loop: Header=BB443_73 Depth=2
	s_or_b32 exec_lo, exec_lo, s6
	ds_bpermute_b32 v34, v41, v6
	s_wait_storecnt_dscnt 0x0
	s_barrier_signal -1
	s_barrier_wait -1
	v_add_f32_e32 v6, v6, v34
	ds_bpermute_b32 v34, v1, v6
	s_wait_dscnt 0x0
	v_add_f32_e32 v6, v6, v34
	ds_bpermute_b32 v34, v7, v6
	s_wait_dscnt 0x0
	;; [unrolled: 3-line block ×3, first 2 shown]
	v_add_f32_e32 v6, v6, v34
	ds_bpermute_b32 v34, v37, v6
	s_and_saveexec_b32 s6, s3
	s_cbranch_execz .LBB443_79
; %bb.78:                               ;   in Loop: Header=BB443_73 Depth=2
	s_wait_dscnt 0x0
	v_add_f32_e32 v6, v6, v34
	ds_store_b32 v39, v6
.LBB443_79:                             ;   in Loop: Header=BB443_73 Depth=2
	s_or_b32 exec_lo, exec_lo, s6
	v_mov_b32_e32 v6, 0
	s_wait_dscnt 0x0
	s_barrier_signal -1
	s_barrier_wait -1
	s_and_saveexec_b32 s6, s2
	s_cbranch_execnz .LBB443_91
; %bb.80:                               ;   in Loop: Header=BB443_73 Depth=2
	s_or_b32 exec_lo, exec_lo, s6
	s_and_saveexec_b32 s6, s1
	s_cbranch_execnz .LBB443_92
.LBB443_81:                             ;   in Loop: Header=BB443_73 Depth=2
	s_or_b32 exec_lo, exec_lo, s6
	s_and_saveexec_b32 s6, s0
	s_cbranch_execz .LBB443_72
	s_branch .LBB443_93
.LBB443_82:                             ;   in Loop: Header=BB443_73 Depth=2
	s_mul_i32 s54, s24, s26
	s_delay_alu instid0(SALU_CYCLE_1) | instskip(NEXT) | instid1(SALU_CYCLE_1)
	s_ashr_i32 s55, s54, 31
	v_lshl_add_u64 v[2:3], s[54:55], 1, v[22:23]
	flat_load_b64 v[34:35], v[2:3]
	s_clause 0x3
	flat_load_u16 v2, v[26:27]
	flat_load_u16 v4, v[24:25]
	;; [unrolled: 1-line block ×4, first 2 shown]
	s_wait_loadcnt_dscnt 0x404
	v_dual_lshrrev_b32 v5, 16, v34 :: v_dual_lshrrev_b32 v45, 16, v35
	s_wait_loadcnt_dscnt 0x303
	v_cvt_f32_f16_e32 v3, v2
	s_wait_loadcnt_dscnt 0x202
	v_cvt_f32_f16_e32 v2, v4
	v_cvt_f32_f16_e32 v4, v34
	;; [unrolled: 1-line block ×5, first 2 shown]
	s_delay_alu instid0(VALU_DEP_3)
	v_pk_mul_f32 v[42:43], v[2:3], v[4:5]
	s_wait_loadcnt_dscnt 0x101
	v_cvt_f32_f16_e32 v5, v6
	s_wait_loadcnt_dscnt 0x0
	v_cvt_f32_f16_e32 v4, v44
	v_add_f32_e32 v6, 0, v42
	s_delay_alu instid0(VALU_DEP_2) | instskip(NEXT) | instid1(VALU_DEP_2)
	v_pk_mul_f32 v[34:35], v[4:5], v[34:35]
	v_add_f32_e32 v6, v6, v43
	s_delay_alu instid0(VALU_DEP_1) | instskip(NEXT) | instid1(VALU_DEP_1)
	v_add_f32_e32 v6, v6, v34
	v_add_f32_e32 v6, v6, v35
	s_wait_xcnt 0x0
	s_and_not1_saveexec_b32 s11, s6
	s_cbranch_execz .LBB443_75
.LBB443_83:                             ;   in Loop: Header=BB443_73 Depth=2
	s_and_saveexec_b32 s35, s5
	s_cbranch_execz .LBB443_90
; %bb.84:                               ;   in Loop: Header=BB443_73 Depth=2
	s_and_not1_b32 vcc_lo, exec_lo, s68
	s_cbranch_vccnz .LBB443_87
; %bb.85:                               ;   in Loop: Header=BB443_73 Depth=2
	v_mov_b32_e32 v34, v10
	s_mov_b64 s[54:55], 0
.LBB443_86:                             ;   Parent Loop BB443_3 Depth=1
                                        ;     Parent Loop BB443_73 Depth=2
                                        ; =>    This Inner Loop Header: Depth=3
	v_readfirstlane_b32 s6, v20
	v_readfirstlane_b32 s7, v21
	s_cmp_eq_u32 s54, 3
	s_cselect_b32 vcc_lo, -1, 0
	s_cmp_eq_u32 s54, 2
	flat_load_u16 v35, v34, s[6:7] scale_offset
	s_wait_xcnt 0x0
	s_cselect_b32 s6, -1, 0
	s_cmp_eq_u32 s54, 1
	s_cselect_b32 s7, -1, 0
	s_cmp_eq_u32 s54, 0
	s_add_nc_u64 s[54:55], s[54:55], 1
	s_wait_loadcnt_dscnt 0x0
	v_cvt_f32_f16_e32 v35, v35
	s_delay_alu instid0(VALU_DEP_1)
	v_dual_cndmask_b32 v5, v5, v35 :: v_dual_add_nc_u32 v34, s33, v34
	s_cselect_b32 vcc_lo, -1, 0
	v_dual_cndmask_b32 v4, v4, v35, s6 :: v_dual_cndmask_b32 v3, v3, v35, s7
	v_cndmask_b32_e32 v2, v2, v35, vcc_lo
	s_cmp_eq_u32 s66, s54
	s_cbranch_scc0 .LBB443_86
.LBB443_87:                             ;   in Loop: Header=BB443_73 Depth=2
	s_and_not1_b32 vcc_lo, exec_lo, s68
	s_cbranch_vccnz .LBB443_90
; %bb.88:                               ;   in Loop: Header=BB443_73 Depth=2
	s_ashr_i32 s53, s52, 31
	s_mov_b64 s[6:7], 0
	v_lshl_add_u64 v[34:35], s[52:53], 1, v[32:33]
.LBB443_89:                             ;   Parent Loop BB443_3 Depth=1
                                        ;     Parent Loop BB443_73 Depth=2
                                        ; =>    This Inner Loop Header: Depth=3
	flat_load_u16 v42, v[34:35]
	s_cmp_eq_u32 s6, 1
	s_wait_xcnt 0x0
	v_add_nc_u64_e32 v[34:35], 2, v[34:35]
	s_cselect_b32 vcc_lo, -1, 0
	s_cmp_eq_u32 s6, 2
	v_cndmask_b32_e32 v43, v2, v3, vcc_lo
	s_cselect_b32 vcc_lo, -1, 0
	s_cmp_eq_u32 s6, 3
	s_add_nc_u64 s[6:7], s[6:7], 1
	s_delay_alu instid0(VALU_DEP_1) | instskip(SKIP_2) | instid1(VALU_DEP_1)
	v_cndmask_b32_e32 v43, v43, v4, vcc_lo
	s_cselect_b32 vcc_lo, -1, 0
	s_cmp_lg_u32 s66, s6
	v_cndmask_b32_e32 v43, v43, v5, vcc_lo
	s_wait_loadcnt_dscnt 0x0
	s_delay_alu instid0(VALU_DEP_1)
	v_fma_mix_f32 v6, v43, v42, v6 op_sel_hi:[0,1,0]
	s_cbranch_scc1 .LBB443_89
.LBB443_90:                             ;   in Loop: Header=BB443_73 Depth=2
	s_or_b32 exec_lo, exec_lo, s35
	s_delay_alu instid0(SALU_CYCLE_1)
	s_or_b32 exec_lo, exec_lo, s11
	s_and_saveexec_b32 s6, s1
	s_cbranch_execnz .LBB443_76
	s_branch .LBB443_77
.LBB443_91:                             ;   in Loop: Header=BB443_73 Depth=2
	ds_load_b32 v6, v38
	s_or_b32 exec_lo, exec_lo, s6
	s_and_saveexec_b32 s6, s1
	s_cbranch_execz .LBB443_81
.LBB443_92:                             ;   in Loop: Header=BB443_73 Depth=2
	s_wait_dscnt 0x0
	ds_bpermute_b32 v34, v7, v6
	s_wait_dscnt 0x0
	v_add_f32_e32 v6, v6, v34
	ds_bpermute_b32 v34, v36, v6
	s_wait_dscnt 0x0
	v_add_f32_e32 v6, v6, v34
	;; [unrolled: 3-line block ×3, first 2 shown]
	s_or_b32 exec_lo, exec_lo, s6
	s_and_saveexec_b32 s6, s0
	s_cbranch_execz .LBB443_72
.LBB443_93:                             ;   in Loop: Header=BB443_73 Depth=2
	s_mul_u64 s[54:55], s[24:25], s[30:31]
	s_wait_dscnt 0x0
	v_mul_f32_e32 v6, s22, v6
	s_lshl_b64 s[54:55], s[54:55], 2
	s_delay_alu instid0(SALU_CYCLE_1)
	s_add_nc_u64 s[54:55], s[8:9], s[54:55]
	global_store_b32 v0, v6, s[54:55]
	s_branch .LBB443_72
.LBB443_94:
	s_endpgm
	.section	.rodata,"a",@progbits
	.p2align	6, 0x0
	.amdhsa_kernel _ZL23rocblas_gemvt_sn_kernelILb0ELi256ELi4EiPKDF16_ffEviiT4_lPKT3_lilS5_lilPT5_i
		.amdhsa_group_segment_fixed_size 128
		.amdhsa_private_segment_fixed_size 0
		.amdhsa_kernarg_size 360
		.amdhsa_user_sgpr_count 2
		.amdhsa_user_sgpr_dispatch_ptr 0
		.amdhsa_user_sgpr_queue_ptr 0
		.amdhsa_user_sgpr_kernarg_segment_ptr 1
		.amdhsa_user_sgpr_dispatch_id 0
		.amdhsa_user_sgpr_kernarg_preload_length 0
		.amdhsa_user_sgpr_kernarg_preload_offset 0
		.amdhsa_user_sgpr_private_segment_size 0
		.amdhsa_wavefront_size32 1
		.amdhsa_uses_dynamic_stack 0
		.amdhsa_enable_private_segment 0
		.amdhsa_system_sgpr_workgroup_id_x 1
		.amdhsa_system_sgpr_workgroup_id_y 0
		.amdhsa_system_sgpr_workgroup_id_z 1
		.amdhsa_system_sgpr_workgroup_info 0
		.amdhsa_system_vgpr_workitem_id 0
		.amdhsa_next_free_vgpr 63
		.amdhsa_next_free_sgpr 76
		.amdhsa_named_barrier_count 0
		.amdhsa_reserve_vcc 1
		.amdhsa_float_round_mode_32 0
		.amdhsa_float_round_mode_16_64 0
		.amdhsa_float_denorm_mode_32 3
		.amdhsa_float_denorm_mode_16_64 3
		.amdhsa_fp16_overflow 0
		.amdhsa_memory_ordered 1
		.amdhsa_forward_progress 1
		.amdhsa_inst_pref_size 33
		.amdhsa_round_robin_scheduling 0
		.amdhsa_exception_fp_ieee_invalid_op 0
		.amdhsa_exception_fp_denorm_src 0
		.amdhsa_exception_fp_ieee_div_zero 0
		.amdhsa_exception_fp_ieee_overflow 0
		.amdhsa_exception_fp_ieee_underflow 0
		.amdhsa_exception_fp_ieee_inexact 0
		.amdhsa_exception_int_div_zero 0
	.end_amdhsa_kernel
	.section	.text._ZL23rocblas_gemvt_sn_kernelILb0ELi256ELi4EiPKDF16_ffEviiT4_lPKT3_lilS5_lilPT5_i,"axG",@progbits,_ZL23rocblas_gemvt_sn_kernelILb0ELi256ELi4EiPKDF16_ffEviiT4_lPKT3_lilS5_lilPT5_i,comdat
.Lfunc_end443:
	.size	_ZL23rocblas_gemvt_sn_kernelILb0ELi256ELi4EiPKDF16_ffEviiT4_lPKT3_lilS5_lilPT5_i, .Lfunc_end443-_ZL23rocblas_gemvt_sn_kernelILb0ELi256ELi4EiPKDF16_ffEviiT4_lPKT3_lilS5_lilPT5_i
                                        ; -- End function
	.set _ZL23rocblas_gemvt_sn_kernelILb0ELi256ELi4EiPKDF16_ffEviiT4_lPKT3_lilS5_lilPT5_i.num_vgpr, 63
	.set _ZL23rocblas_gemvt_sn_kernelILb0ELi256ELi4EiPKDF16_ffEviiT4_lPKT3_lilS5_lilPT5_i.num_agpr, 0
	.set _ZL23rocblas_gemvt_sn_kernelILb0ELi256ELi4EiPKDF16_ffEviiT4_lPKT3_lilS5_lilPT5_i.numbered_sgpr, 76
	.set _ZL23rocblas_gemvt_sn_kernelILb0ELi256ELi4EiPKDF16_ffEviiT4_lPKT3_lilS5_lilPT5_i.num_named_barrier, 0
	.set _ZL23rocblas_gemvt_sn_kernelILb0ELi256ELi4EiPKDF16_ffEviiT4_lPKT3_lilS5_lilPT5_i.private_seg_size, 0
	.set _ZL23rocblas_gemvt_sn_kernelILb0ELi256ELi4EiPKDF16_ffEviiT4_lPKT3_lilS5_lilPT5_i.uses_vcc, 1
	.set _ZL23rocblas_gemvt_sn_kernelILb0ELi256ELi4EiPKDF16_ffEviiT4_lPKT3_lilS5_lilPT5_i.uses_flat_scratch, 1
	.set _ZL23rocblas_gemvt_sn_kernelILb0ELi256ELi4EiPKDF16_ffEviiT4_lPKT3_lilS5_lilPT5_i.has_dyn_sized_stack, 0
	.set _ZL23rocblas_gemvt_sn_kernelILb0ELi256ELi4EiPKDF16_ffEviiT4_lPKT3_lilS5_lilPT5_i.has_recursion, 0
	.set _ZL23rocblas_gemvt_sn_kernelILb0ELi256ELi4EiPKDF16_ffEviiT4_lPKT3_lilS5_lilPT5_i.has_indirect_call, 0
	.section	.AMDGPU.csdata,"",@progbits
; Kernel info:
; codeLenInByte = 4224
; TotalNumSgprs: 78
; NumVgprs: 63
; ScratchSize: 0
; MemoryBound: 0
; FloatMode: 240
; IeeeMode: 1
; LDSByteSize: 128 bytes/workgroup (compile time only)
; SGPRBlocks: 0
; VGPRBlocks: 3
; NumSGPRsForWavesPerEU: 78
; NumVGPRsForWavesPerEU: 63
; NamedBarCnt: 0
; Occupancy: 16
; WaveLimiterHint : 0
; COMPUTE_PGM_RSRC2:SCRATCH_EN: 0
; COMPUTE_PGM_RSRC2:USER_SGPR: 2
; COMPUTE_PGM_RSRC2:TRAP_HANDLER: 0
; COMPUTE_PGM_RSRC2:TGID_X_EN: 1
; COMPUTE_PGM_RSRC2:TGID_Y_EN: 0
; COMPUTE_PGM_RSRC2:TGID_Z_EN: 1
; COMPUTE_PGM_RSRC2:TIDIG_COMP_CNT: 0
	.section	.text._ZL23rocblas_gemvt_sn_kernelILb0ELi256ELi4ElPKDF16_ffEviiT4_lPKT3_lilS5_lilPT5_i,"axG",@progbits,_ZL23rocblas_gemvt_sn_kernelILb0ELi256ELi4ElPKDF16_ffEviiT4_lPKT3_lilS5_lilPT5_i,comdat
	.globl	_ZL23rocblas_gemvt_sn_kernelILb0ELi256ELi4ElPKDF16_ffEviiT4_lPKT3_lilS5_lilPT5_i ; -- Begin function _ZL23rocblas_gemvt_sn_kernelILb0ELi256ELi4ElPKDF16_ffEviiT4_lPKT3_lilS5_lilPT5_i
	.p2align	8
	.type	_ZL23rocblas_gemvt_sn_kernelILb0ELi256ELi4ElPKDF16_ffEviiT4_lPKT3_lilS5_lilPT5_i,@function
_ZL23rocblas_gemvt_sn_kernelILb0ELi256ELi4ElPKDF16_ffEviiT4_lPKT3_lilS5_lilPT5_i: ; @_ZL23rocblas_gemvt_sn_kernelILb0ELi256ELi4ElPKDF16_ffEviiT4_lPKT3_lilS5_lilPT5_i
; %bb.0:
	s_load_b32 s23, s[0:1], 0x60
	s_bfe_u32 s2, ttmp6, 0x40014
	s_lshr_b32 s3, ttmp7, 16
	s_add_co_i32 s2, s2, 1
	s_bfe_u32 s5, ttmp6, 0x40008
	s_mul_i32 s2, s3, s2
	s_getreg_b32 s4, hwreg(HW_REG_IB_STS2, 6, 4)
	s_add_co_i32 s5, s5, s2
	s_cmp_eq_u32 s4, 0
	s_mov_b32 s25, 0
	s_cselect_b32 s10, s3, s5
	s_wait_kmcnt 0x0
	s_cmp_ge_u32 s10, s23
	s_cbranch_scc1 .LBB444_94
; %bb.1:
	s_clause 0x6
	s_load_b32 s26, s[0:1], 0x28
	s_load_b32 s6, s[0:1], 0x48
	s_load_b96 s[20:22], s[0:1], 0x0
	s_load_b128 s[12:15], s[0:1], 0x18
	s_load_b128 s[16:19], s[0:1], 0x38
	s_load_b64 s[28:29], s[0:1], 0x58
	s_load_b32 s30, s[0:1], 0x68
	s_wait_xcnt 0x0
	v_cmp_eq_u32_e64 s0, 0, v0
	v_dual_lshrrev_b32 v3, 3, v0 :: v_dual_bitop2_b32 v1, 31, v0 bitop3:0x40
	v_cmp_gt_u32_e64 s1, 32, v0
	v_cmp_gt_u32_e64 s2, 8, v0
	s_delay_alu instid0(VALU_DEP_3) | instskip(SKIP_4) | instid1(VALU_DEP_2)
	v_dual_mov_b32 v2, 0 :: v_dual_lshlrev_b32 v47, 2, v1
	v_cmp_eq_u32_e64 s3, 0, v1
	v_mbcnt_lo_u32_b32 v46, -1, 0
	v_mov_b64_e32 v[22:23], 0
	s_mov_b32 s31, s25
	v_lshl_or_b32 v49, v46, 2, 64
	s_wait_kmcnt 0x0
	s_ashr_i32 s27, s26, 31
	s_ashr_i32 s7, s6, 31
	s_cmp_neq_f32 s22, 0
	s_mov_b32 s8, s21
	s_mul_u64 s[34:35], s[26:27], 6
	s_cselect_b32 s33, -1, 0
	s_cmp_eq_f32 s22, 0
	s_cselect_b32 s56, -1, 0
	s_ashr_i32 s9, s21, 31
	s_cmp_gt_i32 s21, 0
	s_mul_u64 s[36:37], s[8:9], s[30:31]
	s_cselect_b32 s5, -1, 0
	s_bfe_u32 s11, ttmp6, 0x4000c
	s_and_b32 s24, ttmp6, 15
	s_add_co_i32 s11, s11, 1
	s_and_b32 s57, s0, s5
	s_mul_i32 s11, ttmp9, s11
	s_delay_alu instid0(SALU_CYCLE_1)
	s_add_co_i32 s24, s24, s11
	s_cmp_eq_u32 s4, 0
	s_cselect_b32 s24, ttmp9, s24
	s_ashr_i32 s5, s20, 31
	s_lshl_b32 s11, s24, 10
	s_lshr_b32 s4, s9, 30
	v_lshl_or_b32 v8, v0, 2, s11
	s_lshr_b32 s5, s5, 30
	s_add_co_i32 s4, s21, s4
	s_add_co_i32 s5, s20, s5
	s_delay_alu instid0(VALU_DEP_1)
	v_dual_ashrrev_i32 v9, 31, v8 :: v_dual_bitop2_b32 v48, 28, v3 bitop3:0x40
	s_and_b32 s58, s4, -4
	s_and_b32 s4, s5, -4
	v_dual_add_nc_u32 v3, 4, v8 :: v_dual_bitop2_b32 v4, 2, v8 bitop3:0x54
	s_sub_co_i32 s59, s20, s4
	v_or_b32_e32 v6, 3, v8
	v_or_b32_e32 v0, 1, v8
	v_mul_u64_e32 v[10:11], s[6:7], v[8:9]
	v_ashrrev_i32_e32 v5, 31, v4
	s_cmp_gt_i32 s58, 0
	s_delay_alu instid0(VALU_DEP_3) | instskip(SKIP_1) | instid1(VALU_DEP_2)
	v_dual_ashrrev_i32 v7, 31, v6 :: v_dual_ashrrev_i32 v1, 31, v0
	s_cselect_b32 s60, -1, 0
	v_mul_u64_e32 v[14:15], s[6:7], v[4:5]
	s_cmp_gt_i32 s59, 0
	v_cmp_ge_i32_e64 s4, s20, v3
	v_mul_u64_e32 v[12:13], s[6:7], v[0:1]
	v_add_nc_u32_e32 v0, s59, v8
	v_mul_u64_e32 v[16:17], s[6:7], v[6:7]
	s_cselect_b32 s61, -1, 0
	s_cmp_gt_u32 s21, 1
	v_lshlrev_b64_e32 v[18:19], 1, v[8:9]
	s_cselect_b32 s11, -1, 0
	s_cmp_eq_u32 s30, 1
	v_cmp_ge_i32_e64 s5, s20, v0
	s_cselect_b32 s38, -1, 0
	s_and_b32 s20, s21, 0x7ffffffe
	s_and_b32 s62, s11, s38
	s_cmp_lg_u32 s21, s20
	s_cselect_b32 s63, -1, 0
	s_lshl_b64 s[38:39], s[24:25], 2
	s_lshl_b64 s[40:41], s[8:9], 2
	;; [unrolled: 1-line block ×6, first 2 shown]
	s_add_nc_u64 s[50:51], s[28:29], s[38:39]
	s_lshl_b64 s[52:53], s[26:27], 1
	v_lshlrev_b64_e32 v[20:21], 1, v[10:11]
	s_lshl_b64 s[14:15], s[14:15], 1
	s_lshl_b64 s[18:19], s[18:19], 1
	s_branch .LBB444_3
.LBB444_2:                              ;   in Loop: Header=BB444_3 Depth=1
	s_add_co_i32 s10, s10, 0x10000
	s_delay_alu instid0(SALU_CYCLE_1)
	s_cmp_lt_u32 s10, s23
	s_cbranch_scc0 .LBB444_94
.LBB444_3:                              ; =>This Loop Header: Depth=1
                                        ;     Child Loop BB444_11 Depth 2
                                        ;     Child Loop BB444_17 Depth 2
	;; [unrolled: 1-line block ×3, first 2 shown]
                                        ;       Child Loop BB444_54 Depth 3
                                        ;       Child Loop BB444_57 Depth 3
                                        ;     Child Loop BB444_73 Depth 2
                                        ;       Child Loop BB444_86 Depth 3
                                        ;       Child Loop BB444_89 Depth 3
	s_mov_b32 s11, s25
	s_and_not1_b32 vcc_lo, exec_lo, s56
	s_mov_b32 s6, -1
	s_cbranch_vccz .LBB444_13
; %bb.4:                                ;   in Loop: Header=BB444_3 Depth=1
	v_mov_b64_e32 v[6:7], 0
	s_wait_dscnt 0x0
	v_mov_b64_e32 v[0:1], 0
	s_and_not1_b32 vcc_lo, exec_lo, s6
	s_cbranch_vccz .LBB444_14
.LBB444_5:                              ;   in Loop: Header=BB444_3 Depth=1
	s_and_not1_b32 vcc_lo, exec_lo, s33
	s_cbranch_vccnz .LBB444_7
.LBB444_6:                              ;   in Loop: Header=BB444_3 Depth=1
	s_wait_xcnt 0x0
	s_lshl_b64 s[6:7], s[10:11], 3
	s_delay_alu instid0(SALU_CYCLE_1)
	s_add_nc_u64 s[6:7], s[16:17], s[6:7]
	global_load_b64 v[4:5], v2, s[6:7]
	s_wait_loadcnt 0x0
	v_add_nc_u64_e32 v[6:7], s[18:19], v[4:5]
.LBB444_7:                              ;   in Loop: Header=BB444_3 Depth=1
	s_wait_xcnt 0x0
	s_mul_u64 s[6:7], s[36:37], s[10:11]
	s_and_not1_b32 vcc_lo, exec_lo, s56
	s_lshl_b64 s[6:7], s[6:7], 2
	s_delay_alu instid0(SALU_CYCLE_1)
	s_add_nc_u64 s[54:55], s[28:29], s[6:7]
	s_mov_b32 s6, -1
	s_cbranch_vccnz .LBB444_19
; %bb.8:                                ;   in Loop: Header=BB444_3 Depth=1
	s_and_saveexec_b32 s8, s57
	s_cbranch_execz .LBB444_18
; %bb.9:                                ;   in Loop: Header=BB444_3 Depth=1
	s_and_not1_b32 vcc_lo, exec_lo, s62
	s_cbranch_vccnz .LBB444_15
; %bb.10:                               ;   in Loop: Header=BB444_3 Depth=1
	s_add_nc_u64 s[6:7], s[54:55], s[38:39]
	s_mov_b32 s9, s20
.LBB444_11:                             ;   Parent Loop BB444_3 Depth=1
                                        ; =>  This Inner Loop Header: Depth=2
	s_delay_alu instid0(SALU_CYCLE_1)
	s_add_co_i32 s9, s9, -2
	global_store_b64 v2, v[22:23], s[6:7]
	s_wait_xcnt 0x0
	s_add_nc_u64 s[6:7], s[6:7], 8
	s_mov_b32 s24, s20
	s_cmp_lg_u32 s9, 0
	s_mov_b32 s64, s63
	s_cbranch_scc1 .LBB444_11
; %bb.12:                               ;   in Loop: Header=BB444_3 Depth=1
	s_and_b32 vcc_lo, exec_lo, s64
	s_cbranch_vccnz .LBB444_16
	s_branch .LBB444_18
.LBB444_13:                             ;   in Loop: Header=BB444_3 Depth=1
	v_mov_b64_e32 v[6:7], 0
	s_wait_dscnt 0x0
	v_mov_b64_e32 v[0:1], 0
	s_cbranch_execnz .LBB444_5
.LBB444_14:                             ;   in Loop: Header=BB444_3 Depth=1
	s_lshl_b64 s[6:7], s[10:11], 3
	s_delay_alu instid0(SALU_CYCLE_1)
	s_add_nc_u64 s[6:7], s[12:13], s[6:7]
	global_load_b64 v[0:1], v2, s[6:7]
	s_wait_loadcnt 0x0
	v_add_nc_u64_e32 v[0:1], s[14:15], v[0:1]
	s_and_not1_b32 vcc_lo, exec_lo, s33
	s_cbranch_vccz .LBB444_6
	s_branch .LBB444_7
.LBB444_15:                             ;   in Loop: Header=BB444_3 Depth=1
	s_mov_b32 s24, 0
	s_cbranch_execz .LBB444_18
.LBB444_16:                             ;   in Loop: Header=BB444_3 Depth=1
	s_mul_u64 s[6:7], s[40:41], s[10:11]
	s_lshl_b64 s[64:65], s[24:25], 2
	s_sub_co_i32 s9, s21, s24
	s_add_nc_u64 s[6:7], s[6:7], s[64:65]
	s_delay_alu instid0(SALU_CYCLE_1) | instskip(NEXT) | instid1(SALU_CYCLE_1)
	s_mul_u64 s[6:7], s[30:31], s[6:7]
	s_add_nc_u64 s[6:7], s[50:51], s[6:7]
.LBB444_17:                             ;   Parent Loop BB444_3 Depth=1
                                        ; =>  This Inner Loop Header: Depth=2
	s_add_co_i32 s9, s9, -1
	global_store_b32 v2, v2, s[6:7]
	s_cmp_eq_u32 s9, 0
	s_wait_xcnt 0x0
	s_add_nc_u64 s[6:7], s[6:7], s[42:43]
	s_cbranch_scc0 .LBB444_17
.LBB444_18:                             ;   in Loop: Header=BB444_3 Depth=1
	s_or_b32 exec_lo, exec_lo, s8
	s_mov_b32 s6, 0
.LBB444_19:                             ;   in Loop: Header=BB444_3 Depth=1
	s_delay_alu instid0(SALU_CYCLE_1)
	s_and_not1_b32 vcc_lo, exec_lo, s6
	s_cbranch_vccnz .LBB444_2
; %bb.20:                               ;   in Loop: Header=BB444_3 Depth=1
	v_add_nc_u64_e32 v[34:35], v[6:7], v[20:21]
	v_lshl_add_u64 v[24:25], v[8:9], 1, v[0:1]
	v_lshl_add_u64 v[26:27], v[10:11], 1, v[6:7]
	;; [unrolled: 1-line block ×5, first 2 shown]
	v_cmp_gt_u32_e64 s8, 24, v46
	v_cmp_gt_u32_e64 s6, 28, v46
	;; [unrolled: 1-line block ×3, first 2 shown]
	v_cmp_ne_u32_e64 s7, 31, v46
	s_and_not1_b32 vcc_lo, exec_lo, s60
	s_add_nc_u64 s[54:55], s[54:55], s[38:39]
	s_cbranch_vccnz .LBB444_69
; %bb.21:                               ;   in Loop: Header=BB444_3 Depth=1
	v_cndmask_b32_e64 v3, 0, 8, s8
	v_cndmask_b32_e64 v4, 0, 4, s6
	;; [unrolled: 1-line block ×3, first 2 shown]
	v_add_co_ci_u32_e64 v37, null, 0, v46, s7
	s_delay_alu instid0(VALU_DEP_4) | instskip(NEXT) | instid1(VALU_DEP_4)
	v_add_lshl_u32 v50, v3, v46, 2
	v_add_lshl_u32 v51, v4, v46, 2
	v_dual_mov_b32 v3, v2 :: v_dual_mov_b32 v4, v2
	s_delay_alu instid0(VALU_DEP_4) | instskip(SKIP_3) | instid1(VALU_DEP_4)
	v_dual_mov_b32 v5, v2 :: v_dual_lshlrev_b32 v53, 2, v37
	v_add_lshl_u32 v52, v36, v46, 2
	v_add_nc_u64_e32 v[36:37], v[6:7], v[20:21]
	v_mov_b64_e32 v[38:39], v[24:25]
	v_mov_b64_e32 v[6:7], v[4:5]
	;; [unrolled: 1-line block ×3, first 2 shown]
	s_mov_b32 s24, 0
	s_branch .LBB444_23
.LBB444_22:                             ;   in Loop: Header=BB444_23 Depth=2
	s_wait_xcnt 0x0
	s_or_b32 exec_lo, exec_lo, s6
	v_add_nc_u64_e32 v[38:39], s[46:47], v[38:39]
	s_add_co_i32 s24, s24, 4
	s_delay_alu instid0(SALU_CYCLE_1)
	s_cmp_ge_i32 s24, s58
	s_cbranch_scc1 .LBB444_70
.LBB444_23:                             ;   Parent Loop BB444_3 Depth=1
                                        ; =>  This Loop Header: Depth=2
                                        ;       Child Loop BB444_54 Depth 3
                                        ;       Child Loop BB444_57 Depth 3
                                        ; implicit-def: $vgpr41
                                        ; implicit-def: $vgpr43
	s_and_saveexec_b32 s6, s4
	s_delay_alu instid0(SALU_CYCLE_1)
	s_xor_b32 s6, exec_lo, s6
	s_cbranch_execnz .LBB444_50
; %bb.24:                               ;   in Loop: Header=BB444_23 Depth=2
	s_and_not1_saveexec_b32 s11, s6
	s_cbranch_execnz .LBB444_51
.LBB444_25:                             ;   in Loop: Header=BB444_23 Depth=2
	s_or_b32 exec_lo, exec_lo, s11
	s_and_saveexec_b32 s6, s1
.LBB444_26:                             ;   in Loop: Header=BB444_23 Depth=2
	ds_store_b32 v47, v2
.LBB444_27:                             ;   in Loop: Header=BB444_23 Depth=2
	s_or_b32 exec_lo, exec_lo, s6
	ds_bpermute_b32 v3, v49, v42
	s_wait_storecnt_dscnt 0x0
	s_barrier_signal -1
	s_barrier_wait -1
	v_add_f32_e32 v3, v42, v3
	ds_bpermute_b32 v42, v50, v3
	s_wait_dscnt 0x0
	v_add_f32_e32 v3, v3, v42
	ds_bpermute_b32 v42, v51, v3
	s_wait_dscnt 0x0
	;; [unrolled: 3-line block ×3, first 2 shown]
	v_add_f32_e32 v3, v3, v42
	ds_bpermute_b32 v42, v53, v3
	s_and_saveexec_b32 s6, s3
	s_cbranch_execz .LBB444_29
; %bb.28:                               ;   in Loop: Header=BB444_23 Depth=2
	s_wait_dscnt 0x0
	v_add_f32_e32 v3, v3, v42
	ds_store_b32 v48, v3
.LBB444_29:                             ;   in Loop: Header=BB444_23 Depth=2
	s_or_b32 exec_lo, exec_lo, s6
	v_mov_b32_e32 v3, 0
	s_wait_dscnt 0x0
	s_barrier_signal -1
	s_barrier_wait -1
	s_and_saveexec_b32 s6, s2
	s_cbranch_execnz .LBB444_58
; %bb.30:                               ;   in Loop: Header=BB444_23 Depth=2
	s_or_b32 exec_lo, exec_lo, s6
	s_and_saveexec_b32 s6, s1
	s_cbranch_execnz .LBB444_59
.LBB444_31:                             ;   in Loop: Header=BB444_23 Depth=2
	s_or_b32 exec_lo, exec_lo, s6
	s_and_saveexec_b32 s6, s1
.LBB444_32:                             ;   in Loop: Header=BB444_23 Depth=2
	ds_store_b32 v47, v2
.LBB444_33:                             ;   in Loop: Header=BB444_23 Depth=2
	s_or_b32 exec_lo, exec_lo, s6
	ds_bpermute_b32 v42, v49, v43
	s_wait_dscnt 0x0
	s_barrier_signal -1
	s_barrier_wait -1
	v_add_f32_e32 v42, v43, v42
	ds_bpermute_b32 v43, v50, v42
	s_wait_dscnt 0x0
	v_add_f32_e32 v42, v42, v43
	ds_bpermute_b32 v43, v51, v42
	s_wait_dscnt 0x0
	;; [unrolled: 3-line block ×3, first 2 shown]
	v_add_f32_e32 v42, v42, v43
	ds_bpermute_b32 v43, v53, v42
	s_and_saveexec_b32 s6, s3
	s_cbranch_execz .LBB444_35
; %bb.34:                               ;   in Loop: Header=BB444_23 Depth=2
	s_wait_dscnt 0x0
	v_add_f32_e32 v42, v42, v43
	ds_store_b32 v48, v42
.LBB444_35:                             ;   in Loop: Header=BB444_23 Depth=2
	s_or_b32 exec_lo, exec_lo, s6
	v_mov_b32_e32 v42, 0
	s_wait_dscnt 0x0
	s_barrier_signal -1
	s_barrier_wait -1
	s_and_saveexec_b32 s6, s2
	s_cbranch_execnz .LBB444_60
; %bb.36:                               ;   in Loop: Header=BB444_23 Depth=2
	s_or_b32 exec_lo, exec_lo, s6
	s_and_saveexec_b32 s6, s1
	s_cbranch_execnz .LBB444_61
.LBB444_37:                             ;   in Loop: Header=BB444_23 Depth=2
	s_or_b32 exec_lo, exec_lo, s6
	s_and_saveexec_b32 s6, s1
.LBB444_38:                             ;   in Loop: Header=BB444_23 Depth=2
	ds_store_b32 v47, v2
.LBB444_39:                             ;   in Loop: Header=BB444_23 Depth=2
	s_or_b32 exec_lo, exec_lo, s6
	ds_bpermute_b32 v43, v49, v40
	s_wait_dscnt 0x0
	s_barrier_signal -1
	s_barrier_wait -1
	v_add_f32_e32 v40, v40, v43
	ds_bpermute_b32 v43, v50, v40
	s_wait_dscnt 0x0
	v_add_f32_e32 v40, v40, v43
	ds_bpermute_b32 v43, v51, v40
	s_wait_dscnt 0x0
	;; [unrolled: 3-line block ×3, first 2 shown]
	v_add_f32_e32 v40, v40, v43
	ds_bpermute_b32 v43, v53, v40
	s_and_saveexec_b32 s6, s3
	s_cbranch_execz .LBB444_41
; %bb.40:                               ;   in Loop: Header=BB444_23 Depth=2
	s_wait_dscnt 0x0
	v_add_f32_e32 v40, v40, v43
	ds_store_b32 v48, v40
.LBB444_41:                             ;   in Loop: Header=BB444_23 Depth=2
	s_or_b32 exec_lo, exec_lo, s6
	v_mov_b32_e32 v40, 0
	s_wait_dscnt 0x0
	s_barrier_signal -1
	s_barrier_wait -1
	s_and_saveexec_b32 s6, s2
	s_cbranch_execnz .LBB444_62
; %bb.42:                               ;   in Loop: Header=BB444_23 Depth=2
	s_or_b32 exec_lo, exec_lo, s6
	s_and_saveexec_b32 s6, s1
	s_cbranch_execnz .LBB444_63
.LBB444_43:                             ;   in Loop: Header=BB444_23 Depth=2
	s_or_b32 exec_lo, exec_lo, s6
	s_and_saveexec_b32 s6, s1
.LBB444_44:                             ;   in Loop: Header=BB444_23 Depth=2
	ds_store_b32 v47, v2
.LBB444_45:                             ;   in Loop: Header=BB444_23 Depth=2
	s_or_b32 exec_lo, exec_lo, s6
	ds_bpermute_b32 v43, v49, v41
	s_wait_dscnt 0x0
	s_barrier_signal -1
	s_barrier_wait -1
	v_add_f32_e32 v41, v41, v43
	ds_bpermute_b32 v43, v50, v41
	s_wait_dscnt 0x0
	v_add_f32_e32 v41, v41, v43
	ds_bpermute_b32 v43, v51, v41
	s_wait_dscnt 0x0
	;; [unrolled: 3-line block ×3, first 2 shown]
	v_add_f32_e32 v41, v41, v43
	ds_bpermute_b32 v43, v53, v41
	s_and_saveexec_b32 s6, s3
	s_cbranch_execz .LBB444_47
; %bb.46:                               ;   in Loop: Header=BB444_23 Depth=2
	s_wait_dscnt 0x0
	v_add_f32_e32 v41, v41, v43
	ds_store_b32 v48, v41
.LBB444_47:                             ;   in Loop: Header=BB444_23 Depth=2
	s_or_b32 exec_lo, exec_lo, s6
	v_mov_b32_e32 v41, 0
	s_wait_dscnt 0x0
	s_barrier_signal -1
	s_barrier_wait -1
	s_and_saveexec_b32 s6, s2
	s_cbranch_execnz .LBB444_64
; %bb.48:                               ;   in Loop: Header=BB444_23 Depth=2
	s_or_b32 exec_lo, exec_lo, s6
	s_and_saveexec_b32 s6, s1
	s_cbranch_execnz .LBB444_65
.LBB444_49:                             ;   in Loop: Header=BB444_23 Depth=2
	s_or_b32 exec_lo, exec_lo, s6
	s_and_saveexec_b32 s6, s0
	s_cbranch_execz .LBB444_22
	s_branch .LBB444_66
.LBB444_50:                             ;   in Loop: Header=BB444_23 Depth=2
	s_mul_u64 s[8:9], s[24:25], s[26:27]
	s_or_b32 s66, s24, 3
	v_lshl_add_u64 v[4:5], s[8:9], 1, v[24:25]
	s_or_b32 s8, s24, 2
	s_mov_b32 s9, s25
	s_mov_b32 s67, s25
	s_mul_u64 s[8:9], s[8:9], s[26:27]
	s_or_b32 s64, s24, 1
	v_lshl_add_u64 v[6:7], s[8:9], 1, v[24:25]
	s_mul_u64 s[8:9], s[66:67], s[26:27]
	s_mov_b32 s65, s25
	s_clause 0x3
	flat_load_u16 v3, v[26:27]
	flat_load_u16 v54, v[28:29]
	;; [unrolled: 1-line block ×4, first 2 shown]
	s_wait_dscnt 0x4
	s_clause 0x1
	flat_load_b64 v[40:41], v[4:5]
	flat_load_b64 v[6:7], v[6:7]
	s_wait_xcnt 0x1
	v_lshl_add_u64 v[4:5], s[8:9], 1, v[24:25]
	s_mul_u64 s[8:9], s[64:65], s[26:27]
	s_delay_alu instid0(SALU_CYCLE_1)
	v_lshl_add_u64 v[42:43], s[8:9], 1, v[24:25]
	s_clause 0x1
	flat_load_b64 v[44:45], v[4:5]
	flat_load_b64 v[42:43], v[42:43]
	s_wait_loadcnt_dscnt 0x707
	s_wait_xcnt 0x1
	v_cvt_f32_f16_e32 v4, v3
	s_wait_loadcnt_dscnt 0x606
	v_cvt_f32_f16_e32 v55, v54
	s_wait_loadcnt_dscnt 0x505
	;; [unrolled: 2-line block ×4, first 2 shown]
	v_dual_lshrrev_b32 v3, 16, v40 :: v_dual_lshrrev_b32 v59, 16, v41
	s_wait_loadcnt_dscnt 0x202
	v_dual_lshrrev_b32 v61, 16, v6 :: v_dual_lshrrev_b32 v63, 16, v7
	v_cvt_f32_f16_e32 v68, v7
	v_cvt_f32_f16_e32 v66, v6
	;; [unrolled: 1-line block ×4, first 2 shown]
	s_wait_loadcnt_dscnt 0x101
	v_dual_lshrrev_b32 v5, 16, v44 :: v_dual_lshrrev_b32 v7, 16, v45
	v_cvt_f32_f16_e32 v54, v44
	v_cvt_f32_f16_e32 v56, v45
	s_wait_loadcnt_dscnt 0x0
	v_lshrrev_b32_e32 v67, 16, v42
	v_cvt_f32_f16_e32 v5, v5
	v_cvt_f32_f16_e32 v65, v42
	;; [unrolled: 1-line block ×3, first 2 shown]
	s_wait_xcnt 0x0
	v_lshrrev_b32_e32 v43, 16, v43
	v_cvt_f32_f16_e32 v6, v3
	v_pk_mul_f32 v[44:45], v[54:55], v[4:5]
	v_cvt_f32_f16_e32 v42, v59
	v_cvt_f32_f16_e32 v3, v61
	v_dual_mul_f32 v66, v4, v66 :: v_dual_mov_b32 v5, v55
	v_cvt_f32_f16_e32 v59, v7
	v_cvt_f32_f16_e32 v7, v67
	s_delay_alu instid0(VALU_DEP_4) | instskip(SKIP_1) | instid1(VALU_DEP_4)
	v_dual_mov_b32 v67, v44 :: v_dual_mul_f32 v44, v55, v3
	v_dual_mov_b32 v60, v55 :: v_dual_mov_b32 v62, v57
	v_pk_mul_f32 v[54:55], v[56:57], v[58:59]
	s_delay_alu instid0(VALU_DEP_3)
	v_pk_add_f32 v[66:67], v[66:67], 0 op_sel_hi:[1,0]
	v_pk_fma_f32 v[64:65], v[4:5], v[64:65], 0 op_sel_hi:[0,1,0]
	v_cvt_f32_f16_e32 v3, v63
	v_mul_f32_e32 v68, v58, v68
	v_mov_b32_e32 v69, v54
	v_pk_add_f32 v[44:45], v[66:67], v[44:45]
	v_pk_fma_f32 v[6:7], v[60:61], v[6:7], v[64:65] op_sel_hi:[0,1,1]
	v_cvt_f32_f16_e32 v43, v43
	v_mul_f32_e32 v54, v57, v3
	s_delay_alu instid0(VALU_DEP_3) | instskip(SKIP_3) | instid1(VALU_DEP_4)
	v_pk_fma_f32 v[60:61], v[58:59], v[40:41], v[6:7] op_sel_hi:[0,1,1]
	v_mov_b32_e32 v6, v58
	v_pk_add_f32 v[44:45], v[44:45], v[68:69]
	v_mov_b32_e32 v7, v57
	v_pk_fma_f32 v[42:43], v[62:63], v[42:43], v[60:61] op_sel_hi:[0,1,1]
	s_delay_alu instid0(VALU_DEP_3)
	v_pk_add_f32 v[40:41], v[44:45], v[54:55]
	s_and_not1_saveexec_b32 s11, s6
	s_cbranch_execz .LBB444_25
.LBB444_51:                             ;   in Loop: Header=BB444_23 Depth=2
	s_wait_dscnt 0x0
	v_dual_mov_b32 v41, 0 :: v_dual_mov_b32 v40, 0
	v_dual_mov_b32 v43, 0 :: v_dual_mov_b32 v42, 0
	s_and_saveexec_b32 s64, s5
	s_cbranch_execz .LBB444_68
; %bb.52:                               ;   in Loop: Header=BB444_23 Depth=2
	s_and_not1_b32 vcc_lo, exec_lo, s61
	s_cbranch_vccnz .LBB444_55
; %bb.53:                               ;   in Loop: Header=BB444_23 Depth=2
	v_mov_b64_e32 v[40:41], v[36:37]
	s_mov_b64 s[8:9], 0
.LBB444_54:                             ;   Parent Loop BB444_3 Depth=1
                                        ;     Parent Loop BB444_23 Depth=2
                                        ; =>    This Inner Loop Header: Depth=3
	flat_load_u16 v3, v[40:41]
	s_cmp_eq_u32 s8, 3
	s_wait_xcnt 0x0
	v_add_nc_u64_e32 v[40:41], s[44:45], v[40:41]
	s_cselect_b32 vcc_lo, -1, 0
	s_cmp_eq_u32 s8, 2
	s_cselect_b32 s6, -1, 0
	s_cmp_eq_u32 s8, 1
	s_cselect_b32 s7, -1, 0
	s_cmp_eq_u32 s8, 0
	s_add_nc_u64 s[8:9], s[8:9], 1
	s_wait_loadcnt_dscnt 0x0
	v_cvt_f32_f16_e32 v3, v3
	s_delay_alu instid0(VALU_DEP_1) | instskip(SKIP_1) | instid1(SALU_CYCLE_1)
	v_dual_cndmask_b32 v7, v7, v3, vcc_lo :: v_dual_cndmask_b32 v6, v6, v3, s6
	s_cselect_b32 vcc_lo, -1, 0
	v_dual_cndmask_b32 v5, v5, v3, s7 :: v_dual_cndmask_b32 v4, v4, v3, vcc_lo
	s_cmp_eq_u32 s59, s8
	s_cbranch_scc0 .LBB444_54
.LBB444_55:                             ;   in Loop: Header=BB444_23 Depth=2
	s_and_not1_b32 vcc_lo, exec_lo, s61
	s_cbranch_vccnz .LBB444_67
; %bb.56:                               ;   in Loop: Header=BB444_23 Depth=2
	v_mov_b32_e32 v42, 0
	v_mov_b64_e32 v[44:45], v[38:39]
	s_mov_b64 s[6:7], 0
	s_delay_alu instid0(VALU_DEP_2)
	v_dual_mov_b32 v43, v42 :: v_dual_mov_b32 v40, v42
	v_mov_b32_e32 v41, v42
.LBB444_57:                             ;   Parent Loop BB444_3 Depth=1
                                        ;     Parent Loop BB444_23 Depth=2
                                        ; =>    This Inner Loop Header: Depth=3
	s_delay_alu instid0(VALU_DEP_3)
	v_add_nc_u64_e32 v[54:55], s[34:35], v[44:45]
	v_add_nc_u64_e32 v[56:57], s[48:49], v[44:45]
	;; [unrolled: 1-line block ×3, first 2 shown]
	s_cmp_eq_u32 s6, 1
	s_clause 0x3
	flat_load_u16 v3, v[44:45]
	flat_load_u16 v55, v[54:55]
	;; [unrolled: 1-line block ×4, first 2 shown]
	s_cselect_b32 vcc_lo, -1, 0
	s_cmp_eq_u32 s6, 2
	s_wait_xcnt 0x2
	v_cndmask_b32_e32 v54, v4, v5, vcc_lo
	s_cselect_b32 vcc_lo, -1, 0
	s_cmp_eq_u32 s6, 3
	v_add_nc_u64_e32 v[44:45], 2, v[44:45]
	s_add_nc_u64 s[6:7], s[6:7], 1
	v_cndmask_b32_e32 v54, v54, v6, vcc_lo
	s_cselect_b32 vcc_lo, -1, 0
	s_cmp_lg_u32 s59, s6
	s_delay_alu instid0(VALU_DEP_1)
	v_cndmask_b32_e32 v54, v54, v7, vcc_lo
	s_wait_loadcnt_dscnt 0x303
	s_wait_xcnt 0x1
	v_cvt_f32_f16_e32 v56, v3
	s_wait_loadcnt_dscnt 0x202
	s_wait_xcnt 0x0
	v_cvt_f32_f16_e32 v59, v55
	s_wait_loadcnt_dscnt 0x101
	v_cvt_f32_f16_e32 v58, v57
	s_wait_loadcnt_dscnt 0x0
	v_cvt_f32_f16_e32 v57, v60
	s_delay_alu instid0(VALU_DEP_2) | instskip(NEXT) | instid1(VALU_DEP_2)
	v_pk_fma_f32 v[40:41], v[54:55], v[58:59], v[40:41] op_sel_hi:[0,1,1]
	v_pk_fma_f32 v[42:43], v[54:55], v[56:57], v[42:43] op_sel_hi:[0,1,1]
	s_cbranch_scc1 .LBB444_57
	s_branch .LBB444_68
.LBB444_58:                             ;   in Loop: Header=BB444_23 Depth=2
	ds_load_b32 v3, v47
	s_or_b32 exec_lo, exec_lo, s6
	s_and_saveexec_b32 s6, s1
	s_cbranch_execz .LBB444_31
.LBB444_59:                             ;   in Loop: Header=BB444_23 Depth=2
	s_wait_dscnt 0x0
	ds_bpermute_b32 v42, v51, v3
	s_wait_dscnt 0x0
	v_add_f32_e32 v3, v3, v42
	ds_bpermute_b32 v42, v52, v3
	s_wait_dscnt 0x0
	v_add_f32_e32 v3, v3, v42
	;; [unrolled: 3-line block ×3, first 2 shown]
	s_or_b32 exec_lo, exec_lo, s6
	s_and_saveexec_b32 s6, s1
	s_cbranch_execnz .LBB444_32
	s_branch .LBB444_33
.LBB444_60:                             ;   in Loop: Header=BB444_23 Depth=2
	ds_load_b32 v42, v47
	s_or_b32 exec_lo, exec_lo, s6
	s_and_saveexec_b32 s6, s1
	s_cbranch_execz .LBB444_37
.LBB444_61:                             ;   in Loop: Header=BB444_23 Depth=2
	s_wait_dscnt 0x0
	ds_bpermute_b32 v43, v51, v42
	s_wait_dscnt 0x0
	v_add_f32_e32 v42, v42, v43
	ds_bpermute_b32 v43, v52, v42
	s_wait_dscnt 0x0
	v_add_f32_e32 v42, v42, v43
	;; [unrolled: 3-line block ×3, first 2 shown]
	s_or_b32 exec_lo, exec_lo, s6
	s_and_saveexec_b32 s6, s1
	s_cbranch_execnz .LBB444_38
	s_branch .LBB444_39
.LBB444_62:                             ;   in Loop: Header=BB444_23 Depth=2
	ds_load_b32 v40, v47
	s_or_b32 exec_lo, exec_lo, s6
	s_and_saveexec_b32 s6, s1
	s_cbranch_execz .LBB444_43
.LBB444_63:                             ;   in Loop: Header=BB444_23 Depth=2
	s_wait_dscnt 0x0
	ds_bpermute_b32 v43, v51, v40
	s_wait_dscnt 0x0
	v_add_f32_e32 v40, v40, v43
	ds_bpermute_b32 v43, v52, v40
	s_wait_dscnt 0x0
	v_add_f32_e32 v40, v40, v43
	;; [unrolled: 3-line block ×3, first 2 shown]
	s_or_b32 exec_lo, exec_lo, s6
	s_and_saveexec_b32 s6, s1
	s_cbranch_execnz .LBB444_44
	s_branch .LBB444_45
.LBB444_64:                             ;   in Loop: Header=BB444_23 Depth=2
	ds_load_b32 v41, v47
	s_or_b32 exec_lo, exec_lo, s6
	s_and_saveexec_b32 s6, s1
	s_cbranch_execz .LBB444_49
.LBB444_65:                             ;   in Loop: Header=BB444_23 Depth=2
	s_wait_dscnt 0x0
	ds_bpermute_b32 v43, v51, v41
	s_wait_dscnt 0x0
	v_add_f32_e32 v41, v41, v43
	ds_bpermute_b32 v43, v52, v41
	s_wait_dscnt 0x0
	v_add_f32_e32 v41, v41, v43
	;; [unrolled: 3-line block ×3, first 2 shown]
	s_or_b32 exec_lo, exec_lo, s6
	s_and_saveexec_b32 s6, s0
	s_cbranch_execz .LBB444_22
.LBB444_66:                             ;   in Loop: Header=BB444_23 Depth=2
	s_or_b32 s64, s24, 1
	s_mov_b32 s65, s25
	s_mul_u64 s[8:9], s[24:25], s[30:31]
	v_dual_mul_f32 v3, s22, v3 :: v_dual_mul_f32 v42, s22, v42
	s_mul_u64 s[64:65], s[64:65], s[30:31]
	s_lshl_b64 s[8:9], s[8:9], 2
	s_lshl_b64 s[64:65], s[64:65], 2
	s_add_nc_u64 s[8:9], s[54:55], s[8:9]
	s_add_nc_u64 s[64:65], s[54:55], s[64:65]
	s_clause 0x1
	global_store_b32 v2, v3, s[8:9]
	global_store_b32 v2, v42, s[64:65]
	s_wait_xcnt 0x1
	s_or_b32 s8, s24, 2
	s_mov_b32 s9, s25
	s_wait_xcnt 0x0
	s_or_b32 s64, s24, 3
	s_mov_b32 s65, s25
	s_mul_u64 s[8:9], s[8:9], s[30:31]
	s_wait_dscnt 0x0
	v_dual_mul_f32 v3, s22, v40 :: v_dual_mul_f32 v40, s22, v41
	s_mul_u64 s[64:65], s[64:65], s[30:31]
	s_lshl_b64 s[8:9], s[8:9], 2
	s_lshl_b64 s[64:65], s[64:65], 2
	s_add_nc_u64 s[8:9], s[54:55], s[8:9]
	s_add_nc_u64 s[64:65], s[54:55], s[64:65]
	s_clause 0x1
	global_store_b32 v2, v3, s[8:9]
	global_store_b32 v2, v40, s[64:65]
	s_branch .LBB444_22
.LBB444_67:                             ;   in Loop: Header=BB444_23 Depth=2
	v_mov_b32_e32 v41, 0
	s_delay_alu instid0(VALU_DEP_1)
	v_dual_mov_b32 v40, v41 :: v_dual_mov_b32 v43, v41
	v_mov_b32_e32 v42, v41
.LBB444_68:                             ;   in Loop: Header=BB444_23 Depth=2
	s_or_b32 exec_lo, exec_lo, s64
	s_delay_alu instid0(SALU_CYCLE_1)
	s_or_b32 exec_lo, exec_lo, s11
	s_and_saveexec_b32 s6, s1
	s_cbranch_execnz .LBB444_26
	s_branch .LBB444_27
.LBB444_69:                             ;   in Loop: Header=BB444_3 Depth=1
	v_dual_mov_b32 v3, v2 :: v_dual_mov_b32 v4, v2
	v_mov_b32_e32 v5, v2
	s_mov_b32 s24, 0
	s_delay_alu instid0(VALU_DEP_1) | instskip(NEXT) | instid1(VALU_DEP_3)
	v_mov_b64_e32 v[6:7], v[4:5]
	v_mov_b64_e32 v[4:5], v[2:3]
.LBB444_70:                             ;   in Loop: Header=BB444_3 Depth=1
	s_cmp_ge_i32 s24, s21
	s_cbranch_scc1 .LBB444_2
; %bb.71:                               ;   in Loop: Header=BB444_3 Depth=1
	v_add_nc_u64_e32 v[0:1], v[0:1], v[18:19]
	v_cmp_gt_u32_e32 vcc_lo, 24, v46
	s_delay_alu instid0(VALU_DEP_2) | instskip(SKIP_2) | instid1(VALU_DEP_2)
	v_mad_nc_u64_u32 v[36:37], s52, s24, v[0:1]
	v_cndmask_b32_e64 v0, 0, 8, vcc_lo
	v_cmp_gt_u32_e32 vcc_lo, 28, v46
	v_add_lshl_u32 v1, v0, v46, 2
	v_cndmask_b32_e64 v3, 0, 4, vcc_lo
	v_cmp_gt_u32_e32 vcc_lo, 30, v46
	v_mad_u32 v37, s53, s24, v37
	s_delay_alu instid0(VALU_DEP_3) | instskip(SKIP_2) | instid1(VALU_DEP_2)
	v_add_lshl_u32 v3, v3, v46, 2
	v_cndmask_b32_e64 v38, 0, 2, vcc_lo
	v_cmp_ne_u32_e32 vcc_lo, 31, v46
	v_add_lshl_u32 v40, v38, v46, 2
	v_add_co_ci_u32_e64 v39, null, 0, v46, vcc_lo
	s_wait_dscnt 0x0
	s_delay_alu instid0(VALU_DEP_1)
	v_lshlrev_b32_e32 v41, 2, v39
	s_branch .LBB444_73
.LBB444_72:                             ;   in Loop: Header=BB444_73 Depth=2
	s_wait_xcnt 0x0
	s_or_b32 exec_lo, exec_lo, s6
	v_add_nc_u64_e32 v[36:37], s[52:53], v[36:37]
	s_add_co_i32 s24, s24, 1
	s_delay_alu instid0(SALU_CYCLE_1)
	s_cmp_ge_i32 s24, s21
	s_cbranch_scc1 .LBB444_2
.LBB444_73:                             ;   Parent Loop BB444_3 Depth=1
                                        ; =>  This Loop Header: Depth=2
                                        ;       Child Loop BB444_86 Depth 3
                                        ;       Child Loop BB444_89 Depth 3
	s_wait_dscnt 0x0
	v_mov_b32_e32 v0, s25
	s_and_saveexec_b32 s6, s4
	s_delay_alu instid0(SALU_CYCLE_1)
	s_xor_b32 s6, exec_lo, s6
	s_cbranch_execnz .LBB444_82
; %bb.74:                               ;   in Loop: Header=BB444_73 Depth=2
	s_and_not1_saveexec_b32 s11, s6
	s_cbranch_execnz .LBB444_83
.LBB444_75:                             ;   in Loop: Header=BB444_73 Depth=2
	s_or_b32 exec_lo, exec_lo, s11
	s_and_saveexec_b32 s6, s1
.LBB444_76:                             ;   in Loop: Header=BB444_73 Depth=2
	ds_store_b32 v47, v2
.LBB444_77:                             ;   in Loop: Header=BB444_73 Depth=2
	s_or_b32 exec_lo, exec_lo, s6
	ds_bpermute_b32 v38, v49, v0
	s_wait_storecnt_dscnt 0x0
	s_barrier_signal -1
	s_barrier_wait -1
	v_add_f32_e32 v0, v0, v38
	ds_bpermute_b32 v38, v1, v0
	s_wait_dscnt 0x0
	v_add_f32_e32 v0, v0, v38
	ds_bpermute_b32 v38, v3, v0
	s_wait_dscnt 0x0
	;; [unrolled: 3-line block ×3, first 2 shown]
	v_add_f32_e32 v0, v0, v38
	ds_bpermute_b32 v38, v41, v0
	s_and_saveexec_b32 s6, s3
	s_cbranch_execz .LBB444_79
; %bb.78:                               ;   in Loop: Header=BB444_73 Depth=2
	s_wait_dscnt 0x0
	v_add_f32_e32 v0, v0, v38
	ds_store_b32 v48, v0
.LBB444_79:                             ;   in Loop: Header=BB444_73 Depth=2
	s_or_b32 exec_lo, exec_lo, s6
	v_mov_b32_e32 v0, 0
	s_wait_dscnt 0x0
	s_barrier_signal -1
	s_barrier_wait -1
	s_and_saveexec_b32 s6, s2
	s_cbranch_execnz .LBB444_91
; %bb.80:                               ;   in Loop: Header=BB444_73 Depth=2
	s_or_b32 exec_lo, exec_lo, s6
	s_and_saveexec_b32 s6, s1
	s_cbranch_execnz .LBB444_92
.LBB444_81:                             ;   in Loop: Header=BB444_73 Depth=2
	s_or_b32 exec_lo, exec_lo, s6
	s_and_saveexec_b32 s6, s0
	s_cbranch_execz .LBB444_72
	s_branch .LBB444_93
.LBB444_82:                             ;   in Loop: Header=BB444_73 Depth=2
	s_mul_u64 s[8:9], s[24:25], s[26:27]
	s_delay_alu instid0(SALU_CYCLE_1)
	v_lshl_add_u64 v[4:5], s[8:9], 1, v[24:25]
	flat_load_b64 v[38:39], v[4:5]
	s_clause 0x3
	flat_load_u16 v0, v[28:29]
	flat_load_u16 v4, v[26:27]
	;; [unrolled: 1-line block ×4, first 2 shown]
	s_wait_loadcnt_dscnt 0x404
	v_lshrrev_b32_e32 v7, 16, v38
	s_wait_loadcnt_dscnt 0x303
	v_cvt_f32_f16_e32 v5, v0
	s_wait_loadcnt_dscnt 0x202
	v_cvt_f32_f16_e32 v4, v4
	v_cvt_f32_f16_e32 v6, v38
	v_lshrrev_b32_e32 v0, 16, v39
	v_cvt_f32_f16_e32 v7, v7
	v_cvt_f32_f16_e32 v38, v39
	s_delay_alu instid0(VALU_DEP_3) | instskip(NEXT) | instid1(VALU_DEP_3)
	v_cvt_f32_f16_e32 v39, v0
	v_pk_mul_f32 v[42:43], v[4:5], v[6:7]
	s_wait_loadcnt_dscnt 0x101
	v_cvt_f32_f16_e32 v7, v44
	s_wait_loadcnt_dscnt 0x0
	v_cvt_f32_f16_e32 v6, v45
	s_delay_alu instid0(VALU_DEP_1) | instskip(SKIP_1) | instid1(VALU_DEP_1)
	v_pk_mul_f32 v[38:39], v[6:7], v[38:39]
	v_add_f32_e32 v42, 0, v42
	v_add_f32_e32 v0, v42, v43
	s_delay_alu instid0(VALU_DEP_1) | instskip(NEXT) | instid1(VALU_DEP_1)
	v_add_f32_e32 v0, v0, v38
	v_add_f32_e32 v0, v0, v39
	s_wait_xcnt 0x0
	s_and_not1_saveexec_b32 s11, s6
	s_cbranch_execz .LBB444_75
.LBB444_83:                             ;   in Loop: Header=BB444_73 Depth=2
	s_and_saveexec_b32 s64, s5
	s_cbranch_execz .LBB444_90
; %bb.84:                               ;   in Loop: Header=BB444_73 Depth=2
	s_and_not1_b32 vcc_lo, exec_lo, s61
	s_cbranch_vccnz .LBB444_87
; %bb.85:                               ;   in Loop: Header=BB444_73 Depth=2
	v_mov_b64_e32 v[38:39], v[34:35]
	s_mov_b64 s[8:9], 0
.LBB444_86:                             ;   Parent Loop BB444_3 Depth=1
                                        ;     Parent Loop BB444_73 Depth=2
                                        ; =>    This Inner Loop Header: Depth=3
	flat_load_u16 v42, v[38:39]
	s_cmp_eq_u32 s8, 3
	s_wait_xcnt 0x0
	v_add_nc_u64_e32 v[38:39], s[44:45], v[38:39]
	s_cselect_b32 vcc_lo, -1, 0
	s_cmp_eq_u32 s8, 2
	s_cselect_b32 s6, -1, 0
	s_cmp_eq_u32 s8, 1
	s_cselect_b32 s7, -1, 0
	s_cmp_eq_u32 s8, 0
	s_add_nc_u64 s[8:9], s[8:9], 1
	s_wait_loadcnt_dscnt 0x0
	v_cvt_f32_f16_e32 v42, v42
	s_delay_alu instid0(VALU_DEP_1) | instskip(SKIP_1) | instid1(SALU_CYCLE_1)
	v_dual_cndmask_b32 v7, v7, v42, vcc_lo :: v_dual_cndmask_b32 v6, v6, v42, s6
	s_cselect_b32 vcc_lo, -1, 0
	v_dual_cndmask_b32 v5, v5, v42, s7 :: v_dual_cndmask_b32 v4, v4, v42, vcc_lo
	s_cmp_eq_u32 s59, s8
	s_cbranch_scc0 .LBB444_86
.LBB444_87:                             ;   in Loop: Header=BB444_73 Depth=2
	s_and_not1_b32 vcc_lo, exec_lo, s61
	s_cbranch_vccnz .LBB444_90
; %bb.88:                               ;   in Loop: Header=BB444_73 Depth=2
	v_mov_b64_e32 v[38:39], v[36:37]
	s_mov_b64 s[6:7], 0
.LBB444_89:                             ;   Parent Loop BB444_3 Depth=1
                                        ;     Parent Loop BB444_73 Depth=2
                                        ; =>    This Inner Loop Header: Depth=3
	flat_load_u16 v42, v[38:39]
	s_cmp_eq_u32 s6, 1
	s_wait_xcnt 0x0
	v_add_nc_u64_e32 v[38:39], 2, v[38:39]
	s_cselect_b32 vcc_lo, -1, 0
	s_cmp_eq_u32 s6, 2
	v_cndmask_b32_e32 v43, v4, v5, vcc_lo
	s_cselect_b32 vcc_lo, -1, 0
	s_cmp_eq_u32 s6, 3
	s_add_nc_u64 s[6:7], s[6:7], 1
	s_delay_alu instid0(VALU_DEP_1) | instskip(SKIP_2) | instid1(VALU_DEP_1)
	v_cndmask_b32_e32 v43, v43, v6, vcc_lo
	s_cselect_b32 vcc_lo, -1, 0
	s_cmp_lg_u32 s59, s6
	v_cndmask_b32_e32 v43, v43, v7, vcc_lo
	s_wait_loadcnt_dscnt 0x0
	s_delay_alu instid0(VALU_DEP_1)
	v_fma_mix_f32 v0, v43, v42, v0 op_sel_hi:[0,1,0]
	s_cbranch_scc1 .LBB444_89
.LBB444_90:                             ;   in Loop: Header=BB444_73 Depth=2
	s_or_b32 exec_lo, exec_lo, s64
	s_delay_alu instid0(SALU_CYCLE_1)
	s_or_b32 exec_lo, exec_lo, s11
	s_and_saveexec_b32 s6, s1
	s_cbranch_execnz .LBB444_76
	s_branch .LBB444_77
.LBB444_91:                             ;   in Loop: Header=BB444_73 Depth=2
	ds_load_b32 v0, v47
	s_or_b32 exec_lo, exec_lo, s6
	s_and_saveexec_b32 s6, s1
	s_cbranch_execz .LBB444_81
.LBB444_92:                             ;   in Loop: Header=BB444_73 Depth=2
	s_wait_dscnt 0x0
	ds_bpermute_b32 v38, v3, v0
	s_wait_dscnt 0x0
	v_add_f32_e32 v0, v0, v38
	ds_bpermute_b32 v38, v40, v0
	s_wait_dscnt 0x0
	v_add_f32_e32 v0, v0, v38
	;; [unrolled: 3-line block ×3, first 2 shown]
	s_or_b32 exec_lo, exec_lo, s6
	s_and_saveexec_b32 s6, s0
	s_cbranch_execz .LBB444_72
.LBB444_93:                             ;   in Loop: Header=BB444_73 Depth=2
	s_mul_u64 s[8:9], s[24:25], s[30:31]
	s_wait_dscnt 0x0
	v_mul_f32_e32 v0, s22, v0
	s_lshl_b64 s[8:9], s[8:9], 2
	s_delay_alu instid0(SALU_CYCLE_1)
	s_add_nc_u64 s[8:9], s[54:55], s[8:9]
	global_store_b32 v2, v0, s[8:9]
	s_branch .LBB444_72
.LBB444_94:
	s_sendmsg sendmsg(MSG_DEALLOC_VGPRS)
	s_endpgm
	.section	.rodata,"a",@progbits
	.p2align	6, 0x0
	.amdhsa_kernel _ZL23rocblas_gemvt_sn_kernelILb0ELi256ELi4ElPKDF16_ffEviiT4_lPKT3_lilS5_lilPT5_i
		.amdhsa_group_segment_fixed_size 128
		.amdhsa_private_segment_fixed_size 0
		.amdhsa_kernarg_size 360
		.amdhsa_user_sgpr_count 2
		.amdhsa_user_sgpr_dispatch_ptr 0
		.amdhsa_user_sgpr_queue_ptr 0
		.amdhsa_user_sgpr_kernarg_segment_ptr 1
		.amdhsa_user_sgpr_dispatch_id 0
		.amdhsa_user_sgpr_kernarg_preload_length 0
		.amdhsa_user_sgpr_kernarg_preload_offset 0
		.amdhsa_user_sgpr_private_segment_size 0
		.amdhsa_wavefront_size32 1
		.amdhsa_uses_dynamic_stack 0
		.amdhsa_enable_private_segment 0
		.amdhsa_system_sgpr_workgroup_id_x 1
		.amdhsa_system_sgpr_workgroup_id_y 0
		.amdhsa_system_sgpr_workgroup_id_z 1
		.amdhsa_system_sgpr_workgroup_info 0
		.amdhsa_system_vgpr_workitem_id 0
		.amdhsa_next_free_vgpr 70
		.amdhsa_next_free_sgpr 68
		.amdhsa_named_barrier_count 0
		.amdhsa_reserve_vcc 1
		.amdhsa_float_round_mode_32 0
		.amdhsa_float_round_mode_16_64 0
		.amdhsa_float_denorm_mode_32 3
		.amdhsa_float_denorm_mode_16_64 3
		.amdhsa_fp16_overflow 0
		.amdhsa_memory_ordered 1
		.amdhsa_forward_progress 1
		.amdhsa_inst_pref_size 34
		.amdhsa_round_robin_scheduling 0
		.amdhsa_exception_fp_ieee_invalid_op 0
		.amdhsa_exception_fp_denorm_src 0
		.amdhsa_exception_fp_ieee_div_zero 0
		.amdhsa_exception_fp_ieee_overflow 0
		.amdhsa_exception_fp_ieee_underflow 0
		.amdhsa_exception_fp_ieee_inexact 0
		.amdhsa_exception_int_div_zero 0
	.end_amdhsa_kernel
	.section	.text._ZL23rocblas_gemvt_sn_kernelILb0ELi256ELi4ElPKDF16_ffEviiT4_lPKT3_lilS5_lilPT5_i,"axG",@progbits,_ZL23rocblas_gemvt_sn_kernelILb0ELi256ELi4ElPKDF16_ffEviiT4_lPKT3_lilS5_lilPT5_i,comdat
.Lfunc_end444:
	.size	_ZL23rocblas_gemvt_sn_kernelILb0ELi256ELi4ElPKDF16_ffEviiT4_lPKT3_lilS5_lilPT5_i, .Lfunc_end444-_ZL23rocblas_gemvt_sn_kernelILb0ELi256ELi4ElPKDF16_ffEviiT4_lPKT3_lilS5_lilPT5_i
                                        ; -- End function
	.set _ZL23rocblas_gemvt_sn_kernelILb0ELi256ELi4ElPKDF16_ffEviiT4_lPKT3_lilS5_lilPT5_i.num_vgpr, 70
	.set _ZL23rocblas_gemvt_sn_kernelILb0ELi256ELi4ElPKDF16_ffEviiT4_lPKT3_lilS5_lilPT5_i.num_agpr, 0
	.set _ZL23rocblas_gemvt_sn_kernelILb0ELi256ELi4ElPKDF16_ffEviiT4_lPKT3_lilS5_lilPT5_i.numbered_sgpr, 68
	.set _ZL23rocblas_gemvt_sn_kernelILb0ELi256ELi4ElPKDF16_ffEviiT4_lPKT3_lilS5_lilPT5_i.num_named_barrier, 0
	.set _ZL23rocblas_gemvt_sn_kernelILb0ELi256ELi4ElPKDF16_ffEviiT4_lPKT3_lilS5_lilPT5_i.private_seg_size, 0
	.set _ZL23rocblas_gemvt_sn_kernelILb0ELi256ELi4ElPKDF16_ffEviiT4_lPKT3_lilS5_lilPT5_i.uses_vcc, 1
	.set _ZL23rocblas_gemvt_sn_kernelILb0ELi256ELi4ElPKDF16_ffEviiT4_lPKT3_lilS5_lilPT5_i.uses_flat_scratch, 1
	.set _ZL23rocblas_gemvt_sn_kernelILb0ELi256ELi4ElPKDF16_ffEviiT4_lPKT3_lilS5_lilPT5_i.has_dyn_sized_stack, 0
	.set _ZL23rocblas_gemvt_sn_kernelILb0ELi256ELi4ElPKDF16_ffEviiT4_lPKT3_lilS5_lilPT5_i.has_recursion, 0
	.set _ZL23rocblas_gemvt_sn_kernelILb0ELi256ELi4ElPKDF16_ffEviiT4_lPKT3_lilS5_lilPT5_i.has_indirect_call, 0
	.section	.AMDGPU.csdata,"",@progbits
; Kernel info:
; codeLenInByte = 4228
; TotalNumSgprs: 70
; NumVgprs: 70
; ScratchSize: 0
; MemoryBound: 0
; FloatMode: 240
; IeeeMode: 1
; LDSByteSize: 128 bytes/workgroup (compile time only)
; SGPRBlocks: 0
; VGPRBlocks: 4
; NumSGPRsForWavesPerEU: 70
; NumVGPRsForWavesPerEU: 70
; NamedBarCnt: 0
; Occupancy: 12
; WaveLimiterHint : 0
; COMPUTE_PGM_RSRC2:SCRATCH_EN: 0
; COMPUTE_PGM_RSRC2:USER_SGPR: 2
; COMPUTE_PGM_RSRC2:TRAP_HANDLER: 0
; COMPUTE_PGM_RSRC2:TGID_X_EN: 1
; COMPUTE_PGM_RSRC2:TGID_Y_EN: 0
; COMPUTE_PGM_RSRC2:TGID_Z_EN: 1
; COMPUTE_PGM_RSRC2:TIDIG_COMP_CNT: 0
	.section	.text._ZL23rocblas_gemvt_sn_reduceILi256ELi8EffKPDF16_EviT2_lPT3_lilPT1_i,"axG",@progbits,_ZL23rocblas_gemvt_sn_reduceILi256ELi8EffKPDF16_EviT2_lPT3_lilPT1_i,comdat
	.globl	_ZL23rocblas_gemvt_sn_reduceILi256ELi8EffKPDF16_EviT2_lPT3_lilPT1_i ; -- Begin function _ZL23rocblas_gemvt_sn_reduceILi256ELi8EffKPDF16_EviT2_lPT3_lilPT1_i
	.p2align	8
	.type	_ZL23rocblas_gemvt_sn_reduceILi256ELi8EffKPDF16_EviT2_lPT3_lilPT1_i,@function
_ZL23rocblas_gemvt_sn_reduceILi256ELi8EffKPDF16_EviT2_lPT3_lilPT1_i: ; @_ZL23rocblas_gemvt_sn_reduceILi256ELi8EffKPDF16_EviT2_lPT3_lilPT1_i
; %bb.0:
	s_load_b32 s26, s[0:1], 0x38
	s_bfe_u32 s2, ttmp6, 0x40014
	s_lshr_b32 s3, ttmp7, 16
	s_add_co_i32 s2, s2, 1
	s_bfe_u32 s5, ttmp6, 0x40008
	s_mul_i32 s4, s3, s2
	s_getreg_b32 s2, hwreg(HW_REG_IB_STS2, 6, 4)
	s_add_co_i32 s5, s5, s4
	s_cmp_eq_u32 s2, 0
	s_mov_b32 s7, 0
	s_cselect_b32 s27, s3, s5
	s_wait_kmcnt 0x0
	s_cmp_ge_u32 s27, s26
	s_cbranch_scc1 .LBB445_21
; %bb.1:
	v_mbcnt_lo_u32_b32 v1, -1, 0
	s_clause 0x5
	s_load_b32 s28, s[0:1], 0x44
	s_load_b32 s3, s[0:1], 0x4c
	;; [unrolled: 1-line block ×3, first 2 shown]
	s_load_b64 s[12:13], s[0:1], 0x0
	s_load_b64 s[14:15], s[0:1], 0x30
	s_load_b128 s[8:11], s[0:1], 0x10
	s_wait_xcnt 0x0
	s_bfe_u32 s1, ttmp6, 0x40010
	v_dual_mov_b32 v3, 0 :: v_dual_lshlrev_b32 v8, 3, v0
	v_cmp_gt_u32_e32 vcc_lo, 24, v1
	v_dual_lshrrev_b32 v15, 3, v0 :: v_dual_bitop2_b32 v6, 31, v0 bitop3:0x40
	s_and_b32 s0, ttmp7, 0xffff
	s_add_co_i32 s1, s1, 1
	v_cndmask_b32_e64 v4, 0, 8, vcc_lo
	v_cmp_gt_u32_e32 vcc_lo, 28, v1
	s_bfe_u32 s4, ttmp6, 0x40004
	s_mul_i32 s1, s0, s1
	v_lshlrev_b32_e32 v9, 2, v6
	v_add_lshl_u32 v11, v4, v1, 2
	v_cndmask_b32_e64 v5, 0, 4, vcc_lo
	v_cmp_gt_u32_e32 vcc_lo, 30, v1
	v_lshlrev_b32_e32 v4, 5, v0
	s_add_co_i32 s4, s4, s1
	s_wait_kmcnt 0x0
	s_ashr_i32 s21, s20, 31
	v_add_lshl_u32 v12, v5, v1, 2
	v_cndmask_b32_e64 v7, 0, 2, vcc_lo
	v_cmp_ne_u32_e32 vcc_lo, 31, v1
	s_ashr_i32 s17, s12, 31
	s_cmp_eq_u32 s2, 0
	v_xad_u32 v2, v0, -1, s12
	s_cselect_b32 s18, s0, s4
	v_add_co_ci_u32_e64 v14, null, 0, v1, vcc_lo
	v_mov_b32_e32 v5, v3
	s_lshr_b32 s0, s17, 29
	s_and_b32 s6, s3, 0xffff
	s_delay_alu instid0(VALU_DEP_2)
	v_lshlrev_b32_e32 v14, 2, v14
	s_add_co_i32 s0, s12, s0
	v_add_nc_u64_e32 v[4:5], s[14:15], v[4:5]
	s_and_b32 s29, s0, -8
	s_lshl_b32 s30, s6, 3
	s_sub_co_i32 s1, s12, s29
	v_cmp_gt_u32_e64 s2, 32, v0
	v_cmp_gt_u32_e64 s1, s1, v0
	v_lshl_or_b32 v10, v1, 2, 64
	v_add_lshl_u32 v13, v7, v1, 2
	v_cmp_gt_u32_e64 s4, 8, v0
	v_cmp_eq_u32_e64 s5, 0, v0
	v_add_nc_u64_e32 v[0:1], 28, v[4:5]
	s_cmp_neq_f32 s13, 0
	s_mov_b32 s19, s7
	v_cmp_gt_i32_e64 s0, s29, v8
	v_cmp_eq_u32_e64 s3, 0, v6
	v_and_b32_e32 v15, 28, v15
	s_mov_b32 s16, s12
	s_mul_u64 s[24:25], s[20:21], s[18:19]
	s_mul_i32 s19, s27, s28
	s_cselect_b32 s12, -1, 0
	s_lshl_b64 s[20:21], s[16:17], 2
	s_add_co_i32 s19, s18, s19
	s_lshl_b32 s31, s28, 16
	s_lshl_b32 s22, s6, 5
	s_mov_b32 s23, s7
	s_lshl_b64 s[10:11], s[10:11], 1
	s_lshl_b64 s[24:25], s[24:25], 1
	s_branch .LBB445_4
.LBB445_2:                              ;   in Loop: Header=BB445_4 Depth=1
	s_wait_dscnt 0x0
	s_delay_alu instid0(VALU_DEP_1)
	v_cvt_f16_f32_e32 v6, v6
	flat_store_b16 v[4:5], v6
.LBB445_3:                              ;   in Loop: Header=BB445_4 Depth=1
	s_wait_xcnt 0x0
	s_or_b32 exec_lo, exec_lo, s6
	s_add_co_i32 s27, s27, 0x10000
	s_add_co_i32 s19, s19, s31
	s_cmp_lt_u32 s27, s26
	s_cbranch_scc0 .LBB445_21
.LBB445_4:                              ; =>This Loop Header: Depth=1
                                        ;     Child Loop BB445_14 Depth 2
	v_dual_mov_b32 v4, s27 :: v_dual_mov_b32 v16, 0
	global_load_b64 v[4:5], v4, s[8:9] scale_offset
	s_wait_xcnt 0x0
	s_and_saveexec_b32 s6, s0
	s_cbranch_execnz .LBB445_13
; %bb.5:                                ;   in Loop: Header=BB445_4 Depth=1
	s_or_b32 exec_lo, exec_lo, s6
	s_and_saveexec_b32 s33, s1
	s_cbranch_execnz .LBB445_16
.LBB445_6:                              ;   in Loop: Header=BB445_4 Depth=1
	s_or_b32 exec_lo, exec_lo, s33
	s_and_saveexec_b32 s6, s2
.LBB445_7:                              ;   in Loop: Header=BB445_4 Depth=1
	ds_store_b32 v9, v3
.LBB445_8:                              ;   in Loop: Header=BB445_4 Depth=1
	s_or_b32 exec_lo, exec_lo, s6
	s_wait_dscnt 0x0
	ds_bpermute_b32 v6, v10, v16
	s_wait_loadcnt_dscnt 0x0
	s_barrier_signal -1
	s_barrier_wait -1
	v_add_f32_e32 v6, v16, v6
	ds_bpermute_b32 v7, v11, v6
	s_wait_dscnt 0x0
	v_add_f32_e32 v6, v6, v7
	ds_bpermute_b32 v7, v12, v6
	s_wait_dscnt 0x0
	;; [unrolled: 3-line block ×3, first 2 shown]
	v_add_f32_e32 v6, v6, v7
	ds_bpermute_b32 v7, v14, v6
	s_and_saveexec_b32 s6, s3
	s_cbranch_execz .LBB445_10
; %bb.9:                                ;   in Loop: Header=BB445_4 Depth=1
	s_wait_dscnt 0x0
	v_add_f32_e32 v6, v6, v7
	ds_store_b32 v15, v6
.LBB445_10:                             ;   in Loop: Header=BB445_4 Depth=1
	s_or_b32 exec_lo, exec_lo, s6
	v_mov_b32_e32 v6, 0
	s_wait_dscnt 0x0
	s_barrier_signal -1
	s_barrier_wait -1
	s_and_saveexec_b32 s6, s4
	s_cbranch_execnz .LBB445_17
; %bb.11:                               ;   in Loop: Header=BB445_4 Depth=1
	s_or_b32 exec_lo, exec_lo, s6
	s_and_saveexec_b32 s6, s2
	s_cbranch_execnz .LBB445_18
.LBB445_12:                             ;   in Loop: Header=BB445_4 Depth=1
	s_or_b32 exec_lo, exec_lo, s6
	s_and_saveexec_b32 s6, s5
	s_cbranch_execz .LBB445_3
	s_branch .LBB445_19
.LBB445_13:                             ;   in Loop: Header=BB445_4 Depth=1
	s_wait_dscnt 0x0
	v_mad_nc_u64_u32 v[6:7], s20, s19, v[0:1]
	v_dual_mov_b32 v16, 0 :: v_dual_mov_b32 v17, v8
	s_mov_b32 s33, 0
	s_delay_alu instid0(VALU_DEP_2)
	v_mad_u32 v7, s21, s19, v7
.LBB445_14:                             ;   Parent Loop BB445_4 Depth=1
                                        ; =>  This Inner Loop Header: Depth=2
	s_clause 0x1
	global_load_b128 v[18:21], v[6:7], off offset:-28
	global_load_b128 v[22:25], v[6:7], off offset:-12
	s_wait_xcnt 0x0
	v_add_nc_u64_e32 v[6:7], s[22:23], v[6:7]
	v_add_nc_u32_e32 v17, s30, v17
	s_delay_alu instid0(VALU_DEP_1) | instskip(SKIP_3) | instid1(VALU_DEP_1)
	v_cmp_le_i32_e32 vcc_lo, s29, v17
	s_or_b32 s33, vcc_lo, s33
	s_wait_loadcnt 0x1
	v_add_f32_e32 v16, v16, v18
	v_add_f32_e32 v16, v16, v19
	s_delay_alu instid0(VALU_DEP_1) | instskip(NEXT) | instid1(VALU_DEP_1)
	v_add_f32_e32 v16, v16, v20
	v_add_f32_e32 v16, v16, v21
	s_wait_loadcnt 0x0
	s_delay_alu instid0(VALU_DEP_1) | instskip(NEXT) | instid1(VALU_DEP_1)
	v_add_f32_e32 v16, v16, v22
	v_add_f32_e32 v16, v16, v23
	s_delay_alu instid0(VALU_DEP_1) | instskip(NEXT) | instid1(VALU_DEP_1)
	v_add_f32_e32 v16, v16, v24
	v_add_f32_e32 v16, v16, v25
	s_and_not1_b32 exec_lo, exec_lo, s33
	s_cbranch_execnz .LBB445_14
; %bb.15:                               ;   in Loop: Header=BB445_4 Depth=1
	s_or_b32 exec_lo, exec_lo, s33
	s_delay_alu instid0(SALU_CYCLE_1)
	s_or_b32 exec_lo, exec_lo, s6
	s_and_saveexec_b32 s33, s1
	s_cbranch_execz .LBB445_6
.LBB445_16:                             ;   in Loop: Header=BB445_4 Depth=1
	s_mul_i32 s6, s28, s27
	s_delay_alu instid0(SALU_CYCLE_1) | instskip(NEXT) | instid1(SALU_CYCLE_1)
	s_add_co_i32 s6, s6, s18
	s_mul_u64 s[34:35], s[6:7], s[16:17]
	s_delay_alu instid0(SALU_CYCLE_1) | instskip(NEXT) | instid1(SALU_CYCLE_1)
	s_lshl_b64 s[34:35], s[34:35], 2
	s_add_nc_u64 s[34:35], s[14:15], s[34:35]
	s_wait_dscnt 0x0
	v_lshl_add_u64 v[6:7], v[2:3], 2, s[34:35]
	global_load_b32 v6, v[6:7], off
	s_wait_loadcnt 0x0
	v_add_f32_e32 v16, v16, v6
	s_wait_xcnt 0x0
	s_or_b32 exec_lo, exec_lo, s33
	s_and_saveexec_b32 s6, s2
	s_cbranch_execnz .LBB445_7
	s_branch .LBB445_8
.LBB445_17:                             ;   in Loop: Header=BB445_4 Depth=1
	ds_load_b32 v6, v9
	s_or_b32 exec_lo, exec_lo, s6
	s_and_saveexec_b32 s6, s2
	s_cbranch_execz .LBB445_12
.LBB445_18:                             ;   in Loop: Header=BB445_4 Depth=1
	s_wait_dscnt 0x0
	ds_bpermute_b32 v7, v12, v6
	s_wait_dscnt 0x0
	v_add_f32_e32 v6, v6, v7
	ds_bpermute_b32 v7, v13, v6
	s_wait_dscnt 0x0
	v_add_f32_e32 v6, v6, v7
	;; [unrolled: 3-line block ×3, first 2 shown]
	s_or_b32 exec_lo, exec_lo, s6
	s_and_saveexec_b32 s6, s5
	s_cbranch_execz .LBB445_3
.LBB445_19:                             ;   in Loop: Header=BB445_4 Depth=1
	v_add_nc_u64_e32 v[4:5], s[10:11], v[4:5]
	s_and_not1_b32 vcc_lo, exec_lo, s12
	s_delay_alu instid0(VALU_DEP_1)
	v_add_nc_u64_e32 v[4:5], s[24:25], v[4:5]
	s_cbranch_vccnz .LBB445_2
; %bb.20:                               ;   in Loop: Header=BB445_4 Depth=1
	flat_load_u16 v7, v[4:5]
	s_wait_loadcnt_dscnt 0x0
	v_fma_mix_f32 v6, s13, v7, v6 op_sel_hi:[0,1,0]
	s_branch .LBB445_2
.LBB445_21:
	s_endpgm
	.section	.rodata,"a",@progbits
	.p2align	6, 0x0
	.amdhsa_kernel _ZL23rocblas_gemvt_sn_reduceILi256ELi8EffKPDF16_EviT2_lPT3_lilPT1_i
		.amdhsa_group_segment_fixed_size 128
		.amdhsa_private_segment_fixed_size 0
		.amdhsa_kernarg_size 320
		.amdhsa_user_sgpr_count 2
		.amdhsa_user_sgpr_dispatch_ptr 0
		.amdhsa_user_sgpr_queue_ptr 0
		.amdhsa_user_sgpr_kernarg_segment_ptr 1
		.amdhsa_user_sgpr_dispatch_id 0
		.amdhsa_user_sgpr_kernarg_preload_length 0
		.amdhsa_user_sgpr_kernarg_preload_offset 0
		.amdhsa_user_sgpr_private_segment_size 0
		.amdhsa_wavefront_size32 1
		.amdhsa_uses_dynamic_stack 0
		.amdhsa_enable_private_segment 0
		.amdhsa_system_sgpr_workgroup_id_x 1
		.amdhsa_system_sgpr_workgroup_id_y 1
		.amdhsa_system_sgpr_workgroup_id_z 1
		.amdhsa_system_sgpr_workgroup_info 0
		.amdhsa_system_vgpr_workitem_id 0
		.amdhsa_next_free_vgpr 26
		.amdhsa_next_free_sgpr 36
		.amdhsa_named_barrier_count 0
		.amdhsa_reserve_vcc 1
		.amdhsa_float_round_mode_32 0
		.amdhsa_float_round_mode_16_64 0
		.amdhsa_float_denorm_mode_32 3
		.amdhsa_float_denorm_mode_16_64 3
		.amdhsa_fp16_overflow 0
		.amdhsa_memory_ordered 1
		.amdhsa_forward_progress 1
		.amdhsa_inst_pref_size 9
		.amdhsa_round_robin_scheduling 0
		.amdhsa_exception_fp_ieee_invalid_op 0
		.amdhsa_exception_fp_denorm_src 0
		.amdhsa_exception_fp_ieee_div_zero 0
		.amdhsa_exception_fp_ieee_overflow 0
		.amdhsa_exception_fp_ieee_underflow 0
		.amdhsa_exception_fp_ieee_inexact 0
		.amdhsa_exception_int_div_zero 0
	.end_amdhsa_kernel
	.section	.text._ZL23rocblas_gemvt_sn_reduceILi256ELi8EffKPDF16_EviT2_lPT3_lilPT1_i,"axG",@progbits,_ZL23rocblas_gemvt_sn_reduceILi256ELi8EffKPDF16_EviT2_lPT3_lilPT1_i,comdat
.Lfunc_end445:
	.size	_ZL23rocblas_gemvt_sn_reduceILi256ELi8EffKPDF16_EviT2_lPT3_lilPT1_i, .Lfunc_end445-_ZL23rocblas_gemvt_sn_reduceILi256ELi8EffKPDF16_EviT2_lPT3_lilPT1_i
                                        ; -- End function
	.set _ZL23rocblas_gemvt_sn_reduceILi256ELi8EffKPDF16_EviT2_lPT3_lilPT1_i.num_vgpr, 26
	.set _ZL23rocblas_gemvt_sn_reduceILi256ELi8EffKPDF16_EviT2_lPT3_lilPT1_i.num_agpr, 0
	.set _ZL23rocblas_gemvt_sn_reduceILi256ELi8EffKPDF16_EviT2_lPT3_lilPT1_i.numbered_sgpr, 36
	.set _ZL23rocblas_gemvt_sn_reduceILi256ELi8EffKPDF16_EviT2_lPT3_lilPT1_i.num_named_barrier, 0
	.set _ZL23rocblas_gemvt_sn_reduceILi256ELi8EffKPDF16_EviT2_lPT3_lilPT1_i.private_seg_size, 0
	.set _ZL23rocblas_gemvt_sn_reduceILi256ELi8EffKPDF16_EviT2_lPT3_lilPT1_i.uses_vcc, 1
	.set _ZL23rocblas_gemvt_sn_reduceILi256ELi8EffKPDF16_EviT2_lPT3_lilPT1_i.uses_flat_scratch, 0
	.set _ZL23rocblas_gemvt_sn_reduceILi256ELi8EffKPDF16_EviT2_lPT3_lilPT1_i.has_dyn_sized_stack, 0
	.set _ZL23rocblas_gemvt_sn_reduceILi256ELi8EffKPDF16_EviT2_lPT3_lilPT1_i.has_recursion, 0
	.set _ZL23rocblas_gemvt_sn_reduceILi256ELi8EffKPDF16_EviT2_lPT3_lilPT1_i.has_indirect_call, 0
	.section	.AMDGPU.csdata,"",@progbits
; Kernel info:
; codeLenInByte = 1128
; TotalNumSgprs: 38
; NumVgprs: 26
; ScratchSize: 0
; MemoryBound: 0
; FloatMode: 240
; IeeeMode: 1
; LDSByteSize: 128 bytes/workgroup (compile time only)
; SGPRBlocks: 0
; VGPRBlocks: 1
; NumSGPRsForWavesPerEU: 38
; NumVGPRsForWavesPerEU: 26
; NamedBarCnt: 0
; Occupancy: 16
; WaveLimiterHint : 1
; COMPUTE_PGM_RSRC2:SCRATCH_EN: 0
; COMPUTE_PGM_RSRC2:USER_SGPR: 2
; COMPUTE_PGM_RSRC2:TRAP_HANDLER: 0
; COMPUTE_PGM_RSRC2:TGID_X_EN: 1
; COMPUTE_PGM_RSRC2:TGID_Y_EN: 1
; COMPUTE_PGM_RSRC2:TGID_Z_EN: 1
; COMPUTE_PGM_RSRC2:TIDIG_COMP_CNT: 0
	.section	.text._ZL32rocblas_gemvt_warp_reduce_kernelILb0ELi256EiPKDF16_PKfKPDF16_EviiT3_lPKT2_lT1_lS9_lSA_lS6_lPT4_lSA_li,"axG",@progbits,_ZL32rocblas_gemvt_warp_reduce_kernelILb0ELi256EiPKDF16_PKfKPDF16_EviiT3_lPKT2_lT1_lS9_lSA_lS6_lPT4_lSA_li,comdat
	.globl	_ZL32rocblas_gemvt_warp_reduce_kernelILb0ELi256EiPKDF16_PKfKPDF16_EviiT3_lPKT2_lT1_lS9_lSA_lS6_lPT4_lSA_li ; -- Begin function _ZL32rocblas_gemvt_warp_reduce_kernelILb0ELi256EiPKDF16_PKfKPDF16_EviiT3_lPKT2_lT1_lS9_lSA_lS6_lPT4_lSA_li
	.p2align	8
	.type	_ZL32rocblas_gemvt_warp_reduce_kernelILb0ELi256EiPKDF16_PKfKPDF16_EviiT3_lPKT2_lT1_lS9_lSA_lS6_lPT4_lSA_li,@function
_ZL32rocblas_gemvt_warp_reduce_kernelILb0ELi256EiPKDF16_PKfKPDF16_EviiT3_lPKT2_lT1_lS9_lSA_lS6_lPT4_lSA_li: ; @_ZL32rocblas_gemvt_warp_reduce_kernelILb0ELi256EiPKDF16_PKfKPDF16_EviiT3_lPKT2_lT1_lS9_lSA_lS6_lPT4_lSA_li
; %bb.0:
	s_load_b32 s33, s[0:1], 0x88
	s_bfe_u32 s2, ttmp6, 0x40014
	s_lshr_b32 s3, ttmp7, 16
	s_add_co_i32 s2, s2, 1
	s_bfe_u32 s5, ttmp6, 0x40008
	s_mul_i32 s4, s3, s2
	s_getreg_b32 s2, hwreg(HW_REG_IB_STS2, 6, 4)
	s_add_co_i32 s5, s5, s4
	s_cmp_eq_u32 s2, 0
	s_mov_b32 s29, 0
	s_cselect_b32 s28, s3, s5
	s_wait_kmcnt 0x0
	s_cmp_ge_u32 s28, s33
	s_cbranch_scc1 .LBB446_38
; %bb.1:
	s_clause 0x6
	s_load_b32 s5, s[0:1], 0x0
	s_load_b256 s[8:15], s[0:1], 0x8
	s_load_b32 s4, s[0:1], 0x28
	s_load_b128 s[24:27], s[0:1], 0x38
	s_load_b32 s7, s[0:1], 0x48
	s_load_b256 s[16:23], s[0:1], 0x58
	s_load_b32 s6, s[0:1], 0x78
	s_wait_xcnt 0x0
	s_bfe_u32 s1, ttmp6, 0x4000c
	s_and_b32 s3, ttmp6, 15
	s_add_co_i32 s1, s1, 1
	v_dual_mov_b32 v3, 0 :: v_dual_bitop2_b32 v2, 31, v0 bitop3:0x40
	s_mul_i32 s30, ttmp9, s1
	v_lshrrev_b32_e32 v4, 3, v0
	s_add_co_i32 s3, s3, s30
	s_cmp_eq_u32 s2, 0
	v_lshlrev_b32_e32 v14, 2, v2
	s_cselect_b32 s31, ttmp9, s3
	v_mbcnt_lo_u32_b32 v1, -1, 0
	v_cmp_eq_u32_e64 s0, 0, v0
	s_wait_kmcnt 0x0
	s_ashr_i32 s3, s5, 31
	v_cmp_gt_i32_e32 vcc_lo, s5, v0
	s_lshr_b32 s3, s3, 24
	v_cmp_gt_u32_e64 s1, 32, v0
	s_add_co_i32 s3, s5, s3
	v_mul_lo_u32 v16, v0, s7
	s_and_b32 s30, s3, 0xffffff00
	v_cmp_eq_u32_e64 s3, 0, v2
	v_dual_cndmask_b32 v2, 0, v0, vcc_lo :: v_dual_bitop2_b32 v5, s30, v0 bitop3:0x54
	v_and_b32_e32 v15, 28, v4
	s_mul_i32 s6, s6, s31
	v_cmp_gt_u32_e64 s2, 8, v0
	s_delay_alu instid0(VALU_DEP_3)
	v_mul_lo_u32 v4, s7, v5
	s_mul_i32 s34, s4, s31
	v_lshlrev_b32_e32 v2, 1, v2
	v_cmp_gt_i32_e64 s4, s30, v0
	v_cmp_gt_i32_e64 s5, s5, v5
	v_lshl_or_b32 v17, v1, 2, 64
	s_lshl_b32 s38, s7, 8
	s_ashr_i32 s7, s6, 31
	s_lshl_b64 s[14:15], s[14:15], 1
	s_ashr_i32 s35, s34, 31
	s_ashr_i32 s31, s30, 31
	v_ashrrev_i32_e32 v5, 31, v4
	s_lshl_b64 s[26:27], s[26:27], 1
	s_lshl_b64 s[22:23], s[22:23], 1
	;; [unrolled: 1-line block ×3, first 2 shown]
	s_branch .LBB446_4
.LBB446_2:                              ;   in Loop: Header=BB446_4 Depth=1
	s_wait_xcnt 0x0
	s_or_b32 exec_lo, exec_lo, s7
.LBB446_3:                              ;   in Loop: Header=BB446_4 Depth=1
	s_add_co_i32 s28, s28, 0x10000
	s_delay_alu instid0(SALU_CYCLE_1)
	s_cmp_lt_u32 s28, s33
	s_cbranch_scc0 .LBB446_38
.LBB446_4:                              ; =>This Loop Header: Depth=1
                                        ;     Child Loop BB446_27 Depth 2
	s_mul_u64 s[6:7], s[10:11], s[28:29]
	s_wait_xcnt 0x0
	s_mul_u64 s[40:41], s[18:19], s[28:29]
	s_lshl_b64 s[6:7], s[6:7], 2
	s_lshl_b64 s[40:41], s[40:41], 2
	s_add_nc_u64 s[6:7], s[8:9], s[6:7]
	s_add_nc_u64 s[40:41], s[16:17], s[40:41]
	s_clause 0x1
	global_load_b32 v18, v3, s[6:7]
	global_load_b32 v6, v3, s[40:41]
	s_wait_loadcnt 0x1
	s_wait_xcnt 0x1
	v_cmp_eq_f32_e64 s6, 0, v18
	s_wait_loadcnt 0x0
	v_cmp_eq_f32_e32 vcc_lo, 1.0, v6
	v_readfirstlane_b32 s39, v6
	s_and_b32 s7, s6, vcc_lo
	s_delay_alu instid0(SALU_CYCLE_1)
	s_and_b32 vcc_lo, exec_lo, s7
	s_cbranch_vccnz .LBB446_3
; %bb.5:                                ;   in Loop: Header=BB446_4 Depth=1
	v_mov_b64_e32 v[8:9], 0
	s_wait_dscnt 0x0
	v_mov_b64_e32 v[10:11], 0
	v_cmp_neq_f32_e64 s7, 0, v18
	s_and_b32 vcc_lo, exec_lo, s6
	s_cbranch_vccnz .LBB446_7
; %bb.6:                                ;   in Loop: Header=BB446_4 Depth=1
	s_wait_xcnt 0x0
	s_lshl_b64 s[40:41], s[28:29], 3
	s_delay_alu instid0(SALU_CYCLE_1)
	s_add_nc_u64 s[40:41], s[12:13], s[40:41]
	global_load_b64 v[6:7], v3, s[40:41]
	s_wait_loadcnt 0x0
	v_add_nc_u64_e32 v[10:11], s[14:15], v[6:7]
.LBB446_7:                              ;   in Loop: Header=BB446_4 Depth=1
	s_and_not1_b32 vcc_lo, exec_lo, s7
	s_cbranch_vccnz .LBB446_9
; %bb.8:                                ;   in Loop: Header=BB446_4 Depth=1
	s_wait_xcnt 0x0
	s_lshl_b64 s[40:41], s[28:29], 3
	s_delay_alu instid0(SALU_CYCLE_1)
	s_add_nc_u64 s[40:41], s[24:25], s[40:41]
	global_load_b64 v[6:7], v3, s[40:41]
	s_wait_loadcnt 0x0
	v_add_nc_u64_e32 v[8:9], s[26:27], v[6:7]
.LBB446_9:                              ;   in Loop: Header=BB446_4 Depth=1
	s_wait_xcnt 0x0
	s_lshl_b64 s[40:41], s[28:29], 3
	s_and_not1_b32 vcc_lo, exec_lo, s6
	s_add_nc_u64 s[40:41], s[20:21], s[40:41]
	global_load_b64 v[6:7], v3, s[40:41]
	s_wait_loadcnt 0x0
	v_add_nc_u64_e32 v[6:7], s[22:23], v[6:7]
	s_cbranch_vccnz .LBB446_13
; %bb.10:                               ;   in Loop: Header=BB446_4 Depth=1
	s_mov_b32 s7, 0
	s_mov_b32 s6, 0
                                        ; implicit-def: $vgpr12
	s_wait_xcnt 0x0
	s_and_saveexec_b32 s40, s0
	s_cbranch_execz .LBB446_14
; %bb.11:                               ;   in Loop: Header=BB446_4 Depth=1
	s_cmp_eq_f32 s39, 0
	s_cbranch_scc1 .LBB446_15
; %bb.12:                               ;   in Loop: Header=BB446_4 Depth=1
	v_add_nc_u64_e32 v[12:13], s[36:37], v[6:7]
	flat_load_u16 v12, v[12:13]
	s_wait_loadcnt_dscnt 0x0
	s_wait_xcnt 0x0
	v_fma_mixlo_f16 v12, s39, v12, 0 op_sel_hi:[0,1,0]
	s_branch .LBB446_16
.LBB446_13:                             ;   in Loop: Header=BB446_4 Depth=1
	s_mov_b32 s6, 0
                                        ; implicit-def: $vgpr12
	s_cbranch_execnz .LBB446_17
	s_branch .LBB446_36
.LBB446_14:                             ;   in Loop: Header=BB446_4 Depth=1
	s_or_b32 exec_lo, exec_lo, s40
	s_delay_alu instid0(SALU_CYCLE_1)
	s_and_b32 vcc_lo, exec_lo, s7
	s_cbranch_vccnz .LBB446_17
	s_branch .LBB446_36
.LBB446_15:                             ;   in Loop: Header=BB446_4 Depth=1
	v_mov_b32_e32 v12, 0
.LBB446_16:                             ;   in Loop: Header=BB446_4 Depth=1
	s_mov_b32 s6, exec_lo
	s_or_b32 exec_lo, exec_lo, s40
	s_delay_alu instid0(SALU_CYCLE_1)
	s_and_b32 vcc_lo, exec_lo, s7
	s_cbranch_vccz .LBB446_36
.LBB446_17:                             ;   in Loop: Header=BB446_4 Depth=1
	v_add_nc_u64_e32 v[10:11], v[10:11], v[2:3]
	v_mov_b32_e32 v19, 0
	s_delay_alu instid0(VALU_DEP_2)
	v_lshl_add_u64 v[10:11], s[34:35], 1, v[10:11]
	s_wait_xcnt 0x0
	s_and_saveexec_b32 s7, s4
	s_cbranch_execnz .LBB446_26
; %bb.18:                               ;   in Loop: Header=BB446_4 Depth=1
	s_or_b32 exec_lo, exec_lo, s7
	s_and_saveexec_b32 s7, s5
	s_cbranch_execnz .LBB446_29
.LBB446_19:                             ;   in Loop: Header=BB446_4 Depth=1
	s_or_b32 exec_lo, exec_lo, s7
	s_and_saveexec_b32 s7, s1
.LBB446_20:                             ;   in Loop: Header=BB446_4 Depth=1
	ds_store_b32 v14, v3
.LBB446_21:                             ;   in Loop: Header=BB446_4 Depth=1
	s_or_b32 exec_lo, exec_lo, s7
	ds_bpermute_b32 v8, v17, v19
	v_cmp_gt_u32_e32 vcc_lo, 24, v1
	s_wait_dscnt 0x0
	s_barrier_signal -1
	s_barrier_wait -1
	v_cndmask_b32_e64 v9, 0, 8, vcc_lo
	v_cmp_gt_u32_e32 vcc_lo, 28, v1
	s_delay_alu instid0(VALU_DEP_2)
	v_add_lshl_u32 v9, v9, v1, 2
	v_add_f32_e32 v10, v19, v8
	v_cndmask_b32_e64 v8, 0, 4, vcc_lo
	v_cmp_gt_u32_e32 vcc_lo, 30, v1
	ds_bpermute_b32 v9, v9, v10
	v_add_lshl_u32 v8, v8, v1, 2
	s_wait_dscnt 0x0
	v_add_f32_e32 v10, v10, v9
	v_cndmask_b32_e64 v9, 0, 2, vcc_lo
	v_cmp_ne_u32_e32 vcc_lo, 31, v1
	ds_bpermute_b32 v11, v8, v10
	v_add_lshl_u32 v9, v9, v1, 2
	v_add_co_ci_u32_e64 v12, null, 0, v1, vcc_lo
	s_wait_dscnt 0x0
	v_add_f32_e32 v10, v10, v11
	ds_bpermute_b32 v11, v9, v10
	s_wait_dscnt 0x0
	v_dual_add_f32 v11, v10, v11 :: v_dual_lshlrev_b32 v10, 2, v12
	ds_bpermute_b32 v12, v10, v11
	s_and_saveexec_b32 s7, s3
	s_cbranch_execz .LBB446_23
; %bb.22:                               ;   in Loop: Header=BB446_4 Depth=1
	s_wait_dscnt 0x0
	v_add_f32_e32 v11, v11, v12
	ds_store_b32 v15, v11
.LBB446_23:                             ;   in Loop: Header=BB446_4 Depth=1
	s_or_b32 exec_lo, exec_lo, s7
	v_mov_b32_e32 v11, 0
	s_wait_dscnt 0x0
	s_barrier_signal -1
	s_barrier_wait -1
	s_and_saveexec_b32 s7, s2
	s_cbranch_execnz .LBB446_30
; %bb.24:                               ;   in Loop: Header=BB446_4 Depth=1
	s_or_b32 exec_lo, exec_lo, s7
	s_and_saveexec_b32 s7, s1
	s_cbranch_execnz .LBB446_31
.LBB446_25:                             ;   in Loop: Header=BB446_4 Depth=1
	s_or_b32 exec_lo, exec_lo, s7
                                        ; implicit-def: $vgpr12
	s_and_saveexec_b32 s7, s0
	s_cbranch_execnz .LBB446_32
	s_branch .LBB446_35
.LBB446_26:                             ;   in Loop: Header=BB446_4 Depth=1
	s_delay_alu instid0(VALU_DEP_1)
	v_mov_b64_e32 v[12:13], v[10:11]
	v_dual_mov_b32 v19, 0 :: v_dual_mov_b32 v20, v16
	v_mov_b32_e32 v21, v0
	s_mov_b32 s40, 0
.LBB446_27:                             ;   Parent Loop BB446_4 Depth=1
                                        ; =>  This Inner Loop Header: Depth=2
	v_readfirstlane_b32 s42, v8
	v_readfirstlane_b32 s43, v9
	s_delay_alu instid0(VALU_DEP_3)
	v_add_nc_u32_e32 v21, 0x100, v21
	flat_load_u16 v22, v[12:13]
	flat_load_u16 v23, v20, s[42:43] scale_offset
	s_wait_xcnt 0x1
	v_add_nc_u64_e32 v[12:13], 0x200, v[12:13]
	v_cmp_le_i32_e32 vcc_lo, s30, v21
	s_or_b32 s40, vcc_lo, s40
	s_wait_loadcnt_dscnt 0x0
	v_mul_f16_e32 v22, v22, v23
	s_delay_alu instid0(VALU_DEP_1) | instskip(SKIP_1) | instid1(VALU_DEP_1)
	v_cvt_f32_f16_e32 v22, v22
	s_wait_xcnt 0x0
	v_dual_add_f32 v19, v19, v22 :: v_dual_add_nc_u32 v20, s38, v20
	s_and_not1_b32 exec_lo, exec_lo, s40
	s_cbranch_execnz .LBB446_27
; %bb.28:                               ;   in Loop: Header=BB446_4 Depth=1
	s_or_b32 exec_lo, exec_lo, s40
	s_delay_alu instid0(SALU_CYCLE_1)
	s_or_b32 exec_lo, exec_lo, s7
	s_and_saveexec_b32 s7, s5
	s_cbranch_execz .LBB446_19
.LBB446_29:                             ;   in Loop: Header=BB446_4 Depth=1
	v_lshl_add_u64 v[10:11], s[30:31], 1, v[10:11]
	v_lshl_add_u64 v[8:9], v[4:5], 1, v[8:9]
	flat_load_u16 v12, v[10:11]
	flat_load_u16 v13, v[8:9]
	s_wait_loadcnt_dscnt 0x0
	s_wait_xcnt 0x0
	v_mul_f16_e32 v8, v12, v13
	s_delay_alu instid0(VALU_DEP_1) | instskip(NEXT) | instid1(VALU_DEP_1)
	v_cvt_f32_f16_e32 v8, v8
	v_add_f32_e32 v19, v19, v8
	s_or_b32 exec_lo, exec_lo, s7
	s_and_saveexec_b32 s7, s1
	s_cbranch_execnz .LBB446_20
	s_branch .LBB446_21
.LBB446_30:                             ;   in Loop: Header=BB446_4 Depth=1
	ds_load_b32 v11, v14
	s_or_b32 exec_lo, exec_lo, s7
	s_and_saveexec_b32 s7, s1
	s_cbranch_execz .LBB446_25
.LBB446_31:                             ;   in Loop: Header=BB446_4 Depth=1
	s_wait_dscnt 0x0
	ds_bpermute_b32 v8, v8, v11
	s_wait_dscnt 0x0
	v_add_f32_e32 v8, v11, v8
	ds_bpermute_b32 v9, v9, v8
	s_wait_dscnt 0x0
	v_add_f32_e32 v8, v8, v9
	;; [unrolled: 3-line block ×3, first 2 shown]
	s_or_b32 exec_lo, exec_lo, s7
                                        ; implicit-def: $vgpr12
	s_and_saveexec_b32 s7, s0
	s_cbranch_execz .LBB446_35
.LBB446_32:                             ;   in Loop: Header=BB446_4 Depth=1
	s_wait_dscnt 0x0
	v_mul_f32_e32 v8, v18, v11
	s_cmp_eq_f32 s39, 0
	s_cbranch_scc1 .LBB446_34
; %bb.33:                               ;   in Loop: Header=BB446_4 Depth=1
	v_add_nc_u64_e32 v[10:11], s[36:37], v[6:7]
	flat_load_u16 v9, v[10:11]
	s_wait_loadcnt_dscnt 0x0
	v_fma_mix_f32 v8, s39, v9, v8 op_sel_hi:[0,1,0]
.LBB446_34:                             ;   in Loop: Header=BB446_4 Depth=1
	s_delay_alu instid0(VALU_DEP_1)
	v_cvt_f16_f32_e32 v12, v8
	s_or_b32 s6, s6, exec_lo
.LBB446_35:                             ;   in Loop: Header=BB446_4 Depth=1
	s_wait_xcnt 0x0
	s_or_b32 exec_lo, exec_lo, s7
.LBB446_36:                             ;   in Loop: Header=BB446_4 Depth=1
	s_wait_xcnt 0x0
	s_and_saveexec_b32 s7, s6
	s_cbranch_execz .LBB446_2
; %bb.37:                               ;   in Loop: Header=BB446_4 Depth=1
	v_add_nc_u64_e32 v[6:7], s[36:37], v[6:7]
	flat_store_b16 v[6:7], v12
	s_branch .LBB446_2
.LBB446_38:
	s_endpgm
	.section	.rodata,"a",@progbits
	.p2align	6, 0x0
	.amdhsa_kernel _ZL32rocblas_gemvt_warp_reduce_kernelILb0ELi256EiPKDF16_PKfKPDF16_EviiT3_lPKT2_lT1_lS9_lSA_lS6_lPT4_lSA_li
		.amdhsa_group_segment_fixed_size 128
		.amdhsa_private_segment_fixed_size 0
		.amdhsa_kernarg_size 140
		.amdhsa_user_sgpr_count 2
		.amdhsa_user_sgpr_dispatch_ptr 0
		.amdhsa_user_sgpr_queue_ptr 0
		.amdhsa_user_sgpr_kernarg_segment_ptr 1
		.amdhsa_user_sgpr_dispatch_id 0
		.amdhsa_user_sgpr_kernarg_preload_length 0
		.amdhsa_user_sgpr_kernarg_preload_offset 0
		.amdhsa_user_sgpr_private_segment_size 0
		.amdhsa_wavefront_size32 1
		.amdhsa_uses_dynamic_stack 0
		.amdhsa_enable_private_segment 0
		.amdhsa_system_sgpr_workgroup_id_x 1
		.amdhsa_system_sgpr_workgroup_id_y 0
		.amdhsa_system_sgpr_workgroup_id_z 1
		.amdhsa_system_sgpr_workgroup_info 0
		.amdhsa_system_vgpr_workitem_id 0
		.amdhsa_next_free_vgpr 24
		.amdhsa_next_free_sgpr 44
		.amdhsa_named_barrier_count 0
		.amdhsa_reserve_vcc 1
		.amdhsa_float_round_mode_32 0
		.amdhsa_float_round_mode_16_64 0
		.amdhsa_float_denorm_mode_32 3
		.amdhsa_float_denorm_mode_16_64 3
		.amdhsa_fp16_overflow 0
		.amdhsa_memory_ordered 1
		.amdhsa_forward_progress 1
		.amdhsa_inst_pref_size 12
		.amdhsa_round_robin_scheduling 0
		.amdhsa_exception_fp_ieee_invalid_op 0
		.amdhsa_exception_fp_denorm_src 0
		.amdhsa_exception_fp_ieee_div_zero 0
		.amdhsa_exception_fp_ieee_overflow 0
		.amdhsa_exception_fp_ieee_underflow 0
		.amdhsa_exception_fp_ieee_inexact 0
		.amdhsa_exception_int_div_zero 0
	.end_amdhsa_kernel
	.section	.text._ZL32rocblas_gemvt_warp_reduce_kernelILb0ELi256EiPKDF16_PKfKPDF16_EviiT3_lPKT2_lT1_lS9_lSA_lS6_lPT4_lSA_li,"axG",@progbits,_ZL32rocblas_gemvt_warp_reduce_kernelILb0ELi256EiPKDF16_PKfKPDF16_EviiT3_lPKT2_lT1_lS9_lSA_lS6_lPT4_lSA_li,comdat
.Lfunc_end446:
	.size	_ZL32rocblas_gemvt_warp_reduce_kernelILb0ELi256EiPKDF16_PKfKPDF16_EviiT3_lPKT2_lT1_lS9_lSA_lS6_lPT4_lSA_li, .Lfunc_end446-_ZL32rocblas_gemvt_warp_reduce_kernelILb0ELi256EiPKDF16_PKfKPDF16_EviiT3_lPKT2_lT1_lS9_lSA_lS6_lPT4_lSA_li
                                        ; -- End function
	.set _ZL32rocblas_gemvt_warp_reduce_kernelILb0ELi256EiPKDF16_PKfKPDF16_EviiT3_lPKT2_lT1_lS9_lSA_lS6_lPT4_lSA_li.num_vgpr, 24
	.set _ZL32rocblas_gemvt_warp_reduce_kernelILb0ELi256EiPKDF16_PKfKPDF16_EviiT3_lPKT2_lT1_lS9_lSA_lS6_lPT4_lSA_li.num_agpr, 0
	.set _ZL32rocblas_gemvt_warp_reduce_kernelILb0ELi256EiPKDF16_PKfKPDF16_EviiT3_lPKT2_lT1_lS9_lSA_lS6_lPT4_lSA_li.numbered_sgpr, 44
	.set _ZL32rocblas_gemvt_warp_reduce_kernelILb0ELi256EiPKDF16_PKfKPDF16_EviiT3_lPKT2_lT1_lS9_lSA_lS6_lPT4_lSA_li.num_named_barrier, 0
	.set _ZL32rocblas_gemvt_warp_reduce_kernelILb0ELi256EiPKDF16_PKfKPDF16_EviiT3_lPKT2_lT1_lS9_lSA_lS6_lPT4_lSA_li.private_seg_size, 0
	.set _ZL32rocblas_gemvt_warp_reduce_kernelILb0ELi256EiPKDF16_PKfKPDF16_EviiT3_lPKT2_lT1_lS9_lSA_lS6_lPT4_lSA_li.uses_vcc, 1
	.set _ZL32rocblas_gemvt_warp_reduce_kernelILb0ELi256EiPKDF16_PKfKPDF16_EviiT3_lPKT2_lT1_lS9_lSA_lS6_lPT4_lSA_li.uses_flat_scratch, 0
	.set _ZL32rocblas_gemvt_warp_reduce_kernelILb0ELi256EiPKDF16_PKfKPDF16_EviiT3_lPKT2_lT1_lS9_lSA_lS6_lPT4_lSA_li.has_dyn_sized_stack, 0
	.set _ZL32rocblas_gemvt_warp_reduce_kernelILb0ELi256EiPKDF16_PKfKPDF16_EviiT3_lPKT2_lT1_lS9_lSA_lS6_lPT4_lSA_li.has_recursion, 0
	.set _ZL32rocblas_gemvt_warp_reduce_kernelILb0ELi256EiPKDF16_PKfKPDF16_EviiT3_lPKT2_lT1_lS9_lSA_lS6_lPT4_lSA_li.has_indirect_call, 0
	.section	.AMDGPU.csdata,"",@progbits
; Kernel info:
; codeLenInByte = 1472
; TotalNumSgprs: 46
; NumVgprs: 24
; ScratchSize: 0
; MemoryBound: 0
; FloatMode: 240
; IeeeMode: 1
; LDSByteSize: 128 bytes/workgroup (compile time only)
; SGPRBlocks: 0
; VGPRBlocks: 1
; NumSGPRsForWavesPerEU: 46
; NumVGPRsForWavesPerEU: 24
; NamedBarCnt: 0
; Occupancy: 16
; WaveLimiterHint : 1
; COMPUTE_PGM_RSRC2:SCRATCH_EN: 0
; COMPUTE_PGM_RSRC2:USER_SGPR: 2
; COMPUTE_PGM_RSRC2:TRAP_HANDLER: 0
; COMPUTE_PGM_RSRC2:TGID_X_EN: 1
; COMPUTE_PGM_RSRC2:TGID_Y_EN: 0
; COMPUTE_PGM_RSRC2:TGID_Z_EN: 1
; COMPUTE_PGM_RSRC2:TIDIG_COMP_CNT: 0
	.section	.text._ZL32rocblas_gemvt_warp_reduce_kernelILb0ELi256ElPKDF16_PKfKPDF16_EviiT3_lPKT2_lT1_lS9_lSA_lS6_lPT4_lSA_li,"axG",@progbits,_ZL32rocblas_gemvt_warp_reduce_kernelILb0ELi256ElPKDF16_PKfKPDF16_EviiT3_lPKT2_lT1_lS9_lSA_lS6_lPT4_lSA_li,comdat
	.globl	_ZL32rocblas_gemvt_warp_reduce_kernelILb0ELi256ElPKDF16_PKfKPDF16_EviiT3_lPKT2_lT1_lS9_lSA_lS6_lPT4_lSA_li ; -- Begin function _ZL32rocblas_gemvt_warp_reduce_kernelILb0ELi256ElPKDF16_PKfKPDF16_EviiT3_lPKT2_lT1_lS9_lSA_lS6_lPT4_lSA_li
	.p2align	8
	.type	_ZL32rocblas_gemvt_warp_reduce_kernelILb0ELi256ElPKDF16_PKfKPDF16_EviiT3_lPKT2_lT1_lS9_lSA_lS6_lPT4_lSA_li,@function
_ZL32rocblas_gemvt_warp_reduce_kernelILb0ELi256ElPKDF16_PKfKPDF16_EviiT3_lPKT2_lT1_lS9_lSA_lS6_lPT4_lSA_li: ; @_ZL32rocblas_gemvt_warp_reduce_kernelILb0ELi256ElPKDF16_PKfKPDF16_EviiT3_lPKT2_lT1_lS9_lSA_lS6_lPT4_lSA_li
; %bb.0:
	s_load_b32 s33, s[0:1], 0x88
	s_bfe_u32 s2, ttmp6, 0x40014
	s_lshr_b32 s3, ttmp7, 16
	s_add_co_i32 s2, s2, 1
	s_bfe_u32 s5, ttmp6, 0x40008
	s_mul_i32 s4, s3, s2
	s_getreg_b32 s2, hwreg(HW_REG_IB_STS2, 6, 4)
	s_add_co_i32 s5, s5, s4
	s_cmp_eq_u32 s2, 0
	s_mov_b32 s29, 0
	s_cselect_b32 s28, s3, s5
	s_wait_kmcnt 0x0
	s_cmp_ge_u32 s28, s33
	s_cbranch_scc1 .LBB447_38
; %bb.1:
	s_clause 0x1
	s_load_b32 s31, s[0:1], 0x0
	s_load_b64 s[6:7], s[0:1], 0x48
	s_bfe_u32 s3, ttmp6, 0x4000c
	s_and_b32 s4, ttmp6, 15
	s_add_co_i32 s3, s3, 1
	s_clause 0x2
	s_load_b256 s[8:15], s[0:1], 0x8
	s_load_b128 s[24:27], s[0:1], 0x38
	s_load_b256 s[16:23], s[0:1], 0x58
	s_mul_i32 s3, ttmp9, s3
	v_mbcnt_lo_u32_b32 v19, -1, 0
	s_add_co_i32 s4, s4, s3
	s_cmp_eq_u32 s2, 0
	s_load_b64 s[34:35], s[0:1], 0x28
	s_cselect_b32 s2, ttmp9, s4
	s_load_b64 s[4:5], s[0:1], 0x78
	s_wait_xcnt 0x0
	v_cmp_eq_u32_e64 s0, 0, v0
	v_lshl_or_b32 v20, v19, 2, 64
	s_wait_kmcnt 0x0
	s_ashr_i32 s3, s31, 31
	v_cmp_gt_i32_e32 vcc_lo, s31, v0
	s_lshr_b32 s3, s3, 24
	s_lshl_b64 s[36:37], s[6:7], 9
	s_add_co_i32 s3, s31, s3
	s_lshl_b64 s[14:15], s[14:15], 1
	s_and_b32 s30, s3, 0xffffff00
	s_delay_alu instid0(SALU_CYCLE_1) | instskip(SKIP_3) | instid1(VALU_DEP_2)
	v_dual_mov_b32 v3, 0 :: v_dual_bitop2_b32 v6, s30, v0 bitop3:0x54
	s_ashr_i32 s3, s2, 31
	v_cndmask_b32_e32 v2, 0, v0, vcc_lo
	s_mul_u64 s[34:35], s[34:35], s[2:3]
	v_dual_mov_b32 v1, v3 :: v_dual_ashrrev_i32 v7, 31, v6
	s_mul_u64 s[38:39], s[4:5], s[2:3]
	v_cmp_gt_i32_e64 s2, s31, v6
	v_cmp_gt_i32_e64 s1, s30, v0
	s_delay_alu instid0(VALU_DEP_3) | instskip(SKIP_4) | instid1(VALU_DEP_3)
	v_mul_u64_e32 v[8:9], s[6:7], v[0:1]
	v_mul_u64_e32 v[4:5], s[6:7], v[6:7]
	v_dual_lshrrev_b32 v6, 3, v0 :: v_dual_bitop2_b32 v7, 31, v0 bitop3:0x40
	v_cmp_gt_u32_e64 s3, 32, v0
	v_cmp_gt_u32_e64 s5, 8, v0
	v_dual_lshlrev_b32 v2, 1, v2 :: v_dual_lshlrev_b32 v1, 2, v7
	v_cmp_eq_u32_e64 s4, 0, v7
	v_and_b32_e32 v18, 28, v6
	s_ashr_i32 s31, s30, 31
	s_lshl_b64 s[26:27], s[26:27], 1
	s_lshl_b64 s[22:23], s[22:23], 1
	;; [unrolled: 1-line block ×3, first 2 shown]
	v_lshlrev_b64_e32 v[6:7], 1, v[8:9]
	s_branch .LBB447_4
.LBB447_2:                              ;   in Loop: Header=BB447_4 Depth=1
	s_wait_xcnt 0x0
	s_or_b32 exec_lo, exec_lo, s7
.LBB447_3:                              ;   in Loop: Header=BB447_4 Depth=1
	s_add_co_i32 s28, s28, 0x10000
	s_delay_alu instid0(SALU_CYCLE_1)
	s_cmp_lt_u32 s28, s33
	s_cbranch_scc0 .LBB447_38
.LBB447_4:                              ; =>This Loop Header: Depth=1
                                        ;     Child Loop BB447_27 Depth 2
	s_mul_u64 s[6:7], s[10:11], s[28:29]
	s_mul_u64 s[40:41], s[18:19], s[28:29]
	s_lshl_b64 s[6:7], s[6:7], 2
	s_lshl_b64 s[40:41], s[40:41], 2
	s_add_nc_u64 s[6:7], s[8:9], s[6:7]
	s_add_nc_u64 s[40:41], s[16:17], s[40:41]
	s_clause 0x1
	global_load_b32 v21, v3, s[6:7]
	global_load_b32 v8, v3, s[40:41]
	s_wait_loadcnt 0x1
	s_wait_xcnt 0x1
	v_cmp_eq_f32_e64 s6, 0, v21
	s_wait_loadcnt 0x0
	v_cmp_eq_f32_e32 vcc_lo, 1.0, v8
	s_wait_xcnt 0x0
	v_readfirstlane_b32 s40, v8
	s_and_b32 s7, s6, vcc_lo
	s_delay_alu instid0(SALU_CYCLE_1)
	s_and_b32 vcc_lo, exec_lo, s7
	s_cbranch_vccnz .LBB447_3
; %bb.5:                                ;   in Loop: Header=BB447_4 Depth=1
	v_mov_b64_e32 v[10:11], 0
	s_wait_dscnt 0x0
	v_mov_b64_e32 v[12:13], 0
	v_cmp_neq_f32_e64 s7, 0, v21
	s_and_b32 vcc_lo, exec_lo, s6
	s_cbranch_vccnz .LBB447_7
; %bb.6:                                ;   in Loop: Header=BB447_4 Depth=1
	s_lshl_b64 s[42:43], s[28:29], 3
	s_delay_alu instid0(SALU_CYCLE_1)
	s_add_nc_u64 s[42:43], s[12:13], s[42:43]
	global_load_b64 v[8:9], v3, s[42:43]
	s_wait_loadcnt 0x0
	v_add_nc_u64_e32 v[12:13], s[14:15], v[8:9]
.LBB447_7:                              ;   in Loop: Header=BB447_4 Depth=1
	s_and_not1_b32 vcc_lo, exec_lo, s7
	s_cbranch_vccnz .LBB447_9
; %bb.8:                                ;   in Loop: Header=BB447_4 Depth=1
	s_wait_xcnt 0x0
	s_lshl_b64 s[42:43], s[28:29], 3
	s_delay_alu instid0(SALU_CYCLE_1)
	s_add_nc_u64 s[42:43], s[24:25], s[42:43]
	global_load_b64 v[8:9], v3, s[42:43]
	s_wait_loadcnt 0x0
	v_add_nc_u64_e32 v[10:11], s[26:27], v[8:9]
.LBB447_9:                              ;   in Loop: Header=BB447_4 Depth=1
	s_wait_xcnt 0x0
	s_lshl_b64 s[42:43], s[28:29], 3
	s_and_not1_b32 vcc_lo, exec_lo, s6
	s_add_nc_u64 s[42:43], s[20:21], s[42:43]
	global_load_b64 v[8:9], v3, s[42:43]
	s_wait_loadcnt 0x0
	v_add_nc_u64_e32 v[8:9], s[22:23], v[8:9]
	s_cbranch_vccnz .LBB447_13
; %bb.10:                               ;   in Loop: Header=BB447_4 Depth=1
	s_mov_b32 s7, 0
	s_mov_b32 s6, 0
                                        ; implicit-def: $vgpr14
	s_wait_xcnt 0x0
	s_and_saveexec_b32 s41, s0
	s_cbranch_execz .LBB447_14
; %bb.11:                               ;   in Loop: Header=BB447_4 Depth=1
	s_cmp_eq_f32 s40, 0
	s_cbranch_scc1 .LBB447_15
; %bb.12:                               ;   in Loop: Header=BB447_4 Depth=1
	v_add_nc_u64_e32 v[14:15], s[38:39], v[8:9]
	flat_load_u16 v14, v[14:15]
	s_wait_loadcnt_dscnt 0x0
	s_wait_xcnt 0x0
	v_fma_mixlo_f16 v14, s40, v14, 0 op_sel_hi:[0,1,0]
	s_branch .LBB447_16
.LBB447_13:                             ;   in Loop: Header=BB447_4 Depth=1
	s_mov_b32 s6, 0
                                        ; implicit-def: $vgpr14
	s_cbranch_execnz .LBB447_17
	s_branch .LBB447_36
.LBB447_14:                             ;   in Loop: Header=BB447_4 Depth=1
	s_or_b32 exec_lo, exec_lo, s41
	s_delay_alu instid0(SALU_CYCLE_1)
	s_and_b32 vcc_lo, exec_lo, s7
	s_cbranch_vccnz .LBB447_17
	s_branch .LBB447_36
.LBB447_15:                             ;   in Loop: Header=BB447_4 Depth=1
	v_mov_b32_e32 v14, 0
.LBB447_16:                             ;   in Loop: Header=BB447_4 Depth=1
	s_mov_b32 s6, exec_lo
	s_or_b32 exec_lo, exec_lo, s41
	s_delay_alu instid0(SALU_CYCLE_1)
	s_and_b32 vcc_lo, exec_lo, s7
	s_cbranch_vccz .LBB447_36
.LBB447_17:                             ;   in Loop: Header=BB447_4 Depth=1
	v_add_nc_u64_e32 v[12:13], v[12:13], v[2:3]
	v_mov_b32_e32 v22, 0
	s_delay_alu instid0(VALU_DEP_2)
	v_lshl_add_u64 v[12:13], s[34:35], 1, v[12:13]
	s_wait_xcnt 0x0
	s_and_saveexec_b32 s7, s1
	s_cbranch_execnz .LBB447_26
; %bb.18:                               ;   in Loop: Header=BB447_4 Depth=1
	s_or_b32 exec_lo, exec_lo, s7
	s_and_saveexec_b32 s7, s2
	s_cbranch_execnz .LBB447_29
.LBB447_19:                             ;   in Loop: Header=BB447_4 Depth=1
	s_or_b32 exec_lo, exec_lo, s7
	s_and_saveexec_b32 s7, s3
.LBB447_20:                             ;   in Loop: Header=BB447_4 Depth=1
	ds_store_b32 v1, v3
.LBB447_21:                             ;   in Loop: Header=BB447_4 Depth=1
	s_or_b32 exec_lo, exec_lo, s7
	ds_bpermute_b32 v10, v20, v22
	v_cmp_gt_u32_e32 vcc_lo, 24, v19
	s_wait_dscnt 0x0
	s_barrier_signal -1
	s_barrier_wait -1
	v_cndmask_b32_e64 v11, 0, 8, vcc_lo
	v_cmp_gt_u32_e32 vcc_lo, 28, v19
	s_delay_alu instid0(VALU_DEP_2)
	v_add_lshl_u32 v11, v11, v19, 2
	v_add_f32_e32 v12, v22, v10
	v_cndmask_b32_e64 v10, 0, 4, vcc_lo
	v_cmp_gt_u32_e32 vcc_lo, 30, v19
	ds_bpermute_b32 v11, v11, v12
	v_add_lshl_u32 v10, v10, v19, 2
	s_wait_dscnt 0x0
	v_add_f32_e32 v12, v12, v11
	v_cndmask_b32_e64 v11, 0, 2, vcc_lo
	v_cmp_ne_u32_e32 vcc_lo, 31, v19
	ds_bpermute_b32 v13, v10, v12
	v_add_lshl_u32 v11, v11, v19, 2
	v_add_co_ci_u32_e64 v14, null, 0, v19, vcc_lo
	s_wait_dscnt 0x0
	v_add_f32_e32 v12, v12, v13
	ds_bpermute_b32 v13, v11, v12
	s_wait_dscnt 0x0
	v_dual_add_f32 v13, v12, v13 :: v_dual_lshlrev_b32 v12, 2, v14
	ds_bpermute_b32 v14, v12, v13
	s_and_saveexec_b32 s7, s4
	s_cbranch_execz .LBB447_23
; %bb.22:                               ;   in Loop: Header=BB447_4 Depth=1
	s_wait_dscnt 0x0
	v_add_f32_e32 v13, v13, v14
	ds_store_b32 v18, v13
.LBB447_23:                             ;   in Loop: Header=BB447_4 Depth=1
	s_or_b32 exec_lo, exec_lo, s7
	v_mov_b32_e32 v13, 0
	s_wait_dscnt 0x0
	s_barrier_signal -1
	s_barrier_wait -1
	s_and_saveexec_b32 s7, s5
	s_cbranch_execnz .LBB447_30
; %bb.24:                               ;   in Loop: Header=BB447_4 Depth=1
	s_or_b32 exec_lo, exec_lo, s7
	s_and_saveexec_b32 s7, s3
	s_cbranch_execnz .LBB447_31
.LBB447_25:                             ;   in Loop: Header=BB447_4 Depth=1
	s_or_b32 exec_lo, exec_lo, s7
                                        ; implicit-def: $vgpr14
	s_and_saveexec_b32 s7, s0
	s_cbranch_execnz .LBB447_32
	s_branch .LBB447_35
.LBB447_26:                             ;   in Loop: Header=BB447_4 Depth=1
	v_add_nc_u64_e32 v[14:15], v[10:11], v[6:7]
	v_mov_b64_e32 v[16:17], v[12:13]
	v_dual_mov_b32 v22, 0 :: v_dual_mov_b32 v23, v0
	s_mov_b32 s41, 0
.LBB447_27:                             ;   Parent Loop BB447_4 Depth=1
                                        ; =>  This Inner Loop Header: Depth=2
	flat_load_u16 v24, v[16:17]
	flat_load_u16 v25, v[14:15]
	s_wait_xcnt 0x1
	v_add_nc_u64_e32 v[16:17], 0x200, v[16:17]
	s_wait_xcnt 0x0
	v_add_nc_u64_e32 v[14:15], s[36:37], v[14:15]
	s_wait_loadcnt_dscnt 0x0
	v_mul_f16_e32 v24, v24, v25
	s_delay_alu instid0(VALU_DEP_1) | instskip(NEXT) | instid1(VALU_DEP_1)
	v_cvt_f32_f16_e32 v24, v24
	v_dual_add_f32 v22, v22, v24 :: v_dual_add_nc_u32 v23, 0x100, v23
	s_delay_alu instid0(VALU_DEP_1) | instskip(SKIP_1) | instid1(SALU_CYCLE_1)
	v_cmp_le_i32_e32 vcc_lo, s30, v23
	s_or_b32 s41, vcc_lo, s41
	s_and_not1_b32 exec_lo, exec_lo, s41
	s_cbranch_execnz .LBB447_27
; %bb.28:                               ;   in Loop: Header=BB447_4 Depth=1
	s_or_b32 exec_lo, exec_lo, s41
	s_delay_alu instid0(SALU_CYCLE_1)
	s_or_b32 exec_lo, exec_lo, s7
	s_and_saveexec_b32 s7, s2
	s_cbranch_execz .LBB447_19
.LBB447_29:                             ;   in Loop: Header=BB447_4 Depth=1
	v_lshl_add_u64 v[12:13], s[30:31], 1, v[12:13]
	v_lshl_add_u64 v[10:11], v[4:5], 1, v[10:11]
	flat_load_u16 v14, v[12:13]
	flat_load_u16 v15, v[10:11]
	s_wait_loadcnt_dscnt 0x0
	s_wait_xcnt 0x0
	v_mul_f16_e32 v10, v14, v15
	s_delay_alu instid0(VALU_DEP_1) | instskip(NEXT) | instid1(VALU_DEP_1)
	v_cvt_f32_f16_e32 v10, v10
	v_add_f32_e32 v22, v22, v10
	s_or_b32 exec_lo, exec_lo, s7
	s_and_saveexec_b32 s7, s3
	s_cbranch_execnz .LBB447_20
	s_branch .LBB447_21
.LBB447_30:                             ;   in Loop: Header=BB447_4 Depth=1
	ds_load_b32 v13, v1
	s_or_b32 exec_lo, exec_lo, s7
	s_and_saveexec_b32 s7, s3
	s_cbranch_execz .LBB447_25
.LBB447_31:                             ;   in Loop: Header=BB447_4 Depth=1
	s_wait_dscnt 0x0
	ds_bpermute_b32 v10, v10, v13
	s_wait_dscnt 0x0
	v_add_f32_e32 v10, v13, v10
	ds_bpermute_b32 v11, v11, v10
	s_wait_dscnt 0x0
	v_add_f32_e32 v10, v10, v11
	;; [unrolled: 3-line block ×3, first 2 shown]
	s_or_b32 exec_lo, exec_lo, s7
                                        ; implicit-def: $vgpr14
	s_and_saveexec_b32 s7, s0
	s_cbranch_execz .LBB447_35
.LBB447_32:                             ;   in Loop: Header=BB447_4 Depth=1
	s_wait_dscnt 0x0
	v_mul_f32_e32 v10, v21, v13
	s_cmp_eq_f32 s40, 0
	s_cbranch_scc1 .LBB447_34
; %bb.33:                               ;   in Loop: Header=BB447_4 Depth=1
	v_add_nc_u64_e32 v[12:13], s[38:39], v[8:9]
	flat_load_u16 v11, v[12:13]
	s_wait_loadcnt_dscnt 0x0
	v_fma_mix_f32 v10, s40, v11, v10 op_sel_hi:[0,1,0]
.LBB447_34:                             ;   in Loop: Header=BB447_4 Depth=1
	s_delay_alu instid0(VALU_DEP_1)
	v_cvt_f16_f32_e32 v14, v10
	s_or_b32 s6, s6, exec_lo
.LBB447_35:                             ;   in Loop: Header=BB447_4 Depth=1
	s_wait_xcnt 0x0
	s_or_b32 exec_lo, exec_lo, s7
.LBB447_36:                             ;   in Loop: Header=BB447_4 Depth=1
	s_wait_xcnt 0x0
	s_and_saveexec_b32 s7, s6
	s_cbranch_execz .LBB447_2
; %bb.37:                               ;   in Loop: Header=BB447_4 Depth=1
	v_add_nc_u64_e32 v[8:9], s[38:39], v[8:9]
	flat_store_b16 v[8:9], v14
	s_branch .LBB447_2
.LBB447_38:
	s_endpgm
	.section	.rodata,"a",@progbits
	.p2align	6, 0x0
	.amdhsa_kernel _ZL32rocblas_gemvt_warp_reduce_kernelILb0ELi256ElPKDF16_PKfKPDF16_EviiT3_lPKT2_lT1_lS9_lSA_lS6_lPT4_lSA_li
		.amdhsa_group_segment_fixed_size 128
		.amdhsa_private_segment_fixed_size 0
		.amdhsa_kernarg_size 140
		.amdhsa_user_sgpr_count 2
		.amdhsa_user_sgpr_dispatch_ptr 0
		.amdhsa_user_sgpr_queue_ptr 0
		.amdhsa_user_sgpr_kernarg_segment_ptr 1
		.amdhsa_user_sgpr_dispatch_id 0
		.amdhsa_user_sgpr_kernarg_preload_length 0
		.amdhsa_user_sgpr_kernarg_preload_offset 0
		.amdhsa_user_sgpr_private_segment_size 0
		.amdhsa_wavefront_size32 1
		.amdhsa_uses_dynamic_stack 0
		.amdhsa_enable_private_segment 0
		.amdhsa_system_sgpr_workgroup_id_x 1
		.amdhsa_system_sgpr_workgroup_id_y 0
		.amdhsa_system_sgpr_workgroup_id_z 1
		.amdhsa_system_sgpr_workgroup_info 0
		.amdhsa_system_vgpr_workitem_id 0
		.amdhsa_next_free_vgpr 26
		.amdhsa_next_free_sgpr 44
		.amdhsa_named_barrier_count 0
		.amdhsa_reserve_vcc 1
		.amdhsa_float_round_mode_32 0
		.amdhsa_float_round_mode_16_64 0
		.amdhsa_float_denorm_mode_32 3
		.amdhsa_float_denorm_mode_16_64 3
		.amdhsa_fp16_overflow 0
		.amdhsa_memory_ordered 1
		.amdhsa_forward_progress 1
		.amdhsa_inst_pref_size 12
		.amdhsa_round_robin_scheduling 0
		.amdhsa_exception_fp_ieee_invalid_op 0
		.amdhsa_exception_fp_denorm_src 0
		.amdhsa_exception_fp_ieee_div_zero 0
		.amdhsa_exception_fp_ieee_overflow 0
		.amdhsa_exception_fp_ieee_underflow 0
		.amdhsa_exception_fp_ieee_inexact 0
		.amdhsa_exception_int_div_zero 0
	.end_amdhsa_kernel
	.section	.text._ZL32rocblas_gemvt_warp_reduce_kernelILb0ELi256ElPKDF16_PKfKPDF16_EviiT3_lPKT2_lT1_lS9_lSA_lS6_lPT4_lSA_li,"axG",@progbits,_ZL32rocblas_gemvt_warp_reduce_kernelILb0ELi256ElPKDF16_PKfKPDF16_EviiT3_lPKT2_lT1_lS9_lSA_lS6_lPT4_lSA_li,comdat
.Lfunc_end447:
	.size	_ZL32rocblas_gemvt_warp_reduce_kernelILb0ELi256ElPKDF16_PKfKPDF16_EviiT3_lPKT2_lT1_lS9_lSA_lS6_lPT4_lSA_li, .Lfunc_end447-_ZL32rocblas_gemvt_warp_reduce_kernelILb0ELi256ElPKDF16_PKfKPDF16_EviiT3_lPKT2_lT1_lS9_lSA_lS6_lPT4_lSA_li
                                        ; -- End function
	.set _ZL32rocblas_gemvt_warp_reduce_kernelILb0ELi256ElPKDF16_PKfKPDF16_EviiT3_lPKT2_lT1_lS9_lSA_lS6_lPT4_lSA_li.num_vgpr, 26
	.set _ZL32rocblas_gemvt_warp_reduce_kernelILb0ELi256ElPKDF16_PKfKPDF16_EviiT3_lPKT2_lT1_lS9_lSA_lS6_lPT4_lSA_li.num_agpr, 0
	.set _ZL32rocblas_gemvt_warp_reduce_kernelILb0ELi256ElPKDF16_PKfKPDF16_EviiT3_lPKT2_lT1_lS9_lSA_lS6_lPT4_lSA_li.numbered_sgpr, 44
	.set _ZL32rocblas_gemvt_warp_reduce_kernelILb0ELi256ElPKDF16_PKfKPDF16_EviiT3_lPKT2_lT1_lS9_lSA_lS6_lPT4_lSA_li.num_named_barrier, 0
	.set _ZL32rocblas_gemvt_warp_reduce_kernelILb0ELi256ElPKDF16_PKfKPDF16_EviiT3_lPKT2_lT1_lS9_lSA_lS6_lPT4_lSA_li.private_seg_size, 0
	.set _ZL32rocblas_gemvt_warp_reduce_kernelILb0ELi256ElPKDF16_PKfKPDF16_EviiT3_lPKT2_lT1_lS9_lSA_lS6_lPT4_lSA_li.uses_vcc, 1
	.set _ZL32rocblas_gemvt_warp_reduce_kernelILb0ELi256ElPKDF16_PKfKPDF16_EviiT3_lPKT2_lT1_lS9_lSA_lS6_lPT4_lSA_li.uses_flat_scratch, 0
	.set _ZL32rocblas_gemvt_warp_reduce_kernelILb0ELi256ElPKDF16_PKfKPDF16_EviiT3_lPKT2_lT1_lS9_lSA_lS6_lPT4_lSA_li.has_dyn_sized_stack, 0
	.set _ZL32rocblas_gemvt_warp_reduce_kernelILb0ELi256ElPKDF16_PKfKPDF16_EviiT3_lPKT2_lT1_lS9_lSA_lS6_lPT4_lSA_li.has_recursion, 0
	.set _ZL32rocblas_gemvt_warp_reduce_kernelILb0ELi256ElPKDF16_PKfKPDF16_EviiT3_lPKT2_lT1_lS9_lSA_lS6_lPT4_lSA_li.has_indirect_call, 0
	.section	.AMDGPU.csdata,"",@progbits
; Kernel info:
; codeLenInByte = 1468
; TotalNumSgprs: 46
; NumVgprs: 26
; ScratchSize: 0
; MemoryBound: 0
; FloatMode: 240
; IeeeMode: 1
; LDSByteSize: 128 bytes/workgroup (compile time only)
; SGPRBlocks: 0
; VGPRBlocks: 1
; NumSGPRsForWavesPerEU: 46
; NumVGPRsForWavesPerEU: 26
; NamedBarCnt: 0
; Occupancy: 16
; WaveLimiterHint : 1
; COMPUTE_PGM_RSRC2:SCRATCH_EN: 0
; COMPUTE_PGM_RSRC2:USER_SGPR: 2
; COMPUTE_PGM_RSRC2:TRAP_HANDLER: 0
; COMPUTE_PGM_RSRC2:TGID_X_EN: 1
; COMPUTE_PGM_RSRC2:TGID_Y_EN: 0
; COMPUTE_PGM_RSRC2:TGID_Z_EN: 1
; COMPUTE_PGM_RSRC2:TIDIG_COMP_CNT: 0
	.section	.text._ZL32rocblas_gemvt_warp_reduce_kernelILb0ELi256EiPKDF16_fKPDF16_EviiT3_lPKT2_lT1_lS7_lS8_lS4_lPT4_lS8_li,"axG",@progbits,_ZL32rocblas_gemvt_warp_reduce_kernelILb0ELi256EiPKDF16_fKPDF16_EviiT3_lPKT2_lT1_lS7_lS8_lS4_lPT4_lS8_li,comdat
	.globl	_ZL32rocblas_gemvt_warp_reduce_kernelILb0ELi256EiPKDF16_fKPDF16_EviiT3_lPKT2_lT1_lS7_lS8_lS4_lPT4_lS8_li ; -- Begin function _ZL32rocblas_gemvt_warp_reduce_kernelILb0ELi256EiPKDF16_fKPDF16_EviiT3_lPKT2_lT1_lS7_lS8_lS4_lPT4_lS8_li
	.p2align	8
	.type	_ZL32rocblas_gemvt_warp_reduce_kernelILb0ELi256EiPKDF16_fKPDF16_EviiT3_lPKT2_lT1_lS7_lS8_lS4_lPT4_lS8_li,@function
_ZL32rocblas_gemvt_warp_reduce_kernelILb0ELi256EiPKDF16_fKPDF16_EviiT3_lPKT2_lT1_lS7_lS8_lS4_lPT4_lS8_li: ; @_ZL32rocblas_gemvt_warp_reduce_kernelILb0ELi256EiPKDF16_fKPDF16_EviiT3_lPKT2_lT1_lS7_lS8_lS4_lPT4_lS8_li
; %bb.0:
	s_load_b32 s26, s[0:1], 0x88
	s_bfe_u32 s2, ttmp6, 0x40014
	s_lshr_b32 s4, ttmp7, 16
	s_add_co_i32 s2, s2, 1
	s_bfe_u32 s5, ttmp6, 0x40008
	s_mul_i32 s2, s4, s2
	s_getreg_b32 s3, hwreg(HW_REG_IB_STS2, 6, 4)
	s_add_co_i32 s5, s5, s2
	s_cmp_eq_u32 s3, 0
	s_mov_b32 s7, 0
	s_cselect_b32 s6, s4, s5
	s_wait_kmcnt 0x0
	s_cmp_ge_u32 s6, s26
	s_cbranch_scc1 .LBB448_40
; %bb.1:
	s_clause 0x8
	s_load_b32 s27, s[0:1], 0x8
	s_load_b32 s28, s[0:1], 0x58
	s_load_b128 s[8:11], s[0:1], 0x18
	s_load_b32 s4, s[0:1], 0x28
	s_load_b32 s5, s[0:1], 0x0
	s_load_b128 s[12:15], s[0:1], 0x38
	s_load_b32 s21, s[0:1], 0x48
	s_load_b128 s[16:19], s[0:1], 0x68
	s_load_b32 s22, s[0:1], 0x78
	v_dual_mov_b32 v3, 0 :: v_dual_bitop2_b32 v2, 31, v0 bitop3:0x40
	v_lshrrev_b32_e32 v4, 3, v0
	v_mbcnt_lo_u32_b32 v14, -1, 0
	s_wait_xcnt 0x0
	v_cmp_eq_u32_e64 s0, 0, v0
	v_lshlrev_b32_e32 v15, 2, v2
	s_delay_alu instid0(VALU_DEP_3)
	v_lshl_or_b32 v18, v14, 2, 64
	s_wait_kmcnt 0x0
	s_cmp_eq_f32 s27, 0
	v_cmp_gt_i32_e32 vcc_lo, s5, v0
	v_mul_lo_u32 v17, v0, s21
	s_cselect_b32 s29, -1, 0
	s_cmp_neq_f32 s28, 1.0
	s_cselect_b32 s2, -1, 0
	s_cmp_neq_f32 s27, 0
	s_cselect_b32 s1, -1, 0
	s_delay_alu instid0(SALU_CYCLE_1)
	s_or_b32 s30, s1, s2
	s_cmp_neq_f32 s28, 0
	v_cndmask_b32_e64 v1, 0, 1, s1
	v_cmp_gt_u32_e64 s1, 32, v0
	s_cselect_b32 s31, -1, 0
	s_bfe_u32 s2, ttmp6, 0x4000c
	s_and_b32 s20, ttmp6, 15
	s_add_co_i32 s2, s2, 1
	s_delay_alu instid0(SALU_CYCLE_1)
	s_mul_i32 s23, ttmp9, s2
	v_cmp_gt_u32_e64 s2, 8, v0
	s_add_co_i32 s20, s20, s23
	s_cmp_eq_u32 s3, 0
	s_cselect_b32 s23, ttmp9, s20
	s_ashr_i32 s3, s5, 31
	s_mul_i32 s24, s22, s23
	s_lshr_b32 s20, s3, 24
	v_cmp_eq_u32_e64 s3, 0, v2
	s_add_co_i32 s20, s5, s20
	s_mul_i32 s22, s4, s23
	s_and_b32 s20, s20, 0xffffff00
	s_delay_alu instid0(SALU_CYCLE_1)
	v_dual_cndmask_b32 v2, 0, v0, vcc_lo :: v_dual_bitop2_b32 v5, s20, v0 bitop3:0x54
	v_and_b32_e32 v16, 28, v4
	v_cmp_gt_i32_e64 s4, s20, v0
	s_ashr_i32 s25, s24, 31
	v_lshlrev_b32_e32 v2, 1, v2
	v_mul_lo_u32 v4, s21, v5
	v_cmp_gt_i32_e64 s5, s5, v5
	s_lshl_b32 s33, s21, 8
	s_lshl_b64 s[10:11], s[10:11], 1
	s_ashr_i32 s23, s22, 31
	s_ashr_i32 s21, s20, 31
	s_lshl_b64 s[14:15], s[14:15], 1
	s_lshl_b64 s[18:19], s[18:19], 1
	;; [unrolled: 1-line block ×3, first 2 shown]
	v_ashrrev_i32_e32 v5, 31, v4
	s_branch .LBB448_4
.LBB448_2:                              ;   in Loop: Header=BB448_4 Depth=1
	s_wait_xcnt 0x0
	s_or_b32 exec_lo, exec_lo, s35
.LBB448_3:                              ;   in Loop: Header=BB448_4 Depth=1
	s_add_co_i32 s6, s6, 0x10000
	s_delay_alu instid0(SALU_CYCLE_1)
	s_cmp_lt_u32 s6, s26
	s_cbranch_scc0 .LBB448_40
.LBB448_4:                              ; =>This Loop Header: Depth=1
                                        ;     Child Loop BB448_29 Depth 2
	s_and_not1_b32 vcc_lo, exec_lo, s30
	s_cbranch_vccnz .LBB448_3
; %bb.5:                                ;   in Loop: Header=BB448_4 Depth=1
	s_and_not1_b32 vcc_lo, exec_lo, s29
	s_cbranch_vccnz .LBB448_7
; %bb.6:                                ;   in Loop: Header=BB448_4 Depth=1
	v_mov_b64_e32 v[8:9], 0
	s_wait_dscnt 0x0
	v_mov_b64_e32 v[10:11], 0
	s_cbranch_execz .LBB448_8
	s_branch .LBB448_9
.LBB448_7:                              ;   in Loop: Header=BB448_4 Depth=1
	v_mov_b64_e32 v[8:9], 0
	s_wait_dscnt 0x0
	v_mov_b64_e32 v[10:11], 0
.LBB448_8:                              ;   in Loop: Header=BB448_4 Depth=1
	s_lshl_b64 s[34:35], s[6:7], 3
	s_delay_alu instid0(SALU_CYCLE_1)
	s_add_nc_u64 s[34:35], s[8:9], s[34:35]
	global_load_b64 v[6:7], v3, s[34:35]
	s_wait_loadcnt 0x0
	v_add_nc_u64_e32 v[10:11], s[10:11], v[6:7]
.LBB448_9:                              ;   in Loop: Header=BB448_4 Depth=1
	v_cmp_ne_u32_e32 vcc_lo, 1, v1
	s_cbranch_vccnz .LBB448_11
; %bb.10:                               ;   in Loop: Header=BB448_4 Depth=1
	s_wait_xcnt 0x0
	s_lshl_b64 s[34:35], s[6:7], 3
	s_delay_alu instid0(SALU_CYCLE_1)
	s_add_nc_u64 s[34:35], s[12:13], s[34:35]
	global_load_b64 v[6:7], v3, s[34:35]
	s_wait_loadcnt 0x0
	v_add_nc_u64_e32 v[8:9], s[14:15], v[6:7]
.LBB448_11:                             ;   in Loop: Header=BB448_4 Depth=1
	s_wait_xcnt 0x0
	s_lshl_b64 s[34:35], s[6:7], 3
	s_and_not1_b32 vcc_lo, exec_lo, s29
	s_add_nc_u64 s[34:35], s[16:17], s[34:35]
	global_load_b64 v[6:7], v3, s[34:35]
	s_wait_loadcnt 0x0
	v_add_nc_u64_e32 v[6:7], s[18:19], v[6:7]
	s_cbranch_vccnz .LBB448_15
; %bb.12:                               ;   in Loop: Header=BB448_4 Depth=1
	s_wait_xcnt 0x0
	s_mov_b32 s35, 0
	s_mov_b32 s34, 0
                                        ; implicit-def: $vgpr12
	s_and_saveexec_b32 s36, s0
	s_cbranch_execz .LBB448_16
; %bb.13:                               ;   in Loop: Header=BB448_4 Depth=1
	s_and_not1_b32 vcc_lo, exec_lo, s31
	s_cbranch_vccnz .LBB448_17
; %bb.14:                               ;   in Loop: Header=BB448_4 Depth=1
	v_add_nc_u64_e32 v[12:13], s[24:25], v[6:7]
	flat_load_u16 v12, v[12:13]
	s_wait_loadcnt_dscnt 0x0
	s_wait_xcnt 0x0
	v_fma_mixlo_f16 v12, s28, v12, 0 op_sel_hi:[0,1,0]
	s_branch .LBB448_18
.LBB448_15:                             ;   in Loop: Header=BB448_4 Depth=1
	s_wait_xcnt 0x0
	s_mov_b32 s34, 0
                                        ; implicit-def: $vgpr12
	s_cbranch_execnz .LBB448_19
	s_branch .LBB448_38
.LBB448_16:                             ;   in Loop: Header=BB448_4 Depth=1
	s_or_b32 exec_lo, exec_lo, s36
	s_delay_alu instid0(SALU_CYCLE_1)
	s_and_b32 vcc_lo, exec_lo, s35
	s_cbranch_vccnz .LBB448_19
	s_branch .LBB448_38
.LBB448_17:                             ;   in Loop: Header=BB448_4 Depth=1
	v_mov_b32_e32 v12, 0
.LBB448_18:                             ;   in Loop: Header=BB448_4 Depth=1
	s_mov_b32 s34, exec_lo
	s_or_b32 exec_lo, exec_lo, s36
	s_delay_alu instid0(SALU_CYCLE_1)
	s_and_b32 vcc_lo, exec_lo, s35
	s_cbranch_vccz .LBB448_38
.LBB448_19:                             ;   in Loop: Header=BB448_4 Depth=1
	v_add_nc_u64_e32 v[10:11], v[10:11], v[2:3]
	v_mov_b32_e32 v19, 0
	s_delay_alu instid0(VALU_DEP_2)
	v_lshl_add_u64 v[10:11], s[22:23], 1, v[10:11]
	s_and_saveexec_b32 s35, s4
	s_cbranch_execnz .LBB448_28
; %bb.20:                               ;   in Loop: Header=BB448_4 Depth=1
	s_or_b32 exec_lo, exec_lo, s35
	s_and_saveexec_b32 s35, s5
	s_cbranch_execnz .LBB448_31
.LBB448_21:                             ;   in Loop: Header=BB448_4 Depth=1
	s_or_b32 exec_lo, exec_lo, s35
	s_and_saveexec_b32 s35, s1
.LBB448_22:                             ;   in Loop: Header=BB448_4 Depth=1
	ds_store_b32 v15, v3
.LBB448_23:                             ;   in Loop: Header=BB448_4 Depth=1
	s_or_b32 exec_lo, exec_lo, s35
	ds_bpermute_b32 v8, v18, v19
	v_cmp_gt_u32_e32 vcc_lo, 24, v14
	s_wait_dscnt 0x0
	s_barrier_signal -1
	s_barrier_wait -1
	v_cndmask_b32_e64 v9, 0, 8, vcc_lo
	v_cmp_gt_u32_e32 vcc_lo, 28, v14
	s_delay_alu instid0(VALU_DEP_2)
	v_add_lshl_u32 v9, v9, v14, 2
	v_add_f32_e32 v10, v19, v8
	v_cndmask_b32_e64 v8, 0, 4, vcc_lo
	v_cmp_gt_u32_e32 vcc_lo, 30, v14
	ds_bpermute_b32 v9, v9, v10
	v_add_lshl_u32 v8, v8, v14, 2
	s_wait_dscnt 0x0
	v_add_f32_e32 v10, v10, v9
	v_cndmask_b32_e64 v9, 0, 2, vcc_lo
	v_cmp_ne_u32_e32 vcc_lo, 31, v14
	ds_bpermute_b32 v11, v8, v10
	v_add_lshl_u32 v9, v9, v14, 2
	v_add_co_ci_u32_e64 v12, null, 0, v14, vcc_lo
	s_wait_dscnt 0x0
	v_add_f32_e32 v10, v10, v11
	ds_bpermute_b32 v11, v9, v10
	s_wait_dscnt 0x0
	v_dual_add_f32 v11, v10, v11 :: v_dual_lshlrev_b32 v10, 2, v12
	ds_bpermute_b32 v12, v10, v11
	s_and_saveexec_b32 s35, s3
	s_cbranch_execz .LBB448_25
; %bb.24:                               ;   in Loop: Header=BB448_4 Depth=1
	s_wait_dscnt 0x0
	v_add_f32_e32 v11, v11, v12
	ds_store_b32 v16, v11
.LBB448_25:                             ;   in Loop: Header=BB448_4 Depth=1
	s_or_b32 exec_lo, exec_lo, s35
	v_mov_b32_e32 v11, 0
	s_wait_dscnt 0x0
	s_barrier_signal -1
	s_barrier_wait -1
	s_and_saveexec_b32 s35, s2
	s_cbranch_execnz .LBB448_32
; %bb.26:                               ;   in Loop: Header=BB448_4 Depth=1
	s_or_b32 exec_lo, exec_lo, s35
	s_and_saveexec_b32 s35, s1
	s_cbranch_execnz .LBB448_33
.LBB448_27:                             ;   in Loop: Header=BB448_4 Depth=1
	s_or_b32 exec_lo, exec_lo, s35
                                        ; implicit-def: $vgpr12
	s_and_saveexec_b32 s35, s0
	s_cbranch_execnz .LBB448_34
	s_branch .LBB448_37
.LBB448_28:                             ;   in Loop: Header=BB448_4 Depth=1
	s_delay_alu instid0(VALU_DEP_1)
	v_mov_b64_e32 v[12:13], v[10:11]
	v_dual_mov_b32 v19, 0 :: v_dual_mov_b32 v20, v17
	v_mov_b32_e32 v21, v0
	s_mov_b32 s36, 0
.LBB448_29:                             ;   Parent Loop BB448_4 Depth=1
                                        ; =>  This Inner Loop Header: Depth=2
	v_readfirstlane_b32 s38, v8
	v_readfirstlane_b32 s39, v9
	s_delay_alu instid0(VALU_DEP_3)
	v_add_nc_u32_e32 v21, 0x100, v21
	flat_load_u16 v22, v[12:13]
	flat_load_u16 v23, v20, s[38:39] scale_offset
	s_wait_xcnt 0x1
	v_add_nc_u64_e32 v[12:13], 0x200, v[12:13]
	v_cmp_le_i32_e32 vcc_lo, s20, v21
	s_or_b32 s36, vcc_lo, s36
	s_wait_loadcnt_dscnt 0x0
	v_mul_f16_e32 v22, v22, v23
	s_delay_alu instid0(VALU_DEP_1) | instskip(SKIP_1) | instid1(VALU_DEP_1)
	v_cvt_f32_f16_e32 v22, v22
	s_wait_xcnt 0x0
	v_dual_add_f32 v19, v19, v22 :: v_dual_add_nc_u32 v20, s33, v20
	s_and_not1_b32 exec_lo, exec_lo, s36
	s_cbranch_execnz .LBB448_29
; %bb.30:                               ;   in Loop: Header=BB448_4 Depth=1
	s_or_b32 exec_lo, exec_lo, s36
	s_delay_alu instid0(SALU_CYCLE_1)
	s_or_b32 exec_lo, exec_lo, s35
	s_and_saveexec_b32 s35, s5
	s_cbranch_execz .LBB448_21
.LBB448_31:                             ;   in Loop: Header=BB448_4 Depth=1
	v_lshl_add_u64 v[10:11], s[20:21], 1, v[10:11]
	v_lshl_add_u64 v[8:9], v[4:5], 1, v[8:9]
	flat_load_u16 v12, v[10:11]
	flat_load_u16 v13, v[8:9]
	s_wait_loadcnt_dscnt 0x0
	s_wait_xcnt 0x0
	v_mul_f16_e32 v8, v12, v13
	s_delay_alu instid0(VALU_DEP_1) | instskip(NEXT) | instid1(VALU_DEP_1)
	v_cvt_f32_f16_e32 v8, v8
	v_add_f32_e32 v19, v19, v8
	s_or_b32 exec_lo, exec_lo, s35
	s_and_saveexec_b32 s35, s1
	s_cbranch_execnz .LBB448_22
	s_branch .LBB448_23
.LBB448_32:                             ;   in Loop: Header=BB448_4 Depth=1
	ds_load_b32 v11, v15
	s_or_b32 exec_lo, exec_lo, s35
	s_and_saveexec_b32 s35, s1
	s_cbranch_execz .LBB448_27
.LBB448_33:                             ;   in Loop: Header=BB448_4 Depth=1
	s_wait_dscnt 0x0
	ds_bpermute_b32 v8, v8, v11
	s_wait_dscnt 0x0
	v_add_f32_e32 v8, v11, v8
	ds_bpermute_b32 v9, v9, v8
	s_wait_dscnt 0x0
	v_add_f32_e32 v8, v8, v9
	ds_bpermute_b32 v9, v10, v8
	s_wait_dscnt 0x0
	v_add_f32_e32 v11, v8, v9
	s_or_b32 exec_lo, exec_lo, s35
                                        ; implicit-def: $vgpr12
	s_and_saveexec_b32 s35, s0
	s_cbranch_execz .LBB448_37
.LBB448_34:                             ;   in Loop: Header=BB448_4 Depth=1
	s_wait_dscnt 0x0
	v_mul_f32_e32 v8, s27, v11
	s_and_not1_b32 vcc_lo, exec_lo, s31
	s_cbranch_vccnz .LBB448_36
; %bb.35:                               ;   in Loop: Header=BB448_4 Depth=1
	v_add_nc_u64_e32 v[10:11], s[24:25], v[6:7]
	flat_load_u16 v9, v[10:11]
	s_wait_loadcnt_dscnt 0x0
	v_fma_mix_f32 v8, s28, v9, v8 op_sel_hi:[0,1,0]
.LBB448_36:                             ;   in Loop: Header=BB448_4 Depth=1
	s_delay_alu instid0(VALU_DEP_1)
	v_cvt_f16_f32_e32 v12, v8
	s_or_b32 s34, s34, exec_lo
.LBB448_37:                             ;   in Loop: Header=BB448_4 Depth=1
	s_wait_xcnt 0x0
	s_or_b32 exec_lo, exec_lo, s35
.LBB448_38:                             ;   in Loop: Header=BB448_4 Depth=1
	s_and_saveexec_b32 s35, s34
	s_cbranch_execz .LBB448_2
; %bb.39:                               ;   in Loop: Header=BB448_4 Depth=1
	v_add_nc_u64_e32 v[6:7], s[24:25], v[6:7]
	flat_store_b16 v[6:7], v12
	s_branch .LBB448_2
.LBB448_40:
	s_endpgm
	.section	.rodata,"a",@progbits
	.p2align	6, 0x0
	.amdhsa_kernel _ZL32rocblas_gemvt_warp_reduce_kernelILb0ELi256EiPKDF16_fKPDF16_EviiT3_lPKT2_lT1_lS7_lS8_lS4_lPT4_lS8_li
		.amdhsa_group_segment_fixed_size 128
		.amdhsa_private_segment_fixed_size 0
		.amdhsa_kernarg_size 140
		.amdhsa_user_sgpr_count 2
		.amdhsa_user_sgpr_dispatch_ptr 0
		.amdhsa_user_sgpr_queue_ptr 0
		.amdhsa_user_sgpr_kernarg_segment_ptr 1
		.amdhsa_user_sgpr_dispatch_id 0
		.amdhsa_user_sgpr_kernarg_preload_length 0
		.amdhsa_user_sgpr_kernarg_preload_offset 0
		.amdhsa_user_sgpr_private_segment_size 0
		.amdhsa_wavefront_size32 1
		.amdhsa_uses_dynamic_stack 0
		.amdhsa_enable_private_segment 0
		.amdhsa_system_sgpr_workgroup_id_x 1
		.amdhsa_system_sgpr_workgroup_id_y 0
		.amdhsa_system_sgpr_workgroup_id_z 1
		.amdhsa_system_sgpr_workgroup_info 0
		.amdhsa_system_vgpr_workitem_id 0
		.amdhsa_next_free_vgpr 24
		.amdhsa_next_free_sgpr 40
		.amdhsa_named_barrier_count 0
		.amdhsa_reserve_vcc 1
		.amdhsa_float_round_mode_32 0
		.amdhsa_float_round_mode_16_64 0
		.amdhsa_float_denorm_mode_32 3
		.amdhsa_float_denorm_mode_16_64 3
		.amdhsa_fp16_overflow 0
		.amdhsa_memory_ordered 1
		.amdhsa_forward_progress 1
		.amdhsa_inst_pref_size 12
		.amdhsa_round_robin_scheduling 0
		.amdhsa_exception_fp_ieee_invalid_op 0
		.amdhsa_exception_fp_denorm_src 0
		.amdhsa_exception_fp_ieee_div_zero 0
		.amdhsa_exception_fp_ieee_overflow 0
		.amdhsa_exception_fp_ieee_underflow 0
		.amdhsa_exception_fp_ieee_inexact 0
		.amdhsa_exception_int_div_zero 0
	.end_amdhsa_kernel
	.section	.text._ZL32rocblas_gemvt_warp_reduce_kernelILb0ELi256EiPKDF16_fKPDF16_EviiT3_lPKT2_lT1_lS7_lS8_lS4_lPT4_lS8_li,"axG",@progbits,_ZL32rocblas_gemvt_warp_reduce_kernelILb0ELi256EiPKDF16_fKPDF16_EviiT3_lPKT2_lT1_lS7_lS8_lS4_lPT4_lS8_li,comdat
.Lfunc_end448:
	.size	_ZL32rocblas_gemvt_warp_reduce_kernelILb0ELi256EiPKDF16_fKPDF16_EviiT3_lPKT2_lT1_lS7_lS8_lS4_lPT4_lS8_li, .Lfunc_end448-_ZL32rocblas_gemvt_warp_reduce_kernelILb0ELi256EiPKDF16_fKPDF16_EviiT3_lPKT2_lT1_lS7_lS8_lS4_lPT4_lS8_li
                                        ; -- End function
	.set _ZL32rocblas_gemvt_warp_reduce_kernelILb0ELi256EiPKDF16_fKPDF16_EviiT3_lPKT2_lT1_lS7_lS8_lS4_lPT4_lS8_li.num_vgpr, 24
	.set _ZL32rocblas_gemvt_warp_reduce_kernelILb0ELi256EiPKDF16_fKPDF16_EviiT3_lPKT2_lT1_lS7_lS8_lS4_lPT4_lS8_li.num_agpr, 0
	.set _ZL32rocblas_gemvt_warp_reduce_kernelILb0ELi256EiPKDF16_fKPDF16_EviiT3_lPKT2_lT1_lS7_lS8_lS4_lPT4_lS8_li.numbered_sgpr, 40
	.set _ZL32rocblas_gemvt_warp_reduce_kernelILb0ELi256EiPKDF16_fKPDF16_EviiT3_lPKT2_lT1_lS7_lS8_lS4_lPT4_lS8_li.num_named_barrier, 0
	.set _ZL32rocblas_gemvt_warp_reduce_kernelILb0ELi256EiPKDF16_fKPDF16_EviiT3_lPKT2_lT1_lS7_lS8_lS4_lPT4_lS8_li.private_seg_size, 0
	.set _ZL32rocblas_gemvt_warp_reduce_kernelILb0ELi256EiPKDF16_fKPDF16_EviiT3_lPKT2_lT1_lS7_lS8_lS4_lPT4_lS8_li.uses_vcc, 1
	.set _ZL32rocblas_gemvt_warp_reduce_kernelILb0ELi256EiPKDF16_fKPDF16_EviiT3_lPKT2_lT1_lS7_lS8_lS4_lPT4_lS8_li.uses_flat_scratch, 0
	.set _ZL32rocblas_gemvt_warp_reduce_kernelILb0ELi256EiPKDF16_fKPDF16_EviiT3_lPKT2_lT1_lS7_lS8_lS4_lPT4_lS8_li.has_dyn_sized_stack, 0
	.set _ZL32rocblas_gemvt_warp_reduce_kernelILb0ELi256EiPKDF16_fKPDF16_EviiT3_lPKT2_lT1_lS7_lS8_lS4_lPT4_lS8_li.has_recursion, 0
	.set _ZL32rocblas_gemvt_warp_reduce_kernelILb0ELi256EiPKDF16_fKPDF16_EviiT3_lPKT2_lT1_lS7_lS8_lS4_lPT4_lS8_li.has_indirect_call, 0
	.section	.AMDGPU.csdata,"",@progbits
; Kernel info:
; codeLenInByte = 1456
; TotalNumSgprs: 42
; NumVgprs: 24
; ScratchSize: 0
; MemoryBound: 0
; FloatMode: 240
; IeeeMode: 1
; LDSByteSize: 128 bytes/workgroup (compile time only)
; SGPRBlocks: 0
; VGPRBlocks: 1
; NumSGPRsForWavesPerEU: 42
; NumVGPRsForWavesPerEU: 24
; NamedBarCnt: 0
; Occupancy: 16
; WaveLimiterHint : 1
; COMPUTE_PGM_RSRC2:SCRATCH_EN: 0
; COMPUTE_PGM_RSRC2:USER_SGPR: 2
; COMPUTE_PGM_RSRC2:TRAP_HANDLER: 0
; COMPUTE_PGM_RSRC2:TGID_X_EN: 1
; COMPUTE_PGM_RSRC2:TGID_Y_EN: 0
; COMPUTE_PGM_RSRC2:TGID_Z_EN: 1
; COMPUTE_PGM_RSRC2:TIDIG_COMP_CNT: 0
	.section	.text._ZL32rocblas_gemvt_warp_reduce_kernelILb0ELi256ElPKDF16_fKPDF16_EviiT3_lPKT2_lT1_lS7_lS8_lS4_lPT4_lS8_li,"axG",@progbits,_ZL32rocblas_gemvt_warp_reduce_kernelILb0ELi256ElPKDF16_fKPDF16_EviiT3_lPKT2_lT1_lS7_lS8_lS4_lPT4_lS8_li,comdat
	.globl	_ZL32rocblas_gemvt_warp_reduce_kernelILb0ELi256ElPKDF16_fKPDF16_EviiT3_lPKT2_lT1_lS7_lS8_lS4_lPT4_lS8_li ; -- Begin function _ZL32rocblas_gemvt_warp_reduce_kernelILb0ELi256ElPKDF16_fKPDF16_EviiT3_lPKT2_lT1_lS7_lS8_lS4_lPT4_lS8_li
	.p2align	8
	.type	_ZL32rocblas_gemvt_warp_reduce_kernelILb0ELi256ElPKDF16_fKPDF16_EviiT3_lPKT2_lT1_lS7_lS8_lS4_lPT4_lS8_li,@function
_ZL32rocblas_gemvt_warp_reduce_kernelILb0ELi256ElPKDF16_fKPDF16_EviiT3_lPKT2_lT1_lS7_lS8_lS4_lPT4_lS8_li: ; @_ZL32rocblas_gemvt_warp_reduce_kernelILb0ELi256ElPKDF16_fKPDF16_EviiT3_lPKT2_lT1_lS7_lS8_lS4_lPT4_lS8_li
; %bb.0:
	s_load_b32 s28, s[0:1], 0x88
	s_bfe_u32 s2, ttmp6, 0x40014
	s_lshr_b32 s3, ttmp7, 16
	s_add_co_i32 s2, s2, 1
	s_bfe_u32 s5, ttmp6, 0x40008
	s_mul_i32 s4, s3, s2
	s_getreg_b32 s2, hwreg(HW_REG_IB_STS2, 6, 4)
	s_add_co_i32 s5, s5, s4
	s_cmp_eq_u32 s2, 0
	s_mov_b32 s7, 0
	s_cselect_b32 s6, s3, s5
	s_wait_kmcnt 0x0
	s_cmp_ge_u32 s6, s28
	s_cbranch_scc1 .LBB449_40
; %bb.1:
	s_clause 0x7
	s_load_b32 s29, s[0:1], 0x8
	s_load_b32 s30, s[0:1], 0x58
	s_load_b128 s[8:11], s[0:1], 0x18
	s_load_b64 s[4:5], s[0:1], 0x28
	s_load_b32 s21, s[0:1], 0x0
	s_load_b128 s[12:15], s[0:1], 0x68
	s_load_b64 s[24:25], s[0:1], 0x48
	s_load_b64 s[22:23], s[0:1], 0x78
	v_mbcnt_lo_u32_b32 v20, -1, 0
	s_delay_alu instid0(VALU_DEP_1)
	v_lshl_or_b32 v21, v20, 2, 64
	s_wait_kmcnt 0x0
	s_cmp_eq_f32 s29, 0
	s_cselect_b32 s31, -1, 0
	s_cmp_neq_f32 s30, 1.0
	s_cselect_b32 s3, -1, 0
	s_cmp_neq_f32 s29, 0
	s_cselect_b32 s16, -1, 0
	s_delay_alu instid0(SALU_CYCLE_1)
	s_or_b32 s33, s16, s3
	s_cmp_neq_f32 s30, 0
	v_cndmask_b32_e64 v18, 0, 1, s16
	s_cselect_b32 s34, -1, 0
	s_bfe_u32 s3, ttmp6, 0x4000c
	s_and_b32 s16, ttmp6, 15
	s_add_co_i32 s3, s3, 1
	s_delay_alu instid0(SALU_CYCLE_1) | instskip(NEXT) | instid1(SALU_CYCLE_1)
	s_mul_i32 s3, ttmp9, s3
	s_add_co_i32 s16, s16, s3
	s_cmp_eq_u32 s2, 0
	s_cselect_b32 s2, ttmp9, s16
	s_load_b128 s[16:19], s[0:1], 0x38
	s_ashr_i32 s3, s21, 31
	v_cmp_gt_i32_e32 vcc_lo, s21, v0
	s_lshr_b32 s3, s3, 24
	s_wait_xcnt 0x0
	v_cmp_eq_u32_e64 s0, 0, v0
	s_add_co_i32 s3, s21, s3
	s_lshl_b64 s[10:11], s[10:11], 1
	s_and_b32 s20, s3, 0xffffff00
	s_delay_alu instid0(SALU_CYCLE_1) | instskip(SKIP_3) | instid1(VALU_DEP_2)
	v_dual_mov_b32 v3, 0 :: v_dual_bitop2_b32 v8, s20, v0 bitop3:0x54
	s_ashr_i32 s3, s2, 31
	v_cndmask_b32_e32 v2, 0, v0, vcc_lo
	s_mul_u64 s[26:27], s[22:23], s[2:3]
	v_dual_mov_b32 v1, v3 :: v_dual_ashrrev_i32 v9, 31, v8
	s_mul_u64 s[22:23], s[4:5], s[2:3]
	v_cmp_gt_i32_e64 s2, s21, v8
	v_cmp_gt_i32_e64 s1, s20, v0
	s_delay_alu instid0(VALU_DEP_3) | instskip(SKIP_4) | instid1(VALU_DEP_3)
	v_mul_u64_e32 v[6:7], s[24:25], v[0:1]
	v_mul_u64_e32 v[4:5], s[24:25], v[8:9]
	v_dual_lshrrev_b32 v8, 3, v0 :: v_dual_bitop2_b32 v9, 31, v0 bitop3:0x40
	v_cmp_gt_u32_e64 s3, 32, v0
	v_cmp_gt_u32_e64 s5, 8, v0
	v_dual_lshlrev_b32 v2, 1, v2 :: v_dual_lshlrev_b32 v1, 2, v9
	v_cmp_eq_u32_e64 s4, 0, v9
	v_and_b32_e32 v19, 28, v8
	s_ashr_i32 s21, s20, 31
	s_lshl_b64 s[24:25], s[24:25], 9
	s_wait_kmcnt 0x0
	s_lshl_b64 s[18:19], s[18:19], 1
	s_lshl_b64 s[14:15], s[14:15], 1
	;; [unrolled: 1-line block ×3, first 2 shown]
	v_lshlrev_b64_e32 v[6:7], 1, v[6:7]
	s_branch .LBB449_4
.LBB449_2:                              ;   in Loop: Header=BB449_4 Depth=1
	s_wait_xcnt 0x0
	s_or_b32 exec_lo, exec_lo, s36
.LBB449_3:                              ;   in Loop: Header=BB449_4 Depth=1
	s_add_co_i32 s6, s6, 0x10000
	s_delay_alu instid0(SALU_CYCLE_1)
	s_cmp_lt_u32 s6, s28
	s_cbranch_scc0 .LBB449_40
.LBB449_4:                              ; =>This Loop Header: Depth=1
                                        ;     Child Loop BB449_29 Depth 2
	s_and_not1_b32 vcc_lo, exec_lo, s33
	s_cbranch_vccnz .LBB449_3
; %bb.5:                                ;   in Loop: Header=BB449_4 Depth=1
	s_and_not1_b32 vcc_lo, exec_lo, s31
	s_cbranch_vccnz .LBB449_7
; %bb.6:                                ;   in Loop: Header=BB449_4 Depth=1
	v_mov_b64_e32 v[10:11], 0
	s_wait_dscnt 0x0
	v_mov_b64_e32 v[12:13], 0
	s_cbranch_execz .LBB449_8
	s_branch .LBB449_9
.LBB449_7:                              ;   in Loop: Header=BB449_4 Depth=1
	v_mov_b64_e32 v[10:11], 0
	s_wait_dscnt 0x0
	v_mov_b64_e32 v[12:13], 0
.LBB449_8:                              ;   in Loop: Header=BB449_4 Depth=1
	s_lshl_b64 s[36:37], s[6:7], 3
	s_delay_alu instid0(SALU_CYCLE_1)
	s_add_nc_u64 s[36:37], s[8:9], s[36:37]
	global_load_b64 v[8:9], v3, s[36:37]
	s_wait_loadcnt 0x0
	v_add_nc_u64_e32 v[12:13], s[10:11], v[8:9]
.LBB449_9:                              ;   in Loop: Header=BB449_4 Depth=1
	v_cmp_ne_u32_e32 vcc_lo, 1, v18
	s_cbranch_vccnz .LBB449_11
; %bb.10:                               ;   in Loop: Header=BB449_4 Depth=1
	s_wait_xcnt 0x0
	s_lshl_b64 s[36:37], s[6:7], 3
	s_delay_alu instid0(SALU_CYCLE_1)
	s_add_nc_u64 s[36:37], s[16:17], s[36:37]
	global_load_b64 v[8:9], v3, s[36:37]
	s_wait_loadcnt 0x0
	v_add_nc_u64_e32 v[10:11], s[18:19], v[8:9]
.LBB449_11:                             ;   in Loop: Header=BB449_4 Depth=1
	s_wait_xcnt 0x0
	s_lshl_b64 s[36:37], s[6:7], 3
	s_and_not1_b32 vcc_lo, exec_lo, s31
	s_add_nc_u64 s[36:37], s[12:13], s[36:37]
	global_load_b64 v[8:9], v3, s[36:37]
	s_wait_loadcnt 0x0
	v_add_nc_u64_e32 v[8:9], s[14:15], v[8:9]
	s_cbranch_vccnz .LBB449_15
; %bb.12:                               ;   in Loop: Header=BB449_4 Depth=1
	s_wait_xcnt 0x0
	s_mov_b32 s36, 0
	s_mov_b32 s35, 0
                                        ; implicit-def: $vgpr14
	s_and_saveexec_b32 s37, s0
	s_cbranch_execz .LBB449_16
; %bb.13:                               ;   in Loop: Header=BB449_4 Depth=1
	s_and_not1_b32 vcc_lo, exec_lo, s34
	s_cbranch_vccnz .LBB449_17
; %bb.14:                               ;   in Loop: Header=BB449_4 Depth=1
	v_add_nc_u64_e32 v[14:15], s[26:27], v[8:9]
	flat_load_u16 v14, v[14:15]
	s_wait_loadcnt_dscnt 0x0
	s_wait_xcnt 0x0
	v_fma_mixlo_f16 v14, s30, v14, 0 op_sel_hi:[0,1,0]
	s_branch .LBB449_18
.LBB449_15:                             ;   in Loop: Header=BB449_4 Depth=1
	s_wait_xcnt 0x0
	s_mov_b32 s35, 0
                                        ; implicit-def: $vgpr14
	s_cbranch_execnz .LBB449_19
	s_branch .LBB449_38
.LBB449_16:                             ;   in Loop: Header=BB449_4 Depth=1
	s_or_b32 exec_lo, exec_lo, s37
	s_delay_alu instid0(SALU_CYCLE_1)
	s_and_b32 vcc_lo, exec_lo, s36
	s_cbranch_vccnz .LBB449_19
	s_branch .LBB449_38
.LBB449_17:                             ;   in Loop: Header=BB449_4 Depth=1
	v_mov_b32_e32 v14, 0
.LBB449_18:                             ;   in Loop: Header=BB449_4 Depth=1
	s_mov_b32 s35, exec_lo
	s_or_b32 exec_lo, exec_lo, s37
	s_delay_alu instid0(SALU_CYCLE_1)
	s_and_b32 vcc_lo, exec_lo, s36
	s_cbranch_vccz .LBB449_38
.LBB449_19:                             ;   in Loop: Header=BB449_4 Depth=1
	v_add_nc_u64_e32 v[12:13], v[12:13], v[2:3]
	v_mov_b32_e32 v22, 0
	s_delay_alu instid0(VALU_DEP_2)
	v_lshl_add_u64 v[12:13], s[22:23], 1, v[12:13]
	s_and_saveexec_b32 s36, s1
	s_cbranch_execnz .LBB449_28
; %bb.20:                               ;   in Loop: Header=BB449_4 Depth=1
	s_or_b32 exec_lo, exec_lo, s36
	s_and_saveexec_b32 s36, s2
	s_cbranch_execnz .LBB449_31
.LBB449_21:                             ;   in Loop: Header=BB449_4 Depth=1
	s_or_b32 exec_lo, exec_lo, s36
	s_and_saveexec_b32 s36, s3
.LBB449_22:                             ;   in Loop: Header=BB449_4 Depth=1
	ds_store_b32 v1, v3
.LBB449_23:                             ;   in Loop: Header=BB449_4 Depth=1
	s_or_b32 exec_lo, exec_lo, s36
	ds_bpermute_b32 v10, v21, v22
	v_cmp_gt_u32_e32 vcc_lo, 24, v20
	s_wait_dscnt 0x0
	s_barrier_signal -1
	s_barrier_wait -1
	v_cndmask_b32_e64 v11, 0, 8, vcc_lo
	v_cmp_gt_u32_e32 vcc_lo, 28, v20
	s_delay_alu instid0(VALU_DEP_2)
	v_add_lshl_u32 v11, v11, v20, 2
	v_add_f32_e32 v12, v22, v10
	v_cndmask_b32_e64 v10, 0, 4, vcc_lo
	v_cmp_gt_u32_e32 vcc_lo, 30, v20
	ds_bpermute_b32 v11, v11, v12
	v_add_lshl_u32 v10, v10, v20, 2
	s_wait_dscnt 0x0
	v_add_f32_e32 v12, v12, v11
	v_cndmask_b32_e64 v11, 0, 2, vcc_lo
	v_cmp_ne_u32_e32 vcc_lo, 31, v20
	ds_bpermute_b32 v13, v10, v12
	v_add_lshl_u32 v11, v11, v20, 2
	v_add_co_ci_u32_e64 v14, null, 0, v20, vcc_lo
	s_wait_dscnt 0x0
	v_add_f32_e32 v12, v12, v13
	ds_bpermute_b32 v13, v11, v12
	s_wait_dscnt 0x0
	v_dual_add_f32 v13, v12, v13 :: v_dual_lshlrev_b32 v12, 2, v14
	ds_bpermute_b32 v14, v12, v13
	s_and_saveexec_b32 s36, s4
	s_cbranch_execz .LBB449_25
; %bb.24:                               ;   in Loop: Header=BB449_4 Depth=1
	s_wait_dscnt 0x0
	v_add_f32_e32 v13, v13, v14
	ds_store_b32 v19, v13
.LBB449_25:                             ;   in Loop: Header=BB449_4 Depth=1
	s_or_b32 exec_lo, exec_lo, s36
	v_mov_b32_e32 v13, 0
	s_wait_dscnt 0x0
	s_barrier_signal -1
	s_barrier_wait -1
	s_and_saveexec_b32 s36, s5
	s_cbranch_execnz .LBB449_32
; %bb.26:                               ;   in Loop: Header=BB449_4 Depth=1
	s_or_b32 exec_lo, exec_lo, s36
	s_and_saveexec_b32 s36, s3
	s_cbranch_execnz .LBB449_33
.LBB449_27:                             ;   in Loop: Header=BB449_4 Depth=1
	s_or_b32 exec_lo, exec_lo, s36
                                        ; implicit-def: $vgpr14
	s_and_saveexec_b32 s36, s0
	s_cbranch_execnz .LBB449_34
	s_branch .LBB449_37
.LBB449_28:                             ;   in Loop: Header=BB449_4 Depth=1
	v_add_nc_u64_e32 v[14:15], v[10:11], v[6:7]
	s_delay_alu instid0(VALU_DEP_2)
	v_mov_b64_e32 v[16:17], v[12:13]
	v_dual_mov_b32 v22, 0 :: v_dual_mov_b32 v23, v0
	s_mov_b32 s37, 0
.LBB449_29:                             ;   Parent Loop BB449_4 Depth=1
                                        ; =>  This Inner Loop Header: Depth=2
	flat_load_u16 v24, v[16:17]
	flat_load_u16 v25, v[14:15]
	s_wait_xcnt 0x1
	v_add_nc_u64_e32 v[16:17], 0x200, v[16:17]
	s_wait_xcnt 0x0
	v_add_nc_u64_e32 v[14:15], s[24:25], v[14:15]
	s_wait_loadcnt_dscnt 0x0
	v_mul_f16_e32 v24, v24, v25
	s_delay_alu instid0(VALU_DEP_1) | instskip(NEXT) | instid1(VALU_DEP_1)
	v_cvt_f32_f16_e32 v24, v24
	v_dual_add_f32 v22, v22, v24 :: v_dual_add_nc_u32 v23, 0x100, v23
	s_delay_alu instid0(VALU_DEP_1) | instskip(SKIP_1) | instid1(SALU_CYCLE_1)
	v_cmp_le_i32_e32 vcc_lo, s20, v23
	s_or_b32 s37, vcc_lo, s37
	s_and_not1_b32 exec_lo, exec_lo, s37
	s_cbranch_execnz .LBB449_29
; %bb.30:                               ;   in Loop: Header=BB449_4 Depth=1
	s_or_b32 exec_lo, exec_lo, s37
	s_delay_alu instid0(SALU_CYCLE_1)
	s_or_b32 exec_lo, exec_lo, s36
	s_and_saveexec_b32 s36, s2
	s_cbranch_execz .LBB449_21
.LBB449_31:                             ;   in Loop: Header=BB449_4 Depth=1
	v_lshl_add_u64 v[12:13], s[20:21], 1, v[12:13]
	v_lshl_add_u64 v[10:11], v[4:5], 1, v[10:11]
	flat_load_u16 v14, v[12:13]
	flat_load_u16 v15, v[10:11]
	s_wait_loadcnt_dscnt 0x0
	s_wait_xcnt 0x0
	v_mul_f16_e32 v10, v14, v15
	s_delay_alu instid0(VALU_DEP_1) | instskip(NEXT) | instid1(VALU_DEP_1)
	v_cvt_f32_f16_e32 v10, v10
	v_add_f32_e32 v22, v22, v10
	s_or_b32 exec_lo, exec_lo, s36
	s_and_saveexec_b32 s36, s3
	s_cbranch_execnz .LBB449_22
	s_branch .LBB449_23
.LBB449_32:                             ;   in Loop: Header=BB449_4 Depth=1
	ds_load_b32 v13, v1
	s_or_b32 exec_lo, exec_lo, s36
	s_and_saveexec_b32 s36, s3
	s_cbranch_execz .LBB449_27
.LBB449_33:                             ;   in Loop: Header=BB449_4 Depth=1
	s_wait_dscnt 0x0
	ds_bpermute_b32 v10, v10, v13
	s_wait_dscnt 0x0
	v_add_f32_e32 v10, v13, v10
	ds_bpermute_b32 v11, v11, v10
	s_wait_dscnt 0x0
	v_add_f32_e32 v10, v10, v11
	;; [unrolled: 3-line block ×3, first 2 shown]
	s_or_b32 exec_lo, exec_lo, s36
                                        ; implicit-def: $vgpr14
	s_and_saveexec_b32 s36, s0
	s_cbranch_execz .LBB449_37
.LBB449_34:                             ;   in Loop: Header=BB449_4 Depth=1
	s_wait_dscnt 0x0
	v_mul_f32_e32 v10, s29, v13
	s_and_not1_b32 vcc_lo, exec_lo, s34
	s_cbranch_vccnz .LBB449_36
; %bb.35:                               ;   in Loop: Header=BB449_4 Depth=1
	v_add_nc_u64_e32 v[12:13], s[26:27], v[8:9]
	flat_load_u16 v11, v[12:13]
	s_wait_loadcnt_dscnt 0x0
	v_fma_mix_f32 v10, s30, v11, v10 op_sel_hi:[0,1,0]
.LBB449_36:                             ;   in Loop: Header=BB449_4 Depth=1
	s_delay_alu instid0(VALU_DEP_1)
	v_cvt_f16_f32_e32 v14, v10
	s_or_b32 s35, s35, exec_lo
.LBB449_37:                             ;   in Loop: Header=BB449_4 Depth=1
	s_wait_xcnt 0x0
	s_or_b32 exec_lo, exec_lo, s36
.LBB449_38:                             ;   in Loop: Header=BB449_4 Depth=1
	s_and_saveexec_b32 s36, s35
	s_cbranch_execz .LBB449_2
; %bb.39:                               ;   in Loop: Header=BB449_4 Depth=1
	v_add_nc_u64_e32 v[8:9], s[26:27], v[8:9]
	flat_store_b16 v[8:9], v14
	s_branch .LBB449_2
.LBB449_40:
	s_endpgm
	.section	.rodata,"a",@progbits
	.p2align	6, 0x0
	.amdhsa_kernel _ZL32rocblas_gemvt_warp_reduce_kernelILb0ELi256ElPKDF16_fKPDF16_EviiT3_lPKT2_lT1_lS7_lS8_lS4_lPT4_lS8_li
		.amdhsa_group_segment_fixed_size 128
		.amdhsa_private_segment_fixed_size 0
		.amdhsa_kernarg_size 140
		.amdhsa_user_sgpr_count 2
		.amdhsa_user_sgpr_dispatch_ptr 0
		.amdhsa_user_sgpr_queue_ptr 0
		.amdhsa_user_sgpr_kernarg_segment_ptr 1
		.amdhsa_user_sgpr_dispatch_id 0
		.amdhsa_user_sgpr_kernarg_preload_length 0
		.amdhsa_user_sgpr_kernarg_preload_offset 0
		.amdhsa_user_sgpr_private_segment_size 0
		.amdhsa_wavefront_size32 1
		.amdhsa_uses_dynamic_stack 0
		.amdhsa_enable_private_segment 0
		.amdhsa_system_sgpr_workgroup_id_x 1
		.amdhsa_system_sgpr_workgroup_id_y 0
		.amdhsa_system_sgpr_workgroup_id_z 1
		.amdhsa_system_sgpr_workgroup_info 0
		.amdhsa_system_vgpr_workitem_id 0
		.amdhsa_next_free_vgpr 26
		.amdhsa_next_free_sgpr 38
		.amdhsa_named_barrier_count 0
		.amdhsa_reserve_vcc 1
		.amdhsa_float_round_mode_32 0
		.amdhsa_float_round_mode_16_64 0
		.amdhsa_float_denorm_mode_32 3
		.amdhsa_float_denorm_mode_16_64 3
		.amdhsa_fp16_overflow 0
		.amdhsa_memory_ordered 1
		.amdhsa_forward_progress 1
		.amdhsa_inst_pref_size 12
		.amdhsa_round_robin_scheduling 0
		.amdhsa_exception_fp_ieee_invalid_op 0
		.amdhsa_exception_fp_denorm_src 0
		.amdhsa_exception_fp_ieee_div_zero 0
		.amdhsa_exception_fp_ieee_overflow 0
		.amdhsa_exception_fp_ieee_underflow 0
		.amdhsa_exception_fp_ieee_inexact 0
		.amdhsa_exception_int_div_zero 0
	.end_amdhsa_kernel
	.section	.text._ZL32rocblas_gemvt_warp_reduce_kernelILb0ELi256ElPKDF16_fKPDF16_EviiT3_lPKT2_lT1_lS7_lS8_lS4_lPT4_lS8_li,"axG",@progbits,_ZL32rocblas_gemvt_warp_reduce_kernelILb0ELi256ElPKDF16_fKPDF16_EviiT3_lPKT2_lT1_lS7_lS8_lS4_lPT4_lS8_li,comdat
.Lfunc_end449:
	.size	_ZL32rocblas_gemvt_warp_reduce_kernelILb0ELi256ElPKDF16_fKPDF16_EviiT3_lPKT2_lT1_lS7_lS8_lS4_lPT4_lS8_li, .Lfunc_end449-_ZL32rocblas_gemvt_warp_reduce_kernelILb0ELi256ElPKDF16_fKPDF16_EviiT3_lPKT2_lT1_lS7_lS8_lS4_lPT4_lS8_li
                                        ; -- End function
	.set _ZL32rocblas_gemvt_warp_reduce_kernelILb0ELi256ElPKDF16_fKPDF16_EviiT3_lPKT2_lT1_lS7_lS8_lS4_lPT4_lS8_li.num_vgpr, 26
	.set _ZL32rocblas_gemvt_warp_reduce_kernelILb0ELi256ElPKDF16_fKPDF16_EviiT3_lPKT2_lT1_lS7_lS8_lS4_lPT4_lS8_li.num_agpr, 0
	.set _ZL32rocblas_gemvt_warp_reduce_kernelILb0ELi256ElPKDF16_fKPDF16_EviiT3_lPKT2_lT1_lS7_lS8_lS4_lPT4_lS8_li.numbered_sgpr, 38
	.set _ZL32rocblas_gemvt_warp_reduce_kernelILb0ELi256ElPKDF16_fKPDF16_EviiT3_lPKT2_lT1_lS7_lS8_lS4_lPT4_lS8_li.num_named_barrier, 0
	.set _ZL32rocblas_gemvt_warp_reduce_kernelILb0ELi256ElPKDF16_fKPDF16_EviiT3_lPKT2_lT1_lS7_lS8_lS4_lPT4_lS8_li.private_seg_size, 0
	.set _ZL32rocblas_gemvt_warp_reduce_kernelILb0ELi256ElPKDF16_fKPDF16_EviiT3_lPKT2_lT1_lS7_lS8_lS4_lPT4_lS8_li.uses_vcc, 1
	.set _ZL32rocblas_gemvt_warp_reduce_kernelILb0ELi256ElPKDF16_fKPDF16_EviiT3_lPKT2_lT1_lS7_lS8_lS4_lPT4_lS8_li.uses_flat_scratch, 0
	.set _ZL32rocblas_gemvt_warp_reduce_kernelILb0ELi256ElPKDF16_fKPDF16_EviiT3_lPKT2_lT1_lS7_lS8_lS4_lPT4_lS8_li.has_dyn_sized_stack, 0
	.set _ZL32rocblas_gemvt_warp_reduce_kernelILb0ELi256ElPKDF16_fKPDF16_EviiT3_lPKT2_lT1_lS7_lS8_lS4_lPT4_lS8_li.has_recursion, 0
	.set _ZL32rocblas_gemvt_warp_reduce_kernelILb0ELi256ElPKDF16_fKPDF16_EviiT3_lPKT2_lT1_lS7_lS8_lS4_lPT4_lS8_li.has_indirect_call, 0
	.section	.AMDGPU.csdata,"",@progbits
; Kernel info:
; codeLenInByte = 1460
; TotalNumSgprs: 40
; NumVgprs: 26
; ScratchSize: 0
; MemoryBound: 0
; FloatMode: 240
; IeeeMode: 1
; LDSByteSize: 128 bytes/workgroup (compile time only)
; SGPRBlocks: 0
; VGPRBlocks: 1
; NumSGPRsForWavesPerEU: 40
; NumVGPRsForWavesPerEU: 26
; NamedBarCnt: 0
; Occupancy: 16
; WaveLimiterHint : 1
; COMPUTE_PGM_RSRC2:SCRATCH_EN: 0
; COMPUTE_PGM_RSRC2:USER_SGPR: 2
; COMPUTE_PGM_RSRC2:TRAP_HANDLER: 0
; COMPUTE_PGM_RSRC2:TGID_X_EN: 1
; COMPUTE_PGM_RSRC2:TGID_Y_EN: 0
; COMPUTE_PGM_RSRC2:TGID_Z_EN: 1
; COMPUTE_PGM_RSRC2:TIDIG_COMP_CNT: 0
	.section	.text._ZL20rocblas_gemvt_kernelILb0ELi256EPKDF16_PKfKPDF16_EviiT2_lPKT1_lilS9_lilS6_lPT3_lili,"axG",@progbits,_ZL20rocblas_gemvt_kernelILb0ELi256EPKDF16_PKfKPDF16_EviiT2_lPKT1_lilS9_lilS6_lPT3_lili,comdat
	.globl	_ZL20rocblas_gemvt_kernelILb0ELi256EPKDF16_PKfKPDF16_EviiT2_lPKT1_lilS9_lilS6_lPT3_lili ; -- Begin function _ZL20rocblas_gemvt_kernelILb0ELi256EPKDF16_PKfKPDF16_EviiT2_lPKT1_lilS9_lilS6_lPT3_lili
	.p2align	8
	.type	_ZL20rocblas_gemvt_kernelILb0ELi256EPKDF16_PKfKPDF16_EviiT2_lPKT1_lilS9_lilS6_lPT3_lili,@function
_ZL20rocblas_gemvt_kernelILb0ELi256EPKDF16_PKfKPDF16_EviiT2_lPKT1_lilS9_lilS6_lPT3_lili: ; @_ZL20rocblas_gemvt_kernelILb0ELi256EPKDF16_PKfKPDF16_EviiT2_lPKT1_lilS9_lilS6_lPT3_lili
; %bb.0:
	s_load_b32 s11, s[0:1], 0x88
	s_bfe_u32 s2, ttmp6, 0x40014
	s_lshr_b32 s3, ttmp7, 16
	s_add_co_i32 s2, s2, 1
	s_bfe_u32 s5, ttmp6, 0x40008
	s_mul_i32 s4, s3, s2
	s_getreg_b32 s2, hwreg(HW_REG_IB_STS2, 6, 4)
	s_add_co_i32 s5, s5, s4
	s_cmp_eq_u32 s2, 0
	s_mov_b32 s35, 0
	s_cselect_b32 s34, s3, s5
	s_wait_kmcnt 0x0
	s_cmp_ge_u32 s34, s11
	s_cbranch_scc1 .LBB450_45
; %bb.1:
	s_clause 0x3
	s_load_b32 s4, s[0:1], 0x28
	s_load_b32 s40, s[0:1], 0x48
	;; [unrolled: 1-line block ×4, first 2 shown]
	s_bfe_u32 s3, ttmp6, 0x4000c
	s_and_b32 s5, ttmp6, 15
	s_add_co_i32 s3, s3, 1
	s_load_b128 s[28:31], s[0:1], 0x38
	s_mul_i32 s3, ttmp9, s3
	s_clause 0x1
	s_load_b256 s[12:19], s[0:1], 0x8
	s_load_b256 s[20:27], s[0:1], 0x58
	s_add_co_i32 s3, s5, s3
	s_wait_xcnt 0x0
	v_cmp_eq_u32_e64 s0, 0, v0
	v_lshlrev_b32_e32 v16, 2, v0
	s_wait_kmcnt 0x0
	s_ashr_i32 s5, s4, 31
	s_ashr_i32 s41, s40, 31
	;; [unrolled: 1-line block ×3, first 2 shown]
	s_cmp_eq_u32 s2, 0
	v_cmp_gt_i32_e32 vcc_lo, s8, v0
	s_cselect_b32 s2, ttmp9, s3
	s_ashr_i32 s3, s8, 31
	s_delay_alu instid0(SALU_CYCLE_1) | instskip(SKIP_2) | instid1(SALU_CYCLE_1)
	s_lshr_b32 s3, s3, 24
	v_cndmask_b32_e32 v8, 0, v0, vcc_lo
	s_add_co_i32 s3, s8, s3
	s_and_b32 s36, s3, 0xffffff00
	s_delay_alu instid0(SALU_CYCLE_1) | instskip(SKIP_3) | instid1(VALU_DEP_1)
	v_dual_mov_b32 v1, 0 :: v_dual_bitop2_b32 v4, s36, v0 bitop3:0x54
	s_ashr_i32 s3, s2, 31
	s_cmp_gt_i32 s8, 0xff
	s_mul_u64 s[42:43], s[6:7], s[2:3]
	v_mul_u64_e32 v[6:7], s[40:41], v[0:1]
	v_ashrrev_i32_e32 v5, 31, v4
	v_cmp_gt_i32_e64 s1, s8, v4
	s_mul_u64 s[38:39], s[4:5], s[2:3]
	v_cmp_gt_u32_e64 s2, 0x80, v0
	v_cmp_gt_u32_e64 s3, 64, v0
	v_mul_u64_e32 v[2:3], s[40:41], v[4:5]
	v_cmp_gt_u32_e64 s4, 32, v0
	v_cmp_gt_u32_e64 s5, 16, v0
	;; [unrolled: 1-line block ×5, first 2 shown]
	v_lshlrev_b32_e32 v0, 1, v8
	s_cselect_b32 s33, -1, 0
	s_ashr_i32 s37, s36, 31
	s_lshl_b64 s[40:41], s[40:41], 9
	s_lshl_b64 s[18:19], s[18:19], 1
	;; [unrolled: 1-line block ×5, first 2 shown]
	v_lshlrev_b64_e32 v[4:5], 1, v[6:7]
	s_branch .LBB450_4
.LBB450_2:                              ;   in Loop: Header=BB450_4 Depth=1
	s_wait_xcnt 0x0
	s_or_b32 exec_lo, exec_lo, s10
.LBB450_3:                              ;   in Loop: Header=BB450_4 Depth=1
	s_add_co_i32 s34, s34, 0x10000
	s_delay_alu instid0(SALU_CYCLE_1)
	s_cmp_lt_u32 s34, s11
	s_cbranch_scc0 .LBB450_45
.LBB450_4:                              ; =>This Loop Header: Depth=1
                                        ;     Child Loop BB450_19 Depth 2
	s_mul_u64 s[44:45], s[14:15], s[34:35]
	s_wait_xcnt 0x0
	s_mul_u64 s[46:47], s[22:23], s[34:35]
	s_lshl_b64 s[44:45], s[44:45], 2
	s_lshl_b64 s[46:47], s[46:47], 2
	s_add_nc_u64 s[44:45], s[12:13], s[44:45]
	s_add_nc_u64 s[46:47], s[20:21], s[46:47]
	s_clause 0x1
	global_load_b32 v17, v1, s[44:45]
	global_load_b32 v6, v1, s[46:47]
	s_wait_loadcnt 0x1
	v_cmp_eq_f32_e64 s9, 0, v17
	s_wait_loadcnt 0x0
	v_cmp_eq_f32_e32 vcc_lo, 1.0, v6
	s_wait_xcnt 0x1
	v_readfirstlane_b32 s44, v6
	s_and_b32 s10, s9, vcc_lo
	s_delay_alu instid0(SALU_CYCLE_1)
	s_and_b32 vcc_lo, exec_lo, s10
	s_cbranch_vccnz .LBB450_3
; %bb.5:                                ;   in Loop: Header=BB450_4 Depth=1
	v_mov_b64_e32 v[8:9], 0
	v_mov_b64_e32 v[10:11], 0
	v_cmp_neq_f32_e64 s10, 0, v17
	s_and_b32 vcc_lo, exec_lo, s9
	s_cbranch_vccnz .LBB450_7
; %bb.6:                                ;   in Loop: Header=BB450_4 Depth=1
	s_wait_xcnt 0x0
	s_lshl_b64 s[46:47], s[34:35], 3
	s_delay_alu instid0(SALU_CYCLE_1)
	s_add_nc_u64 s[46:47], s[16:17], s[46:47]
	global_load_b64 v[6:7], v1, s[46:47]
	s_wait_loadcnt 0x0
	v_add_nc_u64_e32 v[10:11], s[18:19], v[6:7]
.LBB450_7:                              ;   in Loop: Header=BB450_4 Depth=1
	s_and_not1_b32 vcc_lo, exec_lo, s10
	s_cbranch_vccnz .LBB450_9
; %bb.8:                                ;   in Loop: Header=BB450_4 Depth=1
	s_wait_xcnt 0x0
	s_lshl_b64 s[46:47], s[34:35], 3
	s_delay_alu instid0(SALU_CYCLE_1)
	s_add_nc_u64 s[46:47], s[28:29], s[46:47]
	global_load_b64 v[6:7], v1, s[46:47]
	s_wait_loadcnt 0x0
	v_add_nc_u64_e32 v[8:9], s[30:31], v[6:7]
.LBB450_9:                              ;   in Loop: Header=BB450_4 Depth=1
	s_wait_xcnt 0x0
	s_lshl_b64 s[46:47], s[34:35], 3
	s_and_not1_b32 vcc_lo, exec_lo, s9
	s_add_nc_u64 s[46:47], s[24:25], s[46:47]
	global_load_b64 v[6:7], v1, s[46:47]
	s_wait_loadcnt 0x0
	v_add_nc_u64_e32 v[6:7], s[26:27], v[6:7]
	s_cbranch_vccnz .LBB450_13
; %bb.10:                               ;   in Loop: Header=BB450_4 Depth=1
	s_mov_b32 s10, 0
	s_mov_b32 s9, 0
                                        ; implicit-def: $vgpr12
	s_wait_xcnt 0x0
	s_and_saveexec_b32 s45, s0
	s_cbranch_execz .LBB450_14
; %bb.11:                               ;   in Loop: Header=BB450_4 Depth=1
	s_cmp_eq_f32 s44, 0
	s_cbranch_scc1 .LBB450_15
; %bb.12:                               ;   in Loop: Header=BB450_4 Depth=1
	v_add_nc_u64_e32 v[12:13], s[42:43], v[6:7]
	flat_load_u16 v12, v[12:13]
	s_wait_loadcnt_dscnt 0x0
	s_wait_xcnt 0x0
	v_fma_mixlo_f16 v12, s44, v12, 0 op_sel_hi:[0,1,0]
	s_branch .LBB450_16
.LBB450_13:                             ;   in Loop: Header=BB450_4 Depth=1
	s_mov_b32 s9, 0
                                        ; implicit-def: $vgpr12
	s_cbranch_execnz .LBB450_17
	s_branch .LBB450_43
.LBB450_14:                             ;   in Loop: Header=BB450_4 Depth=1
	s_or_b32 exec_lo, exec_lo, s45
	s_delay_alu instid0(SALU_CYCLE_1)
	s_and_b32 vcc_lo, exec_lo, s10
	s_cbranch_vccnz .LBB450_17
	s_branch .LBB450_43
.LBB450_15:                             ;   in Loop: Header=BB450_4 Depth=1
	v_mov_b32_e32 v12, 0
.LBB450_16:                             ;   in Loop: Header=BB450_4 Depth=1
	s_mov_b32 s9, exec_lo
	s_or_b32 exec_lo, exec_lo, s45
	s_delay_alu instid0(SALU_CYCLE_1)
	s_and_b32 vcc_lo, exec_lo, s10
	s_cbranch_vccz .LBB450_43
.LBB450_17:                             ;   in Loop: Header=BB450_4 Depth=1
	v_add_nc_u64_e32 v[10:11], v[10:11], v[0:1]
	v_mov_b32_e32 v18, 0
	s_and_not1_b32 vcc_lo, exec_lo, s33
	s_delay_alu instid0(VALU_DEP_2)
	v_lshl_add_u64 v[10:11], s[38:39], 1, v[10:11]
	s_cbranch_vccnz .LBB450_20
; %bb.18:                               ;   in Loop: Header=BB450_4 Depth=1
	v_add_nc_u64_e32 v[12:13], v[8:9], v[4:5]
	s_delay_alu instid0(VALU_DEP_2)
	v_mov_b64_e32 v[14:15], v[10:11]
	v_mov_b32_e32 v18, 0
	s_mov_b32 s10, 0
.LBB450_19:                             ;   Parent Loop BB450_4 Depth=1
                                        ; =>  This Inner Loop Header: Depth=2
	flat_load_u16 v19, v[14:15]
	flat_load_u16 v20, v[12:13]
	s_wait_xcnt 0x0
	v_add_nc_u64_e32 v[12:13], s[40:41], v[12:13]
	v_add_nc_u64_e32 v[14:15], 0x200, v[14:15]
	s_addk_co_i32 s10, 0x100
	s_delay_alu instid0(SALU_CYCLE_1) | instskip(SKIP_2) | instid1(VALU_DEP_1)
	s_cmp_ge_i32 s10, s36
	s_wait_loadcnt_dscnt 0x0
	v_mul_f16_e32 v19, v19, v20
	v_cvt_f32_f16_e32 v19, v19
	s_delay_alu instid0(VALU_DEP_1)
	v_add_f32_e32 v18, v18, v19
	s_cbranch_scc0 .LBB450_19
.LBB450_20:                             ;   in Loop: Header=BB450_4 Depth=1
	s_wait_xcnt 0x0
	s_and_saveexec_b32 s10, s1
	s_cbranch_execz .LBB450_22
; %bb.21:                               ;   in Loop: Header=BB450_4 Depth=1
	v_lshl_add_u64 v[10:11], s[36:37], 1, v[10:11]
	v_lshl_add_u64 v[8:9], v[2:3], 1, v[8:9]
	flat_load_u16 v12, v[10:11]
	flat_load_u16 v13, v[8:9]
	s_wait_loadcnt_dscnt 0x0
	s_wait_xcnt 0x0
	v_mul_f16_e32 v8, v12, v13
	s_delay_alu instid0(VALU_DEP_1) | instskip(NEXT) | instid1(VALU_DEP_1)
	v_cvt_f32_f16_e32 v8, v8
	v_add_f32_e32 v18, v18, v8
.LBB450_22:                             ;   in Loop: Header=BB450_4 Depth=1
	s_or_b32 exec_lo, exec_lo, s10
	ds_store_b32 v16, v18
	s_wait_dscnt 0x0
	s_barrier_signal -1
	s_barrier_wait -1
	s_and_saveexec_b32 s10, s2
	s_cbranch_execz .LBB450_24
; %bb.23:                               ;   in Loop: Header=BB450_4 Depth=1
	ds_load_2addr_stride64_b32 v[8:9], v16 offset1:2
	s_wait_dscnt 0x0
	v_add_f32_e32 v8, v9, v8
	ds_store_b32 v16, v8
.LBB450_24:                             ;   in Loop: Header=BB450_4 Depth=1
	s_or_b32 exec_lo, exec_lo, s10
	s_wait_dscnt 0x0
	s_barrier_signal -1
	s_barrier_wait -1
	s_and_saveexec_b32 s10, s3
	s_cbranch_execz .LBB450_26
; %bb.25:                               ;   in Loop: Header=BB450_4 Depth=1
	ds_load_2addr_stride64_b32 v[8:9], v16 offset1:1
	s_wait_dscnt 0x0
	v_add_f32_e32 v8, v9, v8
	ds_store_b32 v16, v8
.LBB450_26:                             ;   in Loop: Header=BB450_4 Depth=1
	s_or_b32 exec_lo, exec_lo, s10
	s_wait_dscnt 0x0
	s_barrier_signal -1
	s_barrier_wait -1
	s_and_saveexec_b32 s10, s4
	s_cbranch_execz .LBB450_28
; %bb.27:                               ;   in Loop: Header=BB450_4 Depth=1
	ds_load_2addr_b32 v[8:9], v16 offset1:32
	s_wait_dscnt 0x0
	v_add_f32_e32 v8, v9, v8
	ds_store_b32 v16, v8
.LBB450_28:                             ;   in Loop: Header=BB450_4 Depth=1
	s_or_b32 exec_lo, exec_lo, s10
	s_wait_dscnt 0x0
	s_barrier_signal -1
	s_barrier_wait -1
	s_and_saveexec_b32 s10, s5
	s_cbranch_execz .LBB450_30
; %bb.29:                               ;   in Loop: Header=BB450_4 Depth=1
	ds_load_2addr_b32 v[8:9], v16 offset1:16
	s_wait_dscnt 0x0
	v_add_f32_e32 v8, v9, v8
	ds_store_b32 v16, v8
.LBB450_30:                             ;   in Loop: Header=BB450_4 Depth=1
	;; [unrolled: 12-line block ×5, first 2 shown]
	s_or_b32 exec_lo, exec_lo, s10
	s_wait_dscnt 0x0
	s_barrier_signal -1
	s_barrier_wait -1
	s_and_saveexec_b32 s10, s0
	s_cbranch_execz .LBB450_38
; %bb.37:                               ;   in Loop: Header=BB450_4 Depth=1
	ds_load_b64 v[8:9], v1
	s_wait_dscnt 0x0
	v_add_f32_e32 v8, v9, v8
	ds_store_b32 v1, v8
.LBB450_38:                             ;   in Loop: Header=BB450_4 Depth=1
	s_or_b32 exec_lo, exec_lo, s10
	s_wait_dscnt 0x0
	s_barrier_signal -1
	s_barrier_wait -1
                                        ; implicit-def: $vgpr12
	s_and_saveexec_b32 s10, s0
	s_cbranch_execz .LBB450_42
; %bb.39:                               ;   in Loop: Header=BB450_4 Depth=1
	ds_load_b32 v8, v1
	s_cmp_eq_f32 s44, 0
	s_wait_dscnt 0x0
	v_mul_f32_e32 v8, v17, v8
	s_cbranch_scc1 .LBB450_41
; %bb.40:                               ;   in Loop: Header=BB450_4 Depth=1
	v_add_nc_u64_e32 v[10:11], s[42:43], v[6:7]
	flat_load_u16 v9, v[10:11]
	s_wait_loadcnt_dscnt 0x0
	v_fma_mix_f32 v8, s44, v9, v8 op_sel_hi:[0,1,0]
.LBB450_41:                             ;   in Loop: Header=BB450_4 Depth=1
	s_delay_alu instid0(VALU_DEP_1)
	v_cvt_f16_f32_e32 v12, v8
	s_or_b32 s9, s9, exec_lo
.LBB450_42:                             ;   in Loop: Header=BB450_4 Depth=1
	s_wait_xcnt 0x0
	s_or_b32 exec_lo, exec_lo, s10
.LBB450_43:                             ;   in Loop: Header=BB450_4 Depth=1
	s_wait_xcnt 0x0
	s_and_saveexec_b32 s10, s9
	s_cbranch_execz .LBB450_2
; %bb.44:                               ;   in Loop: Header=BB450_4 Depth=1
	v_add_nc_u64_e32 v[6:7], s[42:43], v[6:7]
	flat_store_b16 v[6:7], v12
	s_branch .LBB450_2
.LBB450_45:
	s_endpgm
	.section	.rodata,"a",@progbits
	.p2align	6, 0x0
	.amdhsa_kernel _ZL20rocblas_gemvt_kernelILb0ELi256EPKDF16_PKfKPDF16_EviiT2_lPKT1_lilS9_lilS6_lPT3_lili
		.amdhsa_group_segment_fixed_size 1024
		.amdhsa_private_segment_fixed_size 0
		.amdhsa_kernarg_size 140
		.amdhsa_user_sgpr_count 2
		.amdhsa_user_sgpr_dispatch_ptr 0
		.amdhsa_user_sgpr_queue_ptr 0
		.amdhsa_user_sgpr_kernarg_segment_ptr 1
		.amdhsa_user_sgpr_dispatch_id 0
		.amdhsa_user_sgpr_kernarg_preload_length 0
		.amdhsa_user_sgpr_kernarg_preload_offset 0
		.amdhsa_user_sgpr_private_segment_size 0
		.amdhsa_wavefront_size32 1
		.amdhsa_uses_dynamic_stack 0
		.amdhsa_enable_private_segment 0
		.amdhsa_system_sgpr_workgroup_id_x 1
		.amdhsa_system_sgpr_workgroup_id_y 0
		.amdhsa_system_sgpr_workgroup_id_z 1
		.amdhsa_system_sgpr_workgroup_info 0
		.amdhsa_system_vgpr_workitem_id 0
		.amdhsa_next_free_vgpr 21
		.amdhsa_next_free_sgpr 48
		.amdhsa_named_barrier_count 0
		.amdhsa_reserve_vcc 1
		.amdhsa_float_round_mode_32 0
		.amdhsa_float_round_mode_16_64 0
		.amdhsa_float_denorm_mode_32 3
		.amdhsa_float_denorm_mode_16_64 3
		.amdhsa_fp16_overflow 0
		.amdhsa_memory_ordered 1
		.amdhsa_forward_progress 1
		.amdhsa_inst_pref_size 12
		.amdhsa_round_robin_scheduling 0
		.amdhsa_exception_fp_ieee_invalid_op 0
		.amdhsa_exception_fp_denorm_src 0
		.amdhsa_exception_fp_ieee_div_zero 0
		.amdhsa_exception_fp_ieee_overflow 0
		.amdhsa_exception_fp_ieee_underflow 0
		.amdhsa_exception_fp_ieee_inexact 0
		.amdhsa_exception_int_div_zero 0
	.end_amdhsa_kernel
	.section	.text._ZL20rocblas_gemvt_kernelILb0ELi256EPKDF16_PKfKPDF16_EviiT2_lPKT1_lilS9_lilS6_lPT3_lili,"axG",@progbits,_ZL20rocblas_gemvt_kernelILb0ELi256EPKDF16_PKfKPDF16_EviiT2_lPKT1_lilS9_lilS6_lPT3_lili,comdat
.Lfunc_end450:
	.size	_ZL20rocblas_gemvt_kernelILb0ELi256EPKDF16_PKfKPDF16_EviiT2_lPKT1_lilS9_lilS6_lPT3_lili, .Lfunc_end450-_ZL20rocblas_gemvt_kernelILb0ELi256EPKDF16_PKfKPDF16_EviiT2_lPKT1_lilS9_lilS6_lPT3_lili
                                        ; -- End function
	.set _ZL20rocblas_gemvt_kernelILb0ELi256EPKDF16_PKfKPDF16_EviiT2_lPKT1_lilS9_lilS6_lPT3_lili.num_vgpr, 21
	.set _ZL20rocblas_gemvt_kernelILb0ELi256EPKDF16_PKfKPDF16_EviiT2_lPKT1_lilS9_lilS6_lPT3_lili.num_agpr, 0
	.set _ZL20rocblas_gemvt_kernelILb0ELi256EPKDF16_PKfKPDF16_EviiT2_lPKT1_lilS9_lilS6_lPT3_lili.numbered_sgpr, 48
	.set _ZL20rocblas_gemvt_kernelILb0ELi256EPKDF16_PKfKPDF16_EviiT2_lPKT1_lilS9_lilS6_lPT3_lili.num_named_barrier, 0
	.set _ZL20rocblas_gemvt_kernelILb0ELi256EPKDF16_PKfKPDF16_EviiT2_lPKT1_lilS9_lilS6_lPT3_lili.private_seg_size, 0
	.set _ZL20rocblas_gemvt_kernelILb0ELi256EPKDF16_PKfKPDF16_EviiT2_lPKT1_lilS9_lilS6_lPT3_lili.uses_vcc, 1
	.set _ZL20rocblas_gemvt_kernelILb0ELi256EPKDF16_PKfKPDF16_EviiT2_lPKT1_lilS9_lilS6_lPT3_lili.uses_flat_scratch, 0
	.set _ZL20rocblas_gemvt_kernelILb0ELi256EPKDF16_PKfKPDF16_EviiT2_lPKT1_lilS9_lilS6_lPT3_lili.has_dyn_sized_stack, 0
	.set _ZL20rocblas_gemvt_kernelILb0ELi256EPKDF16_PKfKPDF16_EviiT2_lPKT1_lilS9_lilS6_lPT3_lili.has_recursion, 0
	.set _ZL20rocblas_gemvt_kernelILb0ELi256EPKDF16_PKfKPDF16_EviiT2_lPKT1_lilS9_lilS6_lPT3_lili.has_indirect_call, 0
	.section	.AMDGPU.csdata,"",@progbits
; Kernel info:
; codeLenInByte = 1500
; TotalNumSgprs: 50
; NumVgprs: 21
; ScratchSize: 0
; MemoryBound: 0
; FloatMode: 240
; IeeeMode: 1
; LDSByteSize: 1024 bytes/workgroup (compile time only)
; SGPRBlocks: 0
; VGPRBlocks: 1
; NumSGPRsForWavesPerEU: 50
; NumVGPRsForWavesPerEU: 21
; NamedBarCnt: 0
; Occupancy: 16
; WaveLimiterHint : 1
; COMPUTE_PGM_RSRC2:SCRATCH_EN: 0
; COMPUTE_PGM_RSRC2:USER_SGPR: 2
; COMPUTE_PGM_RSRC2:TRAP_HANDLER: 0
; COMPUTE_PGM_RSRC2:TGID_X_EN: 1
; COMPUTE_PGM_RSRC2:TGID_Y_EN: 0
; COMPUTE_PGM_RSRC2:TGID_Z_EN: 1
; COMPUTE_PGM_RSRC2:TIDIG_COMP_CNT: 0
	.section	.text._ZL20rocblas_gemvt_kernelILb0ELi256EPKDF16_fKPDF16_EviiT2_lPKT1_lilS7_lilS4_lPT3_lili,"axG",@progbits,_ZL20rocblas_gemvt_kernelILb0ELi256EPKDF16_fKPDF16_EviiT2_lPKT1_lilS7_lilS4_lPT3_lili,comdat
	.globl	_ZL20rocblas_gemvt_kernelILb0ELi256EPKDF16_fKPDF16_EviiT2_lPKT1_lilS7_lilS4_lPT3_lili ; -- Begin function _ZL20rocblas_gemvt_kernelILb0ELi256EPKDF16_fKPDF16_EviiT2_lPKT1_lilS7_lilS4_lPT3_lili
	.p2align	8
	.type	_ZL20rocblas_gemvt_kernelILb0ELi256EPKDF16_fKPDF16_EviiT2_lPKT1_lilS7_lilS4_lPT3_lili,@function
_ZL20rocblas_gemvt_kernelILb0ELi256EPKDF16_fKPDF16_EviiT2_lPKT1_lilS7_lilS4_lPT3_lili: ; @_ZL20rocblas_gemvt_kernelILb0ELi256EPKDF16_fKPDF16_EviiT2_lPKT1_lilS7_lilS4_lPT3_lili
; %bb.0:
	s_load_b32 s9, s[0:1], 0x88
	s_bfe_u32 s2, ttmp6, 0x40014
	s_lshr_b32 s3, ttmp7, 16
	s_add_co_i32 s2, s2, 1
	s_bfe_u32 s5, ttmp6, 0x40008
	s_mul_i32 s2, s3, s2
	s_getreg_b32 s4, hwreg(HW_REG_IB_STS2, 6, 4)
	s_add_co_i32 s5, s5, s2
	s_cmp_eq_u32 s4, 0
	s_mov_b32 s11, 0
	s_cselect_b32 s10, s3, s5
	s_wait_kmcnt 0x0
	s_cmp_ge_u32 s10, s9
	s_cbranch_scc1 .LBB451_47
; %bb.1:
	s_clause 0x7
	s_load_b32 s2, s[0:1], 0x28
	s_load_b32 s28, s[0:1], 0x48
	;; [unrolled: 1-line block ×5, first 2 shown]
	s_load_b128 s[12:15], s[0:1], 0x18
	s_load_b32 s8, s[0:1], 0x0
	s_load_b128 s[20:23], s[0:1], 0x68
	v_lshlrev_b32_e32 v17, 2, v0
	s_wait_kmcnt 0x0
	s_ashr_i32 s3, s2, 31
	s_ashr_i32 s29, s28, 31
	;; [unrolled: 1-line block ×3, first 2 shown]
	s_cmp_eq_f32 s33, 0
	s_cselect_b32 s35, -1, 0
	s_cmp_neq_f32 s34, 1.0
	s_cselect_b32 s5, -1, 0
	s_cmp_neq_f32 s33, 0
	s_cselect_b32 s16, -1, 0
	s_delay_alu instid0(SALU_CYCLE_1)
	s_or_b32 s36, s16, s5
	s_cmp_neq_f32 s34, 0
	v_cndmask_b32_e64 v16, 0, 1, s16
	s_cselect_b32 s37, -1, 0
	s_bfe_u32 s5, ttmp6, 0x4000c
	s_and_b32 s16, ttmp6, 15
	s_add_co_i32 s5, s5, 1
	s_delay_alu instid0(SALU_CYCLE_1) | instskip(NEXT) | instid1(SALU_CYCLE_1)
	s_mul_i32 s5, ttmp9, s5
	s_add_co_i32 s16, s16, s5
	s_cmp_eq_u32 s4, 0
	s_cselect_b32 s4, ttmp9, s16
	s_load_b128 s[16:19], s[0:1], 0x38
	s_ashr_i32 s5, s8, 31
	v_cmp_gt_i32_e32 vcc_lo, s8, v0
	s_lshr_b32 s5, s5, 24
	s_wait_xcnt 0x0
	v_cmp_eq_u32_e64 s0, 0, v0
	s_add_co_i32 s5, s8, s5
	s_delay_alu instid0(SALU_CYCLE_1) | instskip(NEXT) | instid1(SALU_CYCLE_1)
	s_and_b32 s24, s5, 0xffffff00
	v_dual_mov_b32 v1, 0 :: v_dual_bitop2_b32 v6, s24, v0 bitop3:0x54
	v_cndmask_b32_e32 v8, 0, v0, vcc_lo
	s_ashr_i32 s5, s4, 31
	s_cmp_gt_i32 s8, 0xff
	s_delay_alu instid0(VALU_DEP_2)
	v_mul_u64_e32 v[4:5], s[28:29], v[0:1]
	v_ashrrev_i32_e32 v7, 31, v6
	s_mul_u64 s[30:31], s[6:7], s[4:5]
	s_mul_u64 s[26:27], s[2:3], s[4:5]
	v_cmp_gt_i32_e64 s1, s8, v6
	v_cmp_gt_u32_e64 s2, 0x80, v0
	v_mul_u64_e32 v[2:3], s[28:29], v[6:7]
	v_cmp_gt_u32_e64 s3, 64, v0
	v_cmp_gt_u32_e64 s4, 32, v0
	;; [unrolled: 1-line block ×6, first 2 shown]
	v_lshlrev_b32_e32 v0, 1, v8
	s_cselect_b32 s38, -1, 0
	s_ashr_i32 s25, s24, 31
	s_lshl_b64 s[28:29], s[28:29], 9
	s_lshl_b64 s[14:15], s[14:15], 1
	s_wait_kmcnt 0x0
	s_lshl_b64 s[18:19], s[18:19], 1
	s_lshl_b64 s[22:23], s[22:23], 1
	;; [unrolled: 1-line block ×3, first 2 shown]
	v_lshlrev_b64_e32 v[4:5], 1, v[4:5]
	s_branch .LBB451_4
.LBB451_2:                              ;   in Loop: Header=BB451_4 Depth=1
	s_wait_xcnt 0x0
	s_or_b32 exec_lo, exec_lo, s40
.LBB451_3:                              ;   in Loop: Header=BB451_4 Depth=1
	s_add_co_i32 s10, s10, 0x10000
	s_delay_alu instid0(SALU_CYCLE_1)
	s_cmp_lt_u32 s10, s9
	s_cbranch_scc0 .LBB451_47
.LBB451_4:                              ; =>This Loop Header: Depth=1
                                        ;     Child Loop BB451_21 Depth 2
	s_and_not1_b32 vcc_lo, exec_lo, s36
	s_cbranch_vccnz .LBB451_3
; %bb.5:                                ;   in Loop: Header=BB451_4 Depth=1
	s_and_not1_b32 vcc_lo, exec_lo, s35
	s_cbranch_vccnz .LBB451_7
; %bb.6:                                ;   in Loop: Header=BB451_4 Depth=1
	v_mov_b64_e32 v[8:9], 0
	v_mov_b64_e32 v[10:11], 0
	s_cbranch_execz .LBB451_8
	s_branch .LBB451_9
.LBB451_7:                              ;   in Loop: Header=BB451_4 Depth=1
	v_mov_b64_e32 v[8:9], 0
	v_mov_b64_e32 v[10:11], 0
.LBB451_8:                              ;   in Loop: Header=BB451_4 Depth=1
	s_lshl_b64 s[40:41], s[10:11], 3
	s_delay_alu instid0(SALU_CYCLE_1)
	s_add_nc_u64 s[40:41], s[12:13], s[40:41]
	global_load_b64 v[6:7], v1, s[40:41]
	s_wait_loadcnt 0x0
	v_add_nc_u64_e32 v[10:11], s[14:15], v[6:7]
.LBB451_9:                              ;   in Loop: Header=BB451_4 Depth=1
	v_cmp_ne_u32_e32 vcc_lo, 1, v16
	s_cbranch_vccnz .LBB451_11
; %bb.10:                               ;   in Loop: Header=BB451_4 Depth=1
	s_wait_xcnt 0x0
	s_lshl_b64 s[40:41], s[10:11], 3
	s_delay_alu instid0(SALU_CYCLE_1)
	s_add_nc_u64 s[40:41], s[16:17], s[40:41]
	global_load_b64 v[6:7], v1, s[40:41]
	s_wait_loadcnt 0x0
	v_add_nc_u64_e32 v[8:9], s[18:19], v[6:7]
.LBB451_11:                             ;   in Loop: Header=BB451_4 Depth=1
	s_wait_xcnt 0x0
	s_lshl_b64 s[40:41], s[10:11], 3
	s_and_not1_b32 vcc_lo, exec_lo, s35
	s_add_nc_u64 s[40:41], s[20:21], s[40:41]
	global_load_b64 v[6:7], v1, s[40:41]
	s_wait_loadcnt 0x0
	v_add_nc_u64_e32 v[6:7], s[22:23], v[6:7]
	s_cbranch_vccnz .LBB451_15
; %bb.12:                               ;   in Loop: Header=BB451_4 Depth=1
	s_wait_xcnt 0x0
	s_mov_b32 s40, 0
	s_mov_b32 s39, 0
                                        ; implicit-def: $vgpr12
	s_and_saveexec_b32 s41, s0
	s_cbranch_execz .LBB451_16
; %bb.13:                               ;   in Loop: Header=BB451_4 Depth=1
	s_and_not1_b32 vcc_lo, exec_lo, s37
	s_cbranch_vccnz .LBB451_17
; %bb.14:                               ;   in Loop: Header=BB451_4 Depth=1
	v_add_nc_u64_e32 v[12:13], s[30:31], v[6:7]
	flat_load_u16 v12, v[12:13]
	s_wait_loadcnt_dscnt 0x0
	s_wait_xcnt 0x0
	v_fma_mixlo_f16 v12, s34, v12, 0 op_sel_hi:[0,1,0]
	s_branch .LBB451_18
.LBB451_15:                             ;   in Loop: Header=BB451_4 Depth=1
	s_wait_xcnt 0x0
	s_mov_b32 s39, 0
                                        ; implicit-def: $vgpr12
	s_cbranch_execnz .LBB451_19
	s_branch .LBB451_45
.LBB451_16:                             ;   in Loop: Header=BB451_4 Depth=1
	s_or_b32 exec_lo, exec_lo, s41
	s_delay_alu instid0(SALU_CYCLE_1)
	s_and_b32 vcc_lo, exec_lo, s40
	s_cbranch_vccnz .LBB451_19
	s_branch .LBB451_45
.LBB451_17:                             ;   in Loop: Header=BB451_4 Depth=1
	v_mov_b32_e32 v12, 0
.LBB451_18:                             ;   in Loop: Header=BB451_4 Depth=1
	s_mov_b32 s39, exec_lo
	s_or_b32 exec_lo, exec_lo, s41
	s_delay_alu instid0(SALU_CYCLE_1)
	s_and_b32 vcc_lo, exec_lo, s40
	s_cbranch_vccz .LBB451_45
.LBB451_19:                             ;   in Loop: Header=BB451_4 Depth=1
	v_add_nc_u64_e32 v[10:11], v[10:11], v[0:1]
	v_mov_b32_e32 v18, 0
	s_and_not1_b32 vcc_lo, exec_lo, s38
	s_delay_alu instid0(VALU_DEP_2)
	v_lshl_add_u64 v[10:11], s[26:27], 1, v[10:11]
	s_cbranch_vccnz .LBB451_22
; %bb.20:                               ;   in Loop: Header=BB451_4 Depth=1
	v_add_nc_u64_e32 v[12:13], v[8:9], v[4:5]
	s_delay_alu instid0(VALU_DEP_2)
	v_mov_b64_e32 v[14:15], v[10:11]
	v_mov_b32_e32 v18, 0
	s_mov_b32 s40, 0
.LBB451_21:                             ;   Parent Loop BB451_4 Depth=1
                                        ; =>  This Inner Loop Header: Depth=2
	flat_load_u16 v19, v[14:15]
	flat_load_u16 v20, v[12:13]
	s_wait_xcnt 0x0
	v_add_nc_u64_e32 v[12:13], s[28:29], v[12:13]
	v_add_nc_u64_e32 v[14:15], 0x200, v[14:15]
	s_addk_co_i32 s40, 0x100
	s_delay_alu instid0(SALU_CYCLE_1) | instskip(SKIP_2) | instid1(VALU_DEP_1)
	s_cmp_ge_i32 s40, s24
	s_wait_loadcnt_dscnt 0x0
	v_mul_f16_e32 v19, v19, v20
	v_cvt_f32_f16_e32 v19, v19
	s_delay_alu instid0(VALU_DEP_1)
	v_add_f32_e32 v18, v18, v19
	s_cbranch_scc0 .LBB451_21
.LBB451_22:                             ;   in Loop: Header=BB451_4 Depth=1
	s_and_saveexec_b32 s40, s1
	s_cbranch_execz .LBB451_24
; %bb.23:                               ;   in Loop: Header=BB451_4 Depth=1
	s_delay_alu instid0(VALU_DEP_1)
	v_lshl_add_u64 v[10:11], s[24:25], 1, v[10:11]
	v_lshl_add_u64 v[8:9], v[2:3], 1, v[8:9]
	flat_load_u16 v12, v[10:11]
	flat_load_u16 v13, v[8:9]
	s_wait_loadcnt_dscnt 0x0
	s_wait_xcnt 0x0
	v_mul_f16_e32 v8, v12, v13
	s_delay_alu instid0(VALU_DEP_1) | instskip(NEXT) | instid1(VALU_DEP_1)
	v_cvt_f32_f16_e32 v8, v8
	v_add_f32_e32 v18, v18, v8
.LBB451_24:                             ;   in Loop: Header=BB451_4 Depth=1
	s_or_b32 exec_lo, exec_lo, s40
	ds_store_b32 v17, v18
	s_wait_dscnt 0x0
	s_barrier_signal -1
	s_barrier_wait -1
	s_and_saveexec_b32 s40, s2
	s_cbranch_execz .LBB451_26
; %bb.25:                               ;   in Loop: Header=BB451_4 Depth=1
	ds_load_2addr_stride64_b32 v[8:9], v17 offset1:2
	s_wait_dscnt 0x0
	v_add_f32_e32 v8, v9, v8
	ds_store_b32 v17, v8
.LBB451_26:                             ;   in Loop: Header=BB451_4 Depth=1
	s_or_b32 exec_lo, exec_lo, s40
	s_wait_dscnt 0x0
	s_barrier_signal -1
	s_barrier_wait -1
	s_and_saveexec_b32 s40, s3
	s_cbranch_execz .LBB451_28
; %bb.27:                               ;   in Loop: Header=BB451_4 Depth=1
	ds_load_2addr_stride64_b32 v[8:9], v17 offset1:1
	s_wait_dscnt 0x0
	v_add_f32_e32 v8, v9, v8
	ds_store_b32 v17, v8
.LBB451_28:                             ;   in Loop: Header=BB451_4 Depth=1
	s_or_b32 exec_lo, exec_lo, s40
	s_wait_dscnt 0x0
	s_barrier_signal -1
	s_barrier_wait -1
	s_and_saveexec_b32 s40, s4
	s_cbranch_execz .LBB451_30
; %bb.29:                               ;   in Loop: Header=BB451_4 Depth=1
	ds_load_2addr_b32 v[8:9], v17 offset1:32
	s_wait_dscnt 0x0
	v_add_f32_e32 v8, v9, v8
	ds_store_b32 v17, v8
.LBB451_30:                             ;   in Loop: Header=BB451_4 Depth=1
	s_or_b32 exec_lo, exec_lo, s40
	s_wait_dscnt 0x0
	s_barrier_signal -1
	s_barrier_wait -1
	s_and_saveexec_b32 s40, s5
	s_cbranch_execz .LBB451_32
; %bb.31:                               ;   in Loop: Header=BB451_4 Depth=1
	ds_load_2addr_b32 v[8:9], v17 offset1:16
	s_wait_dscnt 0x0
	v_add_f32_e32 v8, v9, v8
	ds_store_b32 v17, v8
.LBB451_32:                             ;   in Loop: Header=BB451_4 Depth=1
	;; [unrolled: 12-line block ×5, first 2 shown]
	s_or_b32 exec_lo, exec_lo, s40
	s_wait_dscnt 0x0
	s_barrier_signal -1
	s_barrier_wait -1
	s_and_saveexec_b32 s40, s0
	s_cbranch_execz .LBB451_40
; %bb.39:                               ;   in Loop: Header=BB451_4 Depth=1
	ds_load_b64 v[8:9], v1
	s_wait_dscnt 0x0
	v_add_f32_e32 v8, v9, v8
	ds_store_b32 v1, v8
.LBB451_40:                             ;   in Loop: Header=BB451_4 Depth=1
	s_or_b32 exec_lo, exec_lo, s40
	s_wait_dscnt 0x0
	s_barrier_signal -1
	s_barrier_wait -1
                                        ; implicit-def: $vgpr12
	s_and_saveexec_b32 s40, s0
	s_cbranch_execz .LBB451_44
; %bb.41:                               ;   in Loop: Header=BB451_4 Depth=1
	ds_load_b32 v8, v1
	s_and_not1_b32 vcc_lo, exec_lo, s37
	s_wait_dscnt 0x0
	v_mul_f32_e32 v8, s33, v8
	s_cbranch_vccnz .LBB451_43
; %bb.42:                               ;   in Loop: Header=BB451_4 Depth=1
	v_add_nc_u64_e32 v[10:11], s[30:31], v[6:7]
	flat_load_u16 v9, v[10:11]
	s_wait_loadcnt_dscnt 0x0
	v_fma_mix_f32 v8, s34, v9, v8 op_sel_hi:[0,1,0]
.LBB451_43:                             ;   in Loop: Header=BB451_4 Depth=1
	s_delay_alu instid0(VALU_DEP_1)
	v_cvt_f16_f32_e32 v12, v8
	s_or_b32 s39, s39, exec_lo
.LBB451_44:                             ;   in Loop: Header=BB451_4 Depth=1
	s_wait_xcnt 0x0
	s_or_b32 exec_lo, exec_lo, s40
.LBB451_45:                             ;   in Loop: Header=BB451_4 Depth=1
	s_and_saveexec_b32 s40, s39
	s_cbranch_execz .LBB451_2
; %bb.46:                               ;   in Loop: Header=BB451_4 Depth=1
	v_add_nc_u64_e32 v[6:7], s[30:31], v[6:7]
	flat_store_b16 v[6:7], v12
	s_branch .LBB451_2
.LBB451_47:
	s_endpgm
	.section	.rodata,"a",@progbits
	.p2align	6, 0x0
	.amdhsa_kernel _ZL20rocblas_gemvt_kernelILb0ELi256EPKDF16_fKPDF16_EviiT2_lPKT1_lilS7_lilS4_lPT3_lili
		.amdhsa_group_segment_fixed_size 1024
		.amdhsa_private_segment_fixed_size 0
		.amdhsa_kernarg_size 140
		.amdhsa_user_sgpr_count 2
		.amdhsa_user_sgpr_dispatch_ptr 0
		.amdhsa_user_sgpr_queue_ptr 0
		.amdhsa_user_sgpr_kernarg_segment_ptr 1
		.amdhsa_user_sgpr_dispatch_id 0
		.amdhsa_user_sgpr_kernarg_preload_length 0
		.amdhsa_user_sgpr_kernarg_preload_offset 0
		.amdhsa_user_sgpr_private_segment_size 0
		.amdhsa_wavefront_size32 1
		.amdhsa_uses_dynamic_stack 0
		.amdhsa_enable_private_segment 0
		.amdhsa_system_sgpr_workgroup_id_x 1
		.amdhsa_system_sgpr_workgroup_id_y 0
		.amdhsa_system_sgpr_workgroup_id_z 1
		.amdhsa_system_sgpr_workgroup_info 0
		.amdhsa_system_vgpr_workitem_id 0
		.amdhsa_next_free_vgpr 21
		.amdhsa_next_free_sgpr 42
		.amdhsa_named_barrier_count 0
		.amdhsa_reserve_vcc 1
		.amdhsa_float_round_mode_32 0
		.amdhsa_float_round_mode_16_64 0
		.amdhsa_float_denorm_mode_32 3
		.amdhsa_float_denorm_mode_16_64 3
		.amdhsa_fp16_overflow 0
		.amdhsa_memory_ordered 1
		.amdhsa_forward_progress 1
		.amdhsa_inst_pref_size 12
		.amdhsa_round_robin_scheduling 0
		.amdhsa_exception_fp_ieee_invalid_op 0
		.amdhsa_exception_fp_denorm_src 0
		.amdhsa_exception_fp_ieee_div_zero 0
		.amdhsa_exception_fp_ieee_overflow 0
		.amdhsa_exception_fp_ieee_underflow 0
		.amdhsa_exception_fp_ieee_inexact 0
		.amdhsa_exception_int_div_zero 0
	.end_amdhsa_kernel
	.section	.text._ZL20rocblas_gemvt_kernelILb0ELi256EPKDF16_fKPDF16_EviiT2_lPKT1_lilS7_lilS4_lPT3_lili,"axG",@progbits,_ZL20rocblas_gemvt_kernelILb0ELi256EPKDF16_fKPDF16_EviiT2_lPKT1_lilS7_lilS4_lPT3_lili,comdat
.Lfunc_end451:
	.size	_ZL20rocblas_gemvt_kernelILb0ELi256EPKDF16_fKPDF16_EviiT2_lPKT1_lilS7_lilS4_lPT3_lili, .Lfunc_end451-_ZL20rocblas_gemvt_kernelILb0ELi256EPKDF16_fKPDF16_EviiT2_lPKT1_lilS7_lilS4_lPT3_lili
                                        ; -- End function
	.set _ZL20rocblas_gemvt_kernelILb0ELi256EPKDF16_fKPDF16_EviiT2_lPKT1_lilS7_lilS4_lPT3_lili.num_vgpr, 21
	.set _ZL20rocblas_gemvt_kernelILb0ELi256EPKDF16_fKPDF16_EviiT2_lPKT1_lilS7_lilS4_lPT3_lili.num_agpr, 0
	.set _ZL20rocblas_gemvt_kernelILb0ELi256EPKDF16_fKPDF16_EviiT2_lPKT1_lilS7_lilS4_lPT3_lili.numbered_sgpr, 42
	.set _ZL20rocblas_gemvt_kernelILb0ELi256EPKDF16_fKPDF16_EviiT2_lPKT1_lilS7_lilS4_lPT3_lili.num_named_barrier, 0
	.set _ZL20rocblas_gemvt_kernelILb0ELi256EPKDF16_fKPDF16_EviiT2_lPKT1_lilS7_lilS4_lPT3_lili.private_seg_size, 0
	.set _ZL20rocblas_gemvt_kernelILb0ELi256EPKDF16_fKPDF16_EviiT2_lPKT1_lilS7_lilS4_lPT3_lili.uses_vcc, 1
	.set _ZL20rocblas_gemvt_kernelILb0ELi256EPKDF16_fKPDF16_EviiT2_lPKT1_lilS7_lilS4_lPT3_lili.uses_flat_scratch, 0
	.set _ZL20rocblas_gemvt_kernelILb0ELi256EPKDF16_fKPDF16_EviiT2_lPKT1_lilS7_lilS4_lPT3_lili.has_dyn_sized_stack, 0
	.set _ZL20rocblas_gemvt_kernelILb0ELi256EPKDF16_fKPDF16_EviiT2_lPKT1_lilS7_lilS4_lPT3_lili.has_recursion, 0
	.set _ZL20rocblas_gemvt_kernelILb0ELi256EPKDF16_fKPDF16_EviiT2_lPKT1_lilS7_lilS4_lPT3_lili.has_indirect_call, 0
	.section	.AMDGPU.csdata,"",@progbits
; Kernel info:
; codeLenInByte = 1480
; TotalNumSgprs: 44
; NumVgprs: 21
; ScratchSize: 0
; MemoryBound: 0
; FloatMode: 240
; IeeeMode: 1
; LDSByteSize: 1024 bytes/workgroup (compile time only)
; SGPRBlocks: 0
; VGPRBlocks: 1
; NumSGPRsForWavesPerEU: 44
; NumVGPRsForWavesPerEU: 21
; NamedBarCnt: 0
; Occupancy: 16
; WaveLimiterHint : 1
; COMPUTE_PGM_RSRC2:SCRATCH_EN: 0
; COMPUTE_PGM_RSRC2:USER_SGPR: 2
; COMPUTE_PGM_RSRC2:TRAP_HANDLER: 0
; COMPUTE_PGM_RSRC2:TGID_X_EN: 1
; COMPUTE_PGM_RSRC2:TGID_Y_EN: 0
; COMPUTE_PGM_RSRC2:TGID_Z_EN: 1
; COMPUTE_PGM_RSRC2:TIDIG_COMP_CNT: 0
	.section	.text._ZL32rocblas_gemvt_warp_reduce_kernelILb0ELi1024EiPKDF16_PKfKPDF16_EviiT3_lPKT2_lT1_lS9_lSA_lS6_lPT4_lSA_li,"axG",@progbits,_ZL32rocblas_gemvt_warp_reduce_kernelILb0ELi1024EiPKDF16_PKfKPDF16_EviiT3_lPKT2_lT1_lS9_lSA_lS6_lPT4_lSA_li,comdat
	.globl	_ZL32rocblas_gemvt_warp_reduce_kernelILb0ELi1024EiPKDF16_PKfKPDF16_EviiT3_lPKT2_lT1_lS9_lSA_lS6_lPT4_lSA_li ; -- Begin function _ZL32rocblas_gemvt_warp_reduce_kernelILb0ELi1024EiPKDF16_PKfKPDF16_EviiT3_lPKT2_lT1_lS9_lSA_lS6_lPT4_lSA_li
	.p2align	8
	.type	_ZL32rocblas_gemvt_warp_reduce_kernelILb0ELi1024EiPKDF16_PKfKPDF16_EviiT3_lPKT2_lT1_lS9_lSA_lS6_lPT4_lSA_li,@function
_ZL32rocblas_gemvt_warp_reduce_kernelILb0ELi1024EiPKDF16_PKfKPDF16_EviiT3_lPKT2_lT1_lS9_lSA_lS6_lPT4_lSA_li: ; @_ZL32rocblas_gemvt_warp_reduce_kernelILb0ELi1024EiPKDF16_PKfKPDF16_EviiT3_lPKT2_lT1_lS9_lSA_lS6_lPT4_lSA_li
; %bb.0:
	s_load_b32 s7, s[0:1], 0x88
	s_bfe_u32 s2, ttmp6, 0x40014
	s_lshr_b32 s3, ttmp7, 16
	s_add_co_i32 s2, s2, 1
	s_bfe_u32 s5, ttmp6, 0x40008
	s_mul_i32 s4, s3, s2
	s_getreg_b32 s2, hwreg(HW_REG_IB_STS2, 6, 4)
	s_add_co_i32 s5, s5, s4
	s_cmp_eq_u32 s2, 0
	s_mov_b32 s29, 0
	s_cselect_b32 s28, s3, s5
	s_wait_kmcnt 0x0
	s_cmp_ge_u32 s28, s7
	s_cbranch_scc1 .LBB452_38
; %bb.1:
	s_clause 0x6
	s_load_b32 s4, s[0:1], 0x0
	s_load_b256 s[8:15], s[0:1], 0x8
	s_load_b32 s3, s[0:1], 0x28
	s_load_b128 s[24:27], s[0:1], 0x38
	s_load_b32 s5, s[0:1], 0x48
	s_load_b256 s[16:23], s[0:1], 0x58
	s_load_b32 s6, s[0:1], 0x78
	s_wait_xcnt 0x0
	s_bfe_u32 s1, ttmp6, 0x4000c
	s_and_b32 s30, ttmp6, 15
	s_add_co_i32 s1, s1, 1
	v_dual_mov_b32 v3, 0 :: v_dual_bitop2_b32 v2, 31, v0 bitop3:0x40
	s_mul_i32 s1, ttmp9, s1
	v_lshrrev_b32_e32 v4, 3, v0
	s_add_co_i32 s30, s30, s1
	s_cmp_eq_u32 s2, 0
	v_lshlrev_b32_e32 v14, 2, v2
	s_cselect_b32 s31, ttmp9, s30
	v_and_b32_e32 v15, 0x7c, v4
	v_mbcnt_lo_u32_b32 v1, -1, 0
	s_wait_kmcnt 0x0
	s_ashr_i32 s2, s4, 31
	v_cmp_gt_i32_e32 vcc_lo, s4, v0
	s_lshr_b32 s2, s2, 22
	v_cmp_eq_u32_e64 s0, 0, v0
	s_add_co_i32 s2, s4, s2
	v_mul_lo_u32 v16, v0, s5
	s_and_b32 s30, s2, 0xfffffc00
	v_cmp_eq_u32_e64 s2, 0, v2
	v_dual_cndmask_b32 v2, 0, v0, vcc_lo :: v_dual_bitop2_b32 v5, s30, v0 bitop3:0x54
	s_mul_i32 s36, s6, s31
	v_cmp_gt_u32_e64 s1, 32, v0
	s_mul_i32 s34, s3, s31
	v_mul_lo_u32 v4, s5, v5
	v_lshlrev_b32_e32 v2, 1, v2
	v_cmp_gt_i32_e64 s3, s30, v0
	v_cmp_gt_i32_e64 s4, s4, v5
	v_lshl_or_b32 v17, v1, 2, 64
	s_ashr_i32 s37, s36, 31
	s_lshl_b32 s33, s5, 10
	s_lshl_b64 s[14:15], s[14:15], 1
	s_ashr_i32 s35, s34, 31
	s_ashr_i32 s31, s30, 31
	s_lshl_b64 s[26:27], s[26:27], 1
	v_ashrrev_i32_e32 v5, 31, v4
	s_lshl_b64 s[22:23], s[22:23], 1
	s_lshl_b64 s[36:37], s[36:37], 1
	s_branch .LBB452_4
.LBB452_2:                              ;   in Loop: Header=BB452_4 Depth=1
	s_wait_xcnt 0x0
	s_or_b32 exec_lo, exec_lo, s6
.LBB452_3:                              ;   in Loop: Header=BB452_4 Depth=1
	s_add_co_i32 s28, s28, 0x10000
	s_delay_alu instid0(SALU_CYCLE_1)
	s_cmp_lt_u32 s28, s7
	s_cbranch_scc0 .LBB452_38
.LBB452_4:                              ; =>This Loop Header: Depth=1
                                        ;     Child Loop BB452_27 Depth 2
	s_mul_u64 s[38:39], s[10:11], s[28:29]
	s_wait_xcnt 0x0
	s_mul_u64 s[40:41], s[18:19], s[28:29]
	s_lshl_b64 s[38:39], s[38:39], 2
	s_lshl_b64 s[40:41], s[40:41], 2
	s_add_nc_u64 s[38:39], s[8:9], s[38:39]
	s_add_nc_u64 s[40:41], s[16:17], s[40:41]
	s_clause 0x1
	global_load_b32 v18, v3, s[38:39]
	global_load_b32 v6, v3, s[40:41]
	s_wait_loadcnt 0x1
	v_cmp_eq_f32_e64 s5, 0, v18
	s_wait_loadcnt 0x0
	v_cmp_eq_f32_e32 vcc_lo, 1.0, v6
	s_wait_xcnt 0x1
	v_readfirstlane_b32 s38, v6
	s_and_b32 s6, s5, vcc_lo
	s_delay_alu instid0(SALU_CYCLE_1)
	s_and_b32 vcc_lo, exec_lo, s6
	s_cbranch_vccnz .LBB452_3
; %bb.5:                                ;   in Loop: Header=BB452_4 Depth=1
	v_mov_b64_e32 v[8:9], 0
	v_mov_b64_e32 v[10:11], 0
	v_cmp_neq_f32_e64 s6, 0, v18
	s_and_b32 vcc_lo, exec_lo, s5
	s_cbranch_vccnz .LBB452_7
; %bb.6:                                ;   in Loop: Header=BB452_4 Depth=1
	s_wait_xcnt 0x0
	s_lshl_b64 s[40:41], s[28:29], 3
	s_delay_alu instid0(SALU_CYCLE_1)
	s_add_nc_u64 s[40:41], s[12:13], s[40:41]
	global_load_b64 v[6:7], v3, s[40:41]
	s_wait_loadcnt 0x0
	v_add_nc_u64_e32 v[10:11], s[14:15], v[6:7]
.LBB452_7:                              ;   in Loop: Header=BB452_4 Depth=1
	s_and_not1_b32 vcc_lo, exec_lo, s6
	s_cbranch_vccnz .LBB452_9
; %bb.8:                                ;   in Loop: Header=BB452_4 Depth=1
	s_wait_xcnt 0x0
	s_lshl_b64 s[40:41], s[28:29], 3
	s_delay_alu instid0(SALU_CYCLE_1)
	s_add_nc_u64 s[40:41], s[24:25], s[40:41]
	global_load_b64 v[6:7], v3, s[40:41]
	s_wait_loadcnt 0x0
	v_add_nc_u64_e32 v[8:9], s[26:27], v[6:7]
.LBB452_9:                              ;   in Loop: Header=BB452_4 Depth=1
	s_wait_xcnt 0x0
	s_lshl_b64 s[40:41], s[28:29], 3
	s_and_not1_b32 vcc_lo, exec_lo, s5
	s_add_nc_u64 s[40:41], s[20:21], s[40:41]
	global_load_b64 v[6:7], v3, s[40:41]
	s_wait_loadcnt 0x0
	v_add_nc_u64_e32 v[6:7], s[22:23], v[6:7]
	s_cbranch_vccnz .LBB452_13
; %bb.10:                               ;   in Loop: Header=BB452_4 Depth=1
	s_mov_b32 s6, 0
	s_mov_b32 s5, 0
                                        ; implicit-def: $vgpr12
	s_wait_xcnt 0x0
	s_and_saveexec_b32 s39, s0
	s_cbranch_execz .LBB452_14
; %bb.11:                               ;   in Loop: Header=BB452_4 Depth=1
	s_cmp_eq_f32 s38, 0
	s_cbranch_scc1 .LBB452_15
; %bb.12:                               ;   in Loop: Header=BB452_4 Depth=1
	s_wait_dscnt 0x0
	v_add_nc_u64_e32 v[12:13], s[36:37], v[6:7]
	flat_load_u16 v12, v[12:13]
	s_wait_loadcnt_dscnt 0x0
	s_wait_xcnt 0x0
	v_fma_mixlo_f16 v12, s38, v12, 0 op_sel_hi:[0,1,0]
	s_branch .LBB452_16
.LBB452_13:                             ;   in Loop: Header=BB452_4 Depth=1
	s_mov_b32 s5, 0
                                        ; implicit-def: $vgpr12
	s_cbranch_execnz .LBB452_17
	s_branch .LBB452_36
.LBB452_14:                             ;   in Loop: Header=BB452_4 Depth=1
	s_or_b32 exec_lo, exec_lo, s39
	s_delay_alu instid0(SALU_CYCLE_1)
	s_and_b32 vcc_lo, exec_lo, s6
	s_cbranch_vccnz .LBB452_17
	s_branch .LBB452_36
.LBB452_15:                             ;   in Loop: Header=BB452_4 Depth=1
	v_mov_b32_e32 v12, 0
.LBB452_16:                             ;   in Loop: Header=BB452_4 Depth=1
	s_mov_b32 s5, exec_lo
	s_or_b32 exec_lo, exec_lo, s39
	s_delay_alu instid0(SALU_CYCLE_1)
	s_and_b32 vcc_lo, exec_lo, s6
	s_cbranch_vccz .LBB452_36
.LBB452_17:                             ;   in Loop: Header=BB452_4 Depth=1
	v_add_nc_u64_e32 v[10:11], v[10:11], v[2:3]
	v_mov_b32_e32 v19, 0
	s_delay_alu instid0(VALU_DEP_2)
	v_lshl_add_u64 v[10:11], s[34:35], 1, v[10:11]
	s_wait_xcnt 0x0
	s_and_saveexec_b32 s6, s3
	s_cbranch_execnz .LBB452_26
; %bb.18:                               ;   in Loop: Header=BB452_4 Depth=1
	s_or_b32 exec_lo, exec_lo, s6
	s_and_saveexec_b32 s6, s4
	s_cbranch_execnz .LBB452_29
.LBB452_19:                             ;   in Loop: Header=BB452_4 Depth=1
	s_or_b32 exec_lo, exec_lo, s6
	s_and_saveexec_b32 s6, s1
.LBB452_20:                             ;   in Loop: Header=BB452_4 Depth=1
	ds_store_b32 v14, v3
.LBB452_21:                             ;   in Loop: Header=BB452_4 Depth=1
	s_or_b32 exec_lo, exec_lo, s6
	ds_bpermute_b32 v9, v17, v19
	v_cmp_gt_u32_e32 vcc_lo, 24, v1
	s_wait_dscnt 0x0
	s_barrier_signal -1
	s_barrier_wait -1
	v_cndmask_b32_e64 v8, 0, 8, vcc_lo
	v_cmp_gt_u32_e32 vcc_lo, 28, v1
	s_delay_alu instid0(VALU_DEP_2)
	v_add_lshl_u32 v8, v8, v1, 2
	v_add_f32_e32 v10, v19, v9
	v_cndmask_b32_e64 v9, 0, 4, vcc_lo
	v_cmp_gt_u32_e32 vcc_lo, 30, v1
	ds_bpermute_b32 v11, v8, v10
	v_add_lshl_u32 v9, v9, v1, 2
	s_wait_dscnt 0x0
	v_add_f32_e32 v11, v10, v11
	v_cndmask_b32_e64 v10, 0, 2, vcc_lo
	v_cmp_ne_u32_e32 vcc_lo, 31, v1
	ds_bpermute_b32 v12, v9, v11
	v_add_lshl_u32 v10, v10, v1, 2
	v_add_co_ci_u32_e64 v13, null, 0, v1, vcc_lo
	s_wait_dscnt 0x0
	v_add_f32_e32 v11, v11, v12
	ds_bpermute_b32 v12, v10, v11
	s_wait_dscnt 0x0
	v_dual_add_f32 v12, v11, v12 :: v_dual_lshlrev_b32 v11, 2, v13
	ds_bpermute_b32 v13, v11, v12
	s_and_saveexec_b32 s6, s2
	s_cbranch_execz .LBB452_23
; %bb.22:                               ;   in Loop: Header=BB452_4 Depth=1
	s_wait_dscnt 0x0
	v_add_f32_e32 v12, v12, v13
	ds_store_b32 v15, v12
.LBB452_23:                             ;   in Loop: Header=BB452_4 Depth=1
	s_or_b32 exec_lo, exec_lo, s6
	s_wait_dscnt 0x0
	v_mov_b32_e32 v13, 0
	s_barrier_signal -1
	s_barrier_wait -1
	s_and_saveexec_b32 s6, s1
	s_cbranch_execnz .LBB452_30
; %bb.24:                               ;   in Loop: Header=BB452_4 Depth=1
	s_or_b32 exec_lo, exec_lo, s6
	s_and_saveexec_b32 s6, s1
	s_cbranch_execnz .LBB452_31
.LBB452_25:                             ;   in Loop: Header=BB452_4 Depth=1
	s_or_b32 exec_lo, exec_lo, s6
                                        ; implicit-def: $vgpr12
	s_and_saveexec_b32 s6, s0
	s_cbranch_execnz .LBB452_32
	s_branch .LBB452_35
.LBB452_26:                             ;   in Loop: Header=BB452_4 Depth=1
	s_wait_dscnt 0x0
	v_mov_b64_e32 v[12:13], v[10:11]
	v_dual_mov_b32 v19, 0 :: v_dual_mov_b32 v20, v0
	v_mov_b32_e32 v21, v16
	s_mov_b32 s39, 0
.LBB452_27:                             ;   Parent Loop BB452_4 Depth=1
                                        ; =>  This Inner Loop Header: Depth=2
	v_readfirstlane_b32 s40, v8
	v_readfirstlane_b32 s41, v9
	flat_load_u16 v22, v[12:13]
	flat_load_u16 v23, v21, s[40:41] scale_offset
	s_wait_xcnt 0x1
	v_add_nc_u64_e32 v[12:13], 0x800, v[12:13]
	s_wait_xcnt 0x0
	v_add_nc_u32_e32 v21, s33, v21
	s_wait_loadcnt_dscnt 0x0
	v_mul_f16_e32 v22, v22, v23
	s_delay_alu instid0(VALU_DEP_1) | instskip(NEXT) | instid1(VALU_DEP_1)
	v_cvt_f32_f16_e32 v22, v22
	v_dual_add_f32 v19, v19, v22 :: v_dual_add_nc_u32 v20, 0x400, v20
	s_delay_alu instid0(VALU_DEP_1) | instskip(SKIP_1) | instid1(SALU_CYCLE_1)
	v_cmp_le_i32_e32 vcc_lo, s30, v20
	s_or_b32 s39, vcc_lo, s39
	s_and_not1_b32 exec_lo, exec_lo, s39
	s_cbranch_execnz .LBB452_27
; %bb.28:                               ;   in Loop: Header=BB452_4 Depth=1
	s_or_b32 exec_lo, exec_lo, s39
	s_delay_alu instid0(SALU_CYCLE_1)
	s_or_b32 exec_lo, exec_lo, s6
	s_and_saveexec_b32 s6, s4
	s_cbranch_execz .LBB452_19
.LBB452_29:                             ;   in Loop: Header=BB452_4 Depth=1
	v_lshl_add_u64 v[10:11], s[30:31], 1, v[10:11]
	v_lshl_add_u64 v[8:9], v[4:5], 1, v[8:9]
	flat_load_u16 v12, v[10:11]
	s_wait_dscnt 0x1
	flat_load_u16 v13, v[8:9]
	s_wait_loadcnt_dscnt 0x0
	s_wait_xcnt 0x0
	v_mul_f16_e32 v8, v12, v13
	s_delay_alu instid0(VALU_DEP_1) | instskip(NEXT) | instid1(VALU_DEP_1)
	v_cvt_f32_f16_e32 v8, v8
	v_add_f32_e32 v19, v19, v8
	s_or_b32 exec_lo, exec_lo, s6
	s_and_saveexec_b32 s6, s1
	s_cbranch_execnz .LBB452_20
	s_branch .LBB452_21
.LBB452_30:                             ;   in Loop: Header=BB452_4 Depth=1
	ds_load_b32 v13, v14
	s_or_b32 exec_lo, exec_lo, s6
	s_and_saveexec_b32 s6, s1
	s_cbranch_execz .LBB452_25
.LBB452_31:                             ;   in Loop: Header=BB452_4 Depth=1
	s_wait_dscnt 0x0
	ds_bpermute_b32 v12, v17, v13
	s_wait_dscnt 0x0
	v_add_f32_e32 v12, v13, v12
	ds_bpermute_b32 v8, v8, v12
	s_wait_dscnt 0x0
	v_add_f32_e32 v8, v12, v8
	;; [unrolled: 3-line block ×5, first 2 shown]
	s_or_b32 exec_lo, exec_lo, s6
                                        ; implicit-def: $vgpr12
	s_and_saveexec_b32 s6, s0
	s_cbranch_execz .LBB452_35
.LBB452_32:                             ;   in Loop: Header=BB452_4 Depth=1
	s_wait_dscnt 0x0
	v_mul_f32_e32 v8, v18, v13
	s_cmp_eq_f32 s38, 0
	s_cbranch_scc1 .LBB452_34
; %bb.33:                               ;   in Loop: Header=BB452_4 Depth=1
	v_add_nc_u64_e32 v[10:11], s[36:37], v[6:7]
	flat_load_u16 v9, v[10:11]
	s_wait_loadcnt_dscnt 0x0
	v_fma_mix_f32 v8, s38, v9, v8 op_sel_hi:[0,1,0]
.LBB452_34:                             ;   in Loop: Header=BB452_4 Depth=1
	s_delay_alu instid0(VALU_DEP_1)
	v_cvt_f16_f32_e32 v12, v8
	s_or_b32 s5, s5, exec_lo
.LBB452_35:                             ;   in Loop: Header=BB452_4 Depth=1
	s_wait_xcnt 0x0
	s_or_b32 exec_lo, exec_lo, s6
.LBB452_36:                             ;   in Loop: Header=BB452_4 Depth=1
	s_wait_xcnt 0x0
	s_and_saveexec_b32 s6, s5
	s_cbranch_execz .LBB452_2
; %bb.37:                               ;   in Loop: Header=BB452_4 Depth=1
	v_add_nc_u64_e32 v[6:7], s[36:37], v[6:7]
	flat_store_b16 v[6:7], v12
	s_branch .LBB452_2
.LBB452_38:
	s_endpgm
	.section	.rodata,"a",@progbits
	.p2align	6, 0x0
	.amdhsa_kernel _ZL32rocblas_gemvt_warp_reduce_kernelILb0ELi1024EiPKDF16_PKfKPDF16_EviiT3_lPKT2_lT1_lS9_lSA_lS6_lPT4_lSA_li
		.amdhsa_group_segment_fixed_size 128
		.amdhsa_private_segment_fixed_size 0
		.amdhsa_kernarg_size 140
		.amdhsa_user_sgpr_count 2
		.amdhsa_user_sgpr_dispatch_ptr 0
		.amdhsa_user_sgpr_queue_ptr 0
		.amdhsa_user_sgpr_kernarg_segment_ptr 1
		.amdhsa_user_sgpr_dispatch_id 0
		.amdhsa_user_sgpr_kernarg_preload_length 0
		.amdhsa_user_sgpr_kernarg_preload_offset 0
		.amdhsa_user_sgpr_private_segment_size 0
		.amdhsa_wavefront_size32 1
		.amdhsa_uses_dynamic_stack 0
		.amdhsa_enable_private_segment 0
		.amdhsa_system_sgpr_workgroup_id_x 1
		.amdhsa_system_sgpr_workgroup_id_y 0
		.amdhsa_system_sgpr_workgroup_id_z 1
		.amdhsa_system_sgpr_workgroup_info 0
		.amdhsa_system_vgpr_workitem_id 0
		.amdhsa_next_free_vgpr 24
		.amdhsa_next_free_sgpr 42
		.amdhsa_named_barrier_count 0
		.amdhsa_reserve_vcc 1
		.amdhsa_float_round_mode_32 0
		.amdhsa_float_round_mode_16_64 0
		.amdhsa_float_denorm_mode_32 3
		.amdhsa_float_denorm_mode_16_64 3
		.amdhsa_fp16_overflow 0
		.amdhsa_memory_ordered 1
		.amdhsa_forward_progress 1
		.amdhsa_inst_pref_size 12
		.amdhsa_round_robin_scheduling 0
		.amdhsa_exception_fp_ieee_invalid_op 0
		.amdhsa_exception_fp_denorm_src 0
		.amdhsa_exception_fp_ieee_div_zero 0
		.amdhsa_exception_fp_ieee_overflow 0
		.amdhsa_exception_fp_ieee_underflow 0
		.amdhsa_exception_fp_ieee_inexact 0
		.amdhsa_exception_int_div_zero 0
	.end_amdhsa_kernel
	.section	.text._ZL32rocblas_gemvt_warp_reduce_kernelILb0ELi1024EiPKDF16_PKfKPDF16_EviiT3_lPKT2_lT1_lS9_lSA_lS6_lPT4_lSA_li,"axG",@progbits,_ZL32rocblas_gemvt_warp_reduce_kernelILb0ELi1024EiPKDF16_PKfKPDF16_EviiT3_lPKT2_lT1_lS9_lSA_lS6_lPT4_lSA_li,comdat
.Lfunc_end452:
	.size	_ZL32rocblas_gemvt_warp_reduce_kernelILb0ELi1024EiPKDF16_PKfKPDF16_EviiT3_lPKT2_lT1_lS9_lSA_lS6_lPT4_lSA_li, .Lfunc_end452-_ZL32rocblas_gemvt_warp_reduce_kernelILb0ELi1024EiPKDF16_PKfKPDF16_EviiT3_lPKT2_lT1_lS9_lSA_lS6_lPT4_lSA_li
                                        ; -- End function
	.set _ZL32rocblas_gemvt_warp_reduce_kernelILb0ELi1024EiPKDF16_PKfKPDF16_EviiT3_lPKT2_lT1_lS9_lSA_lS6_lPT4_lSA_li.num_vgpr, 24
	.set _ZL32rocblas_gemvt_warp_reduce_kernelILb0ELi1024EiPKDF16_PKfKPDF16_EviiT3_lPKT2_lT1_lS9_lSA_lS6_lPT4_lSA_li.num_agpr, 0
	.set _ZL32rocblas_gemvt_warp_reduce_kernelILb0ELi1024EiPKDF16_PKfKPDF16_EviiT3_lPKT2_lT1_lS9_lSA_lS6_lPT4_lSA_li.numbered_sgpr, 42
	.set _ZL32rocblas_gemvt_warp_reduce_kernelILb0ELi1024EiPKDF16_PKfKPDF16_EviiT3_lPKT2_lT1_lS9_lSA_lS6_lPT4_lSA_li.num_named_barrier, 0
	.set _ZL32rocblas_gemvt_warp_reduce_kernelILb0ELi1024EiPKDF16_PKfKPDF16_EviiT3_lPKT2_lT1_lS9_lSA_lS6_lPT4_lSA_li.private_seg_size, 0
	.set _ZL32rocblas_gemvt_warp_reduce_kernelILb0ELi1024EiPKDF16_PKfKPDF16_EviiT3_lPKT2_lT1_lS9_lSA_lS6_lPT4_lSA_li.uses_vcc, 1
	.set _ZL32rocblas_gemvt_warp_reduce_kernelILb0ELi1024EiPKDF16_PKfKPDF16_EviiT3_lPKT2_lT1_lS9_lSA_lS6_lPT4_lSA_li.uses_flat_scratch, 0
	.set _ZL32rocblas_gemvt_warp_reduce_kernelILb0ELi1024EiPKDF16_PKfKPDF16_EviiT3_lPKT2_lT1_lS9_lSA_lS6_lPT4_lSA_li.has_dyn_sized_stack, 0
	.set _ZL32rocblas_gemvt_warp_reduce_kernelILb0ELi1024EiPKDF16_PKfKPDF16_EviiT3_lPKT2_lT1_lS9_lSA_lS6_lPT4_lSA_li.has_recursion, 0
	.set _ZL32rocblas_gemvt_warp_reduce_kernelILb0ELi1024EiPKDF16_PKfKPDF16_EviiT3_lPKT2_lT1_lS9_lSA_lS6_lPT4_lSA_li.has_indirect_call, 0
	.section	.AMDGPU.csdata,"",@progbits
; Kernel info:
; codeLenInByte = 1500
; TotalNumSgprs: 44
; NumVgprs: 24
; ScratchSize: 0
; MemoryBound: 0
; FloatMode: 240
; IeeeMode: 1
; LDSByteSize: 128 bytes/workgroup (compile time only)
; SGPRBlocks: 0
; VGPRBlocks: 1
; NumSGPRsForWavesPerEU: 44
; NumVGPRsForWavesPerEU: 24
; NamedBarCnt: 0
; Occupancy: 16
; WaveLimiterHint : 1
; COMPUTE_PGM_RSRC2:SCRATCH_EN: 0
; COMPUTE_PGM_RSRC2:USER_SGPR: 2
; COMPUTE_PGM_RSRC2:TRAP_HANDLER: 0
; COMPUTE_PGM_RSRC2:TGID_X_EN: 1
; COMPUTE_PGM_RSRC2:TGID_Y_EN: 0
; COMPUTE_PGM_RSRC2:TGID_Z_EN: 1
; COMPUTE_PGM_RSRC2:TIDIG_COMP_CNT: 0
	.section	.text._ZL32rocblas_gemvt_warp_reduce_kernelILb0ELi1024ElPKDF16_PKfKPDF16_EviiT3_lPKT2_lT1_lS9_lSA_lS6_lPT4_lSA_li,"axG",@progbits,_ZL32rocblas_gemvt_warp_reduce_kernelILb0ELi1024ElPKDF16_PKfKPDF16_EviiT3_lPKT2_lT1_lS9_lSA_lS6_lPT4_lSA_li,comdat
	.globl	_ZL32rocblas_gemvt_warp_reduce_kernelILb0ELi1024ElPKDF16_PKfKPDF16_EviiT3_lPKT2_lT1_lS9_lSA_lS6_lPT4_lSA_li ; -- Begin function _ZL32rocblas_gemvt_warp_reduce_kernelILb0ELi1024ElPKDF16_PKfKPDF16_EviiT3_lPKT2_lT1_lS9_lSA_lS6_lPT4_lSA_li
	.p2align	8
	.type	_ZL32rocblas_gemvt_warp_reduce_kernelILb0ELi1024ElPKDF16_PKfKPDF16_EviiT3_lPKT2_lT1_lS9_lSA_lS6_lPT4_lSA_li,@function
_ZL32rocblas_gemvt_warp_reduce_kernelILb0ELi1024ElPKDF16_PKfKPDF16_EviiT3_lPKT2_lT1_lS9_lSA_lS6_lPT4_lSA_li: ; @_ZL32rocblas_gemvt_warp_reduce_kernelILb0ELi1024ElPKDF16_PKfKPDF16_EviiT3_lPKT2_lT1_lS9_lSA_lS6_lPT4_lSA_li
; %bb.0:
	s_load_b32 s7, s[0:1], 0x88
	s_bfe_u32 s2, ttmp6, 0x40014
	s_lshr_b32 s3, ttmp7, 16
	s_add_co_i32 s2, s2, 1
	s_bfe_u32 s5, ttmp6, 0x40008
	s_mul_i32 s4, s3, s2
	s_getreg_b32 s2, hwreg(HW_REG_IB_STS2, 6, 4)
	s_add_co_i32 s5, s5, s4
	s_cmp_eq_u32 s2, 0
	s_mov_b32 s29, 0
	s_cselect_b32 s28, s3, s5
	s_wait_kmcnt 0x0
	s_cmp_ge_u32 s28, s7
	s_cbranch_scc1 .LBB453_38
; %bb.1:
	s_clause 0x1
	s_load_b32 s6, s[0:1], 0x0
	s_load_b64 s[36:37], s[0:1], 0x48
	s_bfe_u32 s3, ttmp6, 0x4000c
	s_and_b32 s4, ttmp6, 15
	s_add_co_i32 s3, s3, 1
	s_clause 0x2
	s_load_b256 s[8:15], s[0:1], 0x8
	s_load_b128 s[24:27], s[0:1], 0x38
	s_load_b256 s[16:23], s[0:1], 0x58
	s_mul_i32 s3, ttmp9, s3
	v_mbcnt_lo_u32_b32 v19, -1, 0
	s_add_co_i32 s4, s4, s3
	s_cmp_eq_u32 s2, 0
	s_load_b64 s[34:35], s[0:1], 0x28
	s_cselect_b32 s2, ttmp9, s4
	s_load_b64 s[4:5], s[0:1], 0x78
	s_wait_xcnt 0x0
	v_cmp_eq_u32_e64 s0, 0, v0
	v_lshl_or_b32 v20, v19, 2, 64
	s_wait_kmcnt 0x0
	s_ashr_i32 s3, s6, 31
	v_cmp_gt_i32_e32 vcc_lo, s6, v0
	s_lshr_b32 s3, s3, 22
	s_lshl_b64 s[14:15], s[14:15], 1
	s_add_co_i32 s3, s6, s3
	s_lshl_b64 s[26:27], s[26:27], 1
	s_and_b32 s30, s3, 0xfffffc00
	s_delay_alu instid0(SALU_CYCLE_1) | instskip(SKIP_3) | instid1(VALU_DEP_2)
	v_dual_mov_b32 v3, 0 :: v_dual_bitop2_b32 v6, s30, v0 bitop3:0x54
	s_ashr_i32 s3, s2, 31
	v_cndmask_b32_e32 v2, 0, v0, vcc_lo
	s_mul_u64 s[34:35], s[34:35], s[2:3]
	v_dual_mov_b32 v1, v3 :: v_dual_ashrrev_i32 v7, 31, v6
	s_mul_u64 s[38:39], s[4:5], s[2:3]
	v_cmp_gt_i32_e64 s2, s6, v6
	v_cmp_gt_i32_e64 s1, s30, v0
	s_delay_alu instid0(VALU_DEP_3)
	v_mul_u64_e32 v[8:9], s[36:37], v[0:1]
	v_mul_u64_e32 v[4:5], s[36:37], v[6:7]
	v_dual_lshrrev_b32 v6, 3, v0 :: v_dual_bitop2_b32 v7, 31, v0 bitop3:0x40
	v_cmp_gt_u32_e64 s3, 32, v0
	v_lshlrev_b32_e32 v2, 1, v2
	s_ashr_i32 s31, s30, 31
	v_lshlrev_b32_e32 v1, 2, v7
	v_cmp_eq_u32_e64 s4, 0, v7
	v_and_b32_e32 v18, 0x7c, v6
	s_lshl_b64 s[36:37], s[36:37], 11
	s_lshl_b64 s[22:23], s[22:23], 1
	;; [unrolled: 1-line block ×3, first 2 shown]
	v_lshlrev_b64_e32 v[6:7], 1, v[8:9]
	s_branch .LBB453_4
.LBB453_2:                              ;   in Loop: Header=BB453_4 Depth=1
	s_wait_xcnt 0x0
	s_or_b32 exec_lo, exec_lo, s6
.LBB453_3:                              ;   in Loop: Header=BB453_4 Depth=1
	s_add_co_i32 s28, s28, 0x10000
	s_delay_alu instid0(SALU_CYCLE_1)
	s_cmp_lt_u32 s28, s7
	s_cbranch_scc0 .LBB453_38
.LBB453_4:                              ; =>This Loop Header: Depth=1
                                        ;     Child Loop BB453_27 Depth 2
	s_wait_xcnt 0x1
	s_mul_u64 s[40:41], s[10:11], s[28:29]
	s_wait_xcnt 0x0
	s_mul_u64 s[42:43], s[18:19], s[28:29]
	s_lshl_b64 s[40:41], s[40:41], 2
	s_lshl_b64 s[42:43], s[42:43], 2
	s_add_nc_u64 s[40:41], s[8:9], s[40:41]
	s_add_nc_u64 s[42:43], s[16:17], s[42:43]
	s_clause 0x1
	global_load_b32 v21, v3, s[40:41]
	global_load_b32 v8, v3, s[42:43]
	s_wait_loadcnt 0x1
	v_cmp_eq_f32_e64 s5, 0, v21
	s_wait_loadcnt 0x0
	v_cmp_eq_f32_e32 vcc_lo, 1.0, v8
	v_readfirstlane_b32 s33, v8
	s_and_b32 s6, s5, vcc_lo
	s_delay_alu instid0(SALU_CYCLE_1)
	s_and_b32 vcc_lo, exec_lo, s6
	s_cbranch_vccnz .LBB453_3
; %bb.5:                                ;   in Loop: Header=BB453_4 Depth=1
	v_mov_b64_e32 v[10:11], 0
	v_mov_b64_e32 v[12:13], 0
	v_cmp_neq_f32_e64 s6, 0, v21
	s_and_b32 vcc_lo, exec_lo, s5
	s_cbranch_vccnz .LBB453_7
; %bb.6:                                ;   in Loop: Header=BB453_4 Depth=1
	s_wait_xcnt 0x1
	s_lshl_b64 s[40:41], s[28:29], 3
	s_delay_alu instid0(SALU_CYCLE_1)
	s_add_nc_u64 s[40:41], s[12:13], s[40:41]
	global_load_b64 v[8:9], v3, s[40:41]
	s_wait_loadcnt 0x0
	v_add_nc_u64_e32 v[12:13], s[14:15], v[8:9]
.LBB453_7:                              ;   in Loop: Header=BB453_4 Depth=1
	s_and_not1_b32 vcc_lo, exec_lo, s6
	s_cbranch_vccnz .LBB453_9
; %bb.8:                                ;   in Loop: Header=BB453_4 Depth=1
	s_wait_xcnt 0x0
	s_lshl_b64 s[40:41], s[28:29], 3
	s_delay_alu instid0(SALU_CYCLE_1)
	s_add_nc_u64 s[40:41], s[24:25], s[40:41]
	global_load_b64 v[8:9], v3, s[40:41]
	s_wait_loadcnt 0x0
	v_add_nc_u64_e32 v[10:11], s[26:27], v[8:9]
.LBB453_9:                              ;   in Loop: Header=BB453_4 Depth=1
	s_wait_xcnt 0x0
	s_lshl_b64 s[40:41], s[28:29], 3
	s_and_not1_b32 vcc_lo, exec_lo, s5
	s_add_nc_u64 s[40:41], s[20:21], s[40:41]
	global_load_b64 v[8:9], v3, s[40:41]
	s_wait_loadcnt 0x0
	v_add_nc_u64_e32 v[8:9], s[22:23], v[8:9]
	s_cbranch_vccnz .LBB453_13
; %bb.10:                               ;   in Loop: Header=BB453_4 Depth=1
	s_mov_b32 s6, 0
	s_mov_b32 s5, 0
                                        ; implicit-def: $vgpr14
	s_wait_xcnt 0x0
	s_and_saveexec_b32 s40, s0
	s_cbranch_execz .LBB453_14
; %bb.11:                               ;   in Loop: Header=BB453_4 Depth=1
	s_cmp_eq_f32 s33, 0
	s_cbranch_scc1 .LBB453_15
; %bb.12:                               ;   in Loop: Header=BB453_4 Depth=1
	s_wait_dscnt 0x0
	v_add_nc_u64_e32 v[14:15], s[38:39], v[8:9]
	flat_load_u16 v14, v[14:15]
	s_wait_loadcnt_dscnt 0x0
	s_wait_xcnt 0x0
	v_fma_mixlo_f16 v14, s33, v14, 0 op_sel_hi:[0,1,0]
	s_branch .LBB453_16
.LBB453_13:                             ;   in Loop: Header=BB453_4 Depth=1
	s_mov_b32 s5, 0
                                        ; implicit-def: $vgpr14
	s_cbranch_execnz .LBB453_17
	s_branch .LBB453_36
.LBB453_14:                             ;   in Loop: Header=BB453_4 Depth=1
	s_or_b32 exec_lo, exec_lo, s40
	s_delay_alu instid0(SALU_CYCLE_1)
	s_and_b32 vcc_lo, exec_lo, s6
	s_cbranch_vccnz .LBB453_17
	s_branch .LBB453_36
.LBB453_15:                             ;   in Loop: Header=BB453_4 Depth=1
	v_mov_b32_e32 v14, 0
.LBB453_16:                             ;   in Loop: Header=BB453_4 Depth=1
	s_mov_b32 s5, exec_lo
	s_or_b32 exec_lo, exec_lo, s40
	s_delay_alu instid0(SALU_CYCLE_1)
	s_and_b32 vcc_lo, exec_lo, s6
	s_cbranch_vccz .LBB453_36
.LBB453_17:                             ;   in Loop: Header=BB453_4 Depth=1
	v_add_nc_u64_e32 v[12:13], v[12:13], v[2:3]
	v_mov_b32_e32 v22, 0
	s_delay_alu instid0(VALU_DEP_2)
	v_lshl_add_u64 v[12:13], s[34:35], 1, v[12:13]
	s_wait_xcnt 0x0
	s_and_saveexec_b32 s6, s1
	s_cbranch_execnz .LBB453_26
; %bb.18:                               ;   in Loop: Header=BB453_4 Depth=1
	s_or_b32 exec_lo, exec_lo, s6
	s_and_saveexec_b32 s6, s2
	s_cbranch_execnz .LBB453_29
.LBB453_19:                             ;   in Loop: Header=BB453_4 Depth=1
	s_or_b32 exec_lo, exec_lo, s6
	s_and_saveexec_b32 s6, s3
.LBB453_20:                             ;   in Loop: Header=BB453_4 Depth=1
	ds_store_b32 v1, v3
.LBB453_21:                             ;   in Loop: Header=BB453_4 Depth=1
	s_or_b32 exec_lo, exec_lo, s6
	ds_bpermute_b32 v11, v20, v22
	v_cmp_gt_u32_e32 vcc_lo, 24, v19
	s_wait_dscnt 0x0
	s_barrier_signal -1
	s_barrier_wait -1
	v_cndmask_b32_e64 v10, 0, 8, vcc_lo
	v_cmp_gt_u32_e32 vcc_lo, 28, v19
	s_delay_alu instid0(VALU_DEP_2)
	v_add_lshl_u32 v10, v10, v19, 2
	v_add_f32_e32 v12, v22, v11
	v_cndmask_b32_e64 v11, 0, 4, vcc_lo
	v_cmp_gt_u32_e32 vcc_lo, 30, v19
	ds_bpermute_b32 v13, v10, v12
	v_add_lshl_u32 v11, v11, v19, 2
	s_wait_dscnt 0x0
	v_add_f32_e32 v13, v12, v13
	v_cndmask_b32_e64 v12, 0, 2, vcc_lo
	v_cmp_ne_u32_e32 vcc_lo, 31, v19
	ds_bpermute_b32 v14, v11, v13
	v_add_lshl_u32 v12, v12, v19, 2
	v_add_co_ci_u32_e64 v15, null, 0, v19, vcc_lo
	s_wait_dscnt 0x0
	v_add_f32_e32 v13, v13, v14
	ds_bpermute_b32 v14, v12, v13
	s_wait_dscnt 0x0
	v_dual_add_f32 v14, v13, v14 :: v_dual_lshlrev_b32 v13, 2, v15
	ds_bpermute_b32 v15, v13, v14
	s_and_saveexec_b32 s6, s4
	s_cbranch_execz .LBB453_23
; %bb.22:                               ;   in Loop: Header=BB453_4 Depth=1
	s_wait_dscnt 0x0
	v_add_f32_e32 v14, v14, v15
	ds_store_b32 v18, v14
.LBB453_23:                             ;   in Loop: Header=BB453_4 Depth=1
	s_or_b32 exec_lo, exec_lo, s6
	s_wait_dscnt 0x0
	v_mov_b32_e32 v15, 0
	s_barrier_signal -1
	s_barrier_wait -1
	s_and_saveexec_b32 s6, s3
	s_cbranch_execnz .LBB453_30
; %bb.24:                               ;   in Loop: Header=BB453_4 Depth=1
	s_or_b32 exec_lo, exec_lo, s6
	s_and_saveexec_b32 s6, s3
	s_cbranch_execnz .LBB453_31
.LBB453_25:                             ;   in Loop: Header=BB453_4 Depth=1
	s_or_b32 exec_lo, exec_lo, s6
                                        ; implicit-def: $vgpr14
	s_and_saveexec_b32 s6, s0
	s_cbranch_execnz .LBB453_32
	s_branch .LBB453_35
.LBB453_26:                             ;   in Loop: Header=BB453_4 Depth=1
	s_wait_dscnt 0x0
	v_add_nc_u64_e32 v[14:15], v[10:11], v[6:7]
	v_mov_b64_e32 v[16:17], v[12:13]
	v_dual_mov_b32 v22, 0 :: v_dual_mov_b32 v23, v0
	s_mov_b32 s40, 0
.LBB453_27:                             ;   Parent Loop BB453_4 Depth=1
                                        ; =>  This Inner Loop Header: Depth=2
	flat_load_u16 v24, v[16:17]
	flat_load_u16 v25, v[14:15]
	s_wait_xcnt 0x1
	v_add_nc_u64_e32 v[16:17], 0x800, v[16:17]
	s_wait_xcnt 0x0
	v_add_nc_u64_e32 v[14:15], s[36:37], v[14:15]
	s_wait_loadcnt_dscnt 0x0
	v_mul_f16_e32 v24, v24, v25
	s_delay_alu instid0(VALU_DEP_1) | instskip(NEXT) | instid1(VALU_DEP_1)
	v_cvt_f32_f16_e32 v24, v24
	v_dual_add_f32 v22, v22, v24 :: v_dual_add_nc_u32 v23, 0x400, v23
	s_delay_alu instid0(VALU_DEP_1) | instskip(SKIP_1) | instid1(SALU_CYCLE_1)
	v_cmp_le_i32_e32 vcc_lo, s30, v23
	s_or_b32 s40, vcc_lo, s40
	s_and_not1_b32 exec_lo, exec_lo, s40
	s_cbranch_execnz .LBB453_27
; %bb.28:                               ;   in Loop: Header=BB453_4 Depth=1
	s_or_b32 exec_lo, exec_lo, s40
	s_delay_alu instid0(SALU_CYCLE_1)
	s_or_b32 exec_lo, exec_lo, s6
	s_and_saveexec_b32 s6, s2
	s_cbranch_execz .LBB453_19
.LBB453_29:                             ;   in Loop: Header=BB453_4 Depth=1
	v_lshl_add_u64 v[12:13], s[30:31], 1, v[12:13]
	v_lshl_add_u64 v[10:11], v[4:5], 1, v[10:11]
	flat_load_u16 v14, v[12:13]
	s_wait_dscnt 0x1
	flat_load_u16 v15, v[10:11]
	s_wait_loadcnt_dscnt 0x0
	s_wait_xcnt 0x0
	v_mul_f16_e32 v10, v14, v15
	s_delay_alu instid0(VALU_DEP_1) | instskip(NEXT) | instid1(VALU_DEP_1)
	v_cvt_f32_f16_e32 v10, v10
	v_add_f32_e32 v22, v22, v10
	s_or_b32 exec_lo, exec_lo, s6
	s_and_saveexec_b32 s6, s3
	s_cbranch_execnz .LBB453_20
	s_branch .LBB453_21
.LBB453_30:                             ;   in Loop: Header=BB453_4 Depth=1
	ds_load_b32 v15, v1
	s_or_b32 exec_lo, exec_lo, s6
	s_and_saveexec_b32 s6, s3
	s_cbranch_execz .LBB453_25
.LBB453_31:                             ;   in Loop: Header=BB453_4 Depth=1
	s_wait_dscnt 0x0
	ds_bpermute_b32 v14, v20, v15
	s_wait_dscnt 0x0
	v_add_f32_e32 v14, v15, v14
	ds_bpermute_b32 v10, v10, v14
	s_wait_dscnt 0x0
	v_add_f32_e32 v10, v14, v10
	;; [unrolled: 3-line block ×5, first 2 shown]
	s_or_b32 exec_lo, exec_lo, s6
                                        ; implicit-def: $vgpr14
	s_and_saveexec_b32 s6, s0
	s_cbranch_execz .LBB453_35
.LBB453_32:                             ;   in Loop: Header=BB453_4 Depth=1
	s_wait_dscnt 0x0
	v_mul_f32_e32 v10, v21, v15
	s_cmp_eq_f32 s33, 0
	s_cbranch_scc1 .LBB453_34
; %bb.33:                               ;   in Loop: Header=BB453_4 Depth=1
	v_add_nc_u64_e32 v[12:13], s[38:39], v[8:9]
	flat_load_u16 v11, v[12:13]
	s_wait_loadcnt_dscnt 0x0
	v_fma_mix_f32 v10, s33, v11, v10 op_sel_hi:[0,1,0]
.LBB453_34:                             ;   in Loop: Header=BB453_4 Depth=1
	s_delay_alu instid0(VALU_DEP_1)
	v_cvt_f16_f32_e32 v14, v10
	s_or_b32 s5, s5, exec_lo
.LBB453_35:                             ;   in Loop: Header=BB453_4 Depth=1
	s_wait_xcnt 0x0
	s_or_b32 exec_lo, exec_lo, s6
.LBB453_36:                             ;   in Loop: Header=BB453_4 Depth=1
	s_wait_xcnt 0x0
	s_and_saveexec_b32 s6, s5
	s_cbranch_execz .LBB453_2
; %bb.37:                               ;   in Loop: Header=BB453_4 Depth=1
	v_add_nc_u64_e32 v[8:9], s[38:39], v[8:9]
	flat_store_b16 v[8:9], v14
	s_branch .LBB453_2
.LBB453_38:
	s_endpgm
	.section	.rodata,"a",@progbits
	.p2align	6, 0x0
	.amdhsa_kernel _ZL32rocblas_gemvt_warp_reduce_kernelILb0ELi1024ElPKDF16_PKfKPDF16_EviiT3_lPKT2_lT1_lS9_lSA_lS6_lPT4_lSA_li
		.amdhsa_group_segment_fixed_size 128
		.amdhsa_private_segment_fixed_size 0
		.amdhsa_kernarg_size 140
		.amdhsa_user_sgpr_count 2
		.amdhsa_user_sgpr_dispatch_ptr 0
		.amdhsa_user_sgpr_queue_ptr 0
		.amdhsa_user_sgpr_kernarg_segment_ptr 1
		.amdhsa_user_sgpr_dispatch_id 0
		.amdhsa_user_sgpr_kernarg_preload_length 0
		.amdhsa_user_sgpr_kernarg_preload_offset 0
		.amdhsa_user_sgpr_private_segment_size 0
		.amdhsa_wavefront_size32 1
		.amdhsa_uses_dynamic_stack 0
		.amdhsa_enable_private_segment 0
		.amdhsa_system_sgpr_workgroup_id_x 1
		.amdhsa_system_sgpr_workgroup_id_y 0
		.amdhsa_system_sgpr_workgroup_id_z 1
		.amdhsa_system_sgpr_workgroup_info 0
		.amdhsa_system_vgpr_workitem_id 0
		.amdhsa_next_free_vgpr 26
		.amdhsa_next_free_sgpr 44
		.amdhsa_named_barrier_count 0
		.amdhsa_reserve_vcc 1
		.amdhsa_float_round_mode_32 0
		.amdhsa_float_round_mode_16_64 0
		.amdhsa_float_denorm_mode_32 3
		.amdhsa_float_denorm_mode_16_64 3
		.amdhsa_fp16_overflow 0
		.amdhsa_memory_ordered 1
		.amdhsa_forward_progress 1
		.amdhsa_inst_pref_size 12
		.amdhsa_round_robin_scheduling 0
		.amdhsa_exception_fp_ieee_invalid_op 0
		.amdhsa_exception_fp_denorm_src 0
		.amdhsa_exception_fp_ieee_div_zero 0
		.amdhsa_exception_fp_ieee_overflow 0
		.amdhsa_exception_fp_ieee_underflow 0
		.amdhsa_exception_fp_ieee_inexact 0
		.amdhsa_exception_int_div_zero 0
	.end_amdhsa_kernel
	.section	.text._ZL32rocblas_gemvt_warp_reduce_kernelILb0ELi1024ElPKDF16_PKfKPDF16_EviiT3_lPKT2_lT1_lS9_lSA_lS6_lPT4_lSA_li,"axG",@progbits,_ZL32rocblas_gemvt_warp_reduce_kernelILb0ELi1024ElPKDF16_PKfKPDF16_EviiT3_lPKT2_lT1_lS9_lSA_lS6_lPT4_lSA_li,comdat
.Lfunc_end453:
	.size	_ZL32rocblas_gemvt_warp_reduce_kernelILb0ELi1024ElPKDF16_PKfKPDF16_EviiT3_lPKT2_lT1_lS9_lSA_lS6_lPT4_lSA_li, .Lfunc_end453-_ZL32rocblas_gemvt_warp_reduce_kernelILb0ELi1024ElPKDF16_PKfKPDF16_EviiT3_lPKT2_lT1_lS9_lSA_lS6_lPT4_lSA_li
                                        ; -- End function
	.set _ZL32rocblas_gemvt_warp_reduce_kernelILb0ELi1024ElPKDF16_PKfKPDF16_EviiT3_lPKT2_lT1_lS9_lSA_lS6_lPT4_lSA_li.num_vgpr, 26
	.set _ZL32rocblas_gemvt_warp_reduce_kernelILb0ELi1024ElPKDF16_PKfKPDF16_EviiT3_lPKT2_lT1_lS9_lSA_lS6_lPT4_lSA_li.num_agpr, 0
	.set _ZL32rocblas_gemvt_warp_reduce_kernelILb0ELi1024ElPKDF16_PKfKPDF16_EviiT3_lPKT2_lT1_lS9_lSA_lS6_lPT4_lSA_li.numbered_sgpr, 44
	.set _ZL32rocblas_gemvt_warp_reduce_kernelILb0ELi1024ElPKDF16_PKfKPDF16_EviiT3_lPKT2_lT1_lS9_lSA_lS6_lPT4_lSA_li.num_named_barrier, 0
	.set _ZL32rocblas_gemvt_warp_reduce_kernelILb0ELi1024ElPKDF16_PKfKPDF16_EviiT3_lPKT2_lT1_lS9_lSA_lS6_lPT4_lSA_li.private_seg_size, 0
	.set _ZL32rocblas_gemvt_warp_reduce_kernelILb0ELi1024ElPKDF16_PKfKPDF16_EviiT3_lPKT2_lT1_lS9_lSA_lS6_lPT4_lSA_li.uses_vcc, 1
	.set _ZL32rocblas_gemvt_warp_reduce_kernelILb0ELi1024ElPKDF16_PKfKPDF16_EviiT3_lPKT2_lT1_lS9_lSA_lS6_lPT4_lSA_li.uses_flat_scratch, 0
	.set _ZL32rocblas_gemvt_warp_reduce_kernelILb0ELi1024ElPKDF16_PKfKPDF16_EviiT3_lPKT2_lT1_lS9_lSA_lS6_lPT4_lSA_li.has_dyn_sized_stack, 0
	.set _ZL32rocblas_gemvt_warp_reduce_kernelILb0ELi1024ElPKDF16_PKfKPDF16_EviiT3_lPKT2_lT1_lS9_lSA_lS6_lPT4_lSA_li.has_recursion, 0
	.set _ZL32rocblas_gemvt_warp_reduce_kernelILb0ELi1024ElPKDF16_PKfKPDF16_EviiT3_lPKT2_lT1_lS9_lSA_lS6_lPT4_lSA_li.has_indirect_call, 0
	.section	.AMDGPU.csdata,"",@progbits
; Kernel info:
; codeLenInByte = 1504
; TotalNumSgprs: 46
; NumVgprs: 26
; ScratchSize: 0
; MemoryBound: 0
; FloatMode: 240
; IeeeMode: 1
; LDSByteSize: 128 bytes/workgroup (compile time only)
; SGPRBlocks: 0
; VGPRBlocks: 1
; NumSGPRsForWavesPerEU: 46
; NumVGPRsForWavesPerEU: 26
; NamedBarCnt: 0
; Occupancy: 16
; WaveLimiterHint : 1
; COMPUTE_PGM_RSRC2:SCRATCH_EN: 0
; COMPUTE_PGM_RSRC2:USER_SGPR: 2
; COMPUTE_PGM_RSRC2:TRAP_HANDLER: 0
; COMPUTE_PGM_RSRC2:TGID_X_EN: 1
; COMPUTE_PGM_RSRC2:TGID_Y_EN: 0
; COMPUTE_PGM_RSRC2:TGID_Z_EN: 1
; COMPUTE_PGM_RSRC2:TIDIG_COMP_CNT: 0
	.section	.text._ZL32rocblas_gemvt_warp_reduce_kernelILb0ELi1024EiPKDF16_fKPDF16_EviiT3_lPKT2_lT1_lS7_lS8_lS4_lPT4_lS8_li,"axG",@progbits,_ZL32rocblas_gemvt_warp_reduce_kernelILb0ELi1024EiPKDF16_fKPDF16_EviiT3_lPKT2_lT1_lS7_lS8_lS4_lPT4_lS8_li,comdat
	.globl	_ZL32rocblas_gemvt_warp_reduce_kernelILb0ELi1024EiPKDF16_fKPDF16_EviiT3_lPKT2_lT1_lS7_lS8_lS4_lPT4_lS8_li ; -- Begin function _ZL32rocblas_gemvt_warp_reduce_kernelILb0ELi1024EiPKDF16_fKPDF16_EviiT3_lPKT2_lT1_lS7_lS8_lS4_lPT4_lS8_li
	.p2align	8
	.type	_ZL32rocblas_gemvt_warp_reduce_kernelILb0ELi1024EiPKDF16_fKPDF16_EviiT3_lPKT2_lT1_lS7_lS8_lS4_lPT4_lS8_li,@function
_ZL32rocblas_gemvt_warp_reduce_kernelILb0ELi1024EiPKDF16_fKPDF16_EviiT3_lPKT2_lT1_lS7_lS8_lS4_lPT4_lS8_li: ; @_ZL32rocblas_gemvt_warp_reduce_kernelILb0ELi1024EiPKDF16_fKPDF16_EviiT3_lPKT2_lT1_lS7_lS8_lS4_lPT4_lS8_li
; %bb.0:
	s_load_b32 s5, s[0:1], 0x88
	s_bfe_u32 s2, ttmp6, 0x40014
	s_lshr_b32 s3, ttmp7, 16
	s_add_co_i32 s2, s2, 1
	s_bfe_u32 s6, ttmp6, 0x40008
	s_mul_i32 s4, s3, s2
	s_getreg_b32 s2, hwreg(HW_REG_IB_STS2, 6, 4)
	s_add_co_i32 s6, s6, s4
	s_cmp_eq_u32 s2, 0
	s_mov_b32 s7, 0
	s_cselect_b32 s6, s3, s6
	s_wait_kmcnt 0x0
	s_cmp_ge_u32 s6, s5
	s_cbranch_scc1 .LBB454_40
; %bb.1:
	s_clause 0x8
	s_load_b32 s26, s[0:1], 0x8
	s_load_b32 s27, s[0:1], 0x58
	s_load_b128 s[8:11], s[0:1], 0x18
	s_load_b32 s3, s[0:1], 0x28
	s_load_b32 s4, s[0:1], 0x0
	s_load_b128 s[12:15], s[0:1], 0x38
	s_load_b32 s21, s[0:1], 0x48
	s_load_b128 s[16:19], s[0:1], 0x68
	s_load_b32 s22, s[0:1], 0x78
	v_dual_mov_b32 v3, 0 :: v_dual_bitop2_b32 v2, 31, v0 bitop3:0x40
	v_lshrrev_b32_e32 v4, 3, v0
	v_mbcnt_lo_u32_b32 v14, -1, 0
	s_wait_xcnt 0x0
	v_cmp_gt_u32_e64 s1, 32, v0
	v_lshlrev_b32_e32 v15, 2, v2
	v_and_b32_e32 v16, 0x7c, v4
	v_lshl_or_b32 v18, v14, 2, 64
	s_wait_kmcnt 0x0
	s_cmp_eq_f32 s26, 0
	v_mul_lo_u32 v17, v0, s21
	s_cselect_b32 s28, -1, 0
	s_cmp_neq_f32 s27, 1.0
	v_cmp_gt_i32_e32 vcc_lo, s4, v0
	s_cselect_b32 s20, -1, 0
	s_cmp_neq_f32 s26, 0
	s_cselect_b32 s0, -1, 0
	s_delay_alu instid0(SALU_CYCLE_1)
	s_or_b32 s29, s0, s20
	s_cmp_neq_f32 s27, 0
	v_cndmask_b32_e64 v1, 0, 1, s0
	v_cmp_eq_u32_e64 s0, 0, v0
	s_cselect_b32 s30, -1, 0
	s_bfe_u32 s20, ttmp6, 0x4000c
	s_and_b32 s23, ttmp6, 15
	s_add_co_i32 s20, s20, 1
	s_delay_alu instid0(SALU_CYCLE_1) | instskip(NEXT) | instid1(SALU_CYCLE_1)
	s_mul_i32 s20, ttmp9, s20
	s_add_co_i32 s23, s23, s20
	s_cmp_eq_u32 s2, 0
	s_cselect_b32 s23, ttmp9, s23
	s_ashr_i32 s2, s4, 31
	s_mul_i32 s24, s22, s23
	s_lshr_b32 s20, s2, 22
	v_cmp_eq_u32_e64 s2, 0, v2
	s_add_co_i32 s20, s4, s20
	s_mul_i32 s22, s3, s23
	s_and_b32 s20, s20, 0xfffffc00
	s_delay_alu instid0(SALU_CYCLE_1)
	v_dual_cndmask_b32 v2, 0, v0, vcc_lo :: v_dual_bitop2_b32 v5, s20, v0 bitop3:0x54
	v_cmp_gt_i32_e64 s3, s20, v0
	s_ashr_i32 s25, s24, 31
	s_lshl_b32 s31, s21, 10
	s_lshl_b64 s[10:11], s[10:11], 1
	v_mul_lo_u32 v4, s21, v5
	v_lshlrev_b32_e32 v2, 1, v2
	v_cmp_gt_i32_e64 s4, s4, v5
	s_ashr_i32 s23, s22, 31
	s_ashr_i32 s21, s20, 31
	s_lshl_b64 s[14:15], s[14:15], 1
	s_lshl_b64 s[18:19], s[18:19], 1
	;; [unrolled: 1-line block ×3, first 2 shown]
	v_ashrrev_i32_e32 v5, 31, v4
	s_branch .LBB454_4
.LBB454_2:                              ;   in Loop: Header=BB454_4 Depth=1
	s_wait_xcnt 0x0
	s_or_b32 exec_lo, exec_lo, s34
.LBB454_3:                              ;   in Loop: Header=BB454_4 Depth=1
	s_add_co_i32 s6, s6, 0x10000
	s_delay_alu instid0(SALU_CYCLE_1)
	s_cmp_lt_u32 s6, s5
	s_cbranch_scc0 .LBB454_40
.LBB454_4:                              ; =>This Loop Header: Depth=1
                                        ;     Child Loop BB454_29 Depth 2
	s_and_not1_b32 vcc_lo, exec_lo, s29
	s_cbranch_vccnz .LBB454_3
; %bb.5:                                ;   in Loop: Header=BB454_4 Depth=1
	s_and_not1_b32 vcc_lo, exec_lo, s28
	s_cbranch_vccnz .LBB454_7
; %bb.6:                                ;   in Loop: Header=BB454_4 Depth=1
	v_mov_b64_e32 v[8:9], 0
	v_mov_b64_e32 v[10:11], 0
	s_cbranch_execz .LBB454_8
	s_branch .LBB454_9
.LBB454_7:                              ;   in Loop: Header=BB454_4 Depth=1
	v_mov_b64_e32 v[8:9], 0
	v_mov_b64_e32 v[10:11], 0
.LBB454_8:                              ;   in Loop: Header=BB454_4 Depth=1
	s_lshl_b64 s[34:35], s[6:7], 3
	s_delay_alu instid0(SALU_CYCLE_1)
	s_add_nc_u64 s[34:35], s[8:9], s[34:35]
	global_load_b64 v[6:7], v3, s[34:35]
	s_wait_loadcnt 0x0
	v_add_nc_u64_e32 v[10:11], s[10:11], v[6:7]
.LBB454_9:                              ;   in Loop: Header=BB454_4 Depth=1
	v_cmp_ne_u32_e32 vcc_lo, 1, v1
	s_cbranch_vccnz .LBB454_11
; %bb.10:                               ;   in Loop: Header=BB454_4 Depth=1
	s_wait_xcnt 0x0
	s_lshl_b64 s[34:35], s[6:7], 3
	s_delay_alu instid0(SALU_CYCLE_1)
	s_add_nc_u64 s[34:35], s[12:13], s[34:35]
	global_load_b64 v[6:7], v3, s[34:35]
	s_wait_loadcnt 0x0
	v_add_nc_u64_e32 v[8:9], s[14:15], v[6:7]
.LBB454_11:                             ;   in Loop: Header=BB454_4 Depth=1
	s_wait_xcnt 0x0
	s_lshl_b64 s[34:35], s[6:7], 3
	s_and_not1_b32 vcc_lo, exec_lo, s28
	s_add_nc_u64 s[34:35], s[16:17], s[34:35]
	global_load_b64 v[6:7], v3, s[34:35]
	s_wait_loadcnt 0x0
	v_add_nc_u64_e32 v[6:7], s[18:19], v[6:7]
	s_cbranch_vccnz .LBB454_15
; %bb.12:                               ;   in Loop: Header=BB454_4 Depth=1
	s_wait_xcnt 0x0
	s_mov_b32 s34, 0
	s_mov_b32 s33, 0
                                        ; implicit-def: $vgpr12
	s_and_saveexec_b32 s35, s0
	s_cbranch_execz .LBB454_16
; %bb.13:                               ;   in Loop: Header=BB454_4 Depth=1
	s_and_not1_b32 vcc_lo, exec_lo, s30
	s_cbranch_vccnz .LBB454_17
; %bb.14:                               ;   in Loop: Header=BB454_4 Depth=1
	s_wait_dscnt 0x0
	v_add_nc_u64_e32 v[12:13], s[24:25], v[6:7]
	flat_load_u16 v12, v[12:13]
	s_wait_loadcnt_dscnt 0x0
	s_wait_xcnt 0x0
	v_fma_mixlo_f16 v12, s27, v12, 0 op_sel_hi:[0,1,0]
	s_branch .LBB454_18
.LBB454_15:                             ;   in Loop: Header=BB454_4 Depth=1
	s_wait_xcnt 0x0
	s_mov_b32 s33, 0
                                        ; implicit-def: $vgpr12
	s_cbranch_execnz .LBB454_19
	s_branch .LBB454_38
.LBB454_16:                             ;   in Loop: Header=BB454_4 Depth=1
	s_or_b32 exec_lo, exec_lo, s35
	s_delay_alu instid0(SALU_CYCLE_1)
	s_and_b32 vcc_lo, exec_lo, s34
	s_cbranch_vccnz .LBB454_19
	s_branch .LBB454_38
.LBB454_17:                             ;   in Loop: Header=BB454_4 Depth=1
	v_mov_b32_e32 v12, 0
.LBB454_18:                             ;   in Loop: Header=BB454_4 Depth=1
	s_mov_b32 s33, exec_lo
	s_or_b32 exec_lo, exec_lo, s35
	s_delay_alu instid0(SALU_CYCLE_1)
	s_and_b32 vcc_lo, exec_lo, s34
	s_cbranch_vccz .LBB454_38
.LBB454_19:                             ;   in Loop: Header=BB454_4 Depth=1
	v_add_nc_u64_e32 v[10:11], v[10:11], v[2:3]
	v_mov_b32_e32 v19, 0
	s_delay_alu instid0(VALU_DEP_2)
	v_lshl_add_u64 v[10:11], s[22:23], 1, v[10:11]
	s_and_saveexec_b32 s34, s3
	s_cbranch_execnz .LBB454_28
; %bb.20:                               ;   in Loop: Header=BB454_4 Depth=1
	s_or_b32 exec_lo, exec_lo, s34
	s_and_saveexec_b32 s34, s4
	s_cbranch_execnz .LBB454_31
.LBB454_21:                             ;   in Loop: Header=BB454_4 Depth=1
	s_or_b32 exec_lo, exec_lo, s34
	s_and_saveexec_b32 s34, s1
.LBB454_22:                             ;   in Loop: Header=BB454_4 Depth=1
	ds_store_b32 v15, v3
.LBB454_23:                             ;   in Loop: Header=BB454_4 Depth=1
	s_or_b32 exec_lo, exec_lo, s34
	ds_bpermute_b32 v9, v18, v19
	v_cmp_gt_u32_e32 vcc_lo, 24, v14
	s_wait_dscnt 0x0
	s_barrier_signal -1
	s_barrier_wait -1
	v_cndmask_b32_e64 v8, 0, 8, vcc_lo
	v_cmp_gt_u32_e32 vcc_lo, 28, v14
	s_delay_alu instid0(VALU_DEP_2)
	v_add_lshl_u32 v8, v8, v14, 2
	v_add_f32_e32 v10, v19, v9
	v_cndmask_b32_e64 v9, 0, 4, vcc_lo
	v_cmp_gt_u32_e32 vcc_lo, 30, v14
	ds_bpermute_b32 v11, v8, v10
	v_add_lshl_u32 v9, v9, v14, 2
	s_wait_dscnt 0x0
	v_add_f32_e32 v11, v10, v11
	v_cndmask_b32_e64 v10, 0, 2, vcc_lo
	v_cmp_ne_u32_e32 vcc_lo, 31, v14
	ds_bpermute_b32 v12, v9, v11
	v_add_lshl_u32 v10, v10, v14, 2
	v_add_co_ci_u32_e64 v13, null, 0, v14, vcc_lo
	s_wait_dscnt 0x0
	v_add_f32_e32 v11, v11, v12
	ds_bpermute_b32 v12, v10, v11
	s_wait_dscnt 0x0
	v_dual_add_f32 v12, v11, v12 :: v_dual_lshlrev_b32 v11, 2, v13
	ds_bpermute_b32 v13, v11, v12
	s_and_saveexec_b32 s34, s2
	s_cbranch_execz .LBB454_25
; %bb.24:                               ;   in Loop: Header=BB454_4 Depth=1
	s_wait_dscnt 0x0
	v_add_f32_e32 v12, v12, v13
	ds_store_b32 v16, v12
.LBB454_25:                             ;   in Loop: Header=BB454_4 Depth=1
	s_or_b32 exec_lo, exec_lo, s34
	s_wait_dscnt 0x0
	v_mov_b32_e32 v13, 0
	s_barrier_signal -1
	s_barrier_wait -1
	s_and_saveexec_b32 s34, s1
	s_cbranch_execnz .LBB454_32
; %bb.26:                               ;   in Loop: Header=BB454_4 Depth=1
	s_or_b32 exec_lo, exec_lo, s34
	s_and_saveexec_b32 s34, s1
	s_cbranch_execnz .LBB454_33
.LBB454_27:                             ;   in Loop: Header=BB454_4 Depth=1
	s_or_b32 exec_lo, exec_lo, s34
                                        ; implicit-def: $vgpr12
	s_and_saveexec_b32 s34, s0
	s_cbranch_execnz .LBB454_34
	s_branch .LBB454_37
.LBB454_28:                             ;   in Loop: Header=BB454_4 Depth=1
	s_wait_dscnt 0x0
	s_delay_alu instid0(VALU_DEP_1)
	v_mov_b64_e32 v[12:13], v[10:11]
	v_dual_mov_b32 v19, 0 :: v_dual_mov_b32 v20, v0
	v_mov_b32_e32 v21, v17
	s_mov_b32 s35, 0
.LBB454_29:                             ;   Parent Loop BB454_4 Depth=1
                                        ; =>  This Inner Loop Header: Depth=2
	v_readfirstlane_b32 s36, v8
	v_readfirstlane_b32 s37, v9
	flat_load_u16 v22, v[12:13]
	flat_load_u16 v23, v21, s[36:37] scale_offset
	s_wait_xcnt 0x1
	v_add_nc_u64_e32 v[12:13], 0x800, v[12:13]
	s_wait_xcnt 0x0
	v_add_nc_u32_e32 v21, s31, v21
	s_wait_loadcnt_dscnt 0x0
	v_mul_f16_e32 v22, v22, v23
	s_delay_alu instid0(VALU_DEP_1) | instskip(NEXT) | instid1(VALU_DEP_1)
	v_cvt_f32_f16_e32 v22, v22
	v_dual_add_f32 v19, v19, v22 :: v_dual_add_nc_u32 v20, 0x400, v20
	s_delay_alu instid0(VALU_DEP_1) | instskip(SKIP_1) | instid1(SALU_CYCLE_1)
	v_cmp_le_i32_e32 vcc_lo, s20, v20
	s_or_b32 s35, vcc_lo, s35
	s_and_not1_b32 exec_lo, exec_lo, s35
	s_cbranch_execnz .LBB454_29
; %bb.30:                               ;   in Loop: Header=BB454_4 Depth=1
	s_or_b32 exec_lo, exec_lo, s35
	s_delay_alu instid0(SALU_CYCLE_1)
	s_or_b32 exec_lo, exec_lo, s34
	s_and_saveexec_b32 s34, s4
	s_cbranch_execz .LBB454_21
.LBB454_31:                             ;   in Loop: Header=BB454_4 Depth=1
	v_lshl_add_u64 v[10:11], s[20:21], 1, v[10:11]
	v_lshl_add_u64 v[8:9], v[4:5], 1, v[8:9]
	flat_load_u16 v12, v[10:11]
	s_wait_dscnt 0x1
	flat_load_u16 v13, v[8:9]
	s_wait_loadcnt_dscnt 0x0
	s_wait_xcnt 0x0
	v_mul_f16_e32 v8, v12, v13
	s_delay_alu instid0(VALU_DEP_1) | instskip(NEXT) | instid1(VALU_DEP_1)
	v_cvt_f32_f16_e32 v8, v8
	v_add_f32_e32 v19, v19, v8
	s_or_b32 exec_lo, exec_lo, s34
	s_and_saveexec_b32 s34, s1
	s_cbranch_execnz .LBB454_22
	s_branch .LBB454_23
.LBB454_32:                             ;   in Loop: Header=BB454_4 Depth=1
	ds_load_b32 v13, v15
	s_or_b32 exec_lo, exec_lo, s34
	s_and_saveexec_b32 s34, s1
	s_cbranch_execz .LBB454_27
.LBB454_33:                             ;   in Loop: Header=BB454_4 Depth=1
	s_wait_dscnt 0x0
	ds_bpermute_b32 v12, v18, v13
	s_wait_dscnt 0x0
	v_add_f32_e32 v12, v13, v12
	ds_bpermute_b32 v8, v8, v12
	s_wait_dscnt 0x0
	v_add_f32_e32 v8, v12, v8
	;; [unrolled: 3-line block ×5, first 2 shown]
	s_or_b32 exec_lo, exec_lo, s34
                                        ; implicit-def: $vgpr12
	s_and_saveexec_b32 s34, s0
	s_cbranch_execz .LBB454_37
.LBB454_34:                             ;   in Loop: Header=BB454_4 Depth=1
	s_wait_dscnt 0x0
	v_mul_f32_e32 v8, s26, v13
	s_and_not1_b32 vcc_lo, exec_lo, s30
	s_cbranch_vccnz .LBB454_36
; %bb.35:                               ;   in Loop: Header=BB454_4 Depth=1
	v_add_nc_u64_e32 v[10:11], s[24:25], v[6:7]
	flat_load_u16 v9, v[10:11]
	s_wait_loadcnt_dscnt 0x0
	v_fma_mix_f32 v8, s27, v9, v8 op_sel_hi:[0,1,0]
.LBB454_36:                             ;   in Loop: Header=BB454_4 Depth=1
	s_delay_alu instid0(VALU_DEP_1)
	v_cvt_f16_f32_e32 v12, v8
	s_or_b32 s33, s33, exec_lo
.LBB454_37:                             ;   in Loop: Header=BB454_4 Depth=1
	s_wait_xcnt 0x0
	s_or_b32 exec_lo, exec_lo, s34
.LBB454_38:                             ;   in Loop: Header=BB454_4 Depth=1
	s_and_saveexec_b32 s34, s33
	s_cbranch_execz .LBB454_2
; %bb.39:                               ;   in Loop: Header=BB454_4 Depth=1
	v_add_nc_u64_e32 v[6:7], s[24:25], v[6:7]
	flat_store_b16 v[6:7], v12
	s_branch .LBB454_2
.LBB454_40:
	s_endpgm
	.section	.rodata,"a",@progbits
	.p2align	6, 0x0
	.amdhsa_kernel _ZL32rocblas_gemvt_warp_reduce_kernelILb0ELi1024EiPKDF16_fKPDF16_EviiT3_lPKT2_lT1_lS7_lS8_lS4_lPT4_lS8_li
		.amdhsa_group_segment_fixed_size 128
		.amdhsa_private_segment_fixed_size 0
		.amdhsa_kernarg_size 140
		.amdhsa_user_sgpr_count 2
		.amdhsa_user_sgpr_dispatch_ptr 0
		.amdhsa_user_sgpr_queue_ptr 0
		.amdhsa_user_sgpr_kernarg_segment_ptr 1
		.amdhsa_user_sgpr_dispatch_id 0
		.amdhsa_user_sgpr_kernarg_preload_length 0
		.amdhsa_user_sgpr_kernarg_preload_offset 0
		.amdhsa_user_sgpr_private_segment_size 0
		.amdhsa_wavefront_size32 1
		.amdhsa_uses_dynamic_stack 0
		.amdhsa_enable_private_segment 0
		.amdhsa_system_sgpr_workgroup_id_x 1
		.amdhsa_system_sgpr_workgroup_id_y 0
		.amdhsa_system_sgpr_workgroup_id_z 1
		.amdhsa_system_sgpr_workgroup_info 0
		.amdhsa_system_vgpr_workitem_id 0
		.amdhsa_next_free_vgpr 24
		.amdhsa_next_free_sgpr 38
		.amdhsa_named_barrier_count 0
		.amdhsa_reserve_vcc 1
		.amdhsa_float_round_mode_32 0
		.amdhsa_float_round_mode_16_64 0
		.amdhsa_float_denorm_mode_32 3
		.amdhsa_float_denorm_mode_16_64 3
		.amdhsa_fp16_overflow 0
		.amdhsa_memory_ordered 1
		.amdhsa_forward_progress 1
		.amdhsa_inst_pref_size 12
		.amdhsa_round_robin_scheduling 0
		.amdhsa_exception_fp_ieee_invalid_op 0
		.amdhsa_exception_fp_denorm_src 0
		.amdhsa_exception_fp_ieee_div_zero 0
		.amdhsa_exception_fp_ieee_overflow 0
		.amdhsa_exception_fp_ieee_underflow 0
		.amdhsa_exception_fp_ieee_inexact 0
		.amdhsa_exception_int_div_zero 0
	.end_amdhsa_kernel
	.section	.text._ZL32rocblas_gemvt_warp_reduce_kernelILb0ELi1024EiPKDF16_fKPDF16_EviiT3_lPKT2_lT1_lS7_lS8_lS4_lPT4_lS8_li,"axG",@progbits,_ZL32rocblas_gemvt_warp_reduce_kernelILb0ELi1024EiPKDF16_fKPDF16_EviiT3_lPKT2_lT1_lS7_lS8_lS4_lPT4_lS8_li,comdat
.Lfunc_end454:
	.size	_ZL32rocblas_gemvt_warp_reduce_kernelILb0ELi1024EiPKDF16_fKPDF16_EviiT3_lPKT2_lT1_lS7_lS8_lS4_lPT4_lS8_li, .Lfunc_end454-_ZL32rocblas_gemvt_warp_reduce_kernelILb0ELi1024EiPKDF16_fKPDF16_EviiT3_lPKT2_lT1_lS7_lS8_lS4_lPT4_lS8_li
                                        ; -- End function
	.set _ZL32rocblas_gemvt_warp_reduce_kernelILb0ELi1024EiPKDF16_fKPDF16_EviiT3_lPKT2_lT1_lS7_lS8_lS4_lPT4_lS8_li.num_vgpr, 24
	.set _ZL32rocblas_gemvt_warp_reduce_kernelILb0ELi1024EiPKDF16_fKPDF16_EviiT3_lPKT2_lT1_lS7_lS8_lS4_lPT4_lS8_li.num_agpr, 0
	.set _ZL32rocblas_gemvt_warp_reduce_kernelILb0ELi1024EiPKDF16_fKPDF16_EviiT3_lPKT2_lT1_lS7_lS8_lS4_lPT4_lS8_li.numbered_sgpr, 38
	.set _ZL32rocblas_gemvt_warp_reduce_kernelILb0ELi1024EiPKDF16_fKPDF16_EviiT3_lPKT2_lT1_lS7_lS8_lS4_lPT4_lS8_li.num_named_barrier, 0
	.set _ZL32rocblas_gemvt_warp_reduce_kernelILb0ELi1024EiPKDF16_fKPDF16_EviiT3_lPKT2_lT1_lS7_lS8_lS4_lPT4_lS8_li.private_seg_size, 0
	.set _ZL32rocblas_gemvt_warp_reduce_kernelILb0ELi1024EiPKDF16_fKPDF16_EviiT3_lPKT2_lT1_lS7_lS8_lS4_lPT4_lS8_li.uses_vcc, 1
	.set _ZL32rocblas_gemvt_warp_reduce_kernelILb0ELi1024EiPKDF16_fKPDF16_EviiT3_lPKT2_lT1_lS7_lS8_lS4_lPT4_lS8_li.uses_flat_scratch, 0
	.set _ZL32rocblas_gemvt_warp_reduce_kernelILb0ELi1024EiPKDF16_fKPDF16_EviiT3_lPKT2_lT1_lS7_lS8_lS4_lPT4_lS8_li.has_dyn_sized_stack, 0
	.set _ZL32rocblas_gemvt_warp_reduce_kernelILb0ELi1024EiPKDF16_fKPDF16_EviiT3_lPKT2_lT1_lS7_lS8_lS4_lPT4_lS8_li.has_recursion, 0
	.set _ZL32rocblas_gemvt_warp_reduce_kernelILb0ELi1024EiPKDF16_fKPDF16_EviiT3_lPKT2_lT1_lS7_lS8_lS4_lPT4_lS8_li.has_indirect_call, 0
	.section	.AMDGPU.csdata,"",@progbits
; Kernel info:
; codeLenInByte = 1484
; TotalNumSgprs: 40
; NumVgprs: 24
; ScratchSize: 0
; MemoryBound: 0
; FloatMode: 240
; IeeeMode: 1
; LDSByteSize: 128 bytes/workgroup (compile time only)
; SGPRBlocks: 0
; VGPRBlocks: 1
; NumSGPRsForWavesPerEU: 40
; NumVGPRsForWavesPerEU: 24
; NamedBarCnt: 0
; Occupancy: 16
; WaveLimiterHint : 1
; COMPUTE_PGM_RSRC2:SCRATCH_EN: 0
; COMPUTE_PGM_RSRC2:USER_SGPR: 2
; COMPUTE_PGM_RSRC2:TRAP_HANDLER: 0
; COMPUTE_PGM_RSRC2:TGID_X_EN: 1
; COMPUTE_PGM_RSRC2:TGID_Y_EN: 0
; COMPUTE_PGM_RSRC2:TGID_Z_EN: 1
; COMPUTE_PGM_RSRC2:TIDIG_COMP_CNT: 0
	.section	.text._ZL32rocblas_gemvt_warp_reduce_kernelILb0ELi1024ElPKDF16_fKPDF16_EviiT3_lPKT2_lT1_lS7_lS8_lS4_lPT4_lS8_li,"axG",@progbits,_ZL32rocblas_gemvt_warp_reduce_kernelILb0ELi1024ElPKDF16_fKPDF16_EviiT3_lPKT2_lT1_lS7_lS8_lS4_lPT4_lS8_li,comdat
	.globl	_ZL32rocblas_gemvt_warp_reduce_kernelILb0ELi1024ElPKDF16_fKPDF16_EviiT3_lPKT2_lT1_lS7_lS8_lS4_lPT4_lS8_li ; -- Begin function _ZL32rocblas_gemvt_warp_reduce_kernelILb0ELi1024ElPKDF16_fKPDF16_EviiT3_lPKT2_lT1_lS7_lS8_lS4_lPT4_lS8_li
	.p2align	8
	.type	_ZL32rocblas_gemvt_warp_reduce_kernelILb0ELi1024ElPKDF16_fKPDF16_EviiT3_lPKT2_lT1_lS7_lS8_lS4_lPT4_lS8_li,@function
_ZL32rocblas_gemvt_warp_reduce_kernelILb0ELi1024ElPKDF16_fKPDF16_EviiT3_lPKT2_lT1_lS7_lS8_lS4_lPT4_lS8_li: ; @_ZL32rocblas_gemvt_warp_reduce_kernelILb0ELi1024ElPKDF16_fKPDF16_EviiT3_lPKT2_lT1_lS7_lS8_lS4_lPT4_lS8_li
; %bb.0:
	s_load_b32 s5, s[0:1], 0x88
	s_bfe_u32 s2, ttmp6, 0x40014
	s_lshr_b32 s3, ttmp7, 16
	s_add_co_i32 s2, s2, 1
	s_bfe_u32 s6, ttmp6, 0x40008
	s_mul_i32 s4, s3, s2
	s_getreg_b32 s2, hwreg(HW_REG_IB_STS2, 6, 4)
	s_add_co_i32 s6, s6, s4
	s_cmp_eq_u32 s2, 0
	s_mov_b32 s7, 0
	s_cselect_b32 s6, s3, s6
	s_wait_kmcnt 0x0
	s_cmp_ge_u32 s6, s5
	s_cbranch_scc1 .LBB455_40
; %bb.1:
	s_clause 0x7
	s_load_b32 s28, s[0:1], 0x8
	s_load_b32 s29, s[0:1], 0x58
	s_load_b128 s[8:11], s[0:1], 0x18
	s_load_b64 s[22:23], s[0:1], 0x28
	s_load_b32 s4, s[0:1], 0x0
	s_load_b128 s[12:15], s[0:1], 0x68
	s_load_b64 s[24:25], s[0:1], 0x48
	s_load_b64 s[26:27], s[0:1], 0x78
	v_mbcnt_lo_u32_b32 v20, -1, 0
	s_delay_alu instid0(VALU_DEP_1)
	v_lshl_or_b32 v21, v20, 2, 64
	s_wait_kmcnt 0x0
	s_cmp_eq_f32 s28, 0
	s_cselect_b32 s30, -1, 0
	s_cmp_neq_f32 s29, 1.0
	s_cselect_b32 s3, -1, 0
	s_cmp_neq_f32 s28, 0
	s_cselect_b32 s16, -1, 0
	s_delay_alu instid0(SALU_CYCLE_1)
	s_or_b32 s31, s16, s3
	s_cmp_neq_f32 s29, 0
	v_cndmask_b32_e64 v18, 0, 1, s16
	s_cselect_b32 s33, -1, 0
	s_bfe_u32 s3, ttmp6, 0x4000c
	s_and_b32 s16, ttmp6, 15
	s_add_co_i32 s3, s3, 1
	s_delay_alu instid0(SALU_CYCLE_1) | instskip(NEXT) | instid1(SALU_CYCLE_1)
	s_mul_i32 s3, ttmp9, s3
	s_add_co_i32 s16, s16, s3
	s_cmp_eq_u32 s2, 0
	s_cselect_b32 s2, ttmp9, s16
	s_load_b128 s[16:19], s[0:1], 0x38
	s_ashr_i32 s3, s4, 31
	v_cmp_gt_i32_e32 vcc_lo, s4, v0
	s_lshr_b32 s3, s3, 22
	s_wait_xcnt 0x0
	v_cmp_eq_u32_e64 s0, 0, v0
	s_add_co_i32 s3, s4, s3
	s_lshl_b64 s[10:11], s[10:11], 1
	s_and_b32 s20, s3, 0xfffffc00
	s_delay_alu instid0(SALU_CYCLE_1) | instskip(SKIP_3) | instid1(VALU_DEP_2)
	v_dual_mov_b32 v3, 0 :: v_dual_bitop2_b32 v8, s20, v0 bitop3:0x54
	s_ashr_i32 s3, s2, 31
	v_cndmask_b32_e32 v2, 0, v0, vcc_lo
	s_mul_u64 s[26:27], s[26:27], s[2:3]
	v_dual_mov_b32 v1, v3 :: v_dual_ashrrev_i32 v9, 31, v8
	s_mul_u64 s[22:23], s[22:23], s[2:3]
	v_cmp_gt_i32_e64 s2, s4, v8
	v_cmp_gt_i32_e64 s1, s20, v0
	s_delay_alu instid0(VALU_DEP_3)
	v_mul_u64_e32 v[6:7], s[24:25], v[0:1]
	v_mul_u64_e32 v[4:5], s[24:25], v[8:9]
	v_dual_lshrrev_b32 v8, 3, v0 :: v_dual_bitop2_b32 v9, 31, v0 bitop3:0x40
	v_cmp_gt_u32_e64 s3, 32, v0
	v_lshlrev_b32_e32 v2, 1, v2
	s_ashr_i32 s21, s20, 31
	v_lshlrev_b32_e32 v1, 2, v9
	v_cmp_eq_u32_e64 s4, 0, v9
	v_and_b32_e32 v19, 0x7c, v8
	s_lshl_b64 s[24:25], s[24:25], 11
	s_wait_kmcnt 0x0
	s_lshl_b64 s[18:19], s[18:19], 1
	s_lshl_b64 s[14:15], s[14:15], 1
	;; [unrolled: 1-line block ×3, first 2 shown]
	v_lshlrev_b64_e32 v[6:7], 1, v[6:7]
	s_branch .LBB455_4
.LBB455_2:                              ;   in Loop: Header=BB455_4 Depth=1
	s_wait_xcnt 0x0
	s_or_b32 exec_lo, exec_lo, s35
.LBB455_3:                              ;   in Loop: Header=BB455_4 Depth=1
	s_add_co_i32 s6, s6, 0x10000
	s_delay_alu instid0(SALU_CYCLE_1)
	s_cmp_lt_u32 s6, s5
	s_cbranch_scc0 .LBB455_40
.LBB455_4:                              ; =>This Loop Header: Depth=1
                                        ;     Child Loop BB455_29 Depth 2
	s_and_not1_b32 vcc_lo, exec_lo, s31
	s_cbranch_vccnz .LBB455_3
; %bb.5:                                ;   in Loop: Header=BB455_4 Depth=1
	s_and_not1_b32 vcc_lo, exec_lo, s30
	s_cbranch_vccnz .LBB455_7
; %bb.6:                                ;   in Loop: Header=BB455_4 Depth=1
	v_mov_b64_e32 v[10:11], 0
	v_mov_b64_e32 v[12:13], 0
	s_cbranch_execz .LBB455_8
	s_branch .LBB455_9
.LBB455_7:                              ;   in Loop: Header=BB455_4 Depth=1
	v_mov_b64_e32 v[10:11], 0
	v_mov_b64_e32 v[12:13], 0
.LBB455_8:                              ;   in Loop: Header=BB455_4 Depth=1
	s_lshl_b64 s[34:35], s[6:7], 3
	s_delay_alu instid0(SALU_CYCLE_1)
	s_add_nc_u64 s[34:35], s[8:9], s[34:35]
	global_load_b64 v[8:9], v3, s[34:35]
	s_wait_loadcnt 0x0
	v_add_nc_u64_e32 v[12:13], s[10:11], v[8:9]
.LBB455_9:                              ;   in Loop: Header=BB455_4 Depth=1
	v_cmp_ne_u32_e32 vcc_lo, 1, v18
	s_cbranch_vccnz .LBB455_11
; %bb.10:                               ;   in Loop: Header=BB455_4 Depth=1
	s_wait_xcnt 0x0
	s_lshl_b64 s[34:35], s[6:7], 3
	s_delay_alu instid0(SALU_CYCLE_1)
	s_add_nc_u64 s[34:35], s[16:17], s[34:35]
	global_load_b64 v[8:9], v3, s[34:35]
	s_wait_loadcnt 0x0
	v_add_nc_u64_e32 v[10:11], s[18:19], v[8:9]
.LBB455_11:                             ;   in Loop: Header=BB455_4 Depth=1
	s_wait_xcnt 0x0
	s_lshl_b64 s[34:35], s[6:7], 3
	s_and_not1_b32 vcc_lo, exec_lo, s30
	s_add_nc_u64 s[34:35], s[12:13], s[34:35]
	global_load_b64 v[8:9], v3, s[34:35]
	s_wait_loadcnt 0x0
	v_add_nc_u64_e32 v[8:9], s[14:15], v[8:9]
	s_cbranch_vccnz .LBB455_15
; %bb.12:                               ;   in Loop: Header=BB455_4 Depth=1
	s_wait_xcnt 0x0
	s_mov_b32 s35, 0
	s_mov_b32 s34, 0
                                        ; implicit-def: $vgpr14
	s_and_saveexec_b32 s36, s0
	s_cbranch_execz .LBB455_16
; %bb.13:                               ;   in Loop: Header=BB455_4 Depth=1
	s_and_not1_b32 vcc_lo, exec_lo, s33
	s_cbranch_vccnz .LBB455_17
; %bb.14:                               ;   in Loop: Header=BB455_4 Depth=1
	s_wait_dscnt 0x0
	v_add_nc_u64_e32 v[14:15], s[26:27], v[8:9]
	flat_load_u16 v14, v[14:15]
	s_wait_loadcnt_dscnt 0x0
	s_wait_xcnt 0x0
	v_fma_mixlo_f16 v14, s29, v14, 0 op_sel_hi:[0,1,0]
	s_branch .LBB455_18
.LBB455_15:                             ;   in Loop: Header=BB455_4 Depth=1
	s_wait_xcnt 0x0
	s_mov_b32 s34, 0
                                        ; implicit-def: $vgpr14
	s_cbranch_execnz .LBB455_19
	s_branch .LBB455_38
.LBB455_16:                             ;   in Loop: Header=BB455_4 Depth=1
	s_or_b32 exec_lo, exec_lo, s36
	s_delay_alu instid0(SALU_CYCLE_1)
	s_and_b32 vcc_lo, exec_lo, s35
	s_cbranch_vccnz .LBB455_19
	s_branch .LBB455_38
.LBB455_17:                             ;   in Loop: Header=BB455_4 Depth=1
	v_mov_b32_e32 v14, 0
.LBB455_18:                             ;   in Loop: Header=BB455_4 Depth=1
	s_mov_b32 s34, exec_lo
	s_or_b32 exec_lo, exec_lo, s36
	s_delay_alu instid0(SALU_CYCLE_1)
	s_and_b32 vcc_lo, exec_lo, s35
	s_cbranch_vccz .LBB455_38
.LBB455_19:                             ;   in Loop: Header=BB455_4 Depth=1
	v_add_nc_u64_e32 v[12:13], v[12:13], v[2:3]
	v_mov_b32_e32 v22, 0
	s_delay_alu instid0(VALU_DEP_2)
	v_lshl_add_u64 v[12:13], s[22:23], 1, v[12:13]
	s_and_saveexec_b32 s35, s1
	s_cbranch_execnz .LBB455_28
; %bb.20:                               ;   in Loop: Header=BB455_4 Depth=1
	s_or_b32 exec_lo, exec_lo, s35
	s_and_saveexec_b32 s35, s2
	s_cbranch_execnz .LBB455_31
.LBB455_21:                             ;   in Loop: Header=BB455_4 Depth=1
	s_or_b32 exec_lo, exec_lo, s35
	s_and_saveexec_b32 s35, s3
.LBB455_22:                             ;   in Loop: Header=BB455_4 Depth=1
	ds_store_b32 v1, v3
.LBB455_23:                             ;   in Loop: Header=BB455_4 Depth=1
	s_or_b32 exec_lo, exec_lo, s35
	ds_bpermute_b32 v11, v21, v22
	v_cmp_gt_u32_e32 vcc_lo, 24, v20
	s_wait_dscnt 0x0
	s_barrier_signal -1
	s_barrier_wait -1
	v_cndmask_b32_e64 v10, 0, 8, vcc_lo
	v_cmp_gt_u32_e32 vcc_lo, 28, v20
	s_delay_alu instid0(VALU_DEP_2)
	v_add_lshl_u32 v10, v10, v20, 2
	v_add_f32_e32 v12, v22, v11
	v_cndmask_b32_e64 v11, 0, 4, vcc_lo
	v_cmp_gt_u32_e32 vcc_lo, 30, v20
	ds_bpermute_b32 v13, v10, v12
	v_add_lshl_u32 v11, v11, v20, 2
	s_wait_dscnt 0x0
	v_add_f32_e32 v13, v12, v13
	v_cndmask_b32_e64 v12, 0, 2, vcc_lo
	v_cmp_ne_u32_e32 vcc_lo, 31, v20
	ds_bpermute_b32 v14, v11, v13
	v_add_lshl_u32 v12, v12, v20, 2
	v_add_co_ci_u32_e64 v15, null, 0, v20, vcc_lo
	s_wait_dscnt 0x0
	v_add_f32_e32 v13, v13, v14
	ds_bpermute_b32 v14, v12, v13
	s_wait_dscnt 0x0
	v_dual_add_f32 v14, v13, v14 :: v_dual_lshlrev_b32 v13, 2, v15
	ds_bpermute_b32 v15, v13, v14
	s_and_saveexec_b32 s35, s4
	s_cbranch_execz .LBB455_25
; %bb.24:                               ;   in Loop: Header=BB455_4 Depth=1
	s_wait_dscnt 0x0
	v_add_f32_e32 v14, v14, v15
	ds_store_b32 v19, v14
.LBB455_25:                             ;   in Loop: Header=BB455_4 Depth=1
	s_or_b32 exec_lo, exec_lo, s35
	s_wait_dscnt 0x0
	v_mov_b32_e32 v15, 0
	s_barrier_signal -1
	s_barrier_wait -1
	s_and_saveexec_b32 s35, s3
	s_cbranch_execnz .LBB455_32
; %bb.26:                               ;   in Loop: Header=BB455_4 Depth=1
	s_or_b32 exec_lo, exec_lo, s35
	s_and_saveexec_b32 s35, s3
	s_cbranch_execnz .LBB455_33
.LBB455_27:                             ;   in Loop: Header=BB455_4 Depth=1
	s_or_b32 exec_lo, exec_lo, s35
                                        ; implicit-def: $vgpr14
	s_and_saveexec_b32 s35, s0
	s_cbranch_execnz .LBB455_34
	s_branch .LBB455_37
.LBB455_28:                             ;   in Loop: Header=BB455_4 Depth=1
	s_wait_dscnt 0x0
	v_add_nc_u64_e32 v[14:15], v[10:11], v[6:7]
	v_mov_b64_e32 v[16:17], v[12:13]
	v_dual_mov_b32 v22, 0 :: v_dual_mov_b32 v23, v0
	s_mov_b32 s36, 0
.LBB455_29:                             ;   Parent Loop BB455_4 Depth=1
                                        ; =>  This Inner Loop Header: Depth=2
	flat_load_u16 v24, v[16:17]
	flat_load_u16 v25, v[14:15]
	s_wait_xcnt 0x1
	v_add_nc_u64_e32 v[16:17], 0x800, v[16:17]
	s_wait_xcnt 0x0
	v_add_nc_u64_e32 v[14:15], s[24:25], v[14:15]
	s_wait_loadcnt_dscnt 0x0
	v_mul_f16_e32 v24, v24, v25
	s_delay_alu instid0(VALU_DEP_1) | instskip(NEXT) | instid1(VALU_DEP_1)
	v_cvt_f32_f16_e32 v24, v24
	v_dual_add_f32 v22, v22, v24 :: v_dual_add_nc_u32 v23, 0x400, v23
	s_delay_alu instid0(VALU_DEP_1) | instskip(SKIP_1) | instid1(SALU_CYCLE_1)
	v_cmp_le_i32_e32 vcc_lo, s20, v23
	s_or_b32 s36, vcc_lo, s36
	s_and_not1_b32 exec_lo, exec_lo, s36
	s_cbranch_execnz .LBB455_29
; %bb.30:                               ;   in Loop: Header=BB455_4 Depth=1
	s_or_b32 exec_lo, exec_lo, s36
	s_delay_alu instid0(SALU_CYCLE_1)
	s_or_b32 exec_lo, exec_lo, s35
	s_and_saveexec_b32 s35, s2
	s_cbranch_execz .LBB455_21
.LBB455_31:                             ;   in Loop: Header=BB455_4 Depth=1
	v_lshl_add_u64 v[12:13], s[20:21], 1, v[12:13]
	v_lshl_add_u64 v[10:11], v[4:5], 1, v[10:11]
	flat_load_u16 v14, v[12:13]
	s_wait_dscnt 0x1
	flat_load_u16 v15, v[10:11]
	s_wait_loadcnt_dscnt 0x0
	s_wait_xcnt 0x0
	v_mul_f16_e32 v10, v14, v15
	s_delay_alu instid0(VALU_DEP_1) | instskip(NEXT) | instid1(VALU_DEP_1)
	v_cvt_f32_f16_e32 v10, v10
	v_add_f32_e32 v22, v22, v10
	s_or_b32 exec_lo, exec_lo, s35
	s_and_saveexec_b32 s35, s3
	s_cbranch_execnz .LBB455_22
	s_branch .LBB455_23
.LBB455_32:                             ;   in Loop: Header=BB455_4 Depth=1
	ds_load_b32 v15, v1
	s_or_b32 exec_lo, exec_lo, s35
	s_and_saveexec_b32 s35, s3
	s_cbranch_execz .LBB455_27
.LBB455_33:                             ;   in Loop: Header=BB455_4 Depth=1
	s_wait_dscnt 0x0
	ds_bpermute_b32 v14, v21, v15
	s_wait_dscnt 0x0
	v_add_f32_e32 v14, v15, v14
	ds_bpermute_b32 v10, v10, v14
	s_wait_dscnt 0x0
	v_add_f32_e32 v10, v14, v10
	;; [unrolled: 3-line block ×5, first 2 shown]
	s_or_b32 exec_lo, exec_lo, s35
                                        ; implicit-def: $vgpr14
	s_and_saveexec_b32 s35, s0
	s_cbranch_execz .LBB455_37
.LBB455_34:                             ;   in Loop: Header=BB455_4 Depth=1
	s_wait_dscnt 0x0
	v_mul_f32_e32 v10, s28, v15
	s_and_not1_b32 vcc_lo, exec_lo, s33
	s_cbranch_vccnz .LBB455_36
; %bb.35:                               ;   in Loop: Header=BB455_4 Depth=1
	v_add_nc_u64_e32 v[12:13], s[26:27], v[8:9]
	flat_load_u16 v11, v[12:13]
	s_wait_loadcnt_dscnt 0x0
	v_fma_mix_f32 v10, s29, v11, v10 op_sel_hi:[0,1,0]
.LBB455_36:                             ;   in Loop: Header=BB455_4 Depth=1
	s_delay_alu instid0(VALU_DEP_1)
	v_cvt_f16_f32_e32 v14, v10
	s_or_b32 s34, s34, exec_lo
.LBB455_37:                             ;   in Loop: Header=BB455_4 Depth=1
	s_wait_xcnt 0x0
	s_or_b32 exec_lo, exec_lo, s35
.LBB455_38:                             ;   in Loop: Header=BB455_4 Depth=1
	s_and_saveexec_b32 s35, s34
	s_cbranch_execz .LBB455_2
; %bb.39:                               ;   in Loop: Header=BB455_4 Depth=1
	v_add_nc_u64_e32 v[8:9], s[26:27], v[8:9]
	flat_store_b16 v[8:9], v14
	s_branch .LBB455_2
.LBB455_40:
	s_endpgm
	.section	.rodata,"a",@progbits
	.p2align	6, 0x0
	.amdhsa_kernel _ZL32rocblas_gemvt_warp_reduce_kernelILb0ELi1024ElPKDF16_fKPDF16_EviiT3_lPKT2_lT1_lS7_lS8_lS4_lPT4_lS8_li
		.amdhsa_group_segment_fixed_size 128
		.amdhsa_private_segment_fixed_size 0
		.amdhsa_kernarg_size 140
		.amdhsa_user_sgpr_count 2
		.amdhsa_user_sgpr_dispatch_ptr 0
		.amdhsa_user_sgpr_queue_ptr 0
		.amdhsa_user_sgpr_kernarg_segment_ptr 1
		.amdhsa_user_sgpr_dispatch_id 0
		.amdhsa_user_sgpr_kernarg_preload_length 0
		.amdhsa_user_sgpr_kernarg_preload_offset 0
		.amdhsa_user_sgpr_private_segment_size 0
		.amdhsa_wavefront_size32 1
		.amdhsa_uses_dynamic_stack 0
		.amdhsa_enable_private_segment 0
		.amdhsa_system_sgpr_workgroup_id_x 1
		.amdhsa_system_sgpr_workgroup_id_y 0
		.amdhsa_system_sgpr_workgroup_id_z 1
		.amdhsa_system_sgpr_workgroup_info 0
		.amdhsa_system_vgpr_workitem_id 0
		.amdhsa_next_free_vgpr 26
		.amdhsa_next_free_sgpr 37
		.amdhsa_named_barrier_count 0
		.amdhsa_reserve_vcc 1
		.amdhsa_float_round_mode_32 0
		.amdhsa_float_round_mode_16_64 0
		.amdhsa_float_denorm_mode_32 3
		.amdhsa_float_denorm_mode_16_64 3
		.amdhsa_fp16_overflow 0
		.amdhsa_memory_ordered 1
		.amdhsa_forward_progress 1
		.amdhsa_inst_pref_size 12
		.amdhsa_round_robin_scheduling 0
		.amdhsa_exception_fp_ieee_invalid_op 0
		.amdhsa_exception_fp_denorm_src 0
		.amdhsa_exception_fp_ieee_div_zero 0
		.amdhsa_exception_fp_ieee_overflow 0
		.amdhsa_exception_fp_ieee_underflow 0
		.amdhsa_exception_fp_ieee_inexact 0
		.amdhsa_exception_int_div_zero 0
	.end_amdhsa_kernel
	.section	.text._ZL32rocblas_gemvt_warp_reduce_kernelILb0ELi1024ElPKDF16_fKPDF16_EviiT3_lPKT2_lT1_lS7_lS8_lS4_lPT4_lS8_li,"axG",@progbits,_ZL32rocblas_gemvt_warp_reduce_kernelILb0ELi1024ElPKDF16_fKPDF16_EviiT3_lPKT2_lT1_lS7_lS8_lS4_lPT4_lS8_li,comdat
.Lfunc_end455:
	.size	_ZL32rocblas_gemvt_warp_reduce_kernelILb0ELi1024ElPKDF16_fKPDF16_EviiT3_lPKT2_lT1_lS7_lS8_lS4_lPT4_lS8_li, .Lfunc_end455-_ZL32rocblas_gemvt_warp_reduce_kernelILb0ELi1024ElPKDF16_fKPDF16_EviiT3_lPKT2_lT1_lS7_lS8_lS4_lPT4_lS8_li
                                        ; -- End function
	.set _ZL32rocblas_gemvt_warp_reduce_kernelILb0ELi1024ElPKDF16_fKPDF16_EviiT3_lPKT2_lT1_lS7_lS8_lS4_lPT4_lS8_li.num_vgpr, 26
	.set _ZL32rocblas_gemvt_warp_reduce_kernelILb0ELi1024ElPKDF16_fKPDF16_EviiT3_lPKT2_lT1_lS7_lS8_lS4_lPT4_lS8_li.num_agpr, 0
	.set _ZL32rocblas_gemvt_warp_reduce_kernelILb0ELi1024ElPKDF16_fKPDF16_EviiT3_lPKT2_lT1_lS7_lS8_lS4_lPT4_lS8_li.numbered_sgpr, 37
	.set _ZL32rocblas_gemvt_warp_reduce_kernelILb0ELi1024ElPKDF16_fKPDF16_EviiT3_lPKT2_lT1_lS7_lS8_lS4_lPT4_lS8_li.num_named_barrier, 0
	.set _ZL32rocblas_gemvt_warp_reduce_kernelILb0ELi1024ElPKDF16_fKPDF16_EviiT3_lPKT2_lT1_lS7_lS8_lS4_lPT4_lS8_li.private_seg_size, 0
	.set _ZL32rocblas_gemvt_warp_reduce_kernelILb0ELi1024ElPKDF16_fKPDF16_EviiT3_lPKT2_lT1_lS7_lS8_lS4_lPT4_lS8_li.uses_vcc, 1
	.set _ZL32rocblas_gemvt_warp_reduce_kernelILb0ELi1024ElPKDF16_fKPDF16_EviiT3_lPKT2_lT1_lS7_lS8_lS4_lPT4_lS8_li.uses_flat_scratch, 0
	.set _ZL32rocblas_gemvt_warp_reduce_kernelILb0ELi1024ElPKDF16_fKPDF16_EviiT3_lPKT2_lT1_lS7_lS8_lS4_lPT4_lS8_li.has_dyn_sized_stack, 0
	.set _ZL32rocblas_gemvt_warp_reduce_kernelILb0ELi1024ElPKDF16_fKPDF16_EviiT3_lPKT2_lT1_lS7_lS8_lS4_lPT4_lS8_li.has_recursion, 0
	.set _ZL32rocblas_gemvt_warp_reduce_kernelILb0ELi1024ElPKDF16_fKPDF16_EviiT3_lPKT2_lT1_lS7_lS8_lS4_lPT4_lS8_li.has_indirect_call, 0
	.section	.AMDGPU.csdata,"",@progbits
; Kernel info:
; codeLenInByte = 1484
; TotalNumSgprs: 39
; NumVgprs: 26
; ScratchSize: 0
; MemoryBound: 0
; FloatMode: 240
; IeeeMode: 1
; LDSByteSize: 128 bytes/workgroup (compile time only)
; SGPRBlocks: 0
; VGPRBlocks: 1
; NumSGPRsForWavesPerEU: 39
; NumVGPRsForWavesPerEU: 26
; NamedBarCnt: 0
; Occupancy: 16
; WaveLimiterHint : 1
; COMPUTE_PGM_RSRC2:SCRATCH_EN: 0
; COMPUTE_PGM_RSRC2:USER_SGPR: 2
; COMPUTE_PGM_RSRC2:TRAP_HANDLER: 0
; COMPUTE_PGM_RSRC2:TGID_X_EN: 1
; COMPUTE_PGM_RSRC2:TGID_Y_EN: 0
; COMPUTE_PGM_RSRC2:TGID_Z_EN: 1
; COMPUTE_PGM_RSRC2:TIDIG_COMP_CNT: 0
	.section	.text._ZL22rocblas_gemvtsm_kernelILb1ELi256EPKDF16_PKfKPDF16_EviiT2_lPKT1_lilS9_lilS6_lPT3_lil,"axG",@progbits,_ZL22rocblas_gemvtsm_kernelILb1ELi256EPKDF16_PKfKPDF16_EviiT2_lPKT1_lilS9_lilS6_lPT3_lil,comdat
	.globl	_ZL22rocblas_gemvtsm_kernelILb1ELi256EPKDF16_PKfKPDF16_EviiT2_lPKT1_lilS9_lilS6_lPT3_lil ; -- Begin function _ZL22rocblas_gemvtsm_kernelILb1ELi256EPKDF16_PKfKPDF16_EviiT2_lPKT1_lilS9_lilS6_lPT3_lil
	.p2align	8
	.type	_ZL22rocblas_gemvtsm_kernelILb1ELi256EPKDF16_PKfKPDF16_EviiT2_lPKT1_lilS9_lilS6_lPT3_lil,@function
_ZL22rocblas_gemvtsm_kernelILb1ELi256EPKDF16_PKfKPDF16_EviiT2_lPKT1_lilS9_lilS6_lPT3_lil: ; @_ZL22rocblas_gemvtsm_kernelILb1ELi256EPKDF16_PKfKPDF16_EviiT2_lPKT1_lilS9_lilS6_lPT3_lil
; %bb.0:
	s_clause 0x1
	s_load_b256 s[12:19], s[0:1], 0x8
	s_load_b256 s[4:11], s[0:1], 0x58
	s_bfe_u32 s2, ttmp6, 0x4000c
	s_and_b32 s3, ttmp6, 15
	s_add_co_i32 s2, s2, 1
	s_getreg_b32 s20, hwreg(HW_REG_IB_STS2, 6, 4)
	s_mul_i32 s2, ttmp9, s2
	s_delay_alu instid0(SALU_CYCLE_1)
	s_add_co_i32 s2, s3, s2
	s_cmp_eq_u32 s20, 0
	s_mov_b32 s3, 0
	s_cselect_b32 s2, ttmp9, s2
	s_wait_kmcnt 0x0
	s_mul_u64 s[14:15], s[14:15], s[2:3]
	s_mul_u64 s[6:7], s[6:7], s[2:3]
	s_lshl_b64 s[14:15], s[14:15], 2
	s_lshl_b64 s[6:7], s[6:7], 2
	s_add_nc_u64 s[12:13], s[12:13], s[14:15]
	s_add_nc_u64 s[4:5], s[4:5], s[6:7]
	s_load_b32 s21, s[12:13], 0x0
	s_load_b32 s20, s[4:5], 0x0
	s_wait_kmcnt 0x0
	s_cmp_eq_f32 s21, 0
	s_cselect_b32 s4, -1, 0
	s_cmp_eq_f32 s20, 1.0
	s_cselect_b32 s5, -1, 0
	s_delay_alu instid0(SALU_CYCLE_1) | instskip(NEXT) | instid1(SALU_CYCLE_1)
	s_and_b32 s4, s4, s5
	s_and_b32 vcc_lo, exec_lo, s4
	s_cbranch_vccnz .LBB456_38
; %bb.1:
	s_cmp_neq_f32 s21, 0
	s_mov_b64 s[12:13], 0
	s_mov_b64 s[6:7], 0
	s_cselect_b32 s4, -1, 0
	s_cmp_eq_f32 s21, 0
	s_cselect_b32 s5, -1, 0
	s_delay_alu instid0(SALU_CYCLE_1)
	s_and_b32 vcc_lo, exec_lo, s5
	s_cbranch_vccnz .LBB456_3
; %bb.2:
	s_lshl_b64 s[6:7], s[2:3], 3
	s_lshl_b64 s[14:15], s[18:19], 1
	s_add_nc_u64 s[6:7], s[16:17], s[6:7]
	s_load_b64 s[6:7], s[6:7], 0x0
	s_wait_kmcnt 0x0
	s_add_nc_u64 s[6:7], s[6:7], s[14:15]
.LBB456_3:
	s_and_not1_b32 vcc_lo, exec_lo, s4
	s_cbranch_vccnz .LBB456_5
; %bb.4:
	s_load_b128 s[12:15], s[0:1], 0x38
	s_lshl_b64 s[16:17], s[2:3], 3
	s_wait_kmcnt 0x0
	s_add_nc_u64 s[12:13], s[12:13], s[16:17]
	s_lshl_b64 s[14:15], s[14:15], 1
	s_load_b64 s[12:13], s[12:13], 0x0
	s_wait_kmcnt 0x0
	s_add_nc_u64 s[12:13], s[12:13], s[14:15]
.LBB456_5:
	s_lshl_b64 s[2:3], s[2:3], 3
	s_and_not1_b32 vcc_lo, exec_lo, s5
	s_add_nc_u64 s[14:15], s[8:9], s[2:3]
	s_clause 0x1
	s_load_b64 s[2:3], s[0:1], 0x0
	s_load_b32 s4, s[0:1], 0x78
	s_load_b64 s[8:9], s[14:15], 0x0
	s_mov_b32 s5, -1
	s_cbranch_vccnz .LBB456_20
; %bb.6:
	s_wait_kmcnt 0x0
	s_cmp_gt_i32 s3, 0
	s_cselect_b32 s16, -1, 0
	s_cmp_neq_f32 s20, 0
	v_cndmask_b32_e64 v1, 0, 1, s16
	s_delay_alu instid0(VALU_DEP_1)
	v_cmp_ne_u32_e32 vcc_lo, 1, v1
	s_cbranch_scc1 .LBB456_13
; %bb.7:
	s_and_b32 vcc_lo, exec_lo, vcc_lo
	s_cbranch_vccnz .LBB456_12
; %bb.8:
	v_mov_b32_e32 v1, 0
	s_ashr_i32 s5, s4, 31
	s_lshl_b64 s[14:15], s[10:11], 1
	s_delay_alu instid0(SALU_CYCLE_1) | instskip(NEXT) | instid1(VALU_DEP_1)
	s_add_nc_u64 s[14:15], s[8:9], s[14:15]
	v_mul_u64_e32 v[2:3], s[4:5], v[0:1]
	s_delay_alu instid0(VALU_DEP_1)
	v_lshl_add_u64 v[2:3], v[2:3], 1, s[14:15]
	s_lshl_b64 s[14:15], s[4:5], 9
	s_mov_b32 s5, 0
	s_branch .LBB456_10
.LBB456_9:                              ;   in Loop: Header=BB456_10 Depth=1
	s_wait_xcnt 0x0
	s_or_b32 exec_lo, exec_lo, s17
	v_add_nc_u64_e32 v[2:3], s[14:15], v[2:3]
	s_addk_co_i32 s5, 0x100
	s_delay_alu instid0(SALU_CYCLE_1)
	s_cmp_ge_i32 s5, s3
	s_cbranch_scc1 .LBB456_12
.LBB456_10:                             ; =>This Inner Loop Header: Depth=1
	v_add_nc_u32_e32 v4, s5, v0
	s_mov_b32 s17, exec_lo
	s_delay_alu instid0(VALU_DEP_1)
	v_cmpx_gt_i32_e64 s3, v4
	s_cbranch_execz .LBB456_9
; %bb.11:                               ;   in Loop: Header=BB456_10 Depth=1
	flat_store_b16 v[2:3], v1
	s_branch .LBB456_9
.LBB456_12:
	s_mov_b32 s5, 0
.LBB456_13:
	s_delay_alu instid0(SALU_CYCLE_1)
	s_and_not1_b32 vcc_lo, exec_lo, s5
	s_cbranch_vccnz .LBB456_19
; %bb.14:
	s_and_not1_b32 vcc_lo, exec_lo, s16
	s_cbranch_vccnz .LBB456_19
; %bb.15:
	v_mov_b32_e32 v1, 0
	s_ashr_i32 s5, s4, 31
	s_lshl_b64 s[14:15], s[10:11], 1
	s_delay_alu instid0(SALU_CYCLE_1) | instskip(NEXT) | instid1(VALU_DEP_1)
	s_add_nc_u64 s[14:15], s[8:9], s[14:15]
	v_mul_u64_e32 v[2:3], s[4:5], v[0:1]
	s_delay_alu instid0(VALU_DEP_1)
	v_lshl_add_u64 v[2:3], v[2:3], 1, s[14:15]
	s_lshl_b64 s[14:15], s[4:5], 9
	s_mov_b32 s5, 0
	s_branch .LBB456_17
.LBB456_16:                             ;   in Loop: Header=BB456_17 Depth=1
	s_wait_xcnt 0x0
	s_or_b32 exec_lo, exec_lo, s16
	v_add_nc_u64_e32 v[2:3], s[14:15], v[2:3]
	s_addk_co_i32 s5, 0x100
	s_delay_alu instid0(SALU_CYCLE_1)
	s_cmp_ge_i32 s5, s3
	s_cbranch_scc1 .LBB456_19
.LBB456_17:                             ; =>This Inner Loop Header: Depth=1
	v_add_nc_u32_e32 v1, s5, v0
	s_mov_b32 s16, exec_lo
	s_delay_alu instid0(VALU_DEP_1)
	v_cmpx_gt_i32_e64 s3, v1
	s_cbranch_execz .LBB456_16
; %bb.18:                               ;   in Loop: Header=BB456_17 Depth=1
	flat_load_u16 v1, v[2:3]
	s_wait_loadcnt_dscnt 0x0
	v_fma_mixlo_f16 v1, s20, v1, 0 op_sel_hi:[0,1,0]
	flat_store_b16 v[2:3], v1
	s_branch .LBB456_16
.LBB456_19:
	s_mov_b32 s5, 0
.LBB456_20:
	s_delay_alu instid0(SALU_CYCLE_1)
	s_and_not1_b32 vcc_lo, exec_lo, s5
	s_cbranch_vccnz .LBB456_38
; %bb.21:
	s_mov_b32 s5, exec_lo
	s_wait_kmcnt 0x0
	v_cmpx_gt_i32_e64 s2, v0
	s_cbranch_execz .LBB456_23
; %bb.22:
	s_load_b32 s14, s[0:1], 0x48
	v_mov_b32_e32 v1, 0
	s_wait_kmcnt 0x0
	s_ashr_i32 s15, s14, 31
	s_delay_alu instid0(VALU_DEP_1) | instid1(SALU_CYCLE_1)
	v_mul_u64_e32 v[2:3], s[14:15], v[0:1]
	s_delay_alu instid0(VALU_DEP_1)
	v_lshl_add_u64 v[2:3], v[2:3], 1, s[12:13]
	flat_load_u16 v1, v[2:3]
	s_wait_xcnt 0x0
	v_lshlrev_b32_e32 v2, 2, v0
	s_wait_loadcnt_dscnt 0x0
	v_cvt_f32_f16_e32 v1, v1
	s_delay_alu instid0(VALU_DEP_1)
	v_mul_f32_e32 v1, s21, v1
	ds_store_b32 v2, v1
.LBB456_23:
	s_or_b32 exec_lo, exec_lo, s5
	s_cmp_lt_i32 s3, 1
	s_wait_storecnt_dscnt 0x0
	s_barrier_signal -1
	s_barrier_wait -1
	s_cbranch_scc1 .LBB456_38
; %bb.24:
	s_load_b32 s16, s[0:1], 0x28
	v_mov_b32_e32 v3, 0
	s_wait_xcnt 0x0
	s_lshl_b64 s[0:1], s[10:11], 1
	s_ashr_i32 s5, s4, 31
	s_add_nc_u64 s[0:1], s[8:9], s[0:1]
	s_mov_b32 s15, 0
	v_mov_b32_e32 v1, v3
	s_wait_kmcnt 0x0
	s_ashr_i32 s17, s16, 31
	s_cmp_neq_f32 s20, 0
	s_delay_alu instid0(VALU_DEP_1)
	v_mul_u64_e32 v[4:5], s[16:17], v[0:1]
	s_cselect_b32 s10, -1, 0
	s_cmp_gt_i32 s2, 0
	s_cselect_b32 s11, -1, 0
	s_and_b32 s12, s2, 7
	s_cmp_gt_u32 s2, 7
	s_cselect_b32 s13, -1, 0
	s_and_b32 s2, s2, 0x7ffffff8
	s_cmp_lg_u32 s12, 0
	s_cselect_b32 s14, -1, 0
	s_lshl_b64 s[8:9], s[16:17], 9
	s_delay_alu instid0(VALU_DEP_1) | instskip(SKIP_1) | instid1(VALU_DEP_1)
	v_lshl_add_u64 v[4:5], v[4:5], 1, s[6:7]
	s_mov_b32 s7, 0
	v_add_nc_u64_e32 v[6:7], 14, v[4:5]
	s_branch .LBB456_27
.LBB456_25:                             ;   in Loop: Header=BB456_27 Depth=1
	s_delay_alu instid0(VALU_DEP_1)
	v_cvt_f16_f32_e32 v1, v1
	flat_store_b16 v[8:9], v1
.LBB456_26:                             ;   in Loop: Header=BB456_27 Depth=1
	s_wait_xcnt 0x0
	s_or_b32 exec_lo, exec_lo, s16
	v_add_nc_u64_e32 v[6:7], s[8:9], v[6:7]
	v_add_nc_u64_e32 v[4:5], s[8:9], v[4:5]
	s_addk_co_i32 s15, 0x100
	s_delay_alu instid0(SALU_CYCLE_1)
	s_cmp_ge_i32 s15, s3
	s_cbranch_scc1 .LBB456_38
.LBB456_27:                             ; =>This Loop Header: Depth=1
                                        ;     Child Loop BB456_33 Depth 2
                                        ;     Child Loop BB456_37 Depth 2
	v_add_nc_u32_e32 v2, s15, v0
	s_mov_b32 s16, exec_lo
	s_delay_alu instid0(VALU_DEP_1)
	v_cmpx_gt_i32_e64 s3, v2
	s_cbranch_execz .LBB456_26
; %bb.28:                               ;   in Loop: Header=BB456_27 Depth=1
	v_mul_u64_e32 v[8:9], s[4:5], v[2:3]
	s_and_not1_b32 vcc_lo, exec_lo, s10
	s_delay_alu instid0(VALU_DEP_1)
	v_lshl_add_u64 v[8:9], v[8:9], 1, s[0:1]
	s_cbranch_vccnz .LBB456_30
; %bb.29:                               ;   in Loop: Header=BB456_27 Depth=1
	flat_load_u16 v1, v[8:9]
	s_wait_loadcnt_dscnt 0x0
	v_cvt_f32_f16_e32 v1, v1
	s_delay_alu instid0(VALU_DEP_1)
	v_mul_f32_e32 v1, s20, v1
	s_and_not1_b32 vcc_lo, exec_lo, s11
	s_cbranch_vccz .LBB456_31
	s_branch .LBB456_25
.LBB456_30:                             ;   in Loop: Header=BB456_27 Depth=1
	v_mov_b32_e32 v1, 0
	s_and_not1_b32 vcc_lo, exec_lo, s11
	s_cbranch_vccnz .LBB456_25
.LBB456_31:                             ;   in Loop: Header=BB456_27 Depth=1
	s_and_not1_b32 vcc_lo, exec_lo, s13
	s_mov_b32 s17, 0
	s_cbranch_vccnz .LBB456_35
; %bb.32:                               ;   in Loop: Header=BB456_27 Depth=1
	v_mov_b64_e32 v[10:11], v[6:7]
	s_mov_b32 s6, 0
.LBB456_33:                             ;   Parent Loop BB456_27 Depth=1
                                        ; =>  This Inner Loop Header: Depth=2
	flat_load_b128 v[12:15], v[10:11] offset:-14
	v_mov_b32_e32 v2, s6
	s_wait_xcnt 0x0
	v_add_nc_u64_e32 v[10:11], 16, v[10:11]
	s_add_co_i32 s17, s17, 8
	s_add_co_i32 s6, s6, 32
	ds_load_b128 v[16:19], v2
	ds_load_b128 v[20:23], v2 offset:16
	s_cmp_eq_u32 s2, s17
	s_wait_loadcnt_dscnt 0x1
	v_fma_mix_f32 v1, v16, v12, v1 op_sel_hi:[0,1,0]
	s_delay_alu instid0(VALU_DEP_1) | instskip(NEXT) | instid1(VALU_DEP_1)
	v_fma_mix_f32 v1, v17, v12, v1 op_sel:[0,1,0] op_sel_hi:[0,1,0]
	v_fma_mix_f32 v1, v18, v13, v1 op_sel_hi:[0,1,0]
	s_delay_alu instid0(VALU_DEP_1) | instskip(SKIP_1) | instid1(VALU_DEP_1)
	v_fma_mix_f32 v1, v19, v13, v1 op_sel:[0,1,0] op_sel_hi:[0,1,0]
	s_wait_dscnt 0x0
	v_fma_mix_f32 v1, v20, v14, v1 op_sel_hi:[0,1,0]
	s_delay_alu instid0(VALU_DEP_1) | instskip(NEXT) | instid1(VALU_DEP_1)
	v_fma_mix_f32 v1, v21, v14, v1 op_sel:[0,1,0] op_sel_hi:[0,1,0]
	v_fma_mix_f32 v1, v22, v15, v1 op_sel_hi:[0,1,0]
	s_delay_alu instid0(VALU_DEP_1)
	v_fma_mix_f32 v1, v23, v15, v1 op_sel:[0,1,0] op_sel_hi:[0,1,0]
	s_cbranch_scc0 .LBB456_33
; %bb.34:                               ;   in Loop: Header=BB456_27 Depth=1
	s_mov_b32 s17, s2
.LBB456_35:                             ;   in Loop: Header=BB456_27 Depth=1
	s_and_not1_b32 vcc_lo, exec_lo, s14
	s_cbranch_vccnz .LBB456_25
; %bb.36:                               ;   in Loop: Header=BB456_27 Depth=1
	s_lshl_b32 s6, s17, 1
	s_delay_alu instid0(SALU_CYCLE_1)
	v_add_nc_u64_e32 v[10:11], s[6:7], v[4:5]
	s_lshl_b32 s6, s17, 2
	s_mov_b32 s17, s12
.LBB456_37:                             ;   Parent Loop BB456_27 Depth=1
                                        ; =>  This Inner Loop Header: Depth=2
	flat_load_u16 v2, v[10:11]
	v_mov_b32_e32 v12, s6
	s_wait_xcnt 0x0
	v_add_nc_u64_e32 v[10:11], 2, v[10:11]
	s_add_co_i32 s17, s17, -1
	s_add_co_i32 s6, s6, 4
	s_cmp_lg_u32 s17, 0
	ds_load_b32 v12, v12
	s_wait_loadcnt_dscnt 0x0
	v_fma_mix_f32 v1, v12, v2, v1 op_sel_hi:[0,1,0]
	s_cbranch_scc1 .LBB456_37
	s_branch .LBB456_25
.LBB456_38:
	s_endpgm
	.section	.rodata,"a",@progbits
	.p2align	6, 0x0
	.amdhsa_kernel _ZL22rocblas_gemvtsm_kernelILb1ELi256EPKDF16_PKfKPDF16_EviiT2_lPKT1_lilS9_lilS6_lPT3_lil
		.amdhsa_group_segment_fixed_size 256
		.amdhsa_private_segment_fixed_size 0
		.amdhsa_kernarg_size 136
		.amdhsa_user_sgpr_count 2
		.amdhsa_user_sgpr_dispatch_ptr 0
		.amdhsa_user_sgpr_queue_ptr 0
		.amdhsa_user_sgpr_kernarg_segment_ptr 1
		.amdhsa_user_sgpr_dispatch_id 0
		.amdhsa_user_sgpr_kernarg_preload_length 0
		.amdhsa_user_sgpr_kernarg_preload_offset 0
		.amdhsa_user_sgpr_private_segment_size 0
		.amdhsa_wavefront_size32 1
		.amdhsa_uses_dynamic_stack 0
		.amdhsa_enable_private_segment 0
		.amdhsa_system_sgpr_workgroup_id_x 1
		.amdhsa_system_sgpr_workgroup_id_y 0
		.amdhsa_system_sgpr_workgroup_id_z 0
		.amdhsa_system_sgpr_workgroup_info 0
		.amdhsa_system_vgpr_workitem_id 0
		.amdhsa_next_free_vgpr 24
		.amdhsa_next_free_sgpr 22
		.amdhsa_named_barrier_count 0
		.amdhsa_reserve_vcc 1
		.amdhsa_float_round_mode_32 0
		.amdhsa_float_round_mode_16_64 0
		.amdhsa_float_denorm_mode_32 3
		.amdhsa_float_denorm_mode_16_64 3
		.amdhsa_fp16_overflow 0
		.amdhsa_memory_ordered 1
		.amdhsa_forward_progress 1
		.amdhsa_inst_pref_size 11
		.amdhsa_round_robin_scheduling 0
		.amdhsa_exception_fp_ieee_invalid_op 0
		.amdhsa_exception_fp_denorm_src 0
		.amdhsa_exception_fp_ieee_div_zero 0
		.amdhsa_exception_fp_ieee_overflow 0
		.amdhsa_exception_fp_ieee_underflow 0
		.amdhsa_exception_fp_ieee_inexact 0
		.amdhsa_exception_int_div_zero 0
	.end_amdhsa_kernel
	.section	.text._ZL22rocblas_gemvtsm_kernelILb1ELi256EPKDF16_PKfKPDF16_EviiT2_lPKT1_lilS9_lilS6_lPT3_lil,"axG",@progbits,_ZL22rocblas_gemvtsm_kernelILb1ELi256EPKDF16_PKfKPDF16_EviiT2_lPKT1_lilS9_lilS6_lPT3_lil,comdat
.Lfunc_end456:
	.size	_ZL22rocblas_gemvtsm_kernelILb1ELi256EPKDF16_PKfKPDF16_EviiT2_lPKT1_lilS9_lilS6_lPT3_lil, .Lfunc_end456-_ZL22rocblas_gemvtsm_kernelILb1ELi256EPKDF16_PKfKPDF16_EviiT2_lPKT1_lilS9_lilS6_lPT3_lil
                                        ; -- End function
	.set _ZL22rocblas_gemvtsm_kernelILb1ELi256EPKDF16_PKfKPDF16_EviiT2_lPKT1_lilS9_lilS6_lPT3_lil.num_vgpr, 24
	.set _ZL22rocblas_gemvtsm_kernelILb1ELi256EPKDF16_PKfKPDF16_EviiT2_lPKT1_lilS9_lilS6_lPT3_lil.num_agpr, 0
	.set _ZL22rocblas_gemvtsm_kernelILb1ELi256EPKDF16_PKfKPDF16_EviiT2_lPKT1_lilS9_lilS6_lPT3_lil.numbered_sgpr, 22
	.set _ZL22rocblas_gemvtsm_kernelILb1ELi256EPKDF16_PKfKPDF16_EviiT2_lPKT1_lilS9_lilS6_lPT3_lil.num_named_barrier, 0
	.set _ZL22rocblas_gemvtsm_kernelILb1ELi256EPKDF16_PKfKPDF16_EviiT2_lPKT1_lilS9_lilS6_lPT3_lil.private_seg_size, 0
	.set _ZL22rocblas_gemvtsm_kernelILb1ELi256EPKDF16_PKfKPDF16_EviiT2_lPKT1_lilS9_lilS6_lPT3_lil.uses_vcc, 1
	.set _ZL22rocblas_gemvtsm_kernelILb1ELi256EPKDF16_PKfKPDF16_EviiT2_lPKT1_lilS9_lilS6_lPT3_lil.uses_flat_scratch, 0
	.set _ZL22rocblas_gemvtsm_kernelILb1ELi256EPKDF16_PKfKPDF16_EviiT2_lPKT1_lilS9_lilS6_lPT3_lil.has_dyn_sized_stack, 0
	.set _ZL22rocblas_gemvtsm_kernelILb1ELi256EPKDF16_PKfKPDF16_EviiT2_lPKT1_lilS9_lilS6_lPT3_lil.has_recursion, 0
	.set _ZL22rocblas_gemvtsm_kernelILb1ELi256EPKDF16_PKfKPDF16_EviiT2_lPKT1_lilS9_lilS6_lPT3_lil.has_indirect_call, 0
	.section	.AMDGPU.csdata,"",@progbits
; Kernel info:
; codeLenInByte = 1312
; TotalNumSgprs: 24
; NumVgprs: 24
; ScratchSize: 0
; MemoryBound: 0
; FloatMode: 240
; IeeeMode: 1
; LDSByteSize: 256 bytes/workgroup (compile time only)
; SGPRBlocks: 0
; VGPRBlocks: 1
; NumSGPRsForWavesPerEU: 24
; NumVGPRsForWavesPerEU: 24
; NamedBarCnt: 0
; Occupancy: 16
; WaveLimiterHint : 1
; COMPUTE_PGM_RSRC2:SCRATCH_EN: 0
; COMPUTE_PGM_RSRC2:USER_SGPR: 2
; COMPUTE_PGM_RSRC2:TRAP_HANDLER: 0
; COMPUTE_PGM_RSRC2:TGID_X_EN: 1
; COMPUTE_PGM_RSRC2:TGID_Y_EN: 0
; COMPUTE_PGM_RSRC2:TGID_Z_EN: 0
; COMPUTE_PGM_RSRC2:TIDIG_COMP_CNT: 0
	.section	.text._ZL22rocblas_gemvtsm_kernelILb1ELi256EPKDF16_fKPDF16_EviiT2_lPKT1_lilS7_lilS4_lPT3_lil,"axG",@progbits,_ZL22rocblas_gemvtsm_kernelILb1ELi256EPKDF16_fKPDF16_EviiT2_lPKT1_lilS7_lilS4_lPT3_lil,comdat
	.globl	_ZL22rocblas_gemvtsm_kernelILb1ELi256EPKDF16_fKPDF16_EviiT2_lPKT1_lilS7_lilS4_lPT3_lil ; -- Begin function _ZL22rocblas_gemvtsm_kernelILb1ELi256EPKDF16_fKPDF16_EviiT2_lPKT1_lilS7_lilS4_lPT3_lil
	.p2align	8
	.type	_ZL22rocblas_gemvtsm_kernelILb1ELi256EPKDF16_fKPDF16_EviiT2_lPKT1_lilS7_lilS4_lPT3_lil,@function
_ZL22rocblas_gemvtsm_kernelILb1ELi256EPKDF16_fKPDF16_EviiT2_lPKT1_lilS7_lilS4_lPT3_lil: ; @_ZL22rocblas_gemvtsm_kernelILb1ELi256EPKDF16_fKPDF16_EviiT2_lPKT1_lilS7_lilS4_lPT3_lil
; %bb.0:
	s_clause 0x1
	s_load_b96 s[8:10], s[0:1], 0x0
	s_load_b32 s11, s[0:1], 0x58
	s_mov_b32 s5, 0
	s_wait_kmcnt 0x0
	s_cmp_eq_f32 s10, 0
	s_cselect_b32 s2, -1, 0
	s_cmp_eq_f32 s11, 1.0
	s_cselect_b32 s3, -1, 0
	s_delay_alu instid0(SALU_CYCLE_1) | instskip(NEXT) | instid1(SALU_CYCLE_1)
	s_and_b32 s2, s2, s3
	s_and_b32 vcc_lo, exec_lo, s2
	s_cbranch_vccnz .LBB457_40
; %bb.1:
	s_bfe_u32 s2, ttmp6, 0x4000c
	s_and_b32 s3, ttmp6, 15
	s_add_co_i32 s2, s2, 1
	s_getreg_b32 s4, hwreg(HW_REG_IB_STS2, 6, 4)
	s_mul_i32 s2, ttmp9, s2
	s_delay_alu instid0(SALU_CYCLE_1)
	s_add_co_i32 s3, s3, s2
	s_cmp_eq_u32 s4, 0
	s_cselect_b32 s4, ttmp9, s3
	s_cmp_neq_f32 s10, 0
	s_cselect_b32 s6, -1, 0
	s_cmp_eq_f32 s10, 0
	s_cselect_b32 s16, -1, 0
	s_and_b32 vcc_lo, exec_lo, s6
	s_cbranch_vccnz .LBB457_3
; %bb.2:
	s_mov_b32 s3, 0
	s_mov_b32 s2, s4
	;; [unrolled: 1-line block ×3, first 2 shown]
	s_mov_b64 s[14:15], 0
	s_and_not1_b32 vcc_lo, exec_lo, s7
	s_mov_b64 s[12:13], 0
	s_cbranch_vccz .LBB457_4
	s_branch .LBB457_5
.LBB457_3:
	s_mov_b64 s[2:3], s[4:5]
	s_mov_b64 s[14:15], 0
	s_mov_b64 s[12:13], 0
.LBB457_4:
	s_load_b128 s[20:23], s[0:1], 0x18
	s_lshl_b64 s[4:5], s[4:5], 3
	s_wait_kmcnt 0x0
	s_add_nc_u64 s[4:5], s[20:21], s[4:5]
	s_lshl_b64 s[12:13], s[22:23], 1
	s_load_b64 s[4:5], s[4:5], 0x0
	s_wait_kmcnt 0x0
	s_add_nc_u64 s[12:13], s[4:5], s[12:13]
.LBB457_5:
	s_and_not1_b32 vcc_lo, exec_lo, s6
	s_cbranch_vccnz .LBB457_7
; %bb.6:
	s_load_b128 s[4:7], s[0:1], 0x38
	s_lshl_b64 s[14:15], s[2:3], 3
	s_wait_kmcnt 0x0
	s_add_nc_u64 s[4:5], s[4:5], s[14:15]
	s_lshl_b64 s[6:7], s[6:7], 1
	s_load_b64 s[4:5], s[4:5], 0x0
	s_wait_kmcnt 0x0
	s_add_nc_u64 s[14:15], s[4:5], s[6:7]
.LBB457_7:
	s_load_b128 s[4:7], s[0:1], 0x68
	s_lshl_b64 s[18:19], s[2:3], 3
	s_load_b32 s2, s[0:1], 0x78
	s_and_not1_b32 vcc_lo, exec_lo, s16
	s_mov_b32 s3, -1
	s_wait_kmcnt 0x0
	s_add_nc_u64 s[4:5], s[4:5], s[18:19]
	s_load_b64 s[4:5], s[4:5], 0x0
	s_cbranch_vccnz .LBB457_22
; %bb.8:
	s_cmp_gt_i32 s9, 0
	s_cselect_b32 s18, -1, 0
	s_cmp_neq_f32 s11, 0
	v_cndmask_b32_e64 v1, 0, 1, s18
	s_delay_alu instid0(VALU_DEP_1)
	v_cmp_ne_u32_e32 vcc_lo, 1, v1
	s_cbranch_scc1 .LBB457_15
; %bb.9:
	s_and_b32 vcc_lo, exec_lo, vcc_lo
	s_cbranch_vccnz .LBB457_14
; %bb.10:
	v_mov_b32_e32 v1, 0
	s_ashr_i32 s3, s2, 31
	s_lshl_b64 s[16:17], s[6:7], 1
	s_wait_kmcnt 0x0
	s_add_nc_u64 s[16:17], s[4:5], s[16:17]
	v_mul_u64_e32 v[2:3], s[2:3], v[0:1]
	s_delay_alu instid0(VALU_DEP_1)
	v_lshl_add_u64 v[2:3], v[2:3], 1, s[16:17]
	s_lshl_b64 s[16:17], s[2:3], 9
	s_mov_b32 s3, 0
	s_branch .LBB457_12
.LBB457_11:                             ;   in Loop: Header=BB457_12 Depth=1
	s_wait_xcnt 0x0
	s_or_b32 exec_lo, exec_lo, s19
	v_add_nc_u64_e32 v[2:3], s[16:17], v[2:3]
	s_addk_co_i32 s3, 0x100
	s_delay_alu instid0(SALU_CYCLE_1)
	s_cmp_ge_i32 s3, s9
	s_cbranch_scc1 .LBB457_14
.LBB457_12:                             ; =>This Inner Loop Header: Depth=1
	v_add_nc_u32_e32 v4, s3, v0
	s_mov_b32 s19, exec_lo
	s_delay_alu instid0(VALU_DEP_1)
	v_cmpx_gt_i32_e64 s9, v4
	s_cbranch_execz .LBB457_11
; %bb.13:                               ;   in Loop: Header=BB457_12 Depth=1
	flat_store_b16 v[2:3], v1
	s_branch .LBB457_11
.LBB457_14:
	s_mov_b32 s3, 0
.LBB457_15:
	s_delay_alu instid0(SALU_CYCLE_1)
	s_and_not1_b32 vcc_lo, exec_lo, s3
	s_cbranch_vccnz .LBB457_21
; %bb.16:
	s_and_not1_b32 vcc_lo, exec_lo, s18
	s_cbranch_vccnz .LBB457_21
; %bb.17:
	v_mov_b32_e32 v1, 0
	s_ashr_i32 s3, s2, 31
	s_lshl_b64 s[16:17], s[6:7], 1
	s_wait_kmcnt 0x0
	s_add_nc_u64 s[16:17], s[4:5], s[16:17]
	v_mul_u64_e32 v[2:3], s[2:3], v[0:1]
	s_delay_alu instid0(VALU_DEP_1)
	v_lshl_add_u64 v[2:3], v[2:3], 1, s[16:17]
	s_lshl_b64 s[16:17], s[2:3], 9
	s_mov_b32 s3, 0
	s_branch .LBB457_19
.LBB457_18:                             ;   in Loop: Header=BB457_19 Depth=1
	s_wait_xcnt 0x0
	s_or_b32 exec_lo, exec_lo, s18
	v_add_nc_u64_e32 v[2:3], s[16:17], v[2:3]
	s_addk_co_i32 s3, 0x100
	s_delay_alu instid0(SALU_CYCLE_1)
	s_cmp_ge_i32 s3, s9
	s_cbranch_scc1 .LBB457_21
.LBB457_19:                             ; =>This Inner Loop Header: Depth=1
	v_add_nc_u32_e32 v1, s3, v0
	s_mov_b32 s18, exec_lo
	s_delay_alu instid0(VALU_DEP_1)
	v_cmpx_gt_i32_e64 s9, v1
	s_cbranch_execz .LBB457_18
; %bb.20:                               ;   in Loop: Header=BB457_19 Depth=1
	flat_load_u16 v1, v[2:3]
	s_wait_loadcnt_dscnt 0x0
	v_fma_mixlo_f16 v1, s11, v1, 0 op_sel_hi:[0,1,0]
	flat_store_b16 v[2:3], v1
	s_branch .LBB457_18
.LBB457_21:
	s_mov_b32 s3, 0
.LBB457_22:
	s_delay_alu instid0(SALU_CYCLE_1)
	s_and_not1_b32 vcc_lo, exec_lo, s3
	s_cbranch_vccnz .LBB457_40
; %bb.23:
	s_mov_b32 s3, exec_lo
	v_cmpx_gt_i32_e64 s8, v0
	s_cbranch_execz .LBB457_25
; %bb.24:
	s_load_b32 s16, s[0:1], 0x48
	v_mov_b32_e32 v1, 0
	s_wait_kmcnt 0x0
	s_ashr_i32 s17, s16, 31
	s_delay_alu instid0(VALU_DEP_1) | instid1(SALU_CYCLE_1)
	v_mul_u64_e32 v[2:3], s[16:17], v[0:1]
	s_delay_alu instid0(VALU_DEP_1)
	v_lshl_add_u64 v[2:3], v[2:3], 1, s[14:15]
	flat_load_u16 v1, v[2:3]
	s_wait_xcnt 0x0
	v_lshlrev_b32_e32 v2, 2, v0
	s_wait_loadcnt_dscnt 0x0
	v_cvt_f32_f16_e32 v1, v1
	s_delay_alu instid0(VALU_DEP_1)
	v_mul_f32_e32 v1, s10, v1
	ds_store_b32 v2, v1
.LBB457_25:
	s_or_b32 exec_lo, exec_lo, s3
	s_cmp_lt_i32 s9, 1
	s_wait_storecnt_dscnt 0x0
	s_barrier_signal -1
	s_barrier_wait -1
	s_cbranch_scc1 .LBB457_40
; %bb.26:
	s_load_b32 s16, s[0:1], 0x28
	v_mov_b32_e32 v3, 0
	s_wait_xcnt 0x0
	s_lshl_b64 s[0:1], s[6:7], 1
	s_ashr_i32 s3, s2, 31
	s_wait_kmcnt 0x0
	s_add_nc_u64 s[0:1], s[4:5], s[0:1]
	s_mov_b32 s5, 0
	v_mov_b32_e32 v1, v3
	s_ashr_i32 s17, s16, 31
	s_cmp_neq_f32 s11, 0
	s_delay_alu instid0(VALU_DEP_1)
	v_mul_u64_e32 v[4:5], s[16:17], v[0:1]
	s_cselect_b32 s10, -1, 0
	s_cmp_gt_i32 s8, 0
	s_cselect_b32 s14, -1, 0
	s_and_b32 s15, s8, 7
	s_cmp_gt_u32 s8, 7
	s_delay_alu instid0(VALU_DEP_1)
	v_lshl_add_u64 v[4:5], v[4:5], 1, s[12:13]
	s_cselect_b32 s12, -1, 0
	s_and_b32 s8, s8, 0x7ffffff8
	s_cmp_lg_u32 s15, 0
	s_cselect_b32 s13, -1, 0
	v_add_nc_u64_e32 v[6:7], 14, v[4:5]
	s_lshl_b64 s[6:7], s[16:17], 9
	s_mov_b32 s16, 0
	s_branch .LBB457_29
.LBB457_27:                             ;   in Loop: Header=BB457_29 Depth=1
	s_delay_alu instid0(VALU_DEP_1)
	v_cvt_f16_f32_e32 v1, v1
	flat_store_b16 v[8:9], v1
.LBB457_28:                             ;   in Loop: Header=BB457_29 Depth=1
	s_wait_xcnt 0x0
	s_or_b32 exec_lo, exec_lo, s17
	v_add_nc_u64_e32 v[6:7], s[6:7], v[6:7]
	v_add_nc_u64_e32 v[4:5], s[6:7], v[4:5]
	s_addk_co_i32 s16, 0x100
	s_delay_alu instid0(SALU_CYCLE_1)
	s_cmp_ge_i32 s16, s9
	s_cbranch_scc1 .LBB457_40
.LBB457_29:                             ; =>This Loop Header: Depth=1
                                        ;     Child Loop BB457_35 Depth 2
                                        ;     Child Loop BB457_39 Depth 2
	v_add_nc_u32_e32 v2, s16, v0
	s_mov_b32 s17, exec_lo
	s_delay_alu instid0(VALU_DEP_1)
	v_cmpx_gt_i32_e64 s9, v2
	s_cbranch_execz .LBB457_28
; %bb.30:                               ;   in Loop: Header=BB457_29 Depth=1
	v_mul_u64_e32 v[8:9], s[2:3], v[2:3]
	s_and_not1_b32 vcc_lo, exec_lo, s10
	s_delay_alu instid0(VALU_DEP_1)
	v_lshl_add_u64 v[8:9], v[8:9], 1, s[0:1]
	s_cbranch_vccnz .LBB457_32
; %bb.31:                               ;   in Loop: Header=BB457_29 Depth=1
	flat_load_u16 v1, v[8:9]
	s_wait_loadcnt_dscnt 0x0
	v_cvt_f32_f16_e32 v1, v1
	s_delay_alu instid0(VALU_DEP_1)
	v_mul_f32_e32 v1, s11, v1
	s_and_not1_b32 vcc_lo, exec_lo, s14
	s_cbranch_vccz .LBB457_33
	s_branch .LBB457_27
.LBB457_32:                             ;   in Loop: Header=BB457_29 Depth=1
	v_mov_b32_e32 v1, 0
	s_and_not1_b32 vcc_lo, exec_lo, s14
	s_cbranch_vccnz .LBB457_27
.LBB457_33:                             ;   in Loop: Header=BB457_29 Depth=1
	s_and_not1_b32 vcc_lo, exec_lo, s12
	s_mov_b32 s18, 0
	s_cbranch_vccnz .LBB457_37
; %bb.34:                               ;   in Loop: Header=BB457_29 Depth=1
	v_mov_b64_e32 v[10:11], v[6:7]
	s_mov_b32 s4, 0
.LBB457_35:                             ;   Parent Loop BB457_29 Depth=1
                                        ; =>  This Inner Loop Header: Depth=2
	flat_load_b128 v[12:15], v[10:11] offset:-14
	v_mov_b32_e32 v2, s4
	s_wait_xcnt 0x0
	v_add_nc_u64_e32 v[10:11], 16, v[10:11]
	s_add_co_i32 s18, s18, 8
	s_add_co_i32 s4, s4, 32
	ds_load_b128 v[16:19], v2
	ds_load_b128 v[20:23], v2 offset:16
	s_cmp_eq_u32 s8, s18
	s_wait_loadcnt_dscnt 0x1
	v_fma_mix_f32 v1, v16, v12, v1 op_sel_hi:[0,1,0]
	s_delay_alu instid0(VALU_DEP_1) | instskip(NEXT) | instid1(VALU_DEP_1)
	v_fma_mix_f32 v1, v17, v12, v1 op_sel:[0,1,0] op_sel_hi:[0,1,0]
	v_fma_mix_f32 v1, v18, v13, v1 op_sel_hi:[0,1,0]
	s_delay_alu instid0(VALU_DEP_1) | instskip(SKIP_1) | instid1(VALU_DEP_1)
	v_fma_mix_f32 v1, v19, v13, v1 op_sel:[0,1,0] op_sel_hi:[0,1,0]
	s_wait_dscnt 0x0
	v_fma_mix_f32 v1, v20, v14, v1 op_sel_hi:[0,1,0]
	s_delay_alu instid0(VALU_DEP_1) | instskip(NEXT) | instid1(VALU_DEP_1)
	v_fma_mix_f32 v1, v21, v14, v1 op_sel:[0,1,0] op_sel_hi:[0,1,0]
	v_fma_mix_f32 v1, v22, v15, v1 op_sel_hi:[0,1,0]
	s_delay_alu instid0(VALU_DEP_1)
	v_fma_mix_f32 v1, v23, v15, v1 op_sel:[0,1,0] op_sel_hi:[0,1,0]
	s_cbranch_scc0 .LBB457_35
; %bb.36:                               ;   in Loop: Header=BB457_29 Depth=1
	s_mov_b32 s18, s8
.LBB457_37:                             ;   in Loop: Header=BB457_29 Depth=1
	s_and_not1_b32 vcc_lo, exec_lo, s13
	s_cbranch_vccnz .LBB457_27
; %bb.38:                               ;   in Loop: Header=BB457_29 Depth=1
	s_lshl_b32 s4, s18, 1
	s_delay_alu instid0(SALU_CYCLE_1)
	v_add_nc_u64_e32 v[10:11], s[4:5], v[4:5]
	s_lshl_b32 s4, s18, 2
	s_mov_b32 s18, s15
.LBB457_39:                             ;   Parent Loop BB457_29 Depth=1
                                        ; =>  This Inner Loop Header: Depth=2
	flat_load_u16 v2, v[10:11]
	v_mov_b32_e32 v12, s4
	s_wait_xcnt 0x0
	v_add_nc_u64_e32 v[10:11], 2, v[10:11]
	s_add_co_i32 s18, s18, -1
	s_add_co_i32 s4, s4, 4
	s_cmp_lg_u32 s18, 0
	ds_load_b32 v12, v12
	s_wait_loadcnt_dscnt 0x0
	v_fma_mix_f32 v1, v12, v2, v1 op_sel_hi:[0,1,0]
	s_cbranch_scc1 .LBB457_39
	s_branch .LBB457_27
.LBB457_40:
	s_endpgm
	.section	.rodata,"a",@progbits
	.p2align	6, 0x0
	.amdhsa_kernel _ZL22rocblas_gemvtsm_kernelILb1ELi256EPKDF16_fKPDF16_EviiT2_lPKT1_lilS7_lilS4_lPT3_lil
		.amdhsa_group_segment_fixed_size 256
		.amdhsa_private_segment_fixed_size 0
		.amdhsa_kernarg_size 136
		.amdhsa_user_sgpr_count 2
		.amdhsa_user_sgpr_dispatch_ptr 0
		.amdhsa_user_sgpr_queue_ptr 0
		.amdhsa_user_sgpr_kernarg_segment_ptr 1
		.amdhsa_user_sgpr_dispatch_id 0
		.amdhsa_user_sgpr_kernarg_preload_length 0
		.amdhsa_user_sgpr_kernarg_preload_offset 0
		.amdhsa_user_sgpr_private_segment_size 0
		.amdhsa_wavefront_size32 1
		.amdhsa_uses_dynamic_stack 0
		.amdhsa_enable_private_segment 0
		.amdhsa_system_sgpr_workgroup_id_x 1
		.amdhsa_system_sgpr_workgroup_id_y 0
		.amdhsa_system_sgpr_workgroup_id_z 0
		.amdhsa_system_sgpr_workgroup_info 0
		.amdhsa_system_vgpr_workitem_id 0
		.amdhsa_next_free_vgpr 24
		.amdhsa_next_free_sgpr 24
		.amdhsa_named_barrier_count 0
		.amdhsa_reserve_vcc 1
		.amdhsa_float_round_mode_32 0
		.amdhsa_float_round_mode_16_64 0
		.amdhsa_float_denorm_mode_32 3
		.amdhsa_float_denorm_mode_16_64 3
		.amdhsa_fp16_overflow 0
		.amdhsa_memory_ordered 1
		.amdhsa_forward_progress 1
		.amdhsa_inst_pref_size 11
		.amdhsa_round_robin_scheduling 0
		.amdhsa_exception_fp_ieee_invalid_op 0
		.amdhsa_exception_fp_denorm_src 0
		.amdhsa_exception_fp_ieee_div_zero 0
		.amdhsa_exception_fp_ieee_overflow 0
		.amdhsa_exception_fp_ieee_underflow 0
		.amdhsa_exception_fp_ieee_inexact 0
		.amdhsa_exception_int_div_zero 0
	.end_amdhsa_kernel
	.section	.text._ZL22rocblas_gemvtsm_kernelILb1ELi256EPKDF16_fKPDF16_EviiT2_lPKT1_lilS7_lilS4_lPT3_lil,"axG",@progbits,_ZL22rocblas_gemvtsm_kernelILb1ELi256EPKDF16_fKPDF16_EviiT2_lPKT1_lilS7_lilS4_lPT3_lil,comdat
.Lfunc_end457:
	.size	_ZL22rocblas_gemvtsm_kernelILb1ELi256EPKDF16_fKPDF16_EviiT2_lPKT1_lilS7_lilS4_lPT3_lil, .Lfunc_end457-_ZL22rocblas_gemvtsm_kernelILb1ELi256EPKDF16_fKPDF16_EviiT2_lPKT1_lilS7_lilS4_lPT3_lil
                                        ; -- End function
	.set _ZL22rocblas_gemvtsm_kernelILb1ELi256EPKDF16_fKPDF16_EviiT2_lPKT1_lilS7_lilS4_lPT3_lil.num_vgpr, 24
	.set _ZL22rocblas_gemvtsm_kernelILb1ELi256EPKDF16_fKPDF16_EviiT2_lPKT1_lilS7_lilS4_lPT3_lil.num_agpr, 0
	.set _ZL22rocblas_gemvtsm_kernelILb1ELi256EPKDF16_fKPDF16_EviiT2_lPKT1_lilS7_lilS4_lPT3_lil.numbered_sgpr, 24
	.set _ZL22rocblas_gemvtsm_kernelILb1ELi256EPKDF16_fKPDF16_EviiT2_lPKT1_lilS7_lilS4_lPT3_lil.num_named_barrier, 0
	.set _ZL22rocblas_gemvtsm_kernelILb1ELi256EPKDF16_fKPDF16_EviiT2_lPKT1_lilS7_lilS4_lPT3_lil.private_seg_size, 0
	.set _ZL22rocblas_gemvtsm_kernelILb1ELi256EPKDF16_fKPDF16_EviiT2_lPKT1_lilS7_lilS4_lPT3_lil.uses_vcc, 1
	.set _ZL22rocblas_gemvtsm_kernelILb1ELi256EPKDF16_fKPDF16_EviiT2_lPKT1_lilS7_lilS4_lPT3_lil.uses_flat_scratch, 0
	.set _ZL22rocblas_gemvtsm_kernelILb1ELi256EPKDF16_fKPDF16_EviiT2_lPKT1_lilS7_lilS4_lPT3_lil.has_dyn_sized_stack, 0
	.set _ZL22rocblas_gemvtsm_kernelILb1ELi256EPKDF16_fKPDF16_EviiT2_lPKT1_lilS7_lilS4_lPT3_lil.has_recursion, 0
	.set _ZL22rocblas_gemvtsm_kernelILb1ELi256EPKDF16_fKPDF16_EviiT2_lPKT1_lilS7_lilS4_lPT3_lil.has_indirect_call, 0
	.section	.AMDGPU.csdata,"",@progbits
; Kernel info:
; codeLenInByte = 1304
; TotalNumSgprs: 26
; NumVgprs: 24
; ScratchSize: 0
; MemoryBound: 0
; FloatMode: 240
; IeeeMode: 1
; LDSByteSize: 256 bytes/workgroup (compile time only)
; SGPRBlocks: 0
; VGPRBlocks: 1
; NumSGPRsForWavesPerEU: 26
; NumVGPRsForWavesPerEU: 24
; NamedBarCnt: 0
; Occupancy: 16
; WaveLimiterHint : 1
; COMPUTE_PGM_RSRC2:SCRATCH_EN: 0
; COMPUTE_PGM_RSRC2:USER_SGPR: 2
; COMPUTE_PGM_RSRC2:TRAP_HANDLER: 0
; COMPUTE_PGM_RSRC2:TGID_X_EN: 1
; COMPUTE_PGM_RSRC2:TGID_Y_EN: 0
; COMPUTE_PGM_RSRC2:TGID_Z_EN: 0
; COMPUTE_PGM_RSRC2:TIDIG_COMP_CNT: 0
	.section	.text._ZL23rocblas_gemvt_sn_kernelILb1ELi256ELi4EiPKDF16_PKffEviiT4_lPKT3_lilS7_lilPT5_i,"axG",@progbits,_ZL23rocblas_gemvt_sn_kernelILb1ELi256ELi4EiPKDF16_PKffEviiT4_lPKT3_lilS7_lilPT5_i,comdat
	.globl	_ZL23rocblas_gemvt_sn_kernelILb1ELi256ELi4EiPKDF16_PKffEviiT4_lPKT3_lilS7_lilPT5_i ; -- Begin function _ZL23rocblas_gemvt_sn_kernelILb1ELi256ELi4EiPKDF16_PKffEviiT4_lPKT3_lilS7_lilPT5_i
	.p2align	8
	.type	_ZL23rocblas_gemvt_sn_kernelILb1ELi256ELi4EiPKDF16_PKffEviiT4_lPKT3_lilS7_lilPT5_i,@function
_ZL23rocblas_gemvt_sn_kernelILb1ELi256ELi4EiPKDF16_PKffEviiT4_lPKT3_lilS7_lilPT5_i: ; @_ZL23rocblas_gemvt_sn_kernelILb1ELi256ELi4EiPKDF16_PKffEviiT4_lPKT3_lilS7_lilPT5_i
; %bb.0:
	s_load_b32 s33, s[0:1], 0x60
	s_bfe_u32 s2, ttmp6, 0x40014
	s_lshr_b32 s3, ttmp7, 16
	s_add_co_i32 s2, s2, 1
	s_bfe_u32 s5, ttmp6, 0x40008
	s_mul_i32 s2, s3, s2
	s_getreg_b32 s4, hwreg(HW_REG_IB_STS2, 6, 4)
	s_add_co_i32 s5, s5, s2
	s_cmp_eq_u32 s4, 0
	s_mov_b32 s25, 0
	s_cselect_b32 s10, s3, s5
	s_wait_kmcnt 0x0
	s_cmp_ge_u32 s10, s33
	s_cbranch_scc1 .LBB458_92
; %bb.1:
	s_clause 0x6
	s_load_b64 s[26:27], s[0:1], 0x0
	s_load_b256 s[12:19], s[0:1], 0x8
	s_load_b32 s28, s[0:1], 0x28
	s_load_b128 s[20:23], s[0:1], 0x38
	s_load_b32 s66, s[0:1], 0x48
	s_load_b64 s[30:31], s[0:1], 0x58
	s_load_b32 s34, s[0:1], 0x68
	s_wait_xcnt 0x0
	v_cmp_eq_u32_e64 s0, 0, v0
	v_dual_lshrrev_b32 v2, 3, v0 :: v_dual_bitop2_b32 v1, 31, v0 bitop3:0x40
	v_cmp_gt_u32_e64 s1, 32, v0
	v_cmp_gt_u32_e64 s2, 8, v0
	v_mbcnt_lo_u32_b32 v42, -1, 0
	s_delay_alu instid0(VALU_DEP_4)
	v_cmp_eq_u32_e64 s3, 0, v1
	v_dual_lshlrev_b32 v40, 2, v1 :: v_dual_bitop2_b32 v41, 28, v2 bitop3:0x40
	v_mov_b64_e32 v[20:21], 0
	s_mov_b32 s35, s25
	s_mov_b32 s37, s25
	v_lshl_or_b32 v43, v42, 2, 64
	s_wait_kmcnt 0x0
	s_ashr_i32 s7, s27, 31
	s_cmp_gt_i32 s27, 0
	s_mov_b32 s6, s27
	s_cselect_b32 s5, -1, 0
	s_bfe_u32 s8, ttmp6, 0x4000c
	s_and_b32 s9, ttmp6, 15
	s_add_co_i32 s8, s8, 1
	s_and_b32 s67, s0, s5
	s_mul_i32 s8, ttmp9, s8
	s_mul_u64 s[38:39], s[6:7], s[34:35]
	s_add_co_i32 s9, s9, s8
	s_cmp_eq_u32 s4, 0
	s_mov_b32 s29, s25
	s_cselect_b32 s36, ttmp9, s9
	s_ashr_i32 s5, s26, 31
	s_lshl_b32 s8, s36, 10
	s_lshr_b32 s5, s5, 30
	v_lshl_or_b32 v8, v0, 2, s8
	s_add_co_i32 s5, s26, s5
	s_lshr_b32 s4, s7, 30
	s_and_b32 s5, s5, -4
	s_add_co_i32 s4, s27, s4
	v_mul_lo_u32 v10, s66, v8
	s_sub_co_i32 s69, s26, s5
	s_and_b32 s68, s4, -4
	v_add_nc_u32_e32 v1, s69, v8
	s_cmp_gt_i32 s68, 0
	v_dual_ashrrev_i32 v9, 31, v8 :: v_dual_add_nc_u32 v0, 4, v8
	s_cselect_b32 s70, -1, 0
	s_cmp_gt_i32 s69, 0
	s_mov_b32 s51, s25
	s_cselect_b32 s71, -1, 0
	s_delay_alu instid0(VALU_DEP_3)
	v_add_nc_u32_e32 v12, s66, v10
	s_cmp_gt_u32 s27, 1
	v_cmp_ge_i32_e64 s4, s26, v0
	s_cselect_b32 s8, -1, 0
	s_cmp_eq_u32 s34, 1
	v_dual_add_nc_u32 v14, s66, v12 :: v_dual_ashrrev_i32 v11, 31, v10
	s_cselect_b32 s9, -1, 0
	v_cmp_ge_i32_e64 s5, s26, v1
	s_and_b32 s26, s27, 0x7ffffffe
	v_dual_add_nc_u32 v16, s66, v14 :: v_dual_ashrrev_i32 v13, 31, v12
	s_and_b32 s72, s8, s9
	s_cmp_lg_u32 s27, s26
	v_lshlrev_b64_e32 v[18:19], 1, v[8:9]
	s_cselect_b32 s73, -1, 0
	s_lshl_b32 s24, s28, 1
	v_dual_ashrrev_i32 v15, 31, v14 :: v_dual_ashrrev_i32 v17, 31, v16
	v_mov_b32_e32 v0, 0
	s_lshl_b64 s[40:41], s[36:37], 2
	s_mov_b64 s[52:53], s[24:25]
	s_mul_i32 s24, s28, 3
	s_lshl_b64 s[42:43], s[38:39], 2
	s_add_nc_u64 s[44:45], s[30:31], s[40:41]
	s_lshl_b64 s[46:47], s[6:7], 2
	s_lshl_b64 s[48:49], s[34:35], 2
	s_lshl_b32 s50, s28, 2
	s_mov_b64 s[54:55], s[24:25]
	s_lshl_b64 s[18:19], s[18:19], 1
	s_lshl_b64 s[22:23], s[22:23], 1
	s_branch .LBB458_3
.LBB458_2:                              ;   in Loop: Header=BB458_3 Depth=1
	s_add_co_i32 s10, s10, 0x10000
	s_delay_alu instid0(SALU_CYCLE_1)
	s_cmp_lt_u32 s10, s33
	s_cbranch_scc0 .LBB458_92
.LBB458_3:                              ; =>This Loop Header: Depth=1
                                        ;     Child Loop BB458_11 Depth 2
                                        ;     Child Loop BB458_15 Depth 2
	;; [unrolled: 1-line block ×3, first 2 shown]
                                        ;       Child Loop BB458_52 Depth 3
                                        ;       Child Loop BB458_55 Depth 3
                                        ;     Child Loop BB458_71 Depth 2
                                        ;       Child Loop BB458_84 Depth 3
                                        ;       Child Loop BB458_87 Depth 3
	s_mov_b32 s11, s25
	v_mov_b64_e32 v[2:3], 0
	s_mul_u64 s[6:7], s[14:15], s[10:11]
	s_delay_alu instid0(SALU_CYCLE_1) | instskip(NEXT) | instid1(SALU_CYCLE_1)
	s_lshl_b64 s[6:7], s[6:7], 2
	s_add_nc_u64 s[6:7], s[12:13], s[6:7]
	global_load_b32 v44, v0, s[6:7]
	s_wait_loadcnt 0x0
	s_wait_xcnt 0x0
	v_cmp_eq_f32_e64 s6, 0, v44
	v_cmp_neq_f32_e64 s7, 0, v44
	s_and_b32 vcc_lo, exec_lo, s6
	s_cbranch_vccnz .LBB458_5
; %bb.4:                                ;   in Loop: Header=BB458_3 Depth=1
	s_lshl_b64 s[8:9], s[10:11], 3
	s_delay_alu instid0(SALU_CYCLE_1)
	s_add_nc_u64 s[8:9], s[16:17], s[8:9]
	global_load_b64 v[2:3], v0, s[8:9]
	s_wait_loadcnt 0x0
	v_add_nc_u64_e32 v[2:3], s[18:19], v[2:3]
.LBB458_5:                              ;   in Loop: Header=BB458_3 Depth=1
	v_mov_b64_e32 v[22:23], 0
	s_and_not1_b32 vcc_lo, exec_lo, s7
	s_cbranch_vccnz .LBB458_7
; %bb.6:                                ;   in Loop: Header=BB458_3 Depth=1
	s_wait_xcnt 0x0
	s_lshl_b64 s[8:9], s[10:11], 3
	s_delay_alu instid0(SALU_CYCLE_1)
	s_add_nc_u64 s[8:9], s[20:21], s[8:9]
	global_load_b64 v[4:5], v0, s[8:9]
	s_wait_loadcnt 0x0
	v_add_nc_u64_e32 v[22:23], s[22:23], v[4:5]
.LBB458_7:                              ;   in Loop: Header=BB458_3 Depth=1
	s_and_not1_b32 vcc_lo, exec_lo, s6
	s_mov_b32 s6, -1
	s_cbranch_vccnz .LBB458_17
; %bb.8:                                ;   in Loop: Header=BB458_3 Depth=1
	s_wait_xcnt 0x0
	s_and_saveexec_b32 s8, s67
	s_cbranch_execz .LBB458_16
; %bb.9:                                ;   in Loop: Header=BB458_3 Depth=1
	s_and_not1_b32 vcc_lo, exec_lo, s72
	s_cbranch_vccnz .LBB458_13
; %bb.10:                               ;   in Loop: Header=BB458_3 Depth=1
	s_mul_u64 s[6:7], s[42:43], s[10:11]
	s_mov_b32 s9, s26
	s_add_nc_u64 s[6:7], s[44:45], s[6:7]
.LBB458_11:                             ;   Parent Loop BB458_3 Depth=1
                                        ; =>  This Inner Loop Header: Depth=2
	s_add_co_i32 s9, s9, -2
	global_store_b64 v0, v[20:21], s[6:7]
	s_wait_xcnt 0x0
	s_add_nc_u64 s[6:7], s[6:7], 8
	s_mov_b32 s24, s26
	s_cmp_lg_u32 s9, 0
	s_mov_b32 s37, s73
	s_cbranch_scc1 .LBB458_11
; %bb.12:                               ;   in Loop: Header=BB458_3 Depth=1
	s_and_b32 vcc_lo, exec_lo, s37
	s_cbranch_vccnz .LBB458_14
	s_branch .LBB458_16
.LBB458_13:                             ;   in Loop: Header=BB458_3 Depth=1
	s_mov_b32 s24, 0
	s_cbranch_execz .LBB458_16
.LBB458_14:                             ;   in Loop: Header=BB458_3 Depth=1
	s_mul_u64 s[6:7], s[46:47], s[10:11]
	s_lshl_b64 s[56:57], s[24:25], 2
	s_sub_co_i32 s9, s27, s24
	s_add_nc_u64 s[6:7], s[6:7], s[56:57]
	s_delay_alu instid0(SALU_CYCLE_1) | instskip(NEXT) | instid1(SALU_CYCLE_1)
	s_mul_u64 s[6:7], s[34:35], s[6:7]
	s_add_nc_u64 s[6:7], s[44:45], s[6:7]
.LBB458_15:                             ;   Parent Loop BB458_3 Depth=1
                                        ; =>  This Inner Loop Header: Depth=2
	s_add_co_i32 s9, s9, -1
	global_store_b32 v0, v0, s[6:7]
	s_cmp_eq_u32 s9, 0
	s_wait_xcnt 0x0
	s_add_nc_u64 s[6:7], s[6:7], s[48:49]
	s_cbranch_scc0 .LBB458_15
.LBB458_16:                             ;   in Loop: Header=BB458_3 Depth=1
	s_or_b32 exec_lo, exec_lo, s8
	s_mov_b32 s6, 0
.LBB458_17:                             ;   in Loop: Header=BB458_3 Depth=1
	s_delay_alu instid0(SALU_CYCLE_1)
	s_and_not1_b32 vcc_lo, exec_lo, s6
	s_cbranch_vccnz .LBB458_2
; %bb.18:                               ;   in Loop: Header=BB458_3 Depth=1
	v_add_nc_u64_e32 v[34:35], v[2:3], v[18:19]
	s_mul_u64 s[56:57], s[38:39], s[10:11]
	v_lshl_add_u64 v[24:25], v[8:9], 1, v[2:3]
	v_lshl_add_u64 v[26:27], v[10:11], 1, v[22:23]
	;; [unrolled: 1-line block ×5, first 2 shown]
	s_wait_xcnt 0x0
	v_cmp_gt_u32_e64 s9, 24, v42
	v_cmp_gt_u32_e64 s8, 28, v42
	;; [unrolled: 1-line block ×3, first 2 shown]
	v_cmp_ne_u32_e64 s6, 31, v42
	s_lshl_b64 s[56:57], s[56:57], 2
	s_and_not1_b32 vcc_lo, exec_lo, s70
	s_add_nc_u64 s[56:57], s[30:31], s[56:57]
	s_cbranch_vccnz .LBB458_67
; %bb.19:                               ;   in Loop: Header=BB458_3 Depth=1
	v_cndmask_b32_e64 v1, 0, 8, s9
	v_cndmask_b32_e64 v4, 0, 4, s8
	;; [unrolled: 1-line block ×3, first 2 shown]
	s_wait_dscnt 0x0
	v_add_co_ci_u32_e64 v6, null, 0, v42, s6
	v_add_lshl_u32 v45, v1, v42, 2
	v_dual_mov_b32 v1, v0 :: v_dual_mov_b32 v2, v0
	s_delay_alu instid0(VALU_DEP_3) | instskip(SKIP_3) | instid1(VALU_DEP_3)
	v_dual_mov_b32 v3, v0 :: v_dual_lshlrev_b32 v48, 2, v6
	v_add_lshl_u32 v46, v4, v42, 2
	v_add_lshl_u32 v47, v5, v42, 2
	s_mov_b32 s58, 0
	v_mov_b64_e32 v[4:5], v[2:3]
	v_mov_b64_e32 v[2:3], v[0:1]
	s_mov_b64 s[8:9], s[54:55]
	s_mov_b64 s[60:61], s[52:53]
	;; [unrolled: 1-line block ×3, first 2 shown]
	s_mov_b32 s24, s58
	s_branch .LBB458_21
.LBB458_20:                             ;   in Loop: Header=BB458_21 Depth=2
	s_wait_xcnt 0x0
	s_or_b32 exec_lo, exec_lo, s6
	s_add_co_i32 s24, s24, 4
	s_add_co_i32 s58, s58, s50
	s_add_nc_u64 s[62:63], s[62:63], s[50:51]
	s_add_nc_u64 s[60:61], s[60:61], s[50:51]
	s_cmp_ge_i32 s24, s68
	s_add_nc_u64 s[8:9], s[8:9], s[50:51]
	s_cbranch_scc1 .LBB458_68
.LBB458_21:                             ;   Parent Loop BB458_3 Depth=1
                                        ; =>  This Loop Header: Depth=2
                                        ;       Child Loop BB458_52 Depth 3
                                        ;       Child Loop BB458_55 Depth 3
                                        ; implicit-def: $vgpr7
                                        ; implicit-def: $vgpr37
	s_and_saveexec_b32 s6, s4
	s_delay_alu instid0(SALU_CYCLE_1)
	s_xor_b32 s6, exec_lo, s6
	s_cbranch_execnz .LBB458_48
; %bb.22:                               ;   in Loop: Header=BB458_21 Depth=2
	s_and_not1_saveexec_b32 s11, s6
	s_cbranch_execnz .LBB458_49
.LBB458_23:                             ;   in Loop: Header=BB458_21 Depth=2
	s_or_b32 exec_lo, exec_lo, s11
	s_and_saveexec_b32 s6, s1
.LBB458_24:                             ;   in Loop: Header=BB458_21 Depth=2
	ds_store_b32 v40, v0
.LBB458_25:                             ;   in Loop: Header=BB458_21 Depth=2
	s_or_b32 exec_lo, exec_lo, s6
	ds_bpermute_b32 v1, v43, v36
	s_wait_storecnt_dscnt 0x0
	s_barrier_signal -1
	s_barrier_wait -1
	v_add_f32_e32 v1, v36, v1
	ds_bpermute_b32 v36, v45, v1
	s_wait_dscnt 0x0
	v_add_f32_e32 v1, v1, v36
	ds_bpermute_b32 v36, v46, v1
	s_wait_dscnt 0x0
	;; [unrolled: 3-line block ×3, first 2 shown]
	v_add_f32_e32 v1, v1, v36
	ds_bpermute_b32 v36, v48, v1
	s_and_saveexec_b32 s6, s3
	s_cbranch_execz .LBB458_27
; %bb.26:                               ;   in Loop: Header=BB458_21 Depth=2
	s_wait_dscnt 0x0
	v_add_f32_e32 v1, v1, v36
	ds_store_b32 v41, v1
.LBB458_27:                             ;   in Loop: Header=BB458_21 Depth=2
	s_or_b32 exec_lo, exec_lo, s6
	v_mov_b32_e32 v1, 0
	s_wait_dscnt 0x0
	s_barrier_signal -1
	s_barrier_wait -1
	s_and_saveexec_b32 s6, s2
	s_cbranch_execnz .LBB458_56
; %bb.28:                               ;   in Loop: Header=BB458_21 Depth=2
	s_or_b32 exec_lo, exec_lo, s6
	s_and_saveexec_b32 s6, s1
	s_cbranch_execnz .LBB458_57
.LBB458_29:                             ;   in Loop: Header=BB458_21 Depth=2
	s_or_b32 exec_lo, exec_lo, s6
	s_and_saveexec_b32 s6, s1
.LBB458_30:                             ;   in Loop: Header=BB458_21 Depth=2
	ds_store_b32 v40, v0
.LBB458_31:                             ;   in Loop: Header=BB458_21 Depth=2
	s_or_b32 exec_lo, exec_lo, s6
	ds_bpermute_b32 v36, v43, v37
	s_wait_dscnt 0x0
	s_barrier_signal -1
	s_barrier_wait -1
	v_add_f32_e32 v36, v37, v36
	ds_bpermute_b32 v37, v45, v36
	s_wait_dscnt 0x0
	v_add_f32_e32 v36, v36, v37
	ds_bpermute_b32 v37, v46, v36
	s_wait_dscnt 0x0
	;; [unrolled: 3-line block ×3, first 2 shown]
	v_add_f32_e32 v36, v36, v37
	ds_bpermute_b32 v37, v48, v36
	s_and_saveexec_b32 s6, s3
	s_cbranch_execz .LBB458_33
; %bb.32:                               ;   in Loop: Header=BB458_21 Depth=2
	s_wait_dscnt 0x0
	v_add_f32_e32 v36, v36, v37
	ds_store_b32 v41, v36
.LBB458_33:                             ;   in Loop: Header=BB458_21 Depth=2
	s_or_b32 exec_lo, exec_lo, s6
	v_mov_b32_e32 v36, 0
	s_wait_dscnt 0x0
	s_barrier_signal -1
	s_barrier_wait -1
	s_and_saveexec_b32 s6, s2
	s_cbranch_execnz .LBB458_58
; %bb.34:                               ;   in Loop: Header=BB458_21 Depth=2
	s_or_b32 exec_lo, exec_lo, s6
	s_and_saveexec_b32 s6, s1
	s_cbranch_execnz .LBB458_59
.LBB458_35:                             ;   in Loop: Header=BB458_21 Depth=2
	s_or_b32 exec_lo, exec_lo, s6
	s_and_saveexec_b32 s6, s1
.LBB458_36:                             ;   in Loop: Header=BB458_21 Depth=2
	ds_store_b32 v40, v0
.LBB458_37:                             ;   in Loop: Header=BB458_21 Depth=2
	s_or_b32 exec_lo, exec_lo, s6
	ds_bpermute_b32 v37, v43, v6
	s_wait_dscnt 0x0
	s_barrier_signal -1
	s_barrier_wait -1
	v_add_f32_e32 v6, v6, v37
	ds_bpermute_b32 v37, v45, v6
	s_wait_dscnt 0x0
	v_add_f32_e32 v6, v6, v37
	ds_bpermute_b32 v37, v46, v6
	s_wait_dscnt 0x0
	;; [unrolled: 3-line block ×3, first 2 shown]
	v_add_f32_e32 v6, v6, v37
	ds_bpermute_b32 v37, v48, v6
	s_and_saveexec_b32 s6, s3
	s_cbranch_execz .LBB458_39
; %bb.38:                               ;   in Loop: Header=BB458_21 Depth=2
	s_wait_dscnt 0x0
	v_add_f32_e32 v6, v6, v37
	ds_store_b32 v41, v6
.LBB458_39:                             ;   in Loop: Header=BB458_21 Depth=2
	s_or_b32 exec_lo, exec_lo, s6
	v_mov_b32_e32 v6, 0
	s_wait_dscnt 0x0
	s_barrier_signal -1
	s_barrier_wait -1
	s_and_saveexec_b32 s6, s2
	s_cbranch_execnz .LBB458_60
; %bb.40:                               ;   in Loop: Header=BB458_21 Depth=2
	s_or_b32 exec_lo, exec_lo, s6
	s_and_saveexec_b32 s6, s1
	s_cbranch_execnz .LBB458_61
.LBB458_41:                             ;   in Loop: Header=BB458_21 Depth=2
	s_or_b32 exec_lo, exec_lo, s6
	s_and_saveexec_b32 s6, s1
.LBB458_42:                             ;   in Loop: Header=BB458_21 Depth=2
	ds_store_b32 v40, v0
.LBB458_43:                             ;   in Loop: Header=BB458_21 Depth=2
	s_or_b32 exec_lo, exec_lo, s6
	ds_bpermute_b32 v37, v43, v7
	s_wait_dscnt 0x0
	s_barrier_signal -1
	s_barrier_wait -1
	v_add_f32_e32 v7, v7, v37
	ds_bpermute_b32 v37, v45, v7
	s_wait_dscnt 0x0
	v_add_f32_e32 v7, v7, v37
	ds_bpermute_b32 v37, v46, v7
	s_wait_dscnt 0x0
	;; [unrolled: 3-line block ×3, first 2 shown]
	v_add_f32_e32 v7, v7, v37
	ds_bpermute_b32 v37, v48, v7
	s_and_saveexec_b32 s6, s3
	s_cbranch_execz .LBB458_45
; %bb.44:                               ;   in Loop: Header=BB458_21 Depth=2
	s_wait_dscnt 0x0
	v_add_f32_e32 v7, v7, v37
	ds_store_b32 v41, v7
.LBB458_45:                             ;   in Loop: Header=BB458_21 Depth=2
	s_or_b32 exec_lo, exec_lo, s6
	v_mov_b32_e32 v7, 0
	s_wait_dscnt 0x0
	s_barrier_signal -1
	s_barrier_wait -1
	s_and_saveexec_b32 s6, s2
	s_cbranch_execnz .LBB458_62
; %bb.46:                               ;   in Loop: Header=BB458_21 Depth=2
	s_or_b32 exec_lo, exec_lo, s6
	s_and_saveexec_b32 s6, s1
	s_cbranch_execnz .LBB458_63
.LBB458_47:                             ;   in Loop: Header=BB458_21 Depth=2
	s_or_b32 exec_lo, exec_lo, s6
	s_and_saveexec_b32 s6, s0
	s_cbranch_execz .LBB458_20
	s_branch .LBB458_64
.LBB458_48:                             ;   in Loop: Header=BB458_21 Depth=2
	s_mul_i32 s64, s24, s28
	s_clause 0x1
	flat_load_u16 v1, v[28:29]
	flat_load_u16 v49, v[32:33]
	s_add_co_i32 s74, s64, s28
	s_ashr_i32 s65, s64, 31
	s_add_co_i32 s76, s74, s28
	v_lshl_add_u64 v[2:3], s[64:65], 1, v[24:25]
	s_ashr_i32 s77, s76, 31
	s_add_co_i32 s64, s76, s28
	v_lshl_add_u64 v[4:5], s[76:77], 1, v[24:25]
	s_ashr_i32 s65, s64, 31
	s_clause 0x1
	flat_load_u16 v50, v[26:27]
	flat_load_u16 v52, v[30:31]
	s_wait_dscnt 0x4
	flat_load_b64 v[6:7], v[2:3]
	s_ashr_i32 s75, s74, 31
	flat_load_b64 v[4:5], v[4:5]
	s_wait_xcnt 0x1
	v_lshl_add_u64 v[2:3], s[64:65], 1, v[24:25]
	flat_load_b64 v[36:37], v[2:3]
	s_wait_xcnt 0x0
	v_lshl_add_u64 v[2:3], s[74:75], 1, v[24:25]
	flat_load_b64 v[38:39], v[2:3]
	s_wait_loadcnt_dscnt 0x707
	v_cvt_f32_f16_e32 v51, v1
	s_wait_loadcnt_dscnt 0x606
	v_cvt_f32_f16_e32 v53, v49
	s_delay_alu instid0(VALU_DEP_1)
	v_dual_mov_b32 v56, v51 :: v_dual_mov_b32 v58, v53
	s_wait_loadcnt_dscnt 0x505
	s_wait_xcnt 0x0
	v_cvt_f32_f16_e32 v2, v50
	s_wait_loadcnt_dscnt 0x404
	v_cvt_f32_f16_e32 v54, v52
	s_wait_loadcnt_dscnt 0x303
	v_dual_lshrrev_b32 v1, 16, v6 :: v_dual_lshrrev_b32 v3, 16, v7
	s_wait_loadcnt_dscnt 0x202
	v_dual_lshrrev_b32 v49, 16, v4 :: v_dual_lshrrev_b32 v57, 16, v5
	v_cvt_f32_f16_e32 v55, v4
	s_delay_alu instid0(VALU_DEP_3)
	v_cvt_f32_f16_e32 v4, v1
	v_cvt_f32_f16_e32 v59, v5
	;; [unrolled: 1-line block ×3, first 2 shown]
	s_wait_loadcnt_dscnt 0x101
	v_dual_lshrrev_b32 v1, 16, v36 :: v_dual_lshrrev_b32 v5, 16, v37
	v_cvt_f32_f16_e32 v50, v36
	v_cvt_f32_f16_e32 v52, v37
	v_cvt_f32_f16_e32 v60, v6
	s_delay_alu instid0(VALU_DEP_4)
	v_cvt_f32_f16_e32 v3, v1
	v_cvt_f32_f16_e32 v6, v7
	s_wait_loadcnt_dscnt 0x0
	v_cvt_f32_f16_e32 v61, v38
	v_dual_lshrrev_b32 v1, 16, v38 :: v_dual_lshrrev_b32 v63, 16, v39
	v_pk_mul_f32 v[36:37], v[50:51], v[2:3]
	v_cvt_f32_f16_e32 v7, v39
	v_cvt_f32_f16_e32 v49, v49
	v_mul_f32_e32 v38, v2, v55
	v_cvt_f32_f16_e32 v55, v5
	v_dual_mov_b32 v39, v36 :: v_dual_mov_b32 v3, v51
	s_delay_alu instid0(VALU_DEP_4) | instskip(SKIP_1) | instid1(VALU_DEP_4)
	v_mul_f32_e32 v36, v51, v49
	v_cvt_f32_f16_e32 v5, v1
	v_pk_mul_f32 v[50:51], v[52:53], v[54:55]
	s_delay_alu instid0(VALU_DEP_4)
	v_pk_add_f32 v[38:39], v[38:39], 0 op_sel_hi:[1,0]
	v_pk_fma_f32 v[60:61], v[2:3], v[60:61], 0 op_sel_hi:[0,1,0]
	v_cvt_f32_f16_e32 v1, v57
	v_mul_f32_e32 v64, v54, v59
	v_mov_b32_e32 v65, v50
	v_pk_add_f32 v[36:37], v[38:39], v[36:37]
	v_pk_fma_f32 v[4:5], v[56:57], v[4:5], v[60:61] op_sel_hi:[0,1,1]
	v_cvt_f32_f16_e32 v63, v63
	v_mul_f32_e32 v50, v53, v1
	s_delay_alu instid0(VALU_DEP_3) | instskip(SKIP_3) | instid1(VALU_DEP_2)
	v_pk_fma_f32 v[38:39], v[54:55], v[6:7], v[4:5] op_sel_hi:[0,1,1]
	v_mov_b32_e32 v4, v54
	v_pk_add_f32 v[36:37], v[36:37], v[64:65]
	v_mov_b32_e32 v5, v53
	v_pk_add_f32 v[6:7], v[36:37], v[50:51]
	v_pk_fma_f32 v[36:37], v[58:59], v[62:63], v[38:39] op_sel_hi:[0,1,1]
	s_and_not1_saveexec_b32 s11, s6
	s_cbranch_execz .LBB458_23
.LBB458_49:                             ;   in Loop: Header=BB458_21 Depth=2
	s_wait_dscnt 0x0
	v_dual_mov_b32 v7, 0 :: v_dual_mov_b32 v6, 0
	v_dual_mov_b32 v37, 0 :: v_dual_mov_b32 v36, 0
	s_and_saveexec_b32 s37, s5
	s_cbranch_execz .LBB458_66
; %bb.50:                               ;   in Loop: Header=BB458_21 Depth=2
	s_and_not1_b32 vcc_lo, exec_lo, s71
	s_cbranch_vccnz .LBB458_53
; %bb.51:                               ;   in Loop: Header=BB458_21 Depth=2
	v_mov_b32_e32 v1, v10
	s_mov_b64 s[64:65], 0
.LBB458_52:                             ;   Parent Loop BB458_3 Depth=1
                                        ;     Parent Loop BB458_21 Depth=2
                                        ; =>    This Inner Loop Header: Depth=3
	v_readfirstlane_b32 s6, v22
	v_readfirstlane_b32 s7, v23
	s_cmp_eq_u32 s64, 3
	s_cselect_b32 vcc_lo, -1, 0
	s_cmp_eq_u32 s64, 2
	flat_load_u16 v6, v1, s[6:7] scale_offset
	s_wait_xcnt 0x0
	s_cselect_b32 s6, -1, 0
	s_cmp_eq_u32 s64, 1
	s_cselect_b32 s7, -1, 0
	s_cmp_eq_u32 s64, 0
	s_add_nc_u64 s[64:65], s[64:65], 1
	s_wait_loadcnt_dscnt 0x0
	v_cvt_f32_f16_e32 v6, v6
	s_delay_alu instid0(VALU_DEP_1)
	v_dual_add_nc_u32 v1, s66, v1 :: v_dual_cndmask_b32 v5, v5, v6, vcc_lo
	s_cselect_b32 vcc_lo, -1, 0
	v_dual_cndmask_b32 v4, v4, v6, s6 :: v_dual_cndmask_b32 v3, v3, v6, s7
	v_cndmask_b32_e32 v2, v2, v6, vcc_lo
	s_cmp_eq_u32 s69, s64
	s_cbranch_scc0 .LBB458_52
.LBB458_53:                             ;   in Loop: Header=BB458_21 Depth=2
	s_and_not1_b32 vcc_lo, exec_lo, s71
	s_cbranch_vccnz .LBB458_65
; %bb.54:                               ;   in Loop: Header=BB458_21 Depth=2
	v_mov_b32_e32 v36, 0
	s_ashr_i32 s59, s58, 31
	s_mov_b64 s[6:7], 0
	v_lshl_add_u64 v[38:39], s[58:59], 1, v[34:35]
	s_delay_alu instid0(VALU_DEP_2)
	v_dual_mov_b32 v37, v36 :: v_dual_mov_b32 v6, v36
	v_mov_b32_e32 v7, v36
.LBB458_55:                             ;   Parent Loop BB458_3 Depth=1
                                        ;     Parent Loop BB458_21 Depth=2
                                        ; =>    This Inner Loop Header: Depth=3
	s_cmp_eq_u32 s6, 1
	s_cselect_b32 vcc_lo, -1, 0
	s_cmp_eq_u32 s6, 2
	v_cndmask_b32_e32 v1, v2, v3, vcc_lo
	s_cselect_b32 vcc_lo, -1, 0
	s_cmp_eq_u32 s6, 3
	s_delay_alu instid0(VALU_DEP_1)
	v_cndmask_b32_e32 v1, v1, v4, vcc_lo
	s_cselect_b32 vcc_lo, -1, 0
	s_add_co_i32 s76, s8, s6
	s_add_co_i32 s74, s60, s6
	;; [unrolled: 1-line block ×3, first 2 shown]
	s_ashr_i32 s77, s76, 31
	s_ashr_i32 s75, s74, 31
	;; [unrolled: 1-line block ×3, first 2 shown]
	v_lshl_add_u64 v[50:51], s[76:77], 1, v[24:25]
	v_lshl_add_u64 v[52:53], s[74:75], 1, v[24:25]
	;; [unrolled: 1-line block ×3, first 2 shown]
	flat_load_u16 v49, v[38:39]
	s_clause 0x2
	flat_load_u16 v51, v[50:51]
	flat_load_u16 v53, v[52:53]
	;; [unrolled: 1-line block ×3, first 2 shown]
	s_wait_xcnt 0x2
	v_cndmask_b32_e32 v50, v1, v5, vcc_lo
	v_add_nc_u64_e32 v[38:39], 2, v[38:39]
	s_add_nc_u64 s[6:7], s[6:7], 1
	s_delay_alu instid0(SALU_CYCLE_1)
	s_cmp_lg_u32 s69, s6
	s_wait_loadcnt_dscnt 0x303
	s_wait_xcnt 0x1
	v_cvt_f32_f16_e32 v52, v49
	s_wait_loadcnt_dscnt 0x202
	s_wait_xcnt 0x0
	v_cvt_f32_f16_e32 v55, v51
	s_wait_loadcnt_dscnt 0x101
	v_cvt_f32_f16_e32 v54, v53
	s_wait_loadcnt_dscnt 0x0
	v_cvt_f32_f16_e32 v53, v56
	s_delay_alu instid0(VALU_DEP_2) | instskip(NEXT) | instid1(VALU_DEP_2)
	v_pk_fma_f32 v[6:7], v[50:51], v[54:55], v[6:7] op_sel_hi:[0,1,1]
	v_pk_fma_f32 v[36:37], v[50:51], v[52:53], v[36:37] op_sel_hi:[0,1,1]
	s_cbranch_scc1 .LBB458_55
	s_branch .LBB458_66
.LBB458_56:                             ;   in Loop: Header=BB458_21 Depth=2
	ds_load_b32 v1, v40
	s_or_b32 exec_lo, exec_lo, s6
	s_and_saveexec_b32 s6, s1
	s_cbranch_execz .LBB458_29
.LBB458_57:                             ;   in Loop: Header=BB458_21 Depth=2
	s_wait_dscnt 0x0
	ds_bpermute_b32 v36, v46, v1
	s_wait_dscnt 0x0
	v_add_f32_e32 v1, v1, v36
	ds_bpermute_b32 v36, v47, v1
	s_wait_dscnt 0x0
	v_add_f32_e32 v1, v1, v36
	;; [unrolled: 3-line block ×3, first 2 shown]
	s_or_b32 exec_lo, exec_lo, s6
	s_and_saveexec_b32 s6, s1
	s_cbranch_execnz .LBB458_30
	s_branch .LBB458_31
.LBB458_58:                             ;   in Loop: Header=BB458_21 Depth=2
	ds_load_b32 v36, v40
	s_or_b32 exec_lo, exec_lo, s6
	s_and_saveexec_b32 s6, s1
	s_cbranch_execz .LBB458_35
.LBB458_59:                             ;   in Loop: Header=BB458_21 Depth=2
	s_wait_dscnt 0x0
	ds_bpermute_b32 v37, v46, v36
	s_wait_dscnt 0x0
	v_add_f32_e32 v36, v36, v37
	ds_bpermute_b32 v37, v47, v36
	s_wait_dscnt 0x0
	v_add_f32_e32 v36, v36, v37
	;; [unrolled: 3-line block ×3, first 2 shown]
	s_or_b32 exec_lo, exec_lo, s6
	s_and_saveexec_b32 s6, s1
	s_cbranch_execnz .LBB458_36
	s_branch .LBB458_37
.LBB458_60:                             ;   in Loop: Header=BB458_21 Depth=2
	ds_load_b32 v6, v40
	s_or_b32 exec_lo, exec_lo, s6
	s_and_saveexec_b32 s6, s1
	s_cbranch_execz .LBB458_41
.LBB458_61:                             ;   in Loop: Header=BB458_21 Depth=2
	s_wait_dscnt 0x0
	ds_bpermute_b32 v37, v46, v6
	s_wait_dscnt 0x0
	v_add_f32_e32 v6, v6, v37
	ds_bpermute_b32 v37, v47, v6
	s_wait_dscnt 0x0
	v_add_f32_e32 v6, v6, v37
	;; [unrolled: 3-line block ×3, first 2 shown]
	s_or_b32 exec_lo, exec_lo, s6
	s_and_saveexec_b32 s6, s1
	s_cbranch_execnz .LBB458_42
	s_branch .LBB458_43
.LBB458_62:                             ;   in Loop: Header=BB458_21 Depth=2
	ds_load_b32 v7, v40
	s_or_b32 exec_lo, exec_lo, s6
	s_and_saveexec_b32 s6, s1
	s_cbranch_execz .LBB458_47
.LBB458_63:                             ;   in Loop: Header=BB458_21 Depth=2
	s_wait_dscnt 0x0
	ds_bpermute_b32 v37, v46, v7
	s_wait_dscnt 0x0
	v_add_f32_e32 v7, v7, v37
	ds_bpermute_b32 v37, v47, v7
	s_wait_dscnt 0x0
	v_add_f32_e32 v7, v7, v37
	;; [unrolled: 3-line block ×3, first 2 shown]
	s_or_b32 exec_lo, exec_lo, s6
	s_and_saveexec_b32 s6, s0
	s_cbranch_execz .LBB458_20
.LBB458_64:                             ;   in Loop: Header=BB458_21 Depth=2
	s_mul_i32 s7, s24, s34
	v_dual_mul_f32 v1, v44, v1 :: v_dual_mul_f32 v36, v44, v36
	s_add_co_i32 s7, s7, s36
	s_delay_alu instid0(SALU_CYCLE_1) | instskip(NEXT) | instid1(SALU_CYCLE_1)
	s_add_co_i32 s11, s7, s34
	v_dual_mov_b32 v37, s7 :: v_dual_mov_b32 v38, s11
	s_add_co_i32 s7, s11, s34
	s_delay_alu instid0(SALU_CYCLE_1)
	v_dual_mul_f32 v6, v44, v6 :: v_dual_mov_b32 v39, s7
	s_add_co_i32 s7, s7, s34
	s_wait_dscnt 0x0
	v_dual_mul_f32 v7, v44, v7 :: v_dual_mov_b32 v49, s7
	s_clause 0x3
	global_store_b32 v37, v1, s[56:57] scale_offset
	global_store_b32 v38, v36, s[56:57] scale_offset
	;; [unrolled: 1-line block ×4, first 2 shown]
	s_branch .LBB458_20
.LBB458_65:                             ;   in Loop: Header=BB458_21 Depth=2
	v_mov_b32_e32 v7, 0
	s_delay_alu instid0(VALU_DEP_1)
	v_dual_mov_b32 v6, v7 :: v_dual_mov_b32 v37, v7
	v_mov_b32_e32 v36, v7
.LBB458_66:                             ;   in Loop: Header=BB458_21 Depth=2
	s_or_b32 exec_lo, exec_lo, s37
	s_delay_alu instid0(SALU_CYCLE_1)
	s_or_b32 exec_lo, exec_lo, s11
	s_and_saveexec_b32 s6, s1
	s_cbranch_execnz .LBB458_24
	s_branch .LBB458_25
.LBB458_67:                             ;   in Loop: Header=BB458_3 Depth=1
	v_dual_mov_b32 v1, v0 :: v_dual_mov_b32 v2, v0
	v_mov_b32_e32 v3, v0
	s_mov_b32 s24, 0
	s_delay_alu instid0(VALU_DEP_1) | instskip(NEXT) | instid1(VALU_DEP_3)
	v_mov_b64_e32 v[4:5], v[2:3]
	v_mov_b64_e32 v[2:3], v[0:1]
.LBB458_68:                             ;   in Loop: Header=BB458_3 Depth=1
	s_cmp_ge_i32 s24, s27
	s_cbranch_scc1 .LBB458_2
; %bb.69:                               ;   in Loop: Header=BB458_3 Depth=1
	v_cmp_gt_u32_e32 vcc_lo, 24, v42
	s_add_nc_u64 s[8:9], s[56:57], s[40:41]
	s_mul_i32 s56, s28, s24
	v_cndmask_b32_e64 v1, 0, 8, vcc_lo
	v_cmp_gt_u32_e32 vcc_lo, 28, v42
	s_delay_alu instid0(VALU_DEP_2) | instskip(SKIP_4) | instid1(VALU_DEP_2)
	v_add_lshl_u32 v1, v1, v42, 2
	s_wait_dscnt 0x0
	v_cndmask_b32_e64 v6, 0, 4, vcc_lo
	v_cmp_gt_u32_e32 vcc_lo, 30, v42
	s_wait_dscnt 0x0
	v_add_lshl_u32 v7, v6, v42, 2
	v_cndmask_b32_e64 v36, 0, 2, vcc_lo
	v_cmp_ne_u32_e32 vcc_lo, 31, v42
	s_delay_alu instid0(VALU_DEP_2) | instskip(SKIP_1) | instid1(VALU_DEP_1)
	v_add_lshl_u32 v38, v36, v42, 2
	v_add_co_ci_u32_e64 v37, null, 0, v42, vcc_lo
	v_lshlrev_b32_e32 v39, 2, v37
	s_branch .LBB458_71
.LBB458_70:                             ;   in Loop: Header=BB458_71 Depth=2
	s_wait_xcnt 0x0
	s_or_b32 exec_lo, exec_lo, s6
	s_add_co_i32 s24, s24, 1
	s_add_co_i32 s56, s56, s28
	s_cmp_ge_i32 s24, s27
	s_cbranch_scc1 .LBB458_2
.LBB458_71:                             ;   Parent Loop BB458_3 Depth=1
                                        ; =>  This Loop Header: Depth=2
                                        ;       Child Loop BB458_84 Depth 3
                                        ;       Child Loop BB458_87 Depth 3
	s_wait_dscnt 0x0
	v_mov_b32_e32 v6, s25
	s_and_saveexec_b32 s6, s4
	s_delay_alu instid0(SALU_CYCLE_1)
	s_xor_b32 s6, exec_lo, s6
	s_cbranch_execnz .LBB458_80
; %bb.72:                               ;   in Loop: Header=BB458_71 Depth=2
	s_and_not1_saveexec_b32 s11, s6
	s_cbranch_execnz .LBB458_81
.LBB458_73:                             ;   in Loop: Header=BB458_71 Depth=2
	s_or_b32 exec_lo, exec_lo, s11
	s_and_saveexec_b32 s6, s1
.LBB458_74:                             ;   in Loop: Header=BB458_71 Depth=2
	ds_store_b32 v40, v0
.LBB458_75:                             ;   in Loop: Header=BB458_71 Depth=2
	s_or_b32 exec_lo, exec_lo, s6
	ds_bpermute_b32 v36, v43, v6
	s_wait_storecnt_dscnt 0x0
	s_barrier_signal -1
	s_barrier_wait -1
	v_add_f32_e32 v6, v6, v36
	ds_bpermute_b32 v36, v1, v6
	s_wait_dscnt 0x0
	v_add_f32_e32 v6, v6, v36
	ds_bpermute_b32 v36, v7, v6
	s_wait_dscnt 0x0
	v_add_f32_e32 v6, v6, v36
	ds_bpermute_b32 v36, v38, v6
	s_wait_dscnt 0x0
	v_add_f32_e32 v6, v6, v36
	ds_bpermute_b32 v36, v39, v6
	s_and_saveexec_b32 s6, s3
	s_cbranch_execz .LBB458_77
; %bb.76:                               ;   in Loop: Header=BB458_71 Depth=2
	s_wait_dscnt 0x0
	v_add_f32_e32 v6, v6, v36
	ds_store_b32 v41, v6
.LBB458_77:                             ;   in Loop: Header=BB458_71 Depth=2
	s_or_b32 exec_lo, exec_lo, s6
	v_mov_b32_e32 v6, 0
	s_wait_dscnt 0x0
	s_barrier_signal -1
	s_barrier_wait -1
	s_and_saveexec_b32 s6, s2
	s_cbranch_execnz .LBB458_89
; %bb.78:                               ;   in Loop: Header=BB458_71 Depth=2
	s_or_b32 exec_lo, exec_lo, s6
	s_and_saveexec_b32 s6, s1
	s_cbranch_execnz .LBB458_90
.LBB458_79:                             ;   in Loop: Header=BB458_71 Depth=2
	s_or_b32 exec_lo, exec_lo, s6
	s_and_saveexec_b32 s6, s0
	s_cbranch_execz .LBB458_70
	s_branch .LBB458_91
.LBB458_80:                             ;   in Loop: Header=BB458_71 Depth=2
	s_mul_i32 s58, s24, s28
	s_delay_alu instid0(SALU_CYCLE_1) | instskip(NEXT) | instid1(SALU_CYCLE_1)
	s_ashr_i32 s59, s58, 31
	v_lshl_add_u64 v[2:3], s[58:59], 1, v[24:25]
	flat_load_b64 v[36:37], v[2:3]
	s_clause 0x3
	flat_load_u16 v2, v[28:29]
	flat_load_u16 v4, v[26:27]
	flat_load_u16 v6, v[32:33]
	flat_load_u16 v45, v[30:31]
	s_wait_loadcnt_dscnt 0x404
	v_dual_lshrrev_b32 v5, 16, v36 :: v_dual_lshrrev_b32 v48, 16, v37
	s_wait_loadcnt_dscnt 0x303
	v_cvt_f32_f16_e32 v3, v2
	s_wait_loadcnt_dscnt 0x202
	v_cvt_f32_f16_e32 v2, v4
	v_cvt_f32_f16_e32 v4, v36
	v_cvt_f32_f16_e32 v5, v5
	v_cvt_f32_f16_e32 v36, v37
	v_cvt_f32_f16_e32 v37, v48
	s_delay_alu instid0(VALU_DEP_3)
	v_pk_mul_f32 v[46:47], v[2:3], v[4:5]
	s_wait_loadcnt_dscnt 0x101
	v_cvt_f32_f16_e32 v5, v6
	s_wait_loadcnt_dscnt 0x0
	v_cvt_f32_f16_e32 v4, v45
	v_add_f32_e32 v6, 0, v46
	s_delay_alu instid0(VALU_DEP_2) | instskip(NEXT) | instid1(VALU_DEP_2)
	v_pk_mul_f32 v[36:37], v[4:5], v[36:37]
	v_add_f32_e32 v6, v6, v47
	s_delay_alu instid0(VALU_DEP_1) | instskip(NEXT) | instid1(VALU_DEP_1)
	v_add_f32_e32 v6, v6, v36
	v_add_f32_e32 v6, v6, v37
	s_wait_xcnt 0x0
	s_and_not1_saveexec_b32 s11, s6
	s_cbranch_execz .LBB458_73
.LBB458_81:                             ;   in Loop: Header=BB458_71 Depth=2
	s_and_saveexec_b32 s37, s5
	s_cbranch_execz .LBB458_88
; %bb.82:                               ;   in Loop: Header=BB458_71 Depth=2
	s_and_not1_b32 vcc_lo, exec_lo, s71
	s_cbranch_vccnz .LBB458_85
; %bb.83:                               ;   in Loop: Header=BB458_71 Depth=2
	v_mov_b32_e32 v36, v10
	s_mov_b64 s[58:59], 0
.LBB458_84:                             ;   Parent Loop BB458_3 Depth=1
                                        ;     Parent Loop BB458_71 Depth=2
                                        ; =>    This Inner Loop Header: Depth=3
	v_readfirstlane_b32 s6, v22
	v_readfirstlane_b32 s7, v23
	s_cmp_eq_u32 s58, 3
	s_cselect_b32 vcc_lo, -1, 0
	s_cmp_eq_u32 s58, 2
	flat_load_u16 v37, v36, s[6:7] scale_offset
	s_wait_xcnt 0x0
	s_cselect_b32 s6, -1, 0
	s_cmp_eq_u32 s58, 1
	s_cselect_b32 s7, -1, 0
	s_cmp_eq_u32 s58, 0
	s_add_nc_u64 s[58:59], s[58:59], 1
	s_wait_loadcnt_dscnt 0x0
	v_cvt_f32_f16_e32 v37, v37
	s_delay_alu instid0(VALU_DEP_1)
	v_dual_cndmask_b32 v5, v5, v37 :: v_dual_add_nc_u32 v36, s66, v36
	s_cselect_b32 vcc_lo, -1, 0
	v_dual_cndmask_b32 v4, v4, v37, s6 :: v_dual_cndmask_b32 v3, v3, v37, s7
	v_cndmask_b32_e32 v2, v2, v37, vcc_lo
	s_cmp_eq_u32 s69, s58
	s_cbranch_scc0 .LBB458_84
.LBB458_85:                             ;   in Loop: Header=BB458_71 Depth=2
	s_and_not1_b32 vcc_lo, exec_lo, s71
	s_cbranch_vccnz .LBB458_88
; %bb.86:                               ;   in Loop: Header=BB458_71 Depth=2
	s_ashr_i32 s57, s56, 31
	s_mov_b64 s[6:7], 0
	v_lshl_add_u64 v[36:37], s[56:57], 1, v[34:35]
.LBB458_87:                             ;   Parent Loop BB458_3 Depth=1
                                        ;     Parent Loop BB458_71 Depth=2
                                        ; =>    This Inner Loop Header: Depth=3
	flat_load_u16 v45, v[36:37]
	s_cmp_eq_u32 s6, 1
	s_wait_xcnt 0x0
	v_add_nc_u64_e32 v[36:37], 2, v[36:37]
	s_cselect_b32 vcc_lo, -1, 0
	s_cmp_eq_u32 s6, 2
	v_cndmask_b32_e32 v46, v2, v3, vcc_lo
	s_cselect_b32 vcc_lo, -1, 0
	s_cmp_eq_u32 s6, 3
	s_add_nc_u64 s[6:7], s[6:7], 1
	s_delay_alu instid0(VALU_DEP_1) | instskip(SKIP_2) | instid1(VALU_DEP_1)
	v_cndmask_b32_e32 v46, v46, v4, vcc_lo
	s_cselect_b32 vcc_lo, -1, 0
	s_cmp_lg_u32 s69, s6
	v_cndmask_b32_e32 v46, v46, v5, vcc_lo
	s_wait_loadcnt_dscnt 0x0
	s_delay_alu instid0(VALU_DEP_1)
	v_fma_mix_f32 v6, v46, v45, v6 op_sel_hi:[0,1,0]
	s_cbranch_scc1 .LBB458_87
.LBB458_88:                             ;   in Loop: Header=BB458_71 Depth=2
	s_or_b32 exec_lo, exec_lo, s37
	s_delay_alu instid0(SALU_CYCLE_1)
	s_or_b32 exec_lo, exec_lo, s11
	s_and_saveexec_b32 s6, s1
	s_cbranch_execnz .LBB458_74
	s_branch .LBB458_75
.LBB458_89:                             ;   in Loop: Header=BB458_71 Depth=2
	ds_load_b32 v6, v40
	s_or_b32 exec_lo, exec_lo, s6
	s_and_saveexec_b32 s6, s1
	s_cbranch_execz .LBB458_79
.LBB458_90:                             ;   in Loop: Header=BB458_71 Depth=2
	s_wait_dscnt 0x0
	ds_bpermute_b32 v36, v7, v6
	s_wait_dscnt 0x0
	v_add_f32_e32 v6, v6, v36
	ds_bpermute_b32 v36, v38, v6
	s_wait_dscnt 0x0
	v_add_f32_e32 v6, v6, v36
	;; [unrolled: 3-line block ×3, first 2 shown]
	s_or_b32 exec_lo, exec_lo, s6
	s_and_saveexec_b32 s6, s0
	s_cbranch_execz .LBB458_70
.LBB458_91:                             ;   in Loop: Header=BB458_71 Depth=2
	s_mul_u64 s[58:59], s[24:25], s[34:35]
	s_wait_dscnt 0x0
	v_mul_f32_e32 v6, v44, v6
	s_lshl_b64 s[58:59], s[58:59], 2
	s_delay_alu instid0(SALU_CYCLE_1)
	s_add_nc_u64 s[58:59], s[8:9], s[58:59]
	global_store_b32 v0, v6, s[58:59]
	s_branch .LBB458_70
.LBB458_92:
	s_sendmsg sendmsg(MSG_DEALLOC_VGPRS)
	s_endpgm
	.section	.rodata,"a",@progbits
	.p2align	6, 0x0
	.amdhsa_kernel _ZL23rocblas_gemvt_sn_kernelILb1ELi256ELi4EiPKDF16_PKffEviiT4_lPKT3_lilS7_lilPT5_i
		.amdhsa_group_segment_fixed_size 128
		.amdhsa_private_segment_fixed_size 0
		.amdhsa_kernarg_size 360
		.amdhsa_user_sgpr_count 2
		.amdhsa_user_sgpr_dispatch_ptr 0
		.amdhsa_user_sgpr_queue_ptr 0
		.amdhsa_user_sgpr_kernarg_segment_ptr 1
		.amdhsa_user_sgpr_dispatch_id 0
		.amdhsa_user_sgpr_kernarg_preload_length 0
		.amdhsa_user_sgpr_kernarg_preload_offset 0
		.amdhsa_user_sgpr_private_segment_size 0
		.amdhsa_wavefront_size32 1
		.amdhsa_uses_dynamic_stack 0
		.amdhsa_enable_private_segment 0
		.amdhsa_system_sgpr_workgroup_id_x 1
		.amdhsa_system_sgpr_workgroup_id_y 0
		.amdhsa_system_sgpr_workgroup_id_z 1
		.amdhsa_system_sgpr_workgroup_info 0
		.amdhsa_system_vgpr_workitem_id 0
		.amdhsa_next_free_vgpr 66
		.amdhsa_next_free_sgpr 78
		.amdhsa_named_barrier_count 0
		.amdhsa_reserve_vcc 1
		.amdhsa_float_round_mode_32 0
		.amdhsa_float_round_mode_16_64 0
		.amdhsa_float_denorm_mode_32 3
		.amdhsa_float_denorm_mode_16_64 3
		.amdhsa_fp16_overflow 0
		.amdhsa_memory_ordered 1
		.amdhsa_forward_progress 1
		.amdhsa_inst_pref_size 34
		.amdhsa_round_robin_scheduling 0
		.amdhsa_exception_fp_ieee_invalid_op 0
		.amdhsa_exception_fp_denorm_src 0
		.amdhsa_exception_fp_ieee_div_zero 0
		.amdhsa_exception_fp_ieee_overflow 0
		.amdhsa_exception_fp_ieee_underflow 0
		.amdhsa_exception_fp_ieee_inexact 0
		.amdhsa_exception_int_div_zero 0
	.end_amdhsa_kernel
	.section	.text._ZL23rocblas_gemvt_sn_kernelILb1ELi256ELi4EiPKDF16_PKffEviiT4_lPKT3_lilS7_lilPT5_i,"axG",@progbits,_ZL23rocblas_gemvt_sn_kernelILb1ELi256ELi4EiPKDF16_PKffEviiT4_lPKT3_lilS7_lilPT5_i,comdat
.Lfunc_end458:
	.size	_ZL23rocblas_gemvt_sn_kernelILb1ELi256ELi4EiPKDF16_PKffEviiT4_lPKT3_lilS7_lilPT5_i, .Lfunc_end458-_ZL23rocblas_gemvt_sn_kernelILb1ELi256ELi4EiPKDF16_PKffEviiT4_lPKT3_lilS7_lilPT5_i
                                        ; -- End function
	.set _ZL23rocblas_gemvt_sn_kernelILb1ELi256ELi4EiPKDF16_PKffEviiT4_lPKT3_lilS7_lilPT5_i.num_vgpr, 66
	.set _ZL23rocblas_gemvt_sn_kernelILb1ELi256ELi4EiPKDF16_PKffEviiT4_lPKT3_lilS7_lilPT5_i.num_agpr, 0
	.set _ZL23rocblas_gemvt_sn_kernelILb1ELi256ELi4EiPKDF16_PKffEviiT4_lPKT3_lilS7_lilPT5_i.numbered_sgpr, 78
	.set _ZL23rocblas_gemvt_sn_kernelILb1ELi256ELi4EiPKDF16_PKffEviiT4_lPKT3_lilS7_lilPT5_i.num_named_barrier, 0
	.set _ZL23rocblas_gemvt_sn_kernelILb1ELi256ELi4EiPKDF16_PKffEviiT4_lPKT3_lilS7_lilPT5_i.private_seg_size, 0
	.set _ZL23rocblas_gemvt_sn_kernelILb1ELi256ELi4EiPKDF16_PKffEviiT4_lPKT3_lilS7_lilPT5_i.uses_vcc, 1
	.set _ZL23rocblas_gemvt_sn_kernelILb1ELi256ELi4EiPKDF16_PKffEviiT4_lPKT3_lilS7_lilPT5_i.uses_flat_scratch, 1
	.set _ZL23rocblas_gemvt_sn_kernelILb1ELi256ELi4EiPKDF16_PKffEviiT4_lPKT3_lilS7_lilPT5_i.has_dyn_sized_stack, 0
	.set _ZL23rocblas_gemvt_sn_kernelILb1ELi256ELi4EiPKDF16_PKffEviiT4_lPKT3_lilS7_lilPT5_i.has_recursion, 0
	.set _ZL23rocblas_gemvt_sn_kernelILb1ELi256ELi4EiPKDF16_PKffEviiT4_lPKT3_lilS7_lilPT5_i.has_indirect_call, 0
	.section	.AMDGPU.csdata,"",@progbits
; Kernel info:
; codeLenInByte = 4248
; TotalNumSgprs: 80
; NumVgprs: 66
; ScratchSize: 0
; MemoryBound: 0
; FloatMode: 240
; IeeeMode: 1
; LDSByteSize: 128 bytes/workgroup (compile time only)
; SGPRBlocks: 0
; VGPRBlocks: 4
; NumSGPRsForWavesPerEU: 80
; NumVGPRsForWavesPerEU: 66
; NamedBarCnt: 0
; Occupancy: 12
; WaveLimiterHint : 0
; COMPUTE_PGM_RSRC2:SCRATCH_EN: 0
; COMPUTE_PGM_RSRC2:USER_SGPR: 2
; COMPUTE_PGM_RSRC2:TRAP_HANDLER: 0
; COMPUTE_PGM_RSRC2:TGID_X_EN: 1
; COMPUTE_PGM_RSRC2:TGID_Y_EN: 0
; COMPUTE_PGM_RSRC2:TGID_Z_EN: 1
; COMPUTE_PGM_RSRC2:TIDIG_COMP_CNT: 0
	.section	.text._ZL23rocblas_gemvt_sn_kernelILb1ELi256ELi4ElPKDF16_PKffEviiT4_lPKT3_lilS7_lilPT5_i,"axG",@progbits,_ZL23rocblas_gemvt_sn_kernelILb1ELi256ELi4ElPKDF16_PKffEviiT4_lPKT3_lilS7_lilPT5_i,comdat
	.globl	_ZL23rocblas_gemvt_sn_kernelILb1ELi256ELi4ElPKDF16_PKffEviiT4_lPKT3_lilS7_lilPT5_i ; -- Begin function _ZL23rocblas_gemvt_sn_kernelILb1ELi256ELi4ElPKDF16_PKffEviiT4_lPKT3_lilS7_lilPT5_i
	.p2align	8
	.type	_ZL23rocblas_gemvt_sn_kernelILb1ELi256ELi4ElPKDF16_PKffEviiT4_lPKT3_lilS7_lilPT5_i,@function
_ZL23rocblas_gemvt_sn_kernelILb1ELi256ELi4ElPKDF16_PKffEviiT4_lPKT3_lilS7_lilPT5_i: ; @_ZL23rocblas_gemvt_sn_kernelILb1ELi256ELi4ElPKDF16_PKffEviiT4_lPKT3_lilS7_lilPT5_i
; %bb.0:
	s_load_b32 s33, s[0:1], 0x60
	s_bfe_u32 s2, ttmp6, 0x40014
	s_lshr_b32 s3, ttmp7, 16
	s_add_co_i32 s2, s2, 1
	s_bfe_u32 s5, ttmp6, 0x40008
	s_mul_i32 s2, s3, s2
	s_getreg_b32 s4, hwreg(HW_REG_IB_STS2, 6, 4)
	s_add_co_i32 s5, s5, s2
	s_cmp_eq_u32 s4, 0
	s_mov_b32 s25, 0
	s_cselect_b32 s10, s3, s5
	s_wait_kmcnt 0x0
	s_cmp_ge_u32 s10, s33
	s_cbranch_scc1 .LBB459_92
; %bb.1:
	s_clause 0x6
	s_load_b32 s26, s[0:1], 0x28
	s_load_b32 s6, s[0:1], 0x48
	s_load_b64 s[28:29], s[0:1], 0x0
	s_load_b32 s30, s[0:1], 0x68
	s_load_b256 s[12:19], s[0:1], 0x8
	s_load_b128 s[20:23], s[0:1], 0x38
	s_load_b64 s[34:35], s[0:1], 0x58
	s_wait_xcnt 0x0
	v_cmp_eq_u32_e64 s0, 0, v0
	v_dual_lshrrev_b32 v2, 3, v0 :: v_dual_bitop2_b32 v1, 31, v0 bitop3:0x40
	v_cmp_gt_u32_e64 s1, 32, v0
	v_cmp_gt_u32_e64 s2, 8, v0
	v_mbcnt_lo_u32_b32 v48, -1, 0
	s_delay_alu instid0(VALU_DEP_4)
	v_dual_lshlrev_b32 v46, 2, v1 :: v_dual_bitop2_b32 v47, 28, v2 bitop3:0x40
	v_cmp_eq_u32_e64 s3, 0, v1
	v_mov_b64_e32 v[22:23], 0
	s_mov_b32 s31, s25
	v_lshl_or_b32 v49, v48, 2, 64
	s_wait_kmcnt 0x0
	s_ashr_i32 s27, s26, 31
	s_ashr_i32 s7, s6, 31
	;; [unrolled: 1-line block ×3, first 2 shown]
	s_cmp_gt_i32 s29, 0
	s_mov_b32 s8, s29
	s_cselect_b32 s5, -1, 0
	s_bfe_u32 s11, ttmp6, 0x4000c
	s_and_b32 s24, ttmp6, 15
	s_add_co_i32 s11, s11, 1
	s_and_b32 s60, s0, s5
	s_mul_i32 s11, ttmp9, s11
	s_mul_u64 s[36:37], s[8:9], s[30:31]
	s_add_co_i32 s24, s24, s11
	s_cmp_eq_u32 s4, 0
	s_mul_u64 s[38:39], s[26:27], 6
	s_cselect_b32 s24, ttmp9, s24
	s_ashr_i32 s5, s28, 31
	s_lshl_b32 s11, s24, 10
	s_lshr_b32 s4, s9, 30
	v_lshl_or_b32 v8, v0, 2, s11
	s_lshr_b32 s5, s5, 30
	s_add_co_i32 s4, s29, s4
	s_add_co_i32 s5, s28, s5
	s_and_b32 s61, s4, -4
	s_and_b32 s4, s5, -4
	v_dual_ashrrev_i32 v9, 31, v8 :: v_dual_bitop2_b32 v0, 1, v8 bitop3:0x54
	s_sub_co_i32 s62, s28, s4
	v_dual_add_nc_u32 v6, 4, v8 :: v_dual_bitop2_b32 v2, 2, v8 bitop3:0x54
	v_dual_add_nc_u32 v7, s62, v8 :: v_dual_bitop2_b32 v4, 3, v8 bitop3:0x54
	s_delay_alu instid0(VALU_DEP_3) | instskip(NEXT) | instid1(VALU_DEP_3)
	v_mul_u64_e32 v[10:11], s[6:7], v[8:9]
	v_dual_ashrrev_i32 v1, 31, v0 :: v_dual_ashrrev_i32 v3, 31, v2
	s_delay_alu instid0(VALU_DEP_3) | instskip(SKIP_2) | instid1(VALU_DEP_3)
	v_ashrrev_i32_e32 v5, 31, v4
	s_cmp_gt_i32 s61, 0
	v_lshlrev_b64_e32 v[18:19], 1, v[8:9]
	v_mul_u64_e32 v[12:13], s[6:7], v[0:1]
	v_mul_u64_e32 v[14:15], s[6:7], v[2:3]
	v_mov_b32_e32 v0, 0
	v_mul_u64_e32 v[16:17], s[6:7], v[4:5]
	s_cselect_b32 s63, -1, 0
	s_cmp_gt_i32 s62, 0
	v_cmp_ge_i32_e64 s4, s28, v6
	s_cselect_b32 s64, -1, 0
	s_cmp_gt_u32 s29, 1
	s_cselect_b32 s5, -1, 0
	s_cmp_eq_u32 s30, 1
	s_cselect_b32 s11, -1, 0
	s_and_b32 s65, s29, 0x7ffffffe
	s_and_b32 s66, s5, s11
	s_cmp_lg_u32 s29, s65
	v_cmp_ge_i32_e64 s5, s28, v7
	s_cselect_b32 s28, -1, 0
	s_lshl_b64 s[40:41], s[24:25], 2
	s_lshl_b64 s[42:43], s[36:37], 2
	s_lshl_b64 s[44:45], s[8:9], 2
	s_lshl_b64 s[46:47], s[30:31], 2
	s_lshl_b64 s[48:49], s[6:7], 1
	s_lshl_b64 s[50:51], s[26:27], 3
	s_lshl_b64 s[52:53], s[26:27], 2
	v_lshlrev_b64_e32 v[20:21], 1, v[10:11]
	s_add_nc_u64 s[54:55], s[34:35], s[40:41]
	s_lshl_b64 s[56:57], s[26:27], 1
	s_lshl_b64 s[18:19], s[18:19], 1
	;; [unrolled: 1-line block ×3, first 2 shown]
	s_branch .LBB459_3
.LBB459_2:                              ;   in Loop: Header=BB459_3 Depth=1
	s_add_co_i32 s10, s10, 0x10000
	s_delay_alu instid0(SALU_CYCLE_1)
	s_cmp_lt_u32 s10, s33
	s_cbranch_scc0 .LBB459_92
.LBB459_3:                              ; =>This Loop Header: Depth=1
                                        ;     Child Loop BB459_11 Depth 2
                                        ;     Child Loop BB459_15 Depth 2
	;; [unrolled: 1-line block ×3, first 2 shown]
                                        ;       Child Loop BB459_52 Depth 3
                                        ;       Child Loop BB459_55 Depth 3
                                        ;     Child Loop BB459_71 Depth 2
                                        ;       Child Loop BB459_84 Depth 3
                                        ;       Child Loop BB459_87 Depth 3
	s_mov_b32 s11, s25
	s_wait_dscnt 0x0
	v_mov_b64_e32 v[6:7], 0
	s_mul_u64 s[6:7], s[14:15], s[10:11]
	s_delay_alu instid0(SALU_CYCLE_1) | instskip(NEXT) | instid1(SALU_CYCLE_1)
	s_lshl_b64 s[6:7], s[6:7], 2
	s_add_nc_u64 s[6:7], s[12:13], s[6:7]
	global_load_b32 v50, v0, s[6:7]
	s_wait_loadcnt 0x0
	s_wait_xcnt 0x0
	v_cmp_eq_f32_e64 s6, 0, v50
	v_cmp_neq_f32_e64 s7, 0, v50
	s_and_b32 vcc_lo, exec_lo, s6
	s_cbranch_vccnz .LBB459_5
; %bb.4:                                ;   in Loop: Header=BB459_3 Depth=1
	s_lshl_b64 s[8:9], s[10:11], 3
	s_delay_alu instid0(SALU_CYCLE_1)
	s_add_nc_u64 s[8:9], s[16:17], s[8:9]
	global_load_b64 v[2:3], v0, s[8:9]
	s_wait_loadcnt 0x0
	v_add_nc_u64_e32 v[6:7], s[18:19], v[2:3]
.LBB459_5:                              ;   in Loop: Header=BB459_3 Depth=1
	v_mov_b64_e32 v[4:5], 0
	s_and_not1_b32 vcc_lo, exec_lo, s7
	s_cbranch_vccnz .LBB459_7
; %bb.6:                                ;   in Loop: Header=BB459_3 Depth=1
	s_wait_xcnt 0x0
	s_lshl_b64 s[8:9], s[10:11], 3
	s_delay_alu instid0(SALU_CYCLE_1)
	s_add_nc_u64 s[8:9], s[20:21], s[8:9]
	global_load_b64 v[2:3], v0, s[8:9]
	s_wait_loadcnt 0x0
	v_add_nc_u64_e32 v[4:5], s[22:23], v[2:3]
.LBB459_7:                              ;   in Loop: Header=BB459_3 Depth=1
	s_and_not1_b32 vcc_lo, exec_lo, s6
	s_mov_b32 s6, -1
	s_cbranch_vccnz .LBB459_17
; %bb.8:                                ;   in Loop: Header=BB459_3 Depth=1
	s_wait_xcnt 0x0
	s_and_saveexec_b32 s8, s60
	s_cbranch_execz .LBB459_16
; %bb.9:                                ;   in Loop: Header=BB459_3 Depth=1
	s_and_not1_b32 vcc_lo, exec_lo, s66
	s_cbranch_vccnz .LBB459_13
; %bb.10:                               ;   in Loop: Header=BB459_3 Depth=1
	s_mul_u64 s[6:7], s[42:43], s[10:11]
	s_mov_b32 s9, s65
	s_add_nc_u64 s[6:7], s[54:55], s[6:7]
.LBB459_11:                             ;   Parent Loop BB459_3 Depth=1
                                        ; =>  This Inner Loop Header: Depth=2
	s_add_co_i32 s9, s9, -2
	global_store_b64 v0, v[22:23], s[6:7]
	s_wait_xcnt 0x0
	s_add_nc_u64 s[6:7], s[6:7], 8
	s_mov_b32 s24, s65
	s_cmp_lg_u32 s9, 0
	s_mov_b32 s58, s28
	s_cbranch_scc1 .LBB459_11
; %bb.12:                               ;   in Loop: Header=BB459_3 Depth=1
	s_and_b32 vcc_lo, exec_lo, s58
	s_cbranch_vccnz .LBB459_14
	s_branch .LBB459_16
.LBB459_13:                             ;   in Loop: Header=BB459_3 Depth=1
	s_mov_b32 s24, 0
	s_cbranch_execz .LBB459_16
.LBB459_14:                             ;   in Loop: Header=BB459_3 Depth=1
	s_mul_u64 s[6:7], s[44:45], s[10:11]
	s_lshl_b64 s[58:59], s[24:25], 2
	s_sub_co_i32 s9, s29, s24
	s_add_nc_u64 s[6:7], s[6:7], s[58:59]
	s_delay_alu instid0(SALU_CYCLE_1) | instskip(NEXT) | instid1(SALU_CYCLE_1)
	s_mul_u64 s[6:7], s[30:31], s[6:7]
	s_add_nc_u64 s[6:7], s[54:55], s[6:7]
.LBB459_15:                             ;   Parent Loop BB459_3 Depth=1
                                        ; =>  This Inner Loop Header: Depth=2
	s_add_co_i32 s9, s9, -1
	global_store_b32 v0, v0, s[6:7]
	s_cmp_eq_u32 s9, 0
	s_wait_xcnt 0x0
	s_add_nc_u64 s[6:7], s[6:7], s[46:47]
	s_cbranch_scc0 .LBB459_15
.LBB459_16:                             ;   in Loop: Header=BB459_3 Depth=1
	s_or_b32 exec_lo, exec_lo, s8
	s_mov_b32 s6, 0
.LBB459_17:                             ;   in Loop: Header=BB459_3 Depth=1
	s_delay_alu instid0(SALU_CYCLE_1)
	s_and_not1_b32 vcc_lo, exec_lo, s6
	s_cbranch_vccnz .LBB459_2
; %bb.18:                               ;   in Loop: Header=BB459_3 Depth=1
	s_mul_u64 s[6:7], s[36:37], s[10:11]
	v_add_nc_u64_e32 v[34:35], v[4:5], v[20:21]
	s_lshl_b64 s[58:59], s[6:7], 2
	v_lshl_add_u64 v[24:25], v[8:9], 1, v[6:7]
	v_lshl_add_u64 v[26:27], v[10:11], 1, v[4:5]
	;; [unrolled: 1-line block ×5, first 2 shown]
	s_wait_xcnt 0x0
	v_cmp_gt_u32_e64 s8, 24, v48
	v_cmp_gt_u32_e64 s6, 28, v48
	;; [unrolled: 1-line block ×3, first 2 shown]
	v_cmp_ne_u32_e64 s7, 31, v48
	s_add_nc_u64 s[58:59], s[34:35], s[58:59]
	s_and_not1_b32 vcc_lo, exec_lo, s63
	s_add_nc_u64 s[58:59], s[58:59], s[40:41]
	s_cbranch_vccnz .LBB459_67
; %bb.19:                               ;   in Loop: Header=BB459_3 Depth=1
	v_cndmask_b32_e64 v1, 0, 8, s8
	v_cndmask_b32_e64 v2, 0, 4, s6
	;; [unrolled: 1-line block ×3, first 2 shown]
	v_add_co_ci_u32_e64 v37, null, 0, v48, s7
	s_delay_alu instid0(VALU_DEP_4) | instskip(NEXT) | instid1(VALU_DEP_4)
	v_add_lshl_u32 v51, v1, v48, 2
	v_add_lshl_u32 v52, v2, v48, 2
	v_dual_mov_b32 v1, v0 :: v_dual_mov_b32 v2, v0
	s_delay_alu instid0(VALU_DEP_4) | instskip(SKIP_3) | instid1(VALU_DEP_4)
	v_dual_mov_b32 v3, v0 :: v_dual_lshlrev_b32 v54, 2, v37
	v_add_lshl_u32 v53, v36, v48, 2
	v_add_nc_u64_e32 v[36:37], v[4:5], v[20:21]
	v_mov_b64_e32 v[38:39], v[24:25]
	v_mov_b64_e32 v[4:5], v[2:3]
	;; [unrolled: 1-line block ×3, first 2 shown]
	s_mov_b32 s24, 0
	s_branch .LBB459_21
.LBB459_20:                             ;   in Loop: Header=BB459_21 Depth=2
	s_wait_xcnt 0x0
	s_or_b32 exec_lo, exec_lo, s6
	v_add_nc_u64_e32 v[38:39], s[50:51], v[38:39]
	s_add_co_i32 s24, s24, 4
	s_delay_alu instid0(SALU_CYCLE_1)
	s_cmp_ge_i32 s24, s61
	s_cbranch_scc1 .LBB459_68
.LBB459_21:                             ;   Parent Loop BB459_3 Depth=1
                                        ; =>  This Loop Header: Depth=2
                                        ;       Child Loop BB459_52 Depth 3
                                        ;       Child Loop BB459_55 Depth 3
                                        ; implicit-def: $vgpr41
                                        ; implicit-def: $vgpr43
	s_and_saveexec_b32 s6, s4
	s_delay_alu instid0(SALU_CYCLE_1)
	s_xor_b32 s6, exec_lo, s6
	s_cbranch_execnz .LBB459_48
; %bb.22:                               ;   in Loop: Header=BB459_21 Depth=2
	s_and_not1_saveexec_b32 s11, s6
	s_cbranch_execnz .LBB459_49
.LBB459_23:                             ;   in Loop: Header=BB459_21 Depth=2
	s_or_b32 exec_lo, exec_lo, s11
	s_and_saveexec_b32 s6, s1
.LBB459_24:                             ;   in Loop: Header=BB459_21 Depth=2
	ds_store_b32 v46, v0
.LBB459_25:                             ;   in Loop: Header=BB459_21 Depth=2
	s_or_b32 exec_lo, exec_lo, s6
	ds_bpermute_b32 v1, v49, v42
	s_wait_storecnt_dscnt 0x0
	s_barrier_signal -1
	s_barrier_wait -1
	v_add_f32_e32 v1, v42, v1
	ds_bpermute_b32 v42, v51, v1
	s_wait_dscnt 0x0
	v_add_f32_e32 v1, v1, v42
	ds_bpermute_b32 v42, v52, v1
	s_wait_dscnt 0x0
	;; [unrolled: 3-line block ×3, first 2 shown]
	v_add_f32_e32 v1, v1, v42
	ds_bpermute_b32 v42, v54, v1
	s_and_saveexec_b32 s6, s3
	s_cbranch_execz .LBB459_27
; %bb.26:                               ;   in Loop: Header=BB459_21 Depth=2
	s_wait_dscnt 0x0
	v_add_f32_e32 v1, v1, v42
	ds_store_b32 v47, v1
.LBB459_27:                             ;   in Loop: Header=BB459_21 Depth=2
	s_or_b32 exec_lo, exec_lo, s6
	v_mov_b32_e32 v1, 0
	s_wait_dscnt 0x0
	s_barrier_signal -1
	s_barrier_wait -1
	s_and_saveexec_b32 s6, s2
	s_cbranch_execnz .LBB459_56
; %bb.28:                               ;   in Loop: Header=BB459_21 Depth=2
	s_or_b32 exec_lo, exec_lo, s6
	s_and_saveexec_b32 s6, s1
	s_cbranch_execnz .LBB459_57
.LBB459_29:                             ;   in Loop: Header=BB459_21 Depth=2
	s_or_b32 exec_lo, exec_lo, s6
	s_and_saveexec_b32 s6, s1
.LBB459_30:                             ;   in Loop: Header=BB459_21 Depth=2
	ds_store_b32 v46, v0
.LBB459_31:                             ;   in Loop: Header=BB459_21 Depth=2
	s_or_b32 exec_lo, exec_lo, s6
	ds_bpermute_b32 v42, v49, v43
	s_wait_dscnt 0x0
	s_barrier_signal -1
	s_barrier_wait -1
	v_add_f32_e32 v42, v43, v42
	ds_bpermute_b32 v43, v51, v42
	s_wait_dscnt 0x0
	v_add_f32_e32 v42, v42, v43
	ds_bpermute_b32 v43, v52, v42
	s_wait_dscnt 0x0
	v_add_f32_e32 v42, v42, v43
	ds_bpermute_b32 v43, v53, v42
	s_wait_dscnt 0x0
	v_add_f32_e32 v42, v42, v43
	ds_bpermute_b32 v43, v54, v42
	s_and_saveexec_b32 s6, s3
	s_cbranch_execz .LBB459_33
; %bb.32:                               ;   in Loop: Header=BB459_21 Depth=2
	s_wait_dscnt 0x0
	v_add_f32_e32 v42, v42, v43
	ds_store_b32 v47, v42
.LBB459_33:                             ;   in Loop: Header=BB459_21 Depth=2
	s_or_b32 exec_lo, exec_lo, s6
	v_mov_b32_e32 v42, 0
	s_wait_dscnt 0x0
	s_barrier_signal -1
	s_barrier_wait -1
	s_and_saveexec_b32 s6, s2
	s_cbranch_execnz .LBB459_58
; %bb.34:                               ;   in Loop: Header=BB459_21 Depth=2
	s_or_b32 exec_lo, exec_lo, s6
	s_and_saveexec_b32 s6, s1
	s_cbranch_execnz .LBB459_59
.LBB459_35:                             ;   in Loop: Header=BB459_21 Depth=2
	s_or_b32 exec_lo, exec_lo, s6
	s_and_saveexec_b32 s6, s1
.LBB459_36:                             ;   in Loop: Header=BB459_21 Depth=2
	ds_store_b32 v46, v0
.LBB459_37:                             ;   in Loop: Header=BB459_21 Depth=2
	s_or_b32 exec_lo, exec_lo, s6
	ds_bpermute_b32 v43, v49, v40
	s_wait_dscnt 0x0
	s_barrier_signal -1
	s_barrier_wait -1
	v_add_f32_e32 v40, v40, v43
	ds_bpermute_b32 v43, v51, v40
	s_wait_dscnt 0x0
	v_add_f32_e32 v40, v40, v43
	ds_bpermute_b32 v43, v52, v40
	s_wait_dscnt 0x0
	;; [unrolled: 3-line block ×3, first 2 shown]
	v_add_f32_e32 v40, v40, v43
	ds_bpermute_b32 v43, v54, v40
	s_and_saveexec_b32 s6, s3
	s_cbranch_execz .LBB459_39
; %bb.38:                               ;   in Loop: Header=BB459_21 Depth=2
	s_wait_dscnt 0x0
	v_add_f32_e32 v40, v40, v43
	ds_store_b32 v47, v40
.LBB459_39:                             ;   in Loop: Header=BB459_21 Depth=2
	s_or_b32 exec_lo, exec_lo, s6
	v_mov_b32_e32 v40, 0
	s_wait_dscnt 0x0
	s_barrier_signal -1
	s_barrier_wait -1
	s_and_saveexec_b32 s6, s2
	s_cbranch_execnz .LBB459_60
; %bb.40:                               ;   in Loop: Header=BB459_21 Depth=2
	s_or_b32 exec_lo, exec_lo, s6
	s_and_saveexec_b32 s6, s1
	s_cbranch_execnz .LBB459_61
.LBB459_41:                             ;   in Loop: Header=BB459_21 Depth=2
	s_or_b32 exec_lo, exec_lo, s6
	s_and_saveexec_b32 s6, s1
.LBB459_42:                             ;   in Loop: Header=BB459_21 Depth=2
	ds_store_b32 v46, v0
.LBB459_43:                             ;   in Loop: Header=BB459_21 Depth=2
	s_or_b32 exec_lo, exec_lo, s6
	ds_bpermute_b32 v43, v49, v41
	s_wait_dscnt 0x0
	s_barrier_signal -1
	s_barrier_wait -1
	v_add_f32_e32 v41, v41, v43
	ds_bpermute_b32 v43, v51, v41
	s_wait_dscnt 0x0
	v_add_f32_e32 v41, v41, v43
	ds_bpermute_b32 v43, v52, v41
	s_wait_dscnt 0x0
	;; [unrolled: 3-line block ×3, first 2 shown]
	v_add_f32_e32 v41, v41, v43
	ds_bpermute_b32 v43, v54, v41
	s_and_saveexec_b32 s6, s3
	s_cbranch_execz .LBB459_45
; %bb.44:                               ;   in Loop: Header=BB459_21 Depth=2
	s_wait_dscnt 0x0
	v_add_f32_e32 v41, v41, v43
	ds_store_b32 v47, v41
.LBB459_45:                             ;   in Loop: Header=BB459_21 Depth=2
	s_or_b32 exec_lo, exec_lo, s6
	v_mov_b32_e32 v41, 0
	s_wait_dscnt 0x0
	s_barrier_signal -1
	s_barrier_wait -1
	s_and_saveexec_b32 s6, s2
	s_cbranch_execnz .LBB459_62
; %bb.46:                               ;   in Loop: Header=BB459_21 Depth=2
	s_or_b32 exec_lo, exec_lo, s6
	s_and_saveexec_b32 s6, s1
	s_cbranch_execnz .LBB459_63
.LBB459_47:                             ;   in Loop: Header=BB459_21 Depth=2
	s_or_b32 exec_lo, exec_lo, s6
	s_and_saveexec_b32 s6, s0
	s_cbranch_execz .LBB459_20
	s_branch .LBB459_64
.LBB459_48:                             ;   in Loop: Header=BB459_21 Depth=2
	s_mul_u64 s[8:9], s[24:25], s[26:27]
	s_or_b32 s70, s24, 3
	v_lshl_add_u64 v[2:3], s[8:9], 1, v[24:25]
	s_or_b32 s8, s24, 2
	s_mov_b32 s9, s25
	s_mov_b32 s71, s25
	s_mul_u64 s[8:9], s[8:9], s[26:27]
	s_or_b32 s68, s24, 1
	v_lshl_add_u64 v[4:5], s[8:9], 1, v[24:25]
	s_mul_u64 s[8:9], s[70:71], s[26:27]
	s_mov_b32 s69, s25
	s_clause 0x3
	flat_load_u16 v1, v[26:27]
	flat_load_u16 v55, v[28:29]
	;; [unrolled: 1-line block ×4, first 2 shown]
	s_wait_dscnt 0x4
	s_clause 0x1
	flat_load_b64 v[40:41], v[2:3]
	flat_load_b64 v[4:5], v[4:5]
	s_wait_xcnt 0x1
	v_lshl_add_u64 v[2:3], s[8:9], 1, v[24:25]
	s_mul_u64 s[8:9], s[68:69], s[26:27]
	s_delay_alu instid0(SALU_CYCLE_1)
	v_lshl_add_u64 v[42:43], s[8:9], 1, v[24:25]
	s_clause 0x1
	flat_load_b64 v[44:45], v[2:3]
	flat_load_b64 v[42:43], v[42:43]
	s_wait_loadcnt_dscnt 0x707
	s_wait_xcnt 0x1
	v_cvt_f32_f16_e32 v2, v1
	s_wait_loadcnt_dscnt 0x606
	v_cvt_f32_f16_e32 v57, v55
	s_wait_loadcnt_dscnt 0x505
	;; [unrolled: 2-line block ×4, first 2 shown]
	v_dual_lshrrev_b32 v1, 16, v40 :: v_dual_lshrrev_b32 v55, 16, v41
	s_wait_loadcnt_dscnt 0x202
	v_dual_lshrrev_b32 v61, 16, v4 :: v_dual_lshrrev_b32 v63, 16, v5
	v_cvt_f32_f16_e32 v70, v5
	v_cvt_f32_f16_e32 v65, v4
	;; [unrolled: 1-line block ×4, first 2 shown]
	s_wait_loadcnt_dscnt 0x101
	v_dual_lshrrev_b32 v3, 16, v44 :: v_dual_lshrrev_b32 v5, 16, v45
	v_cvt_f32_f16_e32 v56, v44
	v_cvt_f32_f16_e32 v58, v45
	s_wait_loadcnt_dscnt 0x0
	v_lshrrev_b32_e32 v69, 16, v42
	v_cvt_f32_f16_e32 v3, v3
	v_cvt_f32_f16_e32 v67, v42
	;; [unrolled: 1-line block ×3, first 2 shown]
	s_wait_xcnt 0x0
	v_lshrrev_b32_e32 v43, 16, v43
	v_cvt_f32_f16_e32 v4, v1
	v_pk_mul_f32 v[44:45], v[56:57], v[2:3]
	v_cvt_f32_f16_e32 v1, v61
	v_mul_f32_e32 v68, v2, v65
	v_cvt_f32_f16_e32 v61, v5
	v_cvt_f32_f16_e32 v5, v69
	v_dual_mov_b32 v69, v44 :: v_dual_mov_b32 v3, v57
	v_dual_mul_f32 v44, v57, v1 :: v_dual_mov_b32 v62, v57
	v_mov_b32_e32 v64, v59
	v_pk_mul_f32 v[56:57], v[58:59], v[60:61]
	s_delay_alu instid0(VALU_DEP_4)
	v_pk_add_f32 v[68:69], v[68:69], 0 op_sel_hi:[1,0]
	v_pk_fma_f32 v[66:67], v[2:3], v[66:67], 0 op_sel_hi:[0,1,0]
	v_cvt_f32_f16_e32 v1, v63
	v_mul_f32_e32 v70, v60, v70
	v_mov_b32_e32 v71, v56
	v_pk_add_f32 v[44:45], v[68:69], v[44:45]
	v_pk_fma_f32 v[4:5], v[62:63], v[4:5], v[66:67] op_sel_hi:[0,1,1]
	v_cvt_f32_f16_e32 v42, v55
	v_cvt_f32_f16_e32 v43, v43
	v_mul_f32_e32 v56, v59, v1
	s_delay_alu instid0(VALU_DEP_4) | instskip(SKIP_3) | instid1(VALU_DEP_4)
	v_pk_fma_f32 v[62:63], v[60:61], v[40:41], v[4:5] op_sel_hi:[0,1,1]
	v_mov_b32_e32 v4, v60
	v_pk_add_f32 v[44:45], v[44:45], v[70:71]
	v_mov_b32_e32 v5, v59
	v_pk_fma_f32 v[42:43], v[64:65], v[42:43], v[62:63] op_sel_hi:[0,1,1]
	s_delay_alu instid0(VALU_DEP_3)
	v_pk_add_f32 v[40:41], v[44:45], v[56:57]
	s_and_not1_saveexec_b32 s11, s6
	s_cbranch_execz .LBB459_23
.LBB459_49:                             ;   in Loop: Header=BB459_21 Depth=2
	s_wait_dscnt 0x0
	v_dual_mov_b32 v41, 0 :: v_dual_mov_b32 v40, 0
	v_dual_mov_b32 v43, 0 :: v_dual_mov_b32 v42, 0
	s_and_saveexec_b32 s67, s5
	s_cbranch_execz .LBB459_66
; %bb.50:                               ;   in Loop: Header=BB459_21 Depth=2
	s_and_not1_b32 vcc_lo, exec_lo, s64
	s_cbranch_vccnz .LBB459_53
; %bb.51:                               ;   in Loop: Header=BB459_21 Depth=2
	v_mov_b64_e32 v[40:41], v[36:37]
	s_mov_b64 s[8:9], 0
.LBB459_52:                             ;   Parent Loop BB459_3 Depth=1
                                        ;     Parent Loop BB459_21 Depth=2
                                        ; =>    This Inner Loop Header: Depth=3
	flat_load_u16 v1, v[40:41]
	s_cmp_eq_u32 s8, 3
	s_wait_xcnt 0x0
	v_add_nc_u64_e32 v[40:41], s[48:49], v[40:41]
	s_cselect_b32 vcc_lo, -1, 0
	s_cmp_eq_u32 s8, 2
	s_cselect_b32 s6, -1, 0
	s_cmp_eq_u32 s8, 1
	s_cselect_b32 s7, -1, 0
	s_cmp_eq_u32 s8, 0
	s_add_nc_u64 s[8:9], s[8:9], 1
	s_wait_loadcnt_dscnt 0x0
	v_cvt_f32_f16_e32 v1, v1
	s_delay_alu instid0(VALU_DEP_1) | instskip(SKIP_1) | instid1(SALU_CYCLE_1)
	v_dual_cndmask_b32 v5, v5, v1, vcc_lo :: v_dual_cndmask_b32 v4, v4, v1, s6
	s_cselect_b32 vcc_lo, -1, 0
	v_dual_cndmask_b32 v3, v3, v1, s7 :: v_dual_cndmask_b32 v2, v2, v1, vcc_lo
	s_cmp_eq_u32 s62, s8
	s_cbranch_scc0 .LBB459_52
.LBB459_53:                             ;   in Loop: Header=BB459_21 Depth=2
	s_and_not1_b32 vcc_lo, exec_lo, s64
	s_cbranch_vccnz .LBB459_65
; %bb.54:                               ;   in Loop: Header=BB459_21 Depth=2
	v_mov_b32_e32 v42, 0
	v_mov_b64_e32 v[44:45], v[38:39]
	s_mov_b64 s[6:7], 0
	s_delay_alu instid0(VALU_DEP_2)
	v_dual_mov_b32 v43, v42 :: v_dual_mov_b32 v40, v42
	v_mov_b32_e32 v41, v42
.LBB459_55:                             ;   Parent Loop BB459_3 Depth=1
                                        ;     Parent Loop BB459_21 Depth=2
                                        ; =>    This Inner Loop Header: Depth=3
	s_delay_alu instid0(VALU_DEP_3)
	v_add_nc_u64_e32 v[56:57], s[38:39], v[44:45]
	v_add_nc_u64_e32 v[58:59], s[52:53], v[44:45]
	;; [unrolled: 1-line block ×3, first 2 shown]
	s_cmp_eq_u32 s6, 1
	s_clause 0x3
	flat_load_u16 v1, v[44:45]
	flat_load_u16 v55, v[56:57]
	;; [unrolled: 1-line block ×4, first 2 shown]
	s_cselect_b32 vcc_lo, -1, 0
	s_cmp_eq_u32 s6, 2
	v_cndmask_b32_e32 v56, v2, v3, vcc_lo
	s_cselect_b32 vcc_lo, -1, 0
	s_cmp_eq_u32 s6, 3
	v_add_nc_u64_e32 v[44:45], 2, v[44:45]
	s_add_nc_u64 s[6:7], s[6:7], 1
	v_cndmask_b32_e32 v56, v56, v4, vcc_lo
	s_cselect_b32 vcc_lo, -1, 0
	s_cmp_lg_u32 s62, s6
	s_delay_alu instid0(VALU_DEP_1)
	v_cndmask_b32_e32 v56, v56, v5, vcc_lo
	s_wait_loadcnt_dscnt 0x303
	v_cvt_f32_f16_e32 v58, v1
	s_wait_loadcnt_dscnt 0x202
	s_wait_xcnt 0x0
	v_cvt_f32_f16_e32 v61, v55
	s_wait_loadcnt_dscnt 0x101
	v_cvt_f32_f16_e32 v60, v57
	s_wait_loadcnt_dscnt 0x0
	v_cvt_f32_f16_e32 v59, v59
	s_delay_alu instid0(VALU_DEP_2) | instskip(NEXT) | instid1(VALU_DEP_2)
	v_pk_fma_f32 v[40:41], v[56:57], v[60:61], v[40:41] op_sel_hi:[0,1,1]
	v_pk_fma_f32 v[42:43], v[56:57], v[58:59], v[42:43] op_sel_hi:[0,1,1]
	s_cbranch_scc1 .LBB459_55
	s_branch .LBB459_66
.LBB459_56:                             ;   in Loop: Header=BB459_21 Depth=2
	ds_load_b32 v1, v46
	s_or_b32 exec_lo, exec_lo, s6
	s_and_saveexec_b32 s6, s1
	s_cbranch_execz .LBB459_29
.LBB459_57:                             ;   in Loop: Header=BB459_21 Depth=2
	s_wait_dscnt 0x0
	ds_bpermute_b32 v42, v52, v1
	s_wait_dscnt 0x0
	v_add_f32_e32 v1, v1, v42
	ds_bpermute_b32 v42, v53, v1
	s_wait_dscnt 0x0
	v_add_f32_e32 v1, v1, v42
	;; [unrolled: 3-line block ×3, first 2 shown]
	s_or_b32 exec_lo, exec_lo, s6
	s_and_saveexec_b32 s6, s1
	s_cbranch_execnz .LBB459_30
	s_branch .LBB459_31
.LBB459_58:                             ;   in Loop: Header=BB459_21 Depth=2
	ds_load_b32 v42, v46
	s_or_b32 exec_lo, exec_lo, s6
	s_and_saveexec_b32 s6, s1
	s_cbranch_execz .LBB459_35
.LBB459_59:                             ;   in Loop: Header=BB459_21 Depth=2
	s_wait_dscnt 0x0
	ds_bpermute_b32 v43, v52, v42
	s_wait_dscnt 0x0
	v_add_f32_e32 v42, v42, v43
	ds_bpermute_b32 v43, v53, v42
	s_wait_dscnt 0x0
	v_add_f32_e32 v42, v42, v43
	;; [unrolled: 3-line block ×3, first 2 shown]
	s_or_b32 exec_lo, exec_lo, s6
	s_and_saveexec_b32 s6, s1
	s_cbranch_execnz .LBB459_36
	s_branch .LBB459_37
.LBB459_60:                             ;   in Loop: Header=BB459_21 Depth=2
	ds_load_b32 v40, v46
	s_or_b32 exec_lo, exec_lo, s6
	s_and_saveexec_b32 s6, s1
	s_cbranch_execz .LBB459_41
.LBB459_61:                             ;   in Loop: Header=BB459_21 Depth=2
	s_wait_dscnt 0x0
	ds_bpermute_b32 v43, v52, v40
	s_wait_dscnt 0x0
	v_add_f32_e32 v40, v40, v43
	ds_bpermute_b32 v43, v53, v40
	s_wait_dscnt 0x0
	v_add_f32_e32 v40, v40, v43
	;; [unrolled: 3-line block ×3, first 2 shown]
	s_or_b32 exec_lo, exec_lo, s6
	s_and_saveexec_b32 s6, s1
	s_cbranch_execnz .LBB459_42
	s_branch .LBB459_43
.LBB459_62:                             ;   in Loop: Header=BB459_21 Depth=2
	ds_load_b32 v41, v46
	s_or_b32 exec_lo, exec_lo, s6
	s_and_saveexec_b32 s6, s1
	s_cbranch_execz .LBB459_47
.LBB459_63:                             ;   in Loop: Header=BB459_21 Depth=2
	s_wait_dscnt 0x0
	ds_bpermute_b32 v43, v52, v41
	s_wait_dscnt 0x0
	v_add_f32_e32 v41, v41, v43
	ds_bpermute_b32 v43, v53, v41
	s_wait_dscnt 0x0
	v_add_f32_e32 v41, v41, v43
	;; [unrolled: 3-line block ×3, first 2 shown]
	s_or_b32 exec_lo, exec_lo, s6
	s_and_saveexec_b32 s6, s0
	s_cbranch_execz .LBB459_20
.LBB459_64:                             ;   in Loop: Header=BB459_21 Depth=2
	s_or_b32 s68, s24, 1
	s_mov_b32 s69, s25
	s_mul_u64 s[8:9], s[24:25], s[30:31]
	v_dual_mul_f32 v1, v50, v1 :: v_dual_mul_f32 v42, v50, v42
	s_mul_u64 s[68:69], s[68:69], s[30:31]
	s_lshl_b64 s[8:9], s[8:9], 2
	s_lshl_b64 s[68:69], s[68:69], 2
	s_add_nc_u64 s[8:9], s[58:59], s[8:9]
	s_add_nc_u64 s[68:69], s[58:59], s[68:69]
	s_clause 0x1
	global_store_b32 v0, v1, s[8:9]
	global_store_b32 v0, v42, s[68:69]
	s_wait_xcnt 0x1
	s_or_b32 s8, s24, 2
	s_mov_b32 s9, s25
	s_wait_xcnt 0x0
	s_or_b32 s68, s24, 3
	s_mov_b32 s69, s25
	s_mul_u64 s[8:9], s[8:9], s[30:31]
	s_wait_dscnt 0x0
	v_dual_mul_f32 v1, v50, v40 :: v_dual_mul_f32 v40, v50, v41
	s_mul_u64 s[68:69], s[68:69], s[30:31]
	s_lshl_b64 s[8:9], s[8:9], 2
	s_lshl_b64 s[68:69], s[68:69], 2
	s_add_nc_u64 s[8:9], s[58:59], s[8:9]
	s_add_nc_u64 s[68:69], s[58:59], s[68:69]
	s_clause 0x1
	global_store_b32 v0, v1, s[8:9]
	global_store_b32 v0, v40, s[68:69]
	s_branch .LBB459_20
.LBB459_65:                             ;   in Loop: Header=BB459_21 Depth=2
	v_mov_b32_e32 v41, 0
	s_delay_alu instid0(VALU_DEP_1)
	v_dual_mov_b32 v40, v41 :: v_dual_mov_b32 v43, v41
	v_mov_b32_e32 v42, v41
.LBB459_66:                             ;   in Loop: Header=BB459_21 Depth=2
	s_or_b32 exec_lo, exec_lo, s67
	s_delay_alu instid0(SALU_CYCLE_1)
	s_or_b32 exec_lo, exec_lo, s11
	s_and_saveexec_b32 s6, s1
	s_cbranch_execnz .LBB459_24
	s_branch .LBB459_25
.LBB459_67:                             ;   in Loop: Header=BB459_3 Depth=1
	v_dual_mov_b32 v1, v0 :: v_dual_mov_b32 v2, v0
	v_mov_b32_e32 v3, v0
	s_mov_b32 s24, 0
	s_delay_alu instid0(VALU_DEP_1) | instskip(NEXT) | instid1(VALU_DEP_3)
	v_mov_b64_e32 v[4:5], v[2:3]
	v_mov_b64_e32 v[2:3], v[0:1]
.LBB459_68:                             ;   in Loop: Header=BB459_3 Depth=1
	s_cmp_ge_i32 s24, s29
	s_cbranch_scc1 .LBB459_2
; %bb.69:                               ;   in Loop: Header=BB459_3 Depth=1
	v_cmp_gt_u32_e32 vcc_lo, 24, v48
	v_add_nc_u64_e32 v[6:7], v[6:7], v[18:19]
	v_cndmask_b32_e64 v1, 0, 8, vcc_lo
	v_cmp_gt_u32_e32 vcc_lo, 28, v48
	s_delay_alu instid0(VALU_DEP_3) | instskip(NEXT) | instid1(VALU_DEP_3)
	v_mad_nc_u64_u32 v[36:37], s56, s24, v[6:7]
	v_add_lshl_u32 v1, v1, v48, 2
	v_cndmask_b32_e64 v6, 0, 4, vcc_lo
	v_cmp_gt_u32_e32 vcc_lo, 30, v48
	s_delay_alu instid0(VALU_DEP_2) | instskip(SKIP_3) | instid1(VALU_DEP_3)
	v_add_lshl_u32 v7, v6, v48, 2
	v_cndmask_b32_e64 v38, 0, 2, vcc_lo
	v_cmp_ne_u32_e32 vcc_lo, 31, v48
	v_mad_u32 v37, s57, s24, v37
	v_add_lshl_u32 v40, v38, v48, 2
	v_add_co_ci_u32_e64 v39, null, 0, v48, vcc_lo
	s_wait_dscnt 0x0
	s_delay_alu instid0(VALU_DEP_1)
	v_lshlrev_b32_e32 v41, 2, v39
	s_branch .LBB459_71
.LBB459_70:                             ;   in Loop: Header=BB459_71 Depth=2
	s_wait_xcnt 0x0
	s_or_b32 exec_lo, exec_lo, s6
	v_add_nc_u64_e32 v[36:37], s[56:57], v[36:37]
	s_add_co_i32 s24, s24, 1
	s_delay_alu instid0(SALU_CYCLE_1)
	s_cmp_ge_i32 s24, s29
	s_cbranch_scc1 .LBB459_2
.LBB459_71:                             ;   Parent Loop BB459_3 Depth=1
                                        ; =>  This Loop Header: Depth=2
                                        ;       Child Loop BB459_84 Depth 3
                                        ;       Child Loop BB459_87 Depth 3
	s_wait_dscnt 0x0
	v_mov_b32_e32 v6, s25
	s_and_saveexec_b32 s6, s4
	s_delay_alu instid0(SALU_CYCLE_1)
	s_xor_b32 s6, exec_lo, s6
	s_cbranch_execnz .LBB459_80
; %bb.72:                               ;   in Loop: Header=BB459_71 Depth=2
	s_and_not1_saveexec_b32 s11, s6
	s_cbranch_execnz .LBB459_81
.LBB459_73:                             ;   in Loop: Header=BB459_71 Depth=2
	s_or_b32 exec_lo, exec_lo, s11
	s_and_saveexec_b32 s6, s1
.LBB459_74:                             ;   in Loop: Header=BB459_71 Depth=2
	ds_store_b32 v46, v0
.LBB459_75:                             ;   in Loop: Header=BB459_71 Depth=2
	s_or_b32 exec_lo, exec_lo, s6
	ds_bpermute_b32 v38, v49, v6
	s_wait_storecnt_dscnt 0x0
	s_barrier_signal -1
	s_barrier_wait -1
	v_add_f32_e32 v6, v6, v38
	ds_bpermute_b32 v38, v1, v6
	s_wait_dscnt 0x0
	v_add_f32_e32 v6, v6, v38
	ds_bpermute_b32 v38, v7, v6
	s_wait_dscnt 0x0
	v_add_f32_e32 v6, v6, v38
	ds_bpermute_b32 v38, v40, v6
	s_wait_dscnt 0x0
	v_add_f32_e32 v6, v6, v38
	ds_bpermute_b32 v38, v41, v6
	s_and_saveexec_b32 s6, s3
	s_cbranch_execz .LBB459_77
; %bb.76:                               ;   in Loop: Header=BB459_71 Depth=2
	s_wait_dscnt 0x0
	v_add_f32_e32 v6, v6, v38
	ds_store_b32 v47, v6
.LBB459_77:                             ;   in Loop: Header=BB459_71 Depth=2
	s_or_b32 exec_lo, exec_lo, s6
	v_mov_b32_e32 v6, 0
	s_wait_dscnt 0x0
	s_barrier_signal -1
	s_barrier_wait -1
	s_and_saveexec_b32 s6, s2
	s_cbranch_execnz .LBB459_89
; %bb.78:                               ;   in Loop: Header=BB459_71 Depth=2
	s_or_b32 exec_lo, exec_lo, s6
	s_and_saveexec_b32 s6, s1
	s_cbranch_execnz .LBB459_90
.LBB459_79:                             ;   in Loop: Header=BB459_71 Depth=2
	s_or_b32 exec_lo, exec_lo, s6
	s_and_saveexec_b32 s6, s0
	s_cbranch_execz .LBB459_70
	s_branch .LBB459_91
.LBB459_80:                             ;   in Loop: Header=BB459_71 Depth=2
	s_mul_u64 s[8:9], s[24:25], s[26:27]
	s_delay_alu instid0(SALU_CYCLE_1)
	v_lshl_add_u64 v[2:3], s[8:9], 1, v[24:25]
	flat_load_b64 v[38:39], v[2:3]
	s_clause 0x3
	flat_load_u16 v2, v[28:29]
	flat_load_u16 v4, v[26:27]
	;; [unrolled: 1-line block ×4, first 2 shown]
	s_wait_loadcnt_dscnt 0x404
	v_dual_lshrrev_b32 v5, 16, v38 :: v_dual_lshrrev_b32 v45, 16, v39
	s_wait_loadcnt_dscnt 0x303
	v_cvt_f32_f16_e32 v3, v2
	s_wait_loadcnt_dscnt 0x202
	v_cvt_f32_f16_e32 v2, v4
	v_cvt_f32_f16_e32 v4, v38
	;; [unrolled: 1-line block ×5, first 2 shown]
	s_delay_alu instid0(VALU_DEP_3)
	v_pk_mul_f32 v[42:43], v[2:3], v[4:5]
	s_wait_loadcnt_dscnt 0x101
	v_cvt_f32_f16_e32 v5, v6
	s_wait_loadcnt_dscnt 0x0
	v_cvt_f32_f16_e32 v4, v44
	v_add_f32_e32 v6, 0, v42
	s_delay_alu instid0(VALU_DEP_2) | instskip(NEXT) | instid1(VALU_DEP_2)
	v_pk_mul_f32 v[38:39], v[4:5], v[38:39]
	v_add_f32_e32 v6, v6, v43
	s_delay_alu instid0(VALU_DEP_1) | instskip(NEXT) | instid1(VALU_DEP_1)
	v_add_f32_e32 v6, v6, v38
	v_add_f32_e32 v6, v6, v39
	s_wait_xcnt 0x0
	s_and_not1_saveexec_b32 s11, s6
	s_cbranch_execz .LBB459_73
.LBB459_81:                             ;   in Loop: Header=BB459_71 Depth=2
	s_and_saveexec_b32 s67, s5
	s_cbranch_execz .LBB459_88
; %bb.82:                               ;   in Loop: Header=BB459_71 Depth=2
	s_and_not1_b32 vcc_lo, exec_lo, s64
	s_cbranch_vccnz .LBB459_85
; %bb.83:                               ;   in Loop: Header=BB459_71 Depth=2
	v_mov_b64_e32 v[38:39], v[34:35]
	s_mov_b64 s[8:9], 0
.LBB459_84:                             ;   Parent Loop BB459_3 Depth=1
                                        ;     Parent Loop BB459_71 Depth=2
                                        ; =>    This Inner Loop Header: Depth=3
	flat_load_u16 v42, v[38:39]
	s_cmp_eq_u32 s8, 3
	s_wait_xcnt 0x0
	v_add_nc_u64_e32 v[38:39], s[48:49], v[38:39]
	s_cselect_b32 vcc_lo, -1, 0
	s_cmp_eq_u32 s8, 2
	s_cselect_b32 s6, -1, 0
	s_cmp_eq_u32 s8, 1
	s_cselect_b32 s7, -1, 0
	s_cmp_eq_u32 s8, 0
	s_add_nc_u64 s[8:9], s[8:9], 1
	s_wait_loadcnt_dscnt 0x0
	v_cvt_f32_f16_e32 v42, v42
	s_delay_alu instid0(VALU_DEP_1) | instskip(SKIP_1) | instid1(SALU_CYCLE_1)
	v_dual_cndmask_b32 v5, v5, v42, vcc_lo :: v_dual_cndmask_b32 v4, v4, v42, s6
	s_cselect_b32 vcc_lo, -1, 0
	v_dual_cndmask_b32 v3, v3, v42, s7 :: v_dual_cndmask_b32 v2, v2, v42, vcc_lo
	s_cmp_eq_u32 s62, s8
	s_cbranch_scc0 .LBB459_84
.LBB459_85:                             ;   in Loop: Header=BB459_71 Depth=2
	s_and_not1_b32 vcc_lo, exec_lo, s64
	s_cbranch_vccnz .LBB459_88
; %bb.86:                               ;   in Loop: Header=BB459_71 Depth=2
	v_mov_b64_e32 v[38:39], v[36:37]
	s_mov_b64 s[6:7], 0
.LBB459_87:                             ;   Parent Loop BB459_3 Depth=1
                                        ;     Parent Loop BB459_71 Depth=2
                                        ; =>    This Inner Loop Header: Depth=3
	flat_load_u16 v42, v[38:39]
	s_cmp_eq_u32 s6, 1
	s_wait_xcnt 0x0
	v_add_nc_u64_e32 v[38:39], 2, v[38:39]
	s_cselect_b32 vcc_lo, -1, 0
	s_cmp_eq_u32 s6, 2
	v_cndmask_b32_e32 v43, v2, v3, vcc_lo
	s_cselect_b32 vcc_lo, -1, 0
	s_cmp_eq_u32 s6, 3
	s_add_nc_u64 s[6:7], s[6:7], 1
	s_delay_alu instid0(VALU_DEP_1) | instskip(SKIP_2) | instid1(VALU_DEP_1)
	v_cndmask_b32_e32 v43, v43, v4, vcc_lo
	s_cselect_b32 vcc_lo, -1, 0
	s_cmp_lg_u32 s62, s6
	v_cndmask_b32_e32 v43, v43, v5, vcc_lo
	s_wait_loadcnt_dscnt 0x0
	s_delay_alu instid0(VALU_DEP_1)
	v_fma_mix_f32 v6, v43, v42, v6 op_sel_hi:[0,1,0]
	s_cbranch_scc1 .LBB459_87
.LBB459_88:                             ;   in Loop: Header=BB459_71 Depth=2
	s_or_b32 exec_lo, exec_lo, s67
	s_delay_alu instid0(SALU_CYCLE_1)
	s_or_b32 exec_lo, exec_lo, s11
	s_and_saveexec_b32 s6, s1
	s_cbranch_execnz .LBB459_74
	s_branch .LBB459_75
.LBB459_89:                             ;   in Loop: Header=BB459_71 Depth=2
	ds_load_b32 v6, v46
	s_or_b32 exec_lo, exec_lo, s6
	s_and_saveexec_b32 s6, s1
	s_cbranch_execz .LBB459_79
.LBB459_90:                             ;   in Loop: Header=BB459_71 Depth=2
	s_wait_dscnt 0x0
	ds_bpermute_b32 v38, v7, v6
	s_wait_dscnt 0x0
	v_add_f32_e32 v6, v6, v38
	ds_bpermute_b32 v38, v40, v6
	s_wait_dscnt 0x0
	v_add_f32_e32 v6, v6, v38
	;; [unrolled: 3-line block ×3, first 2 shown]
	s_or_b32 exec_lo, exec_lo, s6
	s_and_saveexec_b32 s6, s0
	s_cbranch_execz .LBB459_70
.LBB459_91:                             ;   in Loop: Header=BB459_71 Depth=2
	s_mul_u64 s[8:9], s[24:25], s[30:31]
	s_wait_dscnt 0x0
	v_mul_f32_e32 v6, v50, v6
	s_lshl_b64 s[8:9], s[8:9], 2
	s_delay_alu instid0(SALU_CYCLE_1)
	s_add_nc_u64 s[8:9], s[58:59], s[8:9]
	global_store_b32 v0, v6, s[8:9]
	s_branch .LBB459_70
.LBB459_92:
	s_sendmsg sendmsg(MSG_DEALLOC_VGPRS)
	s_endpgm
	.section	.rodata,"a",@progbits
	.p2align	6, 0x0
	.amdhsa_kernel _ZL23rocblas_gemvt_sn_kernelILb1ELi256ELi4ElPKDF16_PKffEviiT4_lPKT3_lilS7_lilPT5_i
		.amdhsa_group_segment_fixed_size 128
		.amdhsa_private_segment_fixed_size 0
		.amdhsa_kernarg_size 360
		.amdhsa_user_sgpr_count 2
		.amdhsa_user_sgpr_dispatch_ptr 0
		.amdhsa_user_sgpr_queue_ptr 0
		.amdhsa_user_sgpr_kernarg_segment_ptr 1
		.amdhsa_user_sgpr_dispatch_id 0
		.amdhsa_user_sgpr_kernarg_preload_length 0
		.amdhsa_user_sgpr_kernarg_preload_offset 0
		.amdhsa_user_sgpr_private_segment_size 0
		.amdhsa_wavefront_size32 1
		.amdhsa_uses_dynamic_stack 0
		.amdhsa_enable_private_segment 0
		.amdhsa_system_sgpr_workgroup_id_x 1
		.amdhsa_system_sgpr_workgroup_id_y 0
		.amdhsa_system_sgpr_workgroup_id_z 1
		.amdhsa_system_sgpr_workgroup_info 0
		.amdhsa_system_vgpr_workitem_id 0
		.amdhsa_next_free_vgpr 72
		.amdhsa_next_free_sgpr 72
		.amdhsa_named_barrier_count 0
		.amdhsa_reserve_vcc 1
		.amdhsa_float_round_mode_32 0
		.amdhsa_float_round_mode_16_64 0
		.amdhsa_float_denorm_mode_32 3
		.amdhsa_float_denorm_mode_16_64 3
		.amdhsa_fp16_overflow 0
		.amdhsa_memory_ordered 1
		.amdhsa_forward_progress 1
		.amdhsa_inst_pref_size 33
		.amdhsa_round_robin_scheduling 0
		.amdhsa_exception_fp_ieee_invalid_op 0
		.amdhsa_exception_fp_denorm_src 0
		.amdhsa_exception_fp_ieee_div_zero 0
		.amdhsa_exception_fp_ieee_overflow 0
		.amdhsa_exception_fp_ieee_underflow 0
		.amdhsa_exception_fp_ieee_inexact 0
		.amdhsa_exception_int_div_zero 0
	.end_amdhsa_kernel
	.section	.text._ZL23rocblas_gemvt_sn_kernelILb1ELi256ELi4ElPKDF16_PKffEviiT4_lPKT3_lilS7_lilPT5_i,"axG",@progbits,_ZL23rocblas_gemvt_sn_kernelILb1ELi256ELi4ElPKDF16_PKffEviiT4_lPKT3_lilS7_lilPT5_i,comdat
.Lfunc_end459:
	.size	_ZL23rocblas_gemvt_sn_kernelILb1ELi256ELi4ElPKDF16_PKffEviiT4_lPKT3_lilS7_lilPT5_i, .Lfunc_end459-_ZL23rocblas_gemvt_sn_kernelILb1ELi256ELi4ElPKDF16_PKffEviiT4_lPKT3_lilS7_lilPT5_i
                                        ; -- End function
	.set _ZL23rocblas_gemvt_sn_kernelILb1ELi256ELi4ElPKDF16_PKffEviiT4_lPKT3_lilS7_lilPT5_i.num_vgpr, 72
	.set _ZL23rocblas_gemvt_sn_kernelILb1ELi256ELi4ElPKDF16_PKffEviiT4_lPKT3_lilS7_lilPT5_i.num_agpr, 0
	.set _ZL23rocblas_gemvt_sn_kernelILb1ELi256ELi4ElPKDF16_PKffEviiT4_lPKT3_lilS7_lilPT5_i.numbered_sgpr, 72
	.set _ZL23rocblas_gemvt_sn_kernelILb1ELi256ELi4ElPKDF16_PKffEviiT4_lPKT3_lilS7_lilPT5_i.num_named_barrier, 0
	.set _ZL23rocblas_gemvt_sn_kernelILb1ELi256ELi4ElPKDF16_PKffEviiT4_lPKT3_lilS7_lilPT5_i.private_seg_size, 0
	.set _ZL23rocblas_gemvt_sn_kernelILb1ELi256ELi4ElPKDF16_PKffEviiT4_lPKT3_lilS7_lilPT5_i.uses_vcc, 1
	.set _ZL23rocblas_gemvt_sn_kernelILb1ELi256ELi4ElPKDF16_PKffEviiT4_lPKT3_lilS7_lilPT5_i.uses_flat_scratch, 1
	.set _ZL23rocblas_gemvt_sn_kernelILb1ELi256ELi4ElPKDF16_PKffEviiT4_lPKT3_lilS7_lilPT5_i.has_dyn_sized_stack, 0
	.set _ZL23rocblas_gemvt_sn_kernelILb1ELi256ELi4ElPKDF16_PKffEviiT4_lPKT3_lilS7_lilPT5_i.has_recursion, 0
	.set _ZL23rocblas_gemvt_sn_kernelILb1ELi256ELi4ElPKDF16_PKffEviiT4_lPKT3_lilS7_lilPT5_i.has_indirect_call, 0
	.section	.AMDGPU.csdata,"",@progbits
; Kernel info:
; codeLenInByte = 4224
; TotalNumSgprs: 74
; NumVgprs: 72
; ScratchSize: 0
; MemoryBound: 0
; FloatMode: 240
; IeeeMode: 1
; LDSByteSize: 128 bytes/workgroup (compile time only)
; SGPRBlocks: 0
; VGPRBlocks: 4
; NumSGPRsForWavesPerEU: 74
; NumVGPRsForWavesPerEU: 72
; NamedBarCnt: 0
; Occupancy: 12
; WaveLimiterHint : 0
; COMPUTE_PGM_RSRC2:SCRATCH_EN: 0
; COMPUTE_PGM_RSRC2:USER_SGPR: 2
; COMPUTE_PGM_RSRC2:TRAP_HANDLER: 0
; COMPUTE_PGM_RSRC2:TGID_X_EN: 1
; COMPUTE_PGM_RSRC2:TGID_Y_EN: 0
; COMPUTE_PGM_RSRC2:TGID_Z_EN: 1
; COMPUTE_PGM_RSRC2:TIDIG_COMP_CNT: 0
	.section	.text._ZL23rocblas_gemvt_sn_kernelILb1ELi256ELi4EiPKDF16_ffEviiT4_lPKT3_lilS5_lilPT5_i,"axG",@progbits,_ZL23rocblas_gemvt_sn_kernelILb1ELi256ELi4EiPKDF16_ffEviiT4_lPKT3_lilS5_lilPT5_i,comdat
	.globl	_ZL23rocblas_gemvt_sn_kernelILb1ELi256ELi4EiPKDF16_ffEviiT4_lPKT3_lilS5_lilPT5_i ; -- Begin function _ZL23rocblas_gemvt_sn_kernelILb1ELi256ELi4EiPKDF16_ffEviiT4_lPKT3_lilS5_lilPT5_i
	.p2align	8
	.type	_ZL23rocblas_gemvt_sn_kernelILb1ELi256ELi4EiPKDF16_ffEviiT4_lPKT3_lilS5_lilPT5_i,@function
_ZL23rocblas_gemvt_sn_kernelILb1ELi256ELi4EiPKDF16_ffEviiT4_lPKT3_lilS5_lilPT5_i: ; @_ZL23rocblas_gemvt_sn_kernelILb1ELi256ELi4EiPKDF16_ffEviiT4_lPKT3_lilS5_lilPT5_i
; %bb.0:
	s_load_b32 s23, s[0:1], 0x60
	s_bfe_u32 s2, ttmp6, 0x40014
	s_lshr_b32 s3, ttmp7, 16
	s_add_co_i32 s2, s2, 1
	s_bfe_u32 s5, ttmp6, 0x40008
	s_mul_i32 s2, s3, s2
	s_getreg_b32 s4, hwreg(HW_REG_IB_STS2, 6, 4)
	s_add_co_i32 s5, s5, s2
	s_cmp_eq_u32 s4, 0
	s_mov_b32 s25, 0
	s_cselect_b32 s10, s3, s5
	s_wait_kmcnt 0x0
	s_cmp_ge_u32 s10, s23
	s_cbranch_scc1 .LBB460_94
; %bb.1:
	s_clause 0x6
	s_load_b96 s[20:22], s[0:1], 0x0
	s_load_b128 s[12:15], s[0:1], 0x18
	s_load_b32 s26, s[0:1], 0x28
	s_load_b128 s[16:19], s[0:1], 0x38
	s_load_b32 s33, s[0:1], 0x48
	s_load_b64 s[28:29], s[0:1], 0x58
	s_load_b32 s30, s[0:1], 0x68
	s_wait_xcnt 0x0
	v_cmp_eq_u32_e64 s0, 0, v0
	v_dual_lshrrev_b32 v2, 3, v0 :: v_dual_bitop2_b32 v1, 31, v0 bitop3:0x40
	v_cmp_gt_u32_e64 s1, 32, v0
	v_cmp_gt_u32_e64 s2, 8, v0
	v_mbcnt_lo_u32_b32 v40, -1, 0
	s_delay_alu instid0(VALU_DEP_4)
	v_cmp_eq_u32_e64 s3, 0, v1
	v_dual_lshlrev_b32 v38, 2, v1 :: v_dual_bitop2_b32 v39, 28, v2 bitop3:0x40
	v_mov_b64_e32 v[18:19], 0
	s_mov_b32 s35, s25
	v_lshl_or_b32 v41, v40, 2, 64
	s_mov_b32 s31, s25
	s_wait_kmcnt 0x0
	s_cmp_neq_f32 s22, 0
	s_mov_b32 s6, s21
	s_mov_b32 s27, s25
	;; [unrolled: 1-line block ×3, first 2 shown]
	s_cselect_b32 s62, -1, 0
	s_cmp_eq_f32 s22, 0
	s_cselect_b32 s63, -1, 0
	s_ashr_i32 s7, s21, 31
	s_cmp_gt_i32 s21, 0
	s_mul_u64 s[36:37], s[6:7], s[30:31]
	s_cselect_b32 s5, -1, 0
	s_bfe_u32 s8, ttmp6, 0x4000c
	s_and_b32 s9, ttmp6, 15
	s_add_co_i32 s8, s8, 1
	s_and_b32 s64, s0, s5
	s_mul_i32 s8, ttmp9, s8
	s_delay_alu instid0(SALU_CYCLE_1)
	s_add_co_i32 s9, s9, s8
	s_cmp_eq_u32 s4, 0
	s_cselect_b32 s34, ttmp9, s9
	s_ashr_i32 s5, s20, 31
	s_lshl_b32 s8, s34, 10
	s_lshr_b32 s5, s5, 30
	v_lshl_or_b32 v8, v0, 2, s8
	s_add_co_i32 s5, s20, s5
	s_lshr_b32 s4, s7, 30
	s_and_b32 s5, s5, -4
	s_add_co_i32 s4, s21, s4
	v_mul_lo_u32 v10, s33, v8
	s_sub_co_i32 s66, s20, s5
	s_and_b32 s65, s4, -4
	v_add_nc_u32_e32 v1, s66, v8
	s_cmp_gt_i32 s65, 0
	v_dual_ashrrev_i32 v9, 31, v8 :: v_dual_add_nc_u32 v0, 4, v8
	s_cselect_b32 s67, -1, 0
	s_cmp_gt_i32 s66, 0
	s_cselect_b32 s68, -1, 0
	s_delay_alu instid0(VALU_DEP_3)
	v_add_nc_u32_e32 v12, s33, v10
	s_cmp_gt_u32 s21, 1
	v_ashrrev_i32_e32 v11, 31, v10
	s_cselect_b32 s8, -1, 0
	s_cmp_eq_u32 s30, 1
	v_add_nc_u32_e32 v14, s33, v12
	s_cselect_b32 s9, -1, 0
	v_cmp_ge_i32_e64 s4, s20, v0
	v_cmp_ge_i32_e64 s5, s20, v1
	s_and_b32 s20, s21, 0x7ffffffe
	v_dual_add_nc_u32 v16, s33, v14 :: v_dual_ashrrev_i32 v13, 31, v12
	s_and_b32 s69, s8, s9
	s_cmp_lg_u32 s21, s20
	s_delay_alu instid0(VALU_DEP_1)
	v_dual_ashrrev_i32 v15, 31, v14 :: v_dual_ashrrev_i32 v17, 31, v16
	s_cselect_b32 s70, -1, 0
	s_lshl_b32 s24, s26, 1
	v_mov_b32_e32 v0, 0
	s_lshl_b64 s[38:39], s[34:35], 2
	s_mov_b64 s[48:49], s[24:25]
	s_mul_i32 s24, s26, 3
	s_lshl_b64 s[40:41], s[6:7], 2
	s_lshl_b64 s[42:43], s[30:31], 2
	s_lshl_b32 s44, s26, 2
	s_add_nc_u64 s[46:47], s[28:29], s[38:39]
	s_mov_b64 s[50:51], s[24:25]
	s_lshl_b64 s[14:15], s[14:15], 1
	s_lshl_b64 s[18:19], s[18:19], 1
	s_branch .LBB460_3
.LBB460_2:                              ;   in Loop: Header=BB460_3 Depth=1
	s_add_co_i32 s10, s10, 0x10000
	s_delay_alu instid0(SALU_CYCLE_1)
	s_cmp_lt_u32 s10, s23
	s_cbranch_scc0 .LBB460_94
.LBB460_3:                              ; =>This Loop Header: Depth=1
                                        ;     Child Loop BB460_11 Depth 2
                                        ;     Child Loop BB460_17 Depth 2
	;; [unrolled: 1-line block ×3, first 2 shown]
                                        ;       Child Loop BB460_54 Depth 3
                                        ;       Child Loop BB460_57 Depth 3
                                        ;     Child Loop BB460_73 Depth 2
                                        ;       Child Loop BB460_86 Depth 3
                                        ;       Child Loop BB460_89 Depth 3
	s_mov_b32 s11, s25
	s_and_not1_b32 vcc_lo, exec_lo, s63
	s_mov_b32 s6, -1
	s_cbranch_vccz .LBB460_13
; %bb.4:                                ;   in Loop: Header=BB460_3 Depth=1
	v_mov_b64_e32 v[20:21], 0
	v_mov_b64_e32 v[2:3], 0
	s_and_not1_b32 vcc_lo, exec_lo, s6
	s_cbranch_vccz .LBB460_14
.LBB460_5:                              ;   in Loop: Header=BB460_3 Depth=1
	s_and_not1_b32 vcc_lo, exec_lo, s62
	s_cbranch_vccnz .LBB460_7
.LBB460_6:                              ;   in Loop: Header=BB460_3 Depth=1
	s_wait_xcnt 0x0
	s_lshl_b64 s[6:7], s[10:11], 3
	s_delay_alu instid0(SALU_CYCLE_1)
	s_add_nc_u64 s[6:7], s[16:17], s[6:7]
	global_load_b64 v[4:5], v0, s[6:7]
	s_wait_loadcnt 0x0
	v_add_nc_u64_e32 v[20:21], s[18:19], v[4:5]
.LBB460_7:                              ;   in Loop: Header=BB460_3 Depth=1
	s_wait_xcnt 0x0
	s_mul_u64 s[6:7], s[36:37], s[10:11]
	s_and_not1_b32 vcc_lo, exec_lo, s63
	s_lshl_b64 s[6:7], s[6:7], 2
	s_delay_alu instid0(SALU_CYCLE_1)
	s_add_nc_u64 s[52:53], s[28:29], s[6:7]
	s_mov_b32 s6, -1
	s_cbranch_vccnz .LBB460_19
; %bb.8:                                ;   in Loop: Header=BB460_3 Depth=1
	s_and_saveexec_b32 s8, s64
	s_cbranch_execz .LBB460_18
; %bb.9:                                ;   in Loop: Header=BB460_3 Depth=1
	s_and_not1_b32 vcc_lo, exec_lo, s69
	s_cbranch_vccnz .LBB460_15
; %bb.10:                               ;   in Loop: Header=BB460_3 Depth=1
	s_add_nc_u64 s[6:7], s[52:53], s[38:39]
	s_mov_b32 s9, s20
.LBB460_11:                             ;   Parent Loop BB460_3 Depth=1
                                        ; =>  This Inner Loop Header: Depth=2
	s_delay_alu instid0(SALU_CYCLE_1)
	s_add_co_i32 s9, s9, -2
	global_store_b64 v0, v[18:19], s[6:7]
	s_wait_xcnt 0x0
	s_add_nc_u64 s[6:7], s[6:7], 8
	s_mov_b32 s24, s20
	s_cmp_lg_u32 s9, 0
	s_mov_b32 s35, s70
	s_cbranch_scc1 .LBB460_11
; %bb.12:                               ;   in Loop: Header=BB460_3 Depth=1
	s_and_b32 vcc_lo, exec_lo, s35
	s_cbranch_vccnz .LBB460_16
	s_branch .LBB460_18
.LBB460_13:                             ;   in Loop: Header=BB460_3 Depth=1
	v_mov_b64_e32 v[20:21], 0
	v_mov_b64_e32 v[2:3], 0
	s_cbranch_execnz .LBB460_5
.LBB460_14:                             ;   in Loop: Header=BB460_3 Depth=1
	s_lshl_b64 s[6:7], s[10:11], 3
	s_delay_alu instid0(SALU_CYCLE_1)
	s_add_nc_u64 s[6:7], s[12:13], s[6:7]
	global_load_b64 v[2:3], v0, s[6:7]
	s_wait_loadcnt 0x0
	v_add_nc_u64_e32 v[2:3], s[14:15], v[2:3]
	s_and_not1_b32 vcc_lo, exec_lo, s62
	s_cbranch_vccz .LBB460_6
	s_branch .LBB460_7
.LBB460_15:                             ;   in Loop: Header=BB460_3 Depth=1
	s_mov_b32 s24, 0
	s_cbranch_execz .LBB460_18
.LBB460_16:                             ;   in Loop: Header=BB460_3 Depth=1
	s_mul_u64 s[6:7], s[40:41], s[10:11]
	s_lshl_b64 s[54:55], s[24:25], 2
	s_sub_co_i32 s9, s21, s24
	s_add_nc_u64 s[6:7], s[6:7], s[54:55]
	s_delay_alu instid0(SALU_CYCLE_1) | instskip(NEXT) | instid1(SALU_CYCLE_1)
	s_mul_u64 s[6:7], s[30:31], s[6:7]
	s_add_nc_u64 s[6:7], s[46:47], s[6:7]
.LBB460_17:                             ;   Parent Loop BB460_3 Depth=1
                                        ; =>  This Inner Loop Header: Depth=2
	s_add_co_i32 s9, s9, -1
	global_store_b32 v0, v0, s[6:7]
	s_cmp_eq_u32 s9, 0
	s_wait_xcnt 0x0
	s_add_nc_u64 s[6:7], s[6:7], s[42:43]
	s_cbranch_scc0 .LBB460_17
.LBB460_18:                             ;   in Loop: Header=BB460_3 Depth=1
	s_or_b32 exec_lo, exec_lo, s8
	s_mov_b32 s6, 0
.LBB460_19:                             ;   in Loop: Header=BB460_3 Depth=1
	s_delay_alu instid0(SALU_CYCLE_1)
	s_and_not1_b32 vcc_lo, exec_lo, s6
	s_cbranch_vccnz .LBB460_2
; %bb.20:                               ;   in Loop: Header=BB460_3 Depth=1
	v_lshlrev_b64_e32 v[4:5], 1, v[8:9]
	v_lshl_add_u64 v[22:23], v[8:9], 1, v[2:3]
	v_lshl_add_u64 v[24:25], v[10:11], 1, v[20:21]
	;; [unrolled: 1-line block ×5, first 2 shown]
	v_cmp_gt_u32_e64 s9, 24, v40
	v_add_nc_u64_e32 v[32:33], v[2:3], v[4:5]
	v_cmp_gt_u32_e64 s8, 28, v40
	v_cmp_gt_u32_e64 s7, 30, v40
	v_cmp_ne_u32_e64 s6, 31, v40
	s_and_not1_b32 vcc_lo, exec_lo, s67
	s_cbranch_vccnz .LBB460_69
; %bb.21:                               ;   in Loop: Header=BB460_3 Depth=1
	v_cndmask_b32_e64 v1, 0, 8, s9
	v_cndmask_b32_e64 v4, 0, 4, s8
	;; [unrolled: 1-line block ×3, first 2 shown]
	s_wait_dscnt 0x0
	v_add_co_ci_u32_e64 v6, null, 0, v40, s6
	v_add_lshl_u32 v42, v1, v40, 2
	v_dual_mov_b32 v1, v0 :: v_dual_mov_b32 v2, v0
	s_delay_alu instid0(VALU_DEP_3) | instskip(SKIP_3) | instid1(VALU_DEP_3)
	v_dual_mov_b32 v3, v0 :: v_dual_lshlrev_b32 v45, 2, v6
	v_add_lshl_u32 v43, v4, v40, 2
	v_add_lshl_u32 v44, v5, v40, 2
	s_mov_b32 s54, 0
	v_mov_b64_e32 v[4:5], v[2:3]
	v_mov_b64_e32 v[2:3], v[0:1]
	s_mov_b64 s[8:9], s[50:51]
	s_mov_b64 s[56:57], s[48:49]
	;; [unrolled: 1-line block ×3, first 2 shown]
	s_mov_b32 s24, s54
	s_branch .LBB460_23
.LBB460_22:                             ;   in Loop: Header=BB460_23 Depth=2
	s_wait_xcnt 0x0
	s_or_b32 exec_lo, exec_lo, s6
	s_add_co_i32 s24, s24, 4
	s_add_co_i32 s54, s54, s44
	s_add_nc_u64 s[58:59], s[58:59], s[44:45]
	s_add_nc_u64 s[56:57], s[56:57], s[44:45]
	s_cmp_ge_i32 s24, s65
	s_add_nc_u64 s[8:9], s[8:9], s[44:45]
	s_cbranch_scc1 .LBB460_70
.LBB460_23:                             ;   Parent Loop BB460_3 Depth=1
                                        ; =>  This Loop Header: Depth=2
                                        ;       Child Loop BB460_54 Depth 3
                                        ;       Child Loop BB460_57 Depth 3
                                        ; implicit-def: $vgpr7
                                        ; implicit-def: $vgpr35
	s_and_saveexec_b32 s6, s4
	s_delay_alu instid0(SALU_CYCLE_1)
	s_xor_b32 s6, exec_lo, s6
	s_cbranch_execnz .LBB460_50
; %bb.24:                               ;   in Loop: Header=BB460_23 Depth=2
	s_and_not1_saveexec_b32 s11, s6
	s_cbranch_execnz .LBB460_51
.LBB460_25:                             ;   in Loop: Header=BB460_23 Depth=2
	s_or_b32 exec_lo, exec_lo, s11
	s_and_saveexec_b32 s6, s1
.LBB460_26:                             ;   in Loop: Header=BB460_23 Depth=2
	ds_store_b32 v38, v0
.LBB460_27:                             ;   in Loop: Header=BB460_23 Depth=2
	s_or_b32 exec_lo, exec_lo, s6
	ds_bpermute_b32 v1, v41, v34
	s_wait_storecnt_dscnt 0x0
	s_barrier_signal -1
	s_barrier_wait -1
	v_add_f32_e32 v1, v34, v1
	ds_bpermute_b32 v34, v42, v1
	s_wait_dscnt 0x0
	v_add_f32_e32 v1, v1, v34
	ds_bpermute_b32 v34, v43, v1
	s_wait_dscnt 0x0
	v_add_f32_e32 v1, v1, v34
	ds_bpermute_b32 v34, v44, v1
	s_wait_dscnt 0x0
	v_add_f32_e32 v1, v1, v34
	ds_bpermute_b32 v34, v45, v1
	s_and_saveexec_b32 s6, s3
	s_cbranch_execz .LBB460_29
; %bb.28:                               ;   in Loop: Header=BB460_23 Depth=2
	s_wait_dscnt 0x0
	v_add_f32_e32 v1, v1, v34
	ds_store_b32 v39, v1
.LBB460_29:                             ;   in Loop: Header=BB460_23 Depth=2
	s_or_b32 exec_lo, exec_lo, s6
	v_mov_b32_e32 v1, 0
	s_wait_dscnt 0x0
	s_barrier_signal -1
	s_barrier_wait -1
	s_and_saveexec_b32 s6, s2
	s_cbranch_execnz .LBB460_58
; %bb.30:                               ;   in Loop: Header=BB460_23 Depth=2
	s_or_b32 exec_lo, exec_lo, s6
	s_and_saveexec_b32 s6, s1
	s_cbranch_execnz .LBB460_59
.LBB460_31:                             ;   in Loop: Header=BB460_23 Depth=2
	s_or_b32 exec_lo, exec_lo, s6
	s_and_saveexec_b32 s6, s1
.LBB460_32:                             ;   in Loop: Header=BB460_23 Depth=2
	ds_store_b32 v38, v0
.LBB460_33:                             ;   in Loop: Header=BB460_23 Depth=2
	s_or_b32 exec_lo, exec_lo, s6
	ds_bpermute_b32 v34, v41, v35
	s_wait_dscnt 0x0
	s_barrier_signal -1
	s_barrier_wait -1
	v_add_f32_e32 v34, v35, v34
	ds_bpermute_b32 v35, v42, v34
	s_wait_dscnt 0x0
	v_add_f32_e32 v34, v34, v35
	ds_bpermute_b32 v35, v43, v34
	s_wait_dscnt 0x0
	;; [unrolled: 3-line block ×3, first 2 shown]
	v_add_f32_e32 v34, v34, v35
	ds_bpermute_b32 v35, v45, v34
	s_and_saveexec_b32 s6, s3
	s_cbranch_execz .LBB460_35
; %bb.34:                               ;   in Loop: Header=BB460_23 Depth=2
	s_wait_dscnt 0x0
	v_add_f32_e32 v34, v34, v35
	ds_store_b32 v39, v34
.LBB460_35:                             ;   in Loop: Header=BB460_23 Depth=2
	s_or_b32 exec_lo, exec_lo, s6
	v_mov_b32_e32 v34, 0
	s_wait_dscnt 0x0
	s_barrier_signal -1
	s_barrier_wait -1
	s_and_saveexec_b32 s6, s2
	s_cbranch_execnz .LBB460_60
; %bb.36:                               ;   in Loop: Header=BB460_23 Depth=2
	s_or_b32 exec_lo, exec_lo, s6
	s_and_saveexec_b32 s6, s1
	s_cbranch_execnz .LBB460_61
.LBB460_37:                             ;   in Loop: Header=BB460_23 Depth=2
	s_or_b32 exec_lo, exec_lo, s6
	s_and_saveexec_b32 s6, s1
.LBB460_38:                             ;   in Loop: Header=BB460_23 Depth=2
	ds_store_b32 v38, v0
.LBB460_39:                             ;   in Loop: Header=BB460_23 Depth=2
	s_or_b32 exec_lo, exec_lo, s6
	ds_bpermute_b32 v35, v41, v6
	s_wait_dscnt 0x0
	s_barrier_signal -1
	s_barrier_wait -1
	v_add_f32_e32 v6, v6, v35
	ds_bpermute_b32 v35, v42, v6
	s_wait_dscnt 0x0
	v_add_f32_e32 v6, v6, v35
	ds_bpermute_b32 v35, v43, v6
	s_wait_dscnt 0x0
	;; [unrolled: 3-line block ×3, first 2 shown]
	v_add_f32_e32 v6, v6, v35
	ds_bpermute_b32 v35, v45, v6
	s_and_saveexec_b32 s6, s3
	s_cbranch_execz .LBB460_41
; %bb.40:                               ;   in Loop: Header=BB460_23 Depth=2
	s_wait_dscnt 0x0
	v_add_f32_e32 v6, v6, v35
	ds_store_b32 v39, v6
.LBB460_41:                             ;   in Loop: Header=BB460_23 Depth=2
	s_or_b32 exec_lo, exec_lo, s6
	v_mov_b32_e32 v6, 0
	s_wait_dscnt 0x0
	s_barrier_signal -1
	s_barrier_wait -1
	s_and_saveexec_b32 s6, s2
	s_cbranch_execnz .LBB460_62
; %bb.42:                               ;   in Loop: Header=BB460_23 Depth=2
	s_or_b32 exec_lo, exec_lo, s6
	s_and_saveexec_b32 s6, s1
	s_cbranch_execnz .LBB460_63
.LBB460_43:                             ;   in Loop: Header=BB460_23 Depth=2
	s_or_b32 exec_lo, exec_lo, s6
	s_and_saveexec_b32 s6, s1
.LBB460_44:                             ;   in Loop: Header=BB460_23 Depth=2
	ds_store_b32 v38, v0
.LBB460_45:                             ;   in Loop: Header=BB460_23 Depth=2
	s_or_b32 exec_lo, exec_lo, s6
	ds_bpermute_b32 v35, v41, v7
	s_wait_dscnt 0x0
	s_barrier_signal -1
	s_barrier_wait -1
	v_add_f32_e32 v7, v7, v35
	ds_bpermute_b32 v35, v42, v7
	s_wait_dscnt 0x0
	v_add_f32_e32 v7, v7, v35
	ds_bpermute_b32 v35, v43, v7
	s_wait_dscnt 0x0
	;; [unrolled: 3-line block ×3, first 2 shown]
	v_add_f32_e32 v7, v7, v35
	ds_bpermute_b32 v35, v45, v7
	s_and_saveexec_b32 s6, s3
	s_cbranch_execz .LBB460_47
; %bb.46:                               ;   in Loop: Header=BB460_23 Depth=2
	s_wait_dscnt 0x0
	v_add_f32_e32 v7, v7, v35
	ds_store_b32 v39, v7
.LBB460_47:                             ;   in Loop: Header=BB460_23 Depth=2
	s_or_b32 exec_lo, exec_lo, s6
	v_mov_b32_e32 v7, 0
	s_wait_dscnt 0x0
	s_barrier_signal -1
	s_barrier_wait -1
	s_and_saveexec_b32 s6, s2
	s_cbranch_execnz .LBB460_64
; %bb.48:                               ;   in Loop: Header=BB460_23 Depth=2
	s_or_b32 exec_lo, exec_lo, s6
	s_and_saveexec_b32 s6, s1
	s_cbranch_execnz .LBB460_65
.LBB460_49:                             ;   in Loop: Header=BB460_23 Depth=2
	s_or_b32 exec_lo, exec_lo, s6
	s_and_saveexec_b32 s6, s0
	s_cbranch_execz .LBB460_22
	s_branch .LBB460_66
.LBB460_50:                             ;   in Loop: Header=BB460_23 Depth=2
	s_mul_i32 s60, s24, s26
	s_clause 0x3
	flat_load_u16 v1, v[26:27]
	flat_load_u16 v46, v[30:31]
	;; [unrolled: 1-line block ×4, first 2 shown]
	s_add_co_i32 s72, s60, s26
	s_ashr_i32 s61, s60, 31
	s_add_co_i32 s74, s72, s26
	v_lshl_add_u64 v[2:3], s[60:61], 1, v[22:23]
	s_ashr_i32 s75, s74, 31
	s_add_co_i32 s60, s74, s26
	v_lshl_add_u64 v[4:5], s[74:75], 1, v[22:23]
	s_ashr_i32 s61, s60, 31
	s_wait_dscnt 0x4
	flat_load_b64 v[6:7], v[2:3]
	s_ashr_i32 s73, s72, 31
	flat_load_b64 v[4:5], v[4:5]
	s_wait_xcnt 0x1
	v_lshl_add_u64 v[2:3], s[60:61], 1, v[22:23]
	flat_load_b64 v[34:35], v[2:3]
	s_wait_xcnt 0x0
	v_lshl_add_u64 v[2:3], s[72:73], 1, v[22:23]
	flat_load_b64 v[36:37], v[2:3]
	s_wait_loadcnt_dscnt 0x707
	v_cvt_f32_f16_e32 v47, v1
	s_wait_loadcnt_dscnt 0x606
	v_cvt_f32_f16_e32 v49, v46
	s_wait_loadcnt_dscnt 0x404
	s_wait_xcnt 0x0
	v_cvt_f32_f16_e32 v2, v50
	v_cvt_f32_f16_e32 v50, v48
	v_dual_mov_b32 v52, v47 :: v_dual_mov_b32 v54, v49
	s_wait_loadcnt_dscnt 0x303
	v_dual_lshrrev_b32 v1, 16, v6 :: v_dual_lshrrev_b32 v3, 16, v7
	v_cvt_f32_f16_e32 v56, v6
	s_wait_loadcnt_dscnt 0x202
	v_dual_lshrrev_b32 v51, 16, v4 :: v_dual_lshrrev_b32 v53, 16, v5
	v_cvt_f32_f16_e32 v55, v4
	v_cvt_f32_f16_e32 v4, v1
	;; [unrolled: 1-line block ×4, first 2 shown]
	s_wait_loadcnt_dscnt 0x101
	v_dual_lshrrev_b32 v1, 16, v34 :: v_dual_lshrrev_b32 v5, 16, v35
	v_cvt_f32_f16_e32 v46, v34
	v_cvt_f32_f16_e32 v48, v35
	;; [unrolled: 1-line block ×3, first 2 shown]
	s_delay_alu instid0(VALU_DEP_4)
	v_cvt_f32_f16_e32 v3, v1
	s_wait_loadcnt_dscnt 0x0
	v_cvt_f32_f16_e32 v57, v36
	v_dual_lshrrev_b32 v1, 16, v36 :: v_dual_lshrrev_b32 v62, 16, v37
	v_cvt_f32_f16_e32 v7, v37
	v_pk_mul_f32 v[34:35], v[46:47], v[2:3]
	v_cvt_f32_f16_e32 v46, v51
	v_dual_mul_f32 v36, v2, v55 :: v_dual_mov_b32 v3, v47
	v_cvt_f32_f16_e32 v51, v5
	s_delay_alu instid0(VALU_DEP_3) | instskip(SKIP_1) | instid1(VALU_DEP_4)
	v_dual_mov_b32 v37, v34 :: v_dual_mul_f32 v34, v47, v46
	v_cvt_f32_f16_e32 v5, v1
	v_pk_fma_f32 v[56:57], v[2:3], v[56:57], 0 op_sel_hi:[0,1,0]
	s_delay_alu instid0(VALU_DEP_4) | instskip(NEXT) | instid1(VALU_DEP_4)
	v_pk_mul_f32 v[46:47], v[48:49], v[50:51]
	v_pk_add_f32 v[36:37], v[36:37], 0 op_sel_hi:[1,0]
	v_cvt_f32_f16_e32 v1, v53
	v_mul_f32_e32 v60, v50, v59
	v_pk_fma_f32 v[4:5], v[52:53], v[4:5], v[56:57] op_sel_hi:[0,1,1]
	v_mov_b32_e32 v61, v46
	v_pk_add_f32 v[34:35], v[36:37], v[34:35]
	v_cvt_f32_f16_e32 v59, v62
	v_mul_f32_e32 v46, v49, v1
	v_pk_fma_f32 v[36:37], v[50:51], v[6:7], v[4:5] op_sel_hi:[0,1,1]
	v_mov_b32_e32 v4, v50
	v_pk_add_f32 v[34:35], v[34:35], v[60:61]
	v_mov_b32_e32 v5, v49
	s_delay_alu instid0(VALU_DEP_2)
	v_pk_add_f32 v[6:7], v[34:35], v[46:47]
	v_pk_fma_f32 v[34:35], v[54:55], v[58:59], v[36:37] op_sel_hi:[0,1,1]
	s_and_not1_saveexec_b32 s11, s6
	s_cbranch_execz .LBB460_25
.LBB460_51:                             ;   in Loop: Header=BB460_23 Depth=2
	s_wait_dscnt 0x0
	v_dual_mov_b32 v7, 0 :: v_dual_mov_b32 v6, 0
	v_dual_mov_b32 v35, 0 :: v_dual_mov_b32 v34, 0
	s_and_saveexec_b32 s35, s5
	s_cbranch_execz .LBB460_68
; %bb.52:                               ;   in Loop: Header=BB460_23 Depth=2
	s_and_not1_b32 vcc_lo, exec_lo, s68
	s_cbranch_vccnz .LBB460_55
; %bb.53:                               ;   in Loop: Header=BB460_23 Depth=2
	v_mov_b32_e32 v1, v10
	s_mov_b64 s[60:61], 0
.LBB460_54:                             ;   Parent Loop BB460_3 Depth=1
                                        ;     Parent Loop BB460_23 Depth=2
                                        ; =>    This Inner Loop Header: Depth=3
	v_readfirstlane_b32 s6, v20
	v_readfirstlane_b32 s7, v21
	s_cmp_eq_u32 s60, 3
	s_cselect_b32 vcc_lo, -1, 0
	s_cmp_eq_u32 s60, 2
	flat_load_u16 v6, v1, s[6:7] scale_offset
	s_wait_xcnt 0x0
	s_cselect_b32 s6, -1, 0
	s_cmp_eq_u32 s60, 1
	s_cselect_b32 s7, -1, 0
	s_cmp_eq_u32 s60, 0
	s_add_nc_u64 s[60:61], s[60:61], 1
	s_wait_loadcnt_dscnt 0x0
	v_cvt_f32_f16_e32 v6, v6
	s_delay_alu instid0(VALU_DEP_1)
	v_dual_add_nc_u32 v1, s33, v1 :: v_dual_cndmask_b32 v5, v5, v6, vcc_lo
	s_cselect_b32 vcc_lo, -1, 0
	v_dual_cndmask_b32 v4, v4, v6, s6 :: v_dual_cndmask_b32 v3, v3, v6, s7
	v_cndmask_b32_e32 v2, v2, v6, vcc_lo
	s_cmp_eq_u32 s66, s60
	s_cbranch_scc0 .LBB460_54
.LBB460_55:                             ;   in Loop: Header=BB460_23 Depth=2
	s_and_not1_b32 vcc_lo, exec_lo, s68
	s_cbranch_vccnz .LBB460_67
; %bb.56:                               ;   in Loop: Header=BB460_23 Depth=2
	v_mov_b32_e32 v34, 0
	s_ashr_i32 s55, s54, 31
	s_mov_b64 s[6:7], 0
	v_lshl_add_u64 v[36:37], s[54:55], 1, v[32:33]
	s_delay_alu instid0(VALU_DEP_2)
	v_dual_mov_b32 v35, v34 :: v_dual_mov_b32 v6, v34
	v_mov_b32_e32 v7, v34
.LBB460_57:                             ;   Parent Loop BB460_3 Depth=1
                                        ;     Parent Loop BB460_23 Depth=2
                                        ; =>    This Inner Loop Header: Depth=3
	s_cmp_eq_u32 s6, 1
	s_cselect_b32 vcc_lo, -1, 0
	s_cmp_eq_u32 s6, 2
	v_cndmask_b32_e32 v1, v2, v3, vcc_lo
	s_cselect_b32 vcc_lo, -1, 0
	s_cmp_eq_u32 s6, 3
	s_delay_alu instid0(VALU_DEP_1)
	v_cndmask_b32_e32 v1, v1, v4, vcc_lo
	s_cselect_b32 vcc_lo, -1, 0
	s_add_co_i32 s74, s8, s6
	s_add_co_i32 s72, s56, s6
	;; [unrolled: 1-line block ×3, first 2 shown]
	s_ashr_i32 s75, s74, 31
	s_ashr_i32 s73, s72, 31
	;; [unrolled: 1-line block ×3, first 2 shown]
	v_lshl_add_u64 v[46:47], s[74:75], 1, v[22:23]
	v_lshl_add_u64 v[48:49], s[72:73], 1, v[22:23]
	;; [unrolled: 1-line block ×3, first 2 shown]
	flat_load_u16 v52, v[36:37]
	s_clause 0x2
	flat_load_u16 v47, v[46:47]
	flat_load_u16 v49, v[48:49]
	;; [unrolled: 1-line block ×3, first 2 shown]
	s_wait_xcnt 0x2
	v_cndmask_b32_e32 v46, v1, v5, vcc_lo
	v_add_nc_u64_e32 v[36:37], 2, v[36:37]
	s_add_nc_u64 s[6:7], s[6:7], 1
	s_delay_alu instid0(SALU_CYCLE_1)
	s_cmp_lg_u32 s66, s6
	s_wait_loadcnt_dscnt 0x303
	s_wait_xcnt 0x1
	v_cvt_f32_f16_e32 v48, v52
	s_wait_loadcnt_dscnt 0x202
	s_wait_xcnt 0x0
	v_cvt_f32_f16_e32 v51, v47
	s_wait_loadcnt_dscnt 0x101
	v_cvt_f32_f16_e32 v50, v49
	s_wait_loadcnt_dscnt 0x0
	v_cvt_f32_f16_e32 v49, v53
	s_delay_alu instid0(VALU_DEP_2) | instskip(NEXT) | instid1(VALU_DEP_2)
	v_pk_fma_f32 v[6:7], v[46:47], v[50:51], v[6:7] op_sel_hi:[0,1,1]
	v_pk_fma_f32 v[34:35], v[46:47], v[48:49], v[34:35] op_sel_hi:[0,1,1]
	s_cbranch_scc1 .LBB460_57
	s_branch .LBB460_68
.LBB460_58:                             ;   in Loop: Header=BB460_23 Depth=2
	ds_load_b32 v1, v38
	s_or_b32 exec_lo, exec_lo, s6
	s_and_saveexec_b32 s6, s1
	s_cbranch_execz .LBB460_31
.LBB460_59:                             ;   in Loop: Header=BB460_23 Depth=2
	s_wait_dscnt 0x0
	ds_bpermute_b32 v34, v43, v1
	s_wait_dscnt 0x0
	v_add_f32_e32 v1, v1, v34
	ds_bpermute_b32 v34, v44, v1
	s_wait_dscnt 0x0
	v_add_f32_e32 v1, v1, v34
	;; [unrolled: 3-line block ×3, first 2 shown]
	s_or_b32 exec_lo, exec_lo, s6
	s_and_saveexec_b32 s6, s1
	s_cbranch_execnz .LBB460_32
	s_branch .LBB460_33
.LBB460_60:                             ;   in Loop: Header=BB460_23 Depth=2
	ds_load_b32 v34, v38
	s_or_b32 exec_lo, exec_lo, s6
	s_and_saveexec_b32 s6, s1
	s_cbranch_execz .LBB460_37
.LBB460_61:                             ;   in Loop: Header=BB460_23 Depth=2
	s_wait_dscnt 0x0
	ds_bpermute_b32 v35, v43, v34
	s_wait_dscnt 0x0
	v_add_f32_e32 v34, v34, v35
	ds_bpermute_b32 v35, v44, v34
	s_wait_dscnt 0x0
	v_add_f32_e32 v34, v34, v35
	;; [unrolled: 3-line block ×3, first 2 shown]
	s_or_b32 exec_lo, exec_lo, s6
	s_and_saveexec_b32 s6, s1
	s_cbranch_execnz .LBB460_38
	s_branch .LBB460_39
.LBB460_62:                             ;   in Loop: Header=BB460_23 Depth=2
	ds_load_b32 v6, v38
	s_or_b32 exec_lo, exec_lo, s6
	s_and_saveexec_b32 s6, s1
	s_cbranch_execz .LBB460_43
.LBB460_63:                             ;   in Loop: Header=BB460_23 Depth=2
	s_wait_dscnt 0x0
	ds_bpermute_b32 v35, v43, v6
	s_wait_dscnt 0x0
	v_add_f32_e32 v6, v6, v35
	ds_bpermute_b32 v35, v44, v6
	s_wait_dscnt 0x0
	v_add_f32_e32 v6, v6, v35
	;; [unrolled: 3-line block ×3, first 2 shown]
	s_or_b32 exec_lo, exec_lo, s6
	s_and_saveexec_b32 s6, s1
	s_cbranch_execnz .LBB460_44
	s_branch .LBB460_45
.LBB460_64:                             ;   in Loop: Header=BB460_23 Depth=2
	ds_load_b32 v7, v38
	s_or_b32 exec_lo, exec_lo, s6
	s_and_saveexec_b32 s6, s1
	s_cbranch_execz .LBB460_49
.LBB460_65:                             ;   in Loop: Header=BB460_23 Depth=2
	s_wait_dscnt 0x0
	ds_bpermute_b32 v35, v43, v7
	s_wait_dscnt 0x0
	v_add_f32_e32 v7, v7, v35
	ds_bpermute_b32 v35, v44, v7
	s_wait_dscnt 0x0
	v_add_f32_e32 v7, v7, v35
	;; [unrolled: 3-line block ×3, first 2 shown]
	s_or_b32 exec_lo, exec_lo, s6
	s_and_saveexec_b32 s6, s0
	s_cbranch_execz .LBB460_22
.LBB460_66:                             ;   in Loop: Header=BB460_23 Depth=2
	s_mul_i32 s7, s24, s30
	v_dual_mul_f32 v1, s22, v1 :: v_dual_mul_f32 v34, s22, v34
	s_add_co_i32 s7, s7, s34
	s_delay_alu instid0(SALU_CYCLE_1) | instskip(NEXT) | instid1(SALU_CYCLE_1)
	s_add_co_i32 s11, s7, s30
	v_dual_mov_b32 v35, s7 :: v_dual_mov_b32 v36, s11
	s_add_co_i32 s7, s11, s30
	s_delay_alu instid0(SALU_CYCLE_1)
	v_dual_mul_f32 v6, s22, v6 :: v_dual_mov_b32 v37, s7
	s_add_co_i32 s7, s7, s30
	s_wait_dscnt 0x0
	v_dual_mul_f32 v7, s22, v7 :: v_dual_mov_b32 v46, s7
	s_clause 0x3
	global_store_b32 v35, v1, s[52:53] scale_offset
	global_store_b32 v36, v34, s[52:53] scale_offset
	;; [unrolled: 1-line block ×4, first 2 shown]
	s_branch .LBB460_22
.LBB460_67:                             ;   in Loop: Header=BB460_23 Depth=2
	v_mov_b32_e32 v7, 0
	s_delay_alu instid0(VALU_DEP_1)
	v_dual_mov_b32 v6, v7 :: v_dual_mov_b32 v35, v7
	v_mov_b32_e32 v34, v7
.LBB460_68:                             ;   in Loop: Header=BB460_23 Depth=2
	s_or_b32 exec_lo, exec_lo, s35
	s_delay_alu instid0(SALU_CYCLE_1)
	s_or_b32 exec_lo, exec_lo, s11
	s_and_saveexec_b32 s6, s1
	s_cbranch_execnz .LBB460_26
	s_branch .LBB460_27
.LBB460_69:                             ;   in Loop: Header=BB460_3 Depth=1
	v_dual_mov_b32 v1, v0 :: v_dual_mov_b32 v2, v0
	v_mov_b32_e32 v3, v0
	s_mov_b32 s24, 0
	s_delay_alu instid0(VALU_DEP_1) | instskip(NEXT) | instid1(VALU_DEP_3)
	v_mov_b64_e32 v[4:5], v[2:3]
	v_mov_b64_e32 v[2:3], v[0:1]
.LBB460_70:                             ;   in Loop: Header=BB460_3 Depth=1
	s_cmp_ge_i32 s24, s21
	s_cbranch_scc1 .LBB460_2
; %bb.71:                               ;   in Loop: Header=BB460_3 Depth=1
	v_cmp_gt_u32_e32 vcc_lo, 24, v40
	s_add_nc_u64 s[8:9], s[52:53], s[38:39]
	s_mul_i32 s52, s26, s24
	v_cndmask_b32_e64 v1, 0, 8, vcc_lo
	v_cmp_gt_u32_e32 vcc_lo, 28, v40
	s_delay_alu instid0(VALU_DEP_2) | instskip(SKIP_4) | instid1(VALU_DEP_2)
	v_add_lshl_u32 v1, v1, v40, 2
	s_wait_dscnt 0x0
	v_cndmask_b32_e64 v6, 0, 4, vcc_lo
	v_cmp_gt_u32_e32 vcc_lo, 30, v40
	s_wait_dscnt 0x0
	v_add_lshl_u32 v7, v6, v40, 2
	v_cndmask_b32_e64 v34, 0, 2, vcc_lo
	v_cmp_ne_u32_e32 vcc_lo, 31, v40
	s_delay_alu instid0(VALU_DEP_2) | instskip(SKIP_1) | instid1(VALU_DEP_1)
	v_add_lshl_u32 v36, v34, v40, 2
	v_add_co_ci_u32_e64 v35, null, 0, v40, vcc_lo
	v_lshlrev_b32_e32 v37, 2, v35
	s_branch .LBB460_73
.LBB460_72:                             ;   in Loop: Header=BB460_73 Depth=2
	s_wait_xcnt 0x0
	s_or_b32 exec_lo, exec_lo, s6
	s_add_co_i32 s24, s24, 1
	s_add_co_i32 s52, s52, s26
	s_cmp_ge_i32 s24, s21
	s_cbranch_scc1 .LBB460_2
.LBB460_73:                             ;   Parent Loop BB460_3 Depth=1
                                        ; =>  This Loop Header: Depth=2
                                        ;       Child Loop BB460_86 Depth 3
                                        ;       Child Loop BB460_89 Depth 3
	s_wait_dscnt 0x0
	v_mov_b32_e32 v6, s25
	s_and_saveexec_b32 s6, s4
	s_delay_alu instid0(SALU_CYCLE_1)
	s_xor_b32 s6, exec_lo, s6
	s_cbranch_execnz .LBB460_82
; %bb.74:                               ;   in Loop: Header=BB460_73 Depth=2
	s_and_not1_saveexec_b32 s11, s6
	s_cbranch_execnz .LBB460_83
.LBB460_75:                             ;   in Loop: Header=BB460_73 Depth=2
	s_or_b32 exec_lo, exec_lo, s11
	s_and_saveexec_b32 s6, s1
.LBB460_76:                             ;   in Loop: Header=BB460_73 Depth=2
	ds_store_b32 v38, v0
.LBB460_77:                             ;   in Loop: Header=BB460_73 Depth=2
	s_or_b32 exec_lo, exec_lo, s6
	ds_bpermute_b32 v34, v41, v6
	s_wait_storecnt_dscnt 0x0
	s_barrier_signal -1
	s_barrier_wait -1
	v_add_f32_e32 v6, v6, v34
	ds_bpermute_b32 v34, v1, v6
	s_wait_dscnt 0x0
	v_add_f32_e32 v6, v6, v34
	ds_bpermute_b32 v34, v7, v6
	s_wait_dscnt 0x0
	;; [unrolled: 3-line block ×3, first 2 shown]
	v_add_f32_e32 v6, v6, v34
	ds_bpermute_b32 v34, v37, v6
	s_and_saveexec_b32 s6, s3
	s_cbranch_execz .LBB460_79
; %bb.78:                               ;   in Loop: Header=BB460_73 Depth=2
	s_wait_dscnt 0x0
	v_add_f32_e32 v6, v6, v34
	ds_store_b32 v39, v6
.LBB460_79:                             ;   in Loop: Header=BB460_73 Depth=2
	s_or_b32 exec_lo, exec_lo, s6
	v_mov_b32_e32 v6, 0
	s_wait_dscnt 0x0
	s_barrier_signal -1
	s_barrier_wait -1
	s_and_saveexec_b32 s6, s2
	s_cbranch_execnz .LBB460_91
; %bb.80:                               ;   in Loop: Header=BB460_73 Depth=2
	s_or_b32 exec_lo, exec_lo, s6
	s_and_saveexec_b32 s6, s1
	s_cbranch_execnz .LBB460_92
.LBB460_81:                             ;   in Loop: Header=BB460_73 Depth=2
	s_or_b32 exec_lo, exec_lo, s6
	s_and_saveexec_b32 s6, s0
	s_cbranch_execz .LBB460_72
	s_branch .LBB460_93
.LBB460_82:                             ;   in Loop: Header=BB460_73 Depth=2
	s_mul_i32 s54, s24, s26
	s_delay_alu instid0(SALU_CYCLE_1) | instskip(NEXT) | instid1(SALU_CYCLE_1)
	s_ashr_i32 s55, s54, 31
	v_lshl_add_u64 v[2:3], s[54:55], 1, v[22:23]
	flat_load_b64 v[34:35], v[2:3]
	s_clause 0x3
	flat_load_u16 v2, v[26:27]
	flat_load_u16 v4, v[24:25]
	flat_load_u16 v6, v[30:31]
	flat_load_u16 v44, v[28:29]
	s_wait_loadcnt_dscnt 0x404
	v_dual_lshrrev_b32 v5, 16, v34 :: v_dual_lshrrev_b32 v45, 16, v35
	s_wait_loadcnt_dscnt 0x303
	v_cvt_f32_f16_e32 v3, v2
	s_wait_loadcnt_dscnt 0x202
	v_cvt_f32_f16_e32 v2, v4
	v_cvt_f32_f16_e32 v4, v34
	;; [unrolled: 1-line block ×5, first 2 shown]
	s_delay_alu instid0(VALU_DEP_3)
	v_pk_mul_f32 v[42:43], v[2:3], v[4:5]
	s_wait_loadcnt_dscnt 0x101
	v_cvt_f32_f16_e32 v5, v6
	s_wait_loadcnt_dscnt 0x0
	v_cvt_f32_f16_e32 v4, v44
	v_add_f32_e32 v6, 0, v42
	s_delay_alu instid0(VALU_DEP_2) | instskip(NEXT) | instid1(VALU_DEP_2)
	v_pk_mul_f32 v[34:35], v[4:5], v[34:35]
	v_add_f32_e32 v6, v6, v43
	s_delay_alu instid0(VALU_DEP_1) | instskip(NEXT) | instid1(VALU_DEP_1)
	v_add_f32_e32 v6, v6, v34
	v_add_f32_e32 v6, v6, v35
	s_wait_xcnt 0x0
	s_and_not1_saveexec_b32 s11, s6
	s_cbranch_execz .LBB460_75
.LBB460_83:                             ;   in Loop: Header=BB460_73 Depth=2
	s_and_saveexec_b32 s35, s5
	s_cbranch_execz .LBB460_90
; %bb.84:                               ;   in Loop: Header=BB460_73 Depth=2
	s_and_not1_b32 vcc_lo, exec_lo, s68
	s_cbranch_vccnz .LBB460_87
; %bb.85:                               ;   in Loop: Header=BB460_73 Depth=2
	v_mov_b32_e32 v34, v10
	s_mov_b64 s[54:55], 0
.LBB460_86:                             ;   Parent Loop BB460_3 Depth=1
                                        ;     Parent Loop BB460_73 Depth=2
                                        ; =>    This Inner Loop Header: Depth=3
	v_readfirstlane_b32 s6, v20
	v_readfirstlane_b32 s7, v21
	s_cmp_eq_u32 s54, 3
	s_cselect_b32 vcc_lo, -1, 0
	s_cmp_eq_u32 s54, 2
	flat_load_u16 v35, v34, s[6:7] scale_offset
	s_wait_xcnt 0x0
	s_cselect_b32 s6, -1, 0
	s_cmp_eq_u32 s54, 1
	s_cselect_b32 s7, -1, 0
	s_cmp_eq_u32 s54, 0
	s_add_nc_u64 s[54:55], s[54:55], 1
	s_wait_loadcnt_dscnt 0x0
	v_cvt_f32_f16_e32 v35, v35
	s_delay_alu instid0(VALU_DEP_1)
	v_dual_cndmask_b32 v5, v5, v35 :: v_dual_add_nc_u32 v34, s33, v34
	s_cselect_b32 vcc_lo, -1, 0
	v_dual_cndmask_b32 v4, v4, v35, s6 :: v_dual_cndmask_b32 v3, v3, v35, s7
	v_cndmask_b32_e32 v2, v2, v35, vcc_lo
	s_cmp_eq_u32 s66, s54
	s_cbranch_scc0 .LBB460_86
.LBB460_87:                             ;   in Loop: Header=BB460_73 Depth=2
	s_and_not1_b32 vcc_lo, exec_lo, s68
	s_cbranch_vccnz .LBB460_90
; %bb.88:                               ;   in Loop: Header=BB460_73 Depth=2
	s_ashr_i32 s53, s52, 31
	s_mov_b64 s[6:7], 0
	v_lshl_add_u64 v[34:35], s[52:53], 1, v[32:33]
.LBB460_89:                             ;   Parent Loop BB460_3 Depth=1
                                        ;     Parent Loop BB460_73 Depth=2
                                        ; =>    This Inner Loop Header: Depth=3
	flat_load_u16 v42, v[34:35]
	s_cmp_eq_u32 s6, 1
	s_wait_xcnt 0x0
	v_add_nc_u64_e32 v[34:35], 2, v[34:35]
	s_cselect_b32 vcc_lo, -1, 0
	s_cmp_eq_u32 s6, 2
	v_cndmask_b32_e32 v43, v2, v3, vcc_lo
	s_cselect_b32 vcc_lo, -1, 0
	s_cmp_eq_u32 s6, 3
	s_add_nc_u64 s[6:7], s[6:7], 1
	s_delay_alu instid0(VALU_DEP_1) | instskip(SKIP_2) | instid1(VALU_DEP_1)
	v_cndmask_b32_e32 v43, v43, v4, vcc_lo
	s_cselect_b32 vcc_lo, -1, 0
	s_cmp_lg_u32 s66, s6
	v_cndmask_b32_e32 v43, v43, v5, vcc_lo
	s_wait_loadcnt_dscnt 0x0
	s_delay_alu instid0(VALU_DEP_1)
	v_fma_mix_f32 v6, v43, v42, v6 op_sel_hi:[0,1,0]
	s_cbranch_scc1 .LBB460_89
.LBB460_90:                             ;   in Loop: Header=BB460_73 Depth=2
	s_or_b32 exec_lo, exec_lo, s35
	s_delay_alu instid0(SALU_CYCLE_1)
	s_or_b32 exec_lo, exec_lo, s11
	s_and_saveexec_b32 s6, s1
	s_cbranch_execnz .LBB460_76
	s_branch .LBB460_77
.LBB460_91:                             ;   in Loop: Header=BB460_73 Depth=2
	ds_load_b32 v6, v38
	s_or_b32 exec_lo, exec_lo, s6
	s_and_saveexec_b32 s6, s1
	s_cbranch_execz .LBB460_81
.LBB460_92:                             ;   in Loop: Header=BB460_73 Depth=2
	s_wait_dscnt 0x0
	ds_bpermute_b32 v34, v7, v6
	s_wait_dscnt 0x0
	v_add_f32_e32 v6, v6, v34
	ds_bpermute_b32 v34, v36, v6
	s_wait_dscnt 0x0
	v_add_f32_e32 v6, v6, v34
	;; [unrolled: 3-line block ×3, first 2 shown]
	s_or_b32 exec_lo, exec_lo, s6
	s_and_saveexec_b32 s6, s0
	s_cbranch_execz .LBB460_72
.LBB460_93:                             ;   in Loop: Header=BB460_73 Depth=2
	s_mul_u64 s[54:55], s[24:25], s[30:31]
	s_wait_dscnt 0x0
	v_mul_f32_e32 v6, s22, v6
	s_lshl_b64 s[54:55], s[54:55], 2
	s_delay_alu instid0(SALU_CYCLE_1)
	s_add_nc_u64 s[54:55], s[8:9], s[54:55]
	global_store_b32 v0, v6, s[54:55]
	s_branch .LBB460_72
.LBB460_94:
	s_endpgm
	.section	.rodata,"a",@progbits
	.p2align	6, 0x0
	.amdhsa_kernel _ZL23rocblas_gemvt_sn_kernelILb1ELi256ELi4EiPKDF16_ffEviiT4_lPKT3_lilS5_lilPT5_i
		.amdhsa_group_segment_fixed_size 128
		.amdhsa_private_segment_fixed_size 0
		.amdhsa_kernarg_size 360
		.amdhsa_user_sgpr_count 2
		.amdhsa_user_sgpr_dispatch_ptr 0
		.amdhsa_user_sgpr_queue_ptr 0
		.amdhsa_user_sgpr_kernarg_segment_ptr 1
		.amdhsa_user_sgpr_dispatch_id 0
		.amdhsa_user_sgpr_kernarg_preload_length 0
		.amdhsa_user_sgpr_kernarg_preload_offset 0
		.amdhsa_user_sgpr_private_segment_size 0
		.amdhsa_wavefront_size32 1
		.amdhsa_uses_dynamic_stack 0
		.amdhsa_enable_private_segment 0
		.amdhsa_system_sgpr_workgroup_id_x 1
		.amdhsa_system_sgpr_workgroup_id_y 0
		.amdhsa_system_sgpr_workgroup_id_z 1
		.amdhsa_system_sgpr_workgroup_info 0
		.amdhsa_system_vgpr_workitem_id 0
		.amdhsa_next_free_vgpr 63
		.amdhsa_next_free_sgpr 76
		.amdhsa_named_barrier_count 0
		.amdhsa_reserve_vcc 1
		.amdhsa_float_round_mode_32 0
		.amdhsa_float_round_mode_16_64 0
		.amdhsa_float_denorm_mode_32 3
		.amdhsa_float_denorm_mode_16_64 3
		.amdhsa_fp16_overflow 0
		.amdhsa_memory_ordered 1
		.amdhsa_forward_progress 1
		.amdhsa_inst_pref_size 33
		.amdhsa_round_robin_scheduling 0
		.amdhsa_exception_fp_ieee_invalid_op 0
		.amdhsa_exception_fp_denorm_src 0
		.amdhsa_exception_fp_ieee_div_zero 0
		.amdhsa_exception_fp_ieee_overflow 0
		.amdhsa_exception_fp_ieee_underflow 0
		.amdhsa_exception_fp_ieee_inexact 0
		.amdhsa_exception_int_div_zero 0
	.end_amdhsa_kernel
	.section	.text._ZL23rocblas_gemvt_sn_kernelILb1ELi256ELi4EiPKDF16_ffEviiT4_lPKT3_lilS5_lilPT5_i,"axG",@progbits,_ZL23rocblas_gemvt_sn_kernelILb1ELi256ELi4EiPKDF16_ffEviiT4_lPKT3_lilS5_lilPT5_i,comdat
.Lfunc_end460:
	.size	_ZL23rocblas_gemvt_sn_kernelILb1ELi256ELi4EiPKDF16_ffEviiT4_lPKT3_lilS5_lilPT5_i, .Lfunc_end460-_ZL23rocblas_gemvt_sn_kernelILb1ELi256ELi4EiPKDF16_ffEviiT4_lPKT3_lilS5_lilPT5_i
                                        ; -- End function
	.set _ZL23rocblas_gemvt_sn_kernelILb1ELi256ELi4EiPKDF16_ffEviiT4_lPKT3_lilS5_lilPT5_i.num_vgpr, 63
	.set _ZL23rocblas_gemvt_sn_kernelILb1ELi256ELi4EiPKDF16_ffEviiT4_lPKT3_lilS5_lilPT5_i.num_agpr, 0
	.set _ZL23rocblas_gemvt_sn_kernelILb1ELi256ELi4EiPKDF16_ffEviiT4_lPKT3_lilS5_lilPT5_i.numbered_sgpr, 76
	.set _ZL23rocblas_gemvt_sn_kernelILb1ELi256ELi4EiPKDF16_ffEviiT4_lPKT3_lilS5_lilPT5_i.num_named_barrier, 0
	.set _ZL23rocblas_gemvt_sn_kernelILb1ELi256ELi4EiPKDF16_ffEviiT4_lPKT3_lilS5_lilPT5_i.private_seg_size, 0
	.set _ZL23rocblas_gemvt_sn_kernelILb1ELi256ELi4EiPKDF16_ffEviiT4_lPKT3_lilS5_lilPT5_i.uses_vcc, 1
	.set _ZL23rocblas_gemvt_sn_kernelILb1ELi256ELi4EiPKDF16_ffEviiT4_lPKT3_lilS5_lilPT5_i.uses_flat_scratch, 1
	.set _ZL23rocblas_gemvt_sn_kernelILb1ELi256ELi4EiPKDF16_ffEviiT4_lPKT3_lilS5_lilPT5_i.has_dyn_sized_stack, 0
	.set _ZL23rocblas_gemvt_sn_kernelILb1ELi256ELi4EiPKDF16_ffEviiT4_lPKT3_lilS5_lilPT5_i.has_recursion, 0
	.set _ZL23rocblas_gemvt_sn_kernelILb1ELi256ELi4EiPKDF16_ffEviiT4_lPKT3_lilS5_lilPT5_i.has_indirect_call, 0
	.section	.AMDGPU.csdata,"",@progbits
; Kernel info:
; codeLenInByte = 4224
; TotalNumSgprs: 78
; NumVgprs: 63
; ScratchSize: 0
; MemoryBound: 0
; FloatMode: 240
; IeeeMode: 1
; LDSByteSize: 128 bytes/workgroup (compile time only)
; SGPRBlocks: 0
; VGPRBlocks: 3
; NumSGPRsForWavesPerEU: 78
; NumVGPRsForWavesPerEU: 63
; NamedBarCnt: 0
; Occupancy: 16
; WaveLimiterHint : 0
; COMPUTE_PGM_RSRC2:SCRATCH_EN: 0
; COMPUTE_PGM_RSRC2:USER_SGPR: 2
; COMPUTE_PGM_RSRC2:TRAP_HANDLER: 0
; COMPUTE_PGM_RSRC2:TGID_X_EN: 1
; COMPUTE_PGM_RSRC2:TGID_Y_EN: 0
; COMPUTE_PGM_RSRC2:TGID_Z_EN: 1
; COMPUTE_PGM_RSRC2:TIDIG_COMP_CNT: 0
	.section	.text._ZL23rocblas_gemvt_sn_kernelILb1ELi256ELi4ElPKDF16_ffEviiT4_lPKT3_lilS5_lilPT5_i,"axG",@progbits,_ZL23rocblas_gemvt_sn_kernelILb1ELi256ELi4ElPKDF16_ffEviiT4_lPKT3_lilS5_lilPT5_i,comdat
	.globl	_ZL23rocblas_gemvt_sn_kernelILb1ELi256ELi4ElPKDF16_ffEviiT4_lPKT3_lilS5_lilPT5_i ; -- Begin function _ZL23rocblas_gemvt_sn_kernelILb1ELi256ELi4ElPKDF16_ffEviiT4_lPKT3_lilS5_lilPT5_i
	.p2align	8
	.type	_ZL23rocblas_gemvt_sn_kernelILb1ELi256ELi4ElPKDF16_ffEviiT4_lPKT3_lilS5_lilPT5_i,@function
_ZL23rocblas_gemvt_sn_kernelILb1ELi256ELi4ElPKDF16_ffEviiT4_lPKT3_lilS5_lilPT5_i: ; @_ZL23rocblas_gemvt_sn_kernelILb1ELi256ELi4ElPKDF16_ffEviiT4_lPKT3_lilS5_lilPT5_i
; %bb.0:
	s_load_b32 s23, s[0:1], 0x60
	s_bfe_u32 s2, ttmp6, 0x40014
	s_lshr_b32 s3, ttmp7, 16
	s_add_co_i32 s2, s2, 1
	s_bfe_u32 s5, ttmp6, 0x40008
	s_mul_i32 s2, s3, s2
	s_getreg_b32 s4, hwreg(HW_REG_IB_STS2, 6, 4)
	s_add_co_i32 s5, s5, s2
	s_cmp_eq_u32 s4, 0
	s_mov_b32 s25, 0
	s_cselect_b32 s10, s3, s5
	s_wait_kmcnt 0x0
	s_cmp_ge_u32 s10, s23
	s_cbranch_scc1 .LBB461_94
; %bb.1:
	s_clause 0x6
	s_load_b32 s26, s[0:1], 0x28
	s_load_b32 s6, s[0:1], 0x48
	s_load_b96 s[20:22], s[0:1], 0x0
	s_load_b128 s[12:15], s[0:1], 0x18
	s_load_b128 s[16:19], s[0:1], 0x38
	s_load_b64 s[28:29], s[0:1], 0x58
	s_load_b32 s30, s[0:1], 0x68
	s_wait_xcnt 0x0
	v_cmp_eq_u32_e64 s0, 0, v0
	v_dual_lshrrev_b32 v3, 3, v0 :: v_dual_bitop2_b32 v1, 31, v0 bitop3:0x40
	v_cmp_gt_u32_e64 s1, 32, v0
	v_cmp_gt_u32_e64 s2, 8, v0
	s_delay_alu instid0(VALU_DEP_3) | instskip(SKIP_4) | instid1(VALU_DEP_2)
	v_dual_mov_b32 v2, 0 :: v_dual_lshlrev_b32 v47, 2, v1
	v_cmp_eq_u32_e64 s3, 0, v1
	v_mbcnt_lo_u32_b32 v46, -1, 0
	v_mov_b64_e32 v[22:23], 0
	s_mov_b32 s31, s25
	v_lshl_or_b32 v49, v46, 2, 64
	s_wait_kmcnt 0x0
	s_ashr_i32 s27, s26, 31
	s_ashr_i32 s7, s6, 31
	s_cmp_neq_f32 s22, 0
	s_mov_b32 s8, s21
	s_mul_u64 s[34:35], s[26:27], 6
	s_cselect_b32 s33, -1, 0
	s_cmp_eq_f32 s22, 0
	s_cselect_b32 s56, -1, 0
	s_ashr_i32 s9, s21, 31
	s_cmp_gt_i32 s21, 0
	s_mul_u64 s[36:37], s[8:9], s[30:31]
	s_cselect_b32 s5, -1, 0
	s_bfe_u32 s11, ttmp6, 0x4000c
	s_and_b32 s24, ttmp6, 15
	s_add_co_i32 s11, s11, 1
	s_and_b32 s57, s0, s5
	s_mul_i32 s11, ttmp9, s11
	s_delay_alu instid0(SALU_CYCLE_1)
	s_add_co_i32 s24, s24, s11
	s_cmp_eq_u32 s4, 0
	s_cselect_b32 s24, ttmp9, s24
	s_ashr_i32 s5, s20, 31
	s_lshl_b32 s11, s24, 10
	s_lshr_b32 s4, s9, 30
	v_lshl_or_b32 v8, v0, 2, s11
	s_lshr_b32 s5, s5, 30
	s_add_co_i32 s4, s21, s4
	s_add_co_i32 s5, s20, s5
	s_delay_alu instid0(VALU_DEP_1)
	v_dual_ashrrev_i32 v9, 31, v8 :: v_dual_bitop2_b32 v48, 28, v3 bitop3:0x40
	s_and_b32 s58, s4, -4
	s_and_b32 s4, s5, -4
	v_dual_add_nc_u32 v3, 4, v8 :: v_dual_bitop2_b32 v4, 2, v8 bitop3:0x54
	s_sub_co_i32 s59, s20, s4
	v_or_b32_e32 v6, 3, v8
	v_or_b32_e32 v0, 1, v8
	v_mul_u64_e32 v[10:11], s[6:7], v[8:9]
	v_ashrrev_i32_e32 v5, 31, v4
	s_cmp_gt_i32 s58, 0
	s_delay_alu instid0(VALU_DEP_3) | instskip(SKIP_1) | instid1(VALU_DEP_2)
	v_dual_ashrrev_i32 v7, 31, v6 :: v_dual_ashrrev_i32 v1, 31, v0
	s_cselect_b32 s60, -1, 0
	v_mul_u64_e32 v[14:15], s[6:7], v[4:5]
	s_cmp_gt_i32 s59, 0
	v_cmp_ge_i32_e64 s4, s20, v3
	v_mul_u64_e32 v[12:13], s[6:7], v[0:1]
	v_add_nc_u32_e32 v0, s59, v8
	v_mul_u64_e32 v[16:17], s[6:7], v[6:7]
	s_cselect_b32 s61, -1, 0
	s_cmp_gt_u32 s21, 1
	v_lshlrev_b64_e32 v[18:19], 1, v[8:9]
	s_cselect_b32 s11, -1, 0
	s_cmp_eq_u32 s30, 1
	v_cmp_ge_i32_e64 s5, s20, v0
	s_cselect_b32 s38, -1, 0
	s_and_b32 s20, s21, 0x7ffffffe
	s_and_b32 s62, s11, s38
	s_cmp_lg_u32 s21, s20
	s_cselect_b32 s63, -1, 0
	s_lshl_b64 s[38:39], s[24:25], 2
	s_lshl_b64 s[40:41], s[8:9], 2
	;; [unrolled: 1-line block ×6, first 2 shown]
	s_add_nc_u64 s[50:51], s[28:29], s[38:39]
	s_lshl_b64 s[52:53], s[26:27], 1
	v_lshlrev_b64_e32 v[20:21], 1, v[10:11]
	s_lshl_b64 s[14:15], s[14:15], 1
	s_lshl_b64 s[18:19], s[18:19], 1
	s_branch .LBB461_3
.LBB461_2:                              ;   in Loop: Header=BB461_3 Depth=1
	s_add_co_i32 s10, s10, 0x10000
	s_delay_alu instid0(SALU_CYCLE_1)
	s_cmp_lt_u32 s10, s23
	s_cbranch_scc0 .LBB461_94
.LBB461_3:                              ; =>This Loop Header: Depth=1
                                        ;     Child Loop BB461_11 Depth 2
                                        ;     Child Loop BB461_17 Depth 2
	;; [unrolled: 1-line block ×3, first 2 shown]
                                        ;       Child Loop BB461_54 Depth 3
                                        ;       Child Loop BB461_57 Depth 3
                                        ;     Child Loop BB461_73 Depth 2
                                        ;       Child Loop BB461_86 Depth 3
                                        ;       Child Loop BB461_89 Depth 3
	s_mov_b32 s11, s25
	s_and_not1_b32 vcc_lo, exec_lo, s56
	s_mov_b32 s6, -1
	s_cbranch_vccz .LBB461_13
; %bb.4:                                ;   in Loop: Header=BB461_3 Depth=1
	v_mov_b64_e32 v[6:7], 0
	s_wait_dscnt 0x0
	v_mov_b64_e32 v[0:1], 0
	s_and_not1_b32 vcc_lo, exec_lo, s6
	s_cbranch_vccz .LBB461_14
.LBB461_5:                              ;   in Loop: Header=BB461_3 Depth=1
	s_and_not1_b32 vcc_lo, exec_lo, s33
	s_cbranch_vccnz .LBB461_7
.LBB461_6:                              ;   in Loop: Header=BB461_3 Depth=1
	s_wait_xcnt 0x0
	s_lshl_b64 s[6:7], s[10:11], 3
	s_delay_alu instid0(SALU_CYCLE_1)
	s_add_nc_u64 s[6:7], s[16:17], s[6:7]
	global_load_b64 v[4:5], v2, s[6:7]
	s_wait_loadcnt 0x0
	v_add_nc_u64_e32 v[6:7], s[18:19], v[4:5]
.LBB461_7:                              ;   in Loop: Header=BB461_3 Depth=1
	s_wait_xcnt 0x0
	s_mul_u64 s[6:7], s[36:37], s[10:11]
	s_and_not1_b32 vcc_lo, exec_lo, s56
	s_lshl_b64 s[6:7], s[6:7], 2
	s_delay_alu instid0(SALU_CYCLE_1)
	s_add_nc_u64 s[54:55], s[28:29], s[6:7]
	s_mov_b32 s6, -1
	s_cbranch_vccnz .LBB461_19
; %bb.8:                                ;   in Loop: Header=BB461_3 Depth=1
	s_and_saveexec_b32 s8, s57
	s_cbranch_execz .LBB461_18
; %bb.9:                                ;   in Loop: Header=BB461_3 Depth=1
	s_and_not1_b32 vcc_lo, exec_lo, s62
	s_cbranch_vccnz .LBB461_15
; %bb.10:                               ;   in Loop: Header=BB461_3 Depth=1
	s_add_nc_u64 s[6:7], s[54:55], s[38:39]
	s_mov_b32 s9, s20
.LBB461_11:                             ;   Parent Loop BB461_3 Depth=1
                                        ; =>  This Inner Loop Header: Depth=2
	s_delay_alu instid0(SALU_CYCLE_1)
	s_add_co_i32 s9, s9, -2
	global_store_b64 v2, v[22:23], s[6:7]
	s_wait_xcnt 0x0
	s_add_nc_u64 s[6:7], s[6:7], 8
	s_mov_b32 s24, s20
	s_cmp_lg_u32 s9, 0
	s_mov_b32 s64, s63
	s_cbranch_scc1 .LBB461_11
; %bb.12:                               ;   in Loop: Header=BB461_3 Depth=1
	s_and_b32 vcc_lo, exec_lo, s64
	s_cbranch_vccnz .LBB461_16
	s_branch .LBB461_18
.LBB461_13:                             ;   in Loop: Header=BB461_3 Depth=1
	v_mov_b64_e32 v[6:7], 0
	s_wait_dscnt 0x0
	v_mov_b64_e32 v[0:1], 0
	s_cbranch_execnz .LBB461_5
.LBB461_14:                             ;   in Loop: Header=BB461_3 Depth=1
	s_lshl_b64 s[6:7], s[10:11], 3
	s_delay_alu instid0(SALU_CYCLE_1)
	s_add_nc_u64 s[6:7], s[12:13], s[6:7]
	global_load_b64 v[0:1], v2, s[6:7]
	s_wait_loadcnt 0x0
	v_add_nc_u64_e32 v[0:1], s[14:15], v[0:1]
	s_and_not1_b32 vcc_lo, exec_lo, s33
	s_cbranch_vccz .LBB461_6
	s_branch .LBB461_7
.LBB461_15:                             ;   in Loop: Header=BB461_3 Depth=1
	s_mov_b32 s24, 0
	s_cbranch_execz .LBB461_18
.LBB461_16:                             ;   in Loop: Header=BB461_3 Depth=1
	s_mul_u64 s[6:7], s[40:41], s[10:11]
	s_lshl_b64 s[64:65], s[24:25], 2
	s_sub_co_i32 s9, s21, s24
	s_add_nc_u64 s[6:7], s[6:7], s[64:65]
	s_delay_alu instid0(SALU_CYCLE_1) | instskip(NEXT) | instid1(SALU_CYCLE_1)
	s_mul_u64 s[6:7], s[30:31], s[6:7]
	s_add_nc_u64 s[6:7], s[50:51], s[6:7]
.LBB461_17:                             ;   Parent Loop BB461_3 Depth=1
                                        ; =>  This Inner Loop Header: Depth=2
	s_add_co_i32 s9, s9, -1
	global_store_b32 v2, v2, s[6:7]
	s_cmp_eq_u32 s9, 0
	s_wait_xcnt 0x0
	s_add_nc_u64 s[6:7], s[6:7], s[42:43]
	s_cbranch_scc0 .LBB461_17
.LBB461_18:                             ;   in Loop: Header=BB461_3 Depth=1
	s_or_b32 exec_lo, exec_lo, s8
	s_mov_b32 s6, 0
.LBB461_19:                             ;   in Loop: Header=BB461_3 Depth=1
	s_delay_alu instid0(SALU_CYCLE_1)
	s_and_not1_b32 vcc_lo, exec_lo, s6
	s_cbranch_vccnz .LBB461_2
; %bb.20:                               ;   in Loop: Header=BB461_3 Depth=1
	v_add_nc_u64_e32 v[34:35], v[6:7], v[20:21]
	v_lshl_add_u64 v[24:25], v[8:9], 1, v[0:1]
	v_lshl_add_u64 v[26:27], v[10:11], 1, v[6:7]
	;; [unrolled: 1-line block ×5, first 2 shown]
	v_cmp_gt_u32_e64 s8, 24, v46
	v_cmp_gt_u32_e64 s6, 28, v46
	;; [unrolled: 1-line block ×3, first 2 shown]
	v_cmp_ne_u32_e64 s7, 31, v46
	s_and_not1_b32 vcc_lo, exec_lo, s60
	s_add_nc_u64 s[54:55], s[54:55], s[38:39]
	s_cbranch_vccnz .LBB461_69
; %bb.21:                               ;   in Loop: Header=BB461_3 Depth=1
	v_cndmask_b32_e64 v3, 0, 8, s8
	v_cndmask_b32_e64 v4, 0, 4, s6
	;; [unrolled: 1-line block ×3, first 2 shown]
	v_add_co_ci_u32_e64 v37, null, 0, v46, s7
	s_delay_alu instid0(VALU_DEP_4) | instskip(NEXT) | instid1(VALU_DEP_4)
	v_add_lshl_u32 v50, v3, v46, 2
	v_add_lshl_u32 v51, v4, v46, 2
	v_dual_mov_b32 v3, v2 :: v_dual_mov_b32 v4, v2
	s_delay_alu instid0(VALU_DEP_4) | instskip(SKIP_3) | instid1(VALU_DEP_4)
	v_dual_mov_b32 v5, v2 :: v_dual_lshlrev_b32 v53, 2, v37
	v_add_lshl_u32 v52, v36, v46, 2
	v_add_nc_u64_e32 v[36:37], v[6:7], v[20:21]
	v_mov_b64_e32 v[38:39], v[24:25]
	v_mov_b64_e32 v[6:7], v[4:5]
	;; [unrolled: 1-line block ×3, first 2 shown]
	s_mov_b32 s24, 0
	s_branch .LBB461_23
.LBB461_22:                             ;   in Loop: Header=BB461_23 Depth=2
	s_wait_xcnt 0x0
	s_or_b32 exec_lo, exec_lo, s6
	v_add_nc_u64_e32 v[38:39], s[46:47], v[38:39]
	s_add_co_i32 s24, s24, 4
	s_delay_alu instid0(SALU_CYCLE_1)
	s_cmp_ge_i32 s24, s58
	s_cbranch_scc1 .LBB461_70
.LBB461_23:                             ;   Parent Loop BB461_3 Depth=1
                                        ; =>  This Loop Header: Depth=2
                                        ;       Child Loop BB461_54 Depth 3
                                        ;       Child Loop BB461_57 Depth 3
                                        ; implicit-def: $vgpr41
                                        ; implicit-def: $vgpr43
	s_and_saveexec_b32 s6, s4
	s_delay_alu instid0(SALU_CYCLE_1)
	s_xor_b32 s6, exec_lo, s6
	s_cbranch_execnz .LBB461_50
; %bb.24:                               ;   in Loop: Header=BB461_23 Depth=2
	s_and_not1_saveexec_b32 s11, s6
	s_cbranch_execnz .LBB461_51
.LBB461_25:                             ;   in Loop: Header=BB461_23 Depth=2
	s_or_b32 exec_lo, exec_lo, s11
	s_and_saveexec_b32 s6, s1
.LBB461_26:                             ;   in Loop: Header=BB461_23 Depth=2
	ds_store_b32 v47, v2
.LBB461_27:                             ;   in Loop: Header=BB461_23 Depth=2
	s_or_b32 exec_lo, exec_lo, s6
	ds_bpermute_b32 v3, v49, v42
	s_wait_storecnt_dscnt 0x0
	s_barrier_signal -1
	s_barrier_wait -1
	v_add_f32_e32 v3, v42, v3
	ds_bpermute_b32 v42, v50, v3
	s_wait_dscnt 0x0
	v_add_f32_e32 v3, v3, v42
	ds_bpermute_b32 v42, v51, v3
	s_wait_dscnt 0x0
	;; [unrolled: 3-line block ×3, first 2 shown]
	v_add_f32_e32 v3, v3, v42
	ds_bpermute_b32 v42, v53, v3
	s_and_saveexec_b32 s6, s3
	s_cbranch_execz .LBB461_29
; %bb.28:                               ;   in Loop: Header=BB461_23 Depth=2
	s_wait_dscnt 0x0
	v_add_f32_e32 v3, v3, v42
	ds_store_b32 v48, v3
.LBB461_29:                             ;   in Loop: Header=BB461_23 Depth=2
	s_or_b32 exec_lo, exec_lo, s6
	v_mov_b32_e32 v3, 0
	s_wait_dscnt 0x0
	s_barrier_signal -1
	s_barrier_wait -1
	s_and_saveexec_b32 s6, s2
	s_cbranch_execnz .LBB461_58
; %bb.30:                               ;   in Loop: Header=BB461_23 Depth=2
	s_or_b32 exec_lo, exec_lo, s6
	s_and_saveexec_b32 s6, s1
	s_cbranch_execnz .LBB461_59
.LBB461_31:                             ;   in Loop: Header=BB461_23 Depth=2
	s_or_b32 exec_lo, exec_lo, s6
	s_and_saveexec_b32 s6, s1
.LBB461_32:                             ;   in Loop: Header=BB461_23 Depth=2
	ds_store_b32 v47, v2
.LBB461_33:                             ;   in Loop: Header=BB461_23 Depth=2
	s_or_b32 exec_lo, exec_lo, s6
	ds_bpermute_b32 v42, v49, v43
	s_wait_dscnt 0x0
	s_barrier_signal -1
	s_barrier_wait -1
	v_add_f32_e32 v42, v43, v42
	ds_bpermute_b32 v43, v50, v42
	s_wait_dscnt 0x0
	v_add_f32_e32 v42, v42, v43
	ds_bpermute_b32 v43, v51, v42
	s_wait_dscnt 0x0
	;; [unrolled: 3-line block ×3, first 2 shown]
	v_add_f32_e32 v42, v42, v43
	ds_bpermute_b32 v43, v53, v42
	s_and_saveexec_b32 s6, s3
	s_cbranch_execz .LBB461_35
; %bb.34:                               ;   in Loop: Header=BB461_23 Depth=2
	s_wait_dscnt 0x0
	v_add_f32_e32 v42, v42, v43
	ds_store_b32 v48, v42
.LBB461_35:                             ;   in Loop: Header=BB461_23 Depth=2
	s_or_b32 exec_lo, exec_lo, s6
	v_mov_b32_e32 v42, 0
	s_wait_dscnt 0x0
	s_barrier_signal -1
	s_barrier_wait -1
	s_and_saveexec_b32 s6, s2
	s_cbranch_execnz .LBB461_60
; %bb.36:                               ;   in Loop: Header=BB461_23 Depth=2
	s_or_b32 exec_lo, exec_lo, s6
	s_and_saveexec_b32 s6, s1
	s_cbranch_execnz .LBB461_61
.LBB461_37:                             ;   in Loop: Header=BB461_23 Depth=2
	s_or_b32 exec_lo, exec_lo, s6
	s_and_saveexec_b32 s6, s1
.LBB461_38:                             ;   in Loop: Header=BB461_23 Depth=2
	ds_store_b32 v47, v2
.LBB461_39:                             ;   in Loop: Header=BB461_23 Depth=2
	s_or_b32 exec_lo, exec_lo, s6
	ds_bpermute_b32 v43, v49, v40
	s_wait_dscnt 0x0
	s_barrier_signal -1
	s_barrier_wait -1
	v_add_f32_e32 v40, v40, v43
	ds_bpermute_b32 v43, v50, v40
	s_wait_dscnt 0x0
	v_add_f32_e32 v40, v40, v43
	ds_bpermute_b32 v43, v51, v40
	s_wait_dscnt 0x0
	v_add_f32_e32 v40, v40, v43
	ds_bpermute_b32 v43, v52, v40
	s_wait_dscnt 0x0
	v_add_f32_e32 v40, v40, v43
	ds_bpermute_b32 v43, v53, v40
	s_and_saveexec_b32 s6, s3
	s_cbranch_execz .LBB461_41
; %bb.40:                               ;   in Loop: Header=BB461_23 Depth=2
	s_wait_dscnt 0x0
	v_add_f32_e32 v40, v40, v43
	ds_store_b32 v48, v40
.LBB461_41:                             ;   in Loop: Header=BB461_23 Depth=2
	s_or_b32 exec_lo, exec_lo, s6
	v_mov_b32_e32 v40, 0
	s_wait_dscnt 0x0
	s_barrier_signal -1
	s_barrier_wait -1
	s_and_saveexec_b32 s6, s2
	s_cbranch_execnz .LBB461_62
; %bb.42:                               ;   in Loop: Header=BB461_23 Depth=2
	s_or_b32 exec_lo, exec_lo, s6
	s_and_saveexec_b32 s6, s1
	s_cbranch_execnz .LBB461_63
.LBB461_43:                             ;   in Loop: Header=BB461_23 Depth=2
	s_or_b32 exec_lo, exec_lo, s6
	s_and_saveexec_b32 s6, s1
.LBB461_44:                             ;   in Loop: Header=BB461_23 Depth=2
	ds_store_b32 v47, v2
.LBB461_45:                             ;   in Loop: Header=BB461_23 Depth=2
	s_or_b32 exec_lo, exec_lo, s6
	ds_bpermute_b32 v43, v49, v41
	s_wait_dscnt 0x0
	s_barrier_signal -1
	s_barrier_wait -1
	v_add_f32_e32 v41, v41, v43
	ds_bpermute_b32 v43, v50, v41
	s_wait_dscnt 0x0
	v_add_f32_e32 v41, v41, v43
	ds_bpermute_b32 v43, v51, v41
	s_wait_dscnt 0x0
	;; [unrolled: 3-line block ×3, first 2 shown]
	v_add_f32_e32 v41, v41, v43
	ds_bpermute_b32 v43, v53, v41
	s_and_saveexec_b32 s6, s3
	s_cbranch_execz .LBB461_47
; %bb.46:                               ;   in Loop: Header=BB461_23 Depth=2
	s_wait_dscnt 0x0
	v_add_f32_e32 v41, v41, v43
	ds_store_b32 v48, v41
.LBB461_47:                             ;   in Loop: Header=BB461_23 Depth=2
	s_or_b32 exec_lo, exec_lo, s6
	v_mov_b32_e32 v41, 0
	s_wait_dscnt 0x0
	s_barrier_signal -1
	s_barrier_wait -1
	s_and_saveexec_b32 s6, s2
	s_cbranch_execnz .LBB461_64
; %bb.48:                               ;   in Loop: Header=BB461_23 Depth=2
	s_or_b32 exec_lo, exec_lo, s6
	s_and_saveexec_b32 s6, s1
	s_cbranch_execnz .LBB461_65
.LBB461_49:                             ;   in Loop: Header=BB461_23 Depth=2
	s_or_b32 exec_lo, exec_lo, s6
	s_and_saveexec_b32 s6, s0
	s_cbranch_execz .LBB461_22
	s_branch .LBB461_66
.LBB461_50:                             ;   in Loop: Header=BB461_23 Depth=2
	s_mul_u64 s[8:9], s[24:25], s[26:27]
	s_or_b32 s66, s24, 3
	v_lshl_add_u64 v[4:5], s[8:9], 1, v[24:25]
	s_or_b32 s8, s24, 2
	s_mov_b32 s9, s25
	s_mov_b32 s67, s25
	s_mul_u64 s[8:9], s[8:9], s[26:27]
	s_or_b32 s64, s24, 1
	v_lshl_add_u64 v[6:7], s[8:9], 1, v[24:25]
	s_mul_u64 s[8:9], s[66:67], s[26:27]
	s_mov_b32 s65, s25
	s_clause 0x3
	flat_load_u16 v3, v[26:27]
	flat_load_u16 v54, v[28:29]
	;; [unrolled: 1-line block ×4, first 2 shown]
	s_wait_dscnt 0x4
	s_clause 0x1
	flat_load_b64 v[40:41], v[4:5]
	flat_load_b64 v[6:7], v[6:7]
	s_wait_xcnt 0x1
	v_lshl_add_u64 v[4:5], s[8:9], 1, v[24:25]
	s_mul_u64 s[8:9], s[64:65], s[26:27]
	s_delay_alu instid0(SALU_CYCLE_1)
	v_lshl_add_u64 v[42:43], s[8:9], 1, v[24:25]
	s_clause 0x1
	flat_load_b64 v[44:45], v[4:5]
	flat_load_b64 v[42:43], v[42:43]
	s_wait_loadcnt_dscnt 0x707
	s_wait_xcnt 0x1
	v_cvt_f32_f16_e32 v4, v3
	s_wait_loadcnt_dscnt 0x606
	v_cvt_f32_f16_e32 v55, v54
	s_wait_loadcnt_dscnt 0x505
	;; [unrolled: 2-line block ×4, first 2 shown]
	v_dual_lshrrev_b32 v3, 16, v40 :: v_dual_lshrrev_b32 v59, 16, v41
	s_wait_loadcnt_dscnt 0x202
	v_dual_lshrrev_b32 v61, 16, v6 :: v_dual_lshrrev_b32 v63, 16, v7
	v_cvt_f32_f16_e32 v68, v7
	v_cvt_f32_f16_e32 v66, v6
	;; [unrolled: 1-line block ×4, first 2 shown]
	s_wait_loadcnt_dscnt 0x101
	v_dual_lshrrev_b32 v5, 16, v44 :: v_dual_lshrrev_b32 v7, 16, v45
	v_cvt_f32_f16_e32 v54, v44
	v_cvt_f32_f16_e32 v56, v45
	s_wait_loadcnt_dscnt 0x0
	v_lshrrev_b32_e32 v67, 16, v42
	v_cvt_f32_f16_e32 v5, v5
	v_cvt_f32_f16_e32 v65, v42
	;; [unrolled: 1-line block ×3, first 2 shown]
	s_wait_xcnt 0x0
	v_lshrrev_b32_e32 v43, 16, v43
	v_cvt_f32_f16_e32 v6, v3
	v_pk_mul_f32 v[44:45], v[54:55], v[4:5]
	v_cvt_f32_f16_e32 v42, v59
	v_cvt_f32_f16_e32 v3, v61
	v_dual_mul_f32 v66, v4, v66 :: v_dual_mov_b32 v5, v55
	v_cvt_f32_f16_e32 v59, v7
	v_cvt_f32_f16_e32 v7, v67
	s_delay_alu instid0(VALU_DEP_4) | instskip(SKIP_1) | instid1(VALU_DEP_4)
	v_dual_mov_b32 v67, v44 :: v_dual_mul_f32 v44, v55, v3
	v_dual_mov_b32 v60, v55 :: v_dual_mov_b32 v62, v57
	v_pk_mul_f32 v[54:55], v[56:57], v[58:59]
	s_delay_alu instid0(VALU_DEP_3)
	v_pk_add_f32 v[66:67], v[66:67], 0 op_sel_hi:[1,0]
	v_pk_fma_f32 v[64:65], v[4:5], v[64:65], 0 op_sel_hi:[0,1,0]
	v_cvt_f32_f16_e32 v3, v63
	v_mul_f32_e32 v68, v58, v68
	v_mov_b32_e32 v69, v54
	v_pk_add_f32 v[44:45], v[66:67], v[44:45]
	v_pk_fma_f32 v[6:7], v[60:61], v[6:7], v[64:65] op_sel_hi:[0,1,1]
	v_cvt_f32_f16_e32 v43, v43
	v_mul_f32_e32 v54, v57, v3
	s_delay_alu instid0(VALU_DEP_3) | instskip(SKIP_3) | instid1(VALU_DEP_4)
	v_pk_fma_f32 v[60:61], v[58:59], v[40:41], v[6:7] op_sel_hi:[0,1,1]
	v_mov_b32_e32 v6, v58
	v_pk_add_f32 v[44:45], v[44:45], v[68:69]
	v_mov_b32_e32 v7, v57
	v_pk_fma_f32 v[42:43], v[62:63], v[42:43], v[60:61] op_sel_hi:[0,1,1]
	s_delay_alu instid0(VALU_DEP_3)
	v_pk_add_f32 v[40:41], v[44:45], v[54:55]
	s_and_not1_saveexec_b32 s11, s6
	s_cbranch_execz .LBB461_25
.LBB461_51:                             ;   in Loop: Header=BB461_23 Depth=2
	s_wait_dscnt 0x0
	v_dual_mov_b32 v41, 0 :: v_dual_mov_b32 v40, 0
	v_dual_mov_b32 v43, 0 :: v_dual_mov_b32 v42, 0
	s_and_saveexec_b32 s64, s5
	s_cbranch_execz .LBB461_68
; %bb.52:                               ;   in Loop: Header=BB461_23 Depth=2
	s_and_not1_b32 vcc_lo, exec_lo, s61
	s_cbranch_vccnz .LBB461_55
; %bb.53:                               ;   in Loop: Header=BB461_23 Depth=2
	v_mov_b64_e32 v[40:41], v[36:37]
	s_mov_b64 s[8:9], 0
.LBB461_54:                             ;   Parent Loop BB461_3 Depth=1
                                        ;     Parent Loop BB461_23 Depth=2
                                        ; =>    This Inner Loop Header: Depth=3
	flat_load_u16 v3, v[40:41]
	s_cmp_eq_u32 s8, 3
	s_wait_xcnt 0x0
	v_add_nc_u64_e32 v[40:41], s[44:45], v[40:41]
	s_cselect_b32 vcc_lo, -1, 0
	s_cmp_eq_u32 s8, 2
	s_cselect_b32 s6, -1, 0
	s_cmp_eq_u32 s8, 1
	s_cselect_b32 s7, -1, 0
	s_cmp_eq_u32 s8, 0
	s_add_nc_u64 s[8:9], s[8:9], 1
	s_wait_loadcnt_dscnt 0x0
	v_cvt_f32_f16_e32 v3, v3
	s_delay_alu instid0(VALU_DEP_1) | instskip(SKIP_1) | instid1(SALU_CYCLE_1)
	v_dual_cndmask_b32 v7, v7, v3, vcc_lo :: v_dual_cndmask_b32 v6, v6, v3, s6
	s_cselect_b32 vcc_lo, -1, 0
	v_dual_cndmask_b32 v5, v5, v3, s7 :: v_dual_cndmask_b32 v4, v4, v3, vcc_lo
	s_cmp_eq_u32 s59, s8
	s_cbranch_scc0 .LBB461_54
.LBB461_55:                             ;   in Loop: Header=BB461_23 Depth=2
	s_and_not1_b32 vcc_lo, exec_lo, s61
	s_cbranch_vccnz .LBB461_67
; %bb.56:                               ;   in Loop: Header=BB461_23 Depth=2
	v_mov_b32_e32 v42, 0
	v_mov_b64_e32 v[44:45], v[38:39]
	s_mov_b64 s[6:7], 0
	s_delay_alu instid0(VALU_DEP_2)
	v_dual_mov_b32 v43, v42 :: v_dual_mov_b32 v40, v42
	v_mov_b32_e32 v41, v42
.LBB461_57:                             ;   Parent Loop BB461_3 Depth=1
                                        ;     Parent Loop BB461_23 Depth=2
                                        ; =>    This Inner Loop Header: Depth=3
	s_delay_alu instid0(VALU_DEP_3)
	v_add_nc_u64_e32 v[54:55], s[34:35], v[44:45]
	v_add_nc_u64_e32 v[56:57], s[48:49], v[44:45]
	;; [unrolled: 1-line block ×3, first 2 shown]
	s_cmp_eq_u32 s6, 1
	s_clause 0x3
	flat_load_u16 v3, v[44:45]
	flat_load_u16 v55, v[54:55]
	;; [unrolled: 1-line block ×4, first 2 shown]
	s_cselect_b32 vcc_lo, -1, 0
	s_cmp_eq_u32 s6, 2
	s_wait_xcnt 0x2
	v_cndmask_b32_e32 v54, v4, v5, vcc_lo
	s_cselect_b32 vcc_lo, -1, 0
	s_cmp_eq_u32 s6, 3
	v_add_nc_u64_e32 v[44:45], 2, v[44:45]
	s_add_nc_u64 s[6:7], s[6:7], 1
	v_cndmask_b32_e32 v54, v54, v6, vcc_lo
	s_cselect_b32 vcc_lo, -1, 0
	s_cmp_lg_u32 s59, s6
	s_delay_alu instid0(VALU_DEP_1)
	v_cndmask_b32_e32 v54, v54, v7, vcc_lo
	s_wait_loadcnt_dscnt 0x303
	s_wait_xcnt 0x1
	v_cvt_f32_f16_e32 v56, v3
	s_wait_loadcnt_dscnt 0x202
	s_wait_xcnt 0x0
	v_cvt_f32_f16_e32 v59, v55
	s_wait_loadcnt_dscnt 0x101
	v_cvt_f32_f16_e32 v58, v57
	s_wait_loadcnt_dscnt 0x0
	v_cvt_f32_f16_e32 v57, v60
	s_delay_alu instid0(VALU_DEP_2) | instskip(NEXT) | instid1(VALU_DEP_2)
	v_pk_fma_f32 v[40:41], v[54:55], v[58:59], v[40:41] op_sel_hi:[0,1,1]
	v_pk_fma_f32 v[42:43], v[54:55], v[56:57], v[42:43] op_sel_hi:[0,1,1]
	s_cbranch_scc1 .LBB461_57
	s_branch .LBB461_68
.LBB461_58:                             ;   in Loop: Header=BB461_23 Depth=2
	ds_load_b32 v3, v47
	s_or_b32 exec_lo, exec_lo, s6
	s_and_saveexec_b32 s6, s1
	s_cbranch_execz .LBB461_31
.LBB461_59:                             ;   in Loop: Header=BB461_23 Depth=2
	s_wait_dscnt 0x0
	ds_bpermute_b32 v42, v51, v3
	s_wait_dscnt 0x0
	v_add_f32_e32 v3, v3, v42
	ds_bpermute_b32 v42, v52, v3
	s_wait_dscnt 0x0
	v_add_f32_e32 v3, v3, v42
	;; [unrolled: 3-line block ×3, first 2 shown]
	s_or_b32 exec_lo, exec_lo, s6
	s_and_saveexec_b32 s6, s1
	s_cbranch_execnz .LBB461_32
	s_branch .LBB461_33
.LBB461_60:                             ;   in Loop: Header=BB461_23 Depth=2
	ds_load_b32 v42, v47
	s_or_b32 exec_lo, exec_lo, s6
	s_and_saveexec_b32 s6, s1
	s_cbranch_execz .LBB461_37
.LBB461_61:                             ;   in Loop: Header=BB461_23 Depth=2
	s_wait_dscnt 0x0
	ds_bpermute_b32 v43, v51, v42
	s_wait_dscnt 0x0
	v_add_f32_e32 v42, v42, v43
	ds_bpermute_b32 v43, v52, v42
	s_wait_dscnt 0x0
	v_add_f32_e32 v42, v42, v43
	;; [unrolled: 3-line block ×3, first 2 shown]
	s_or_b32 exec_lo, exec_lo, s6
	s_and_saveexec_b32 s6, s1
	s_cbranch_execnz .LBB461_38
	s_branch .LBB461_39
.LBB461_62:                             ;   in Loop: Header=BB461_23 Depth=2
	ds_load_b32 v40, v47
	s_or_b32 exec_lo, exec_lo, s6
	s_and_saveexec_b32 s6, s1
	s_cbranch_execz .LBB461_43
.LBB461_63:                             ;   in Loop: Header=BB461_23 Depth=2
	s_wait_dscnt 0x0
	ds_bpermute_b32 v43, v51, v40
	s_wait_dscnt 0x0
	v_add_f32_e32 v40, v40, v43
	ds_bpermute_b32 v43, v52, v40
	s_wait_dscnt 0x0
	v_add_f32_e32 v40, v40, v43
	;; [unrolled: 3-line block ×3, first 2 shown]
	s_or_b32 exec_lo, exec_lo, s6
	s_and_saveexec_b32 s6, s1
	s_cbranch_execnz .LBB461_44
	s_branch .LBB461_45
.LBB461_64:                             ;   in Loop: Header=BB461_23 Depth=2
	ds_load_b32 v41, v47
	s_or_b32 exec_lo, exec_lo, s6
	s_and_saveexec_b32 s6, s1
	s_cbranch_execz .LBB461_49
.LBB461_65:                             ;   in Loop: Header=BB461_23 Depth=2
	s_wait_dscnt 0x0
	ds_bpermute_b32 v43, v51, v41
	s_wait_dscnt 0x0
	v_add_f32_e32 v41, v41, v43
	ds_bpermute_b32 v43, v52, v41
	s_wait_dscnt 0x0
	v_add_f32_e32 v41, v41, v43
	ds_bpermute_b32 v43, v53, v41
	s_wait_dscnt 0x0
	v_add_f32_e32 v41, v41, v43
	s_or_b32 exec_lo, exec_lo, s6
	s_and_saveexec_b32 s6, s0
	s_cbranch_execz .LBB461_22
.LBB461_66:                             ;   in Loop: Header=BB461_23 Depth=2
	s_or_b32 s64, s24, 1
	s_mov_b32 s65, s25
	s_mul_u64 s[8:9], s[24:25], s[30:31]
	v_dual_mul_f32 v3, s22, v3 :: v_dual_mul_f32 v42, s22, v42
	s_mul_u64 s[64:65], s[64:65], s[30:31]
	s_lshl_b64 s[8:9], s[8:9], 2
	s_lshl_b64 s[64:65], s[64:65], 2
	s_add_nc_u64 s[8:9], s[54:55], s[8:9]
	s_add_nc_u64 s[64:65], s[54:55], s[64:65]
	s_clause 0x1
	global_store_b32 v2, v3, s[8:9]
	global_store_b32 v2, v42, s[64:65]
	s_wait_xcnt 0x1
	s_or_b32 s8, s24, 2
	s_mov_b32 s9, s25
	s_wait_xcnt 0x0
	s_or_b32 s64, s24, 3
	s_mov_b32 s65, s25
	s_mul_u64 s[8:9], s[8:9], s[30:31]
	s_wait_dscnt 0x0
	v_dual_mul_f32 v3, s22, v40 :: v_dual_mul_f32 v40, s22, v41
	s_mul_u64 s[64:65], s[64:65], s[30:31]
	s_lshl_b64 s[8:9], s[8:9], 2
	s_lshl_b64 s[64:65], s[64:65], 2
	s_add_nc_u64 s[8:9], s[54:55], s[8:9]
	s_add_nc_u64 s[64:65], s[54:55], s[64:65]
	s_clause 0x1
	global_store_b32 v2, v3, s[8:9]
	global_store_b32 v2, v40, s[64:65]
	s_branch .LBB461_22
.LBB461_67:                             ;   in Loop: Header=BB461_23 Depth=2
	v_mov_b32_e32 v41, 0
	s_delay_alu instid0(VALU_DEP_1)
	v_dual_mov_b32 v40, v41 :: v_dual_mov_b32 v43, v41
	v_mov_b32_e32 v42, v41
.LBB461_68:                             ;   in Loop: Header=BB461_23 Depth=2
	s_or_b32 exec_lo, exec_lo, s64
	s_delay_alu instid0(SALU_CYCLE_1)
	s_or_b32 exec_lo, exec_lo, s11
	s_and_saveexec_b32 s6, s1
	s_cbranch_execnz .LBB461_26
	s_branch .LBB461_27
.LBB461_69:                             ;   in Loop: Header=BB461_3 Depth=1
	v_dual_mov_b32 v3, v2 :: v_dual_mov_b32 v4, v2
	v_mov_b32_e32 v5, v2
	s_mov_b32 s24, 0
	s_delay_alu instid0(VALU_DEP_1) | instskip(NEXT) | instid1(VALU_DEP_3)
	v_mov_b64_e32 v[6:7], v[4:5]
	v_mov_b64_e32 v[4:5], v[2:3]
.LBB461_70:                             ;   in Loop: Header=BB461_3 Depth=1
	s_cmp_ge_i32 s24, s21
	s_cbranch_scc1 .LBB461_2
; %bb.71:                               ;   in Loop: Header=BB461_3 Depth=1
	v_add_nc_u64_e32 v[0:1], v[0:1], v[18:19]
	v_cmp_gt_u32_e32 vcc_lo, 24, v46
	s_delay_alu instid0(VALU_DEP_2) | instskip(SKIP_2) | instid1(VALU_DEP_2)
	v_mad_nc_u64_u32 v[36:37], s52, s24, v[0:1]
	v_cndmask_b32_e64 v0, 0, 8, vcc_lo
	v_cmp_gt_u32_e32 vcc_lo, 28, v46
	v_add_lshl_u32 v1, v0, v46, 2
	v_cndmask_b32_e64 v3, 0, 4, vcc_lo
	v_cmp_gt_u32_e32 vcc_lo, 30, v46
	v_mad_u32 v37, s53, s24, v37
	s_delay_alu instid0(VALU_DEP_3) | instskip(SKIP_2) | instid1(VALU_DEP_2)
	v_add_lshl_u32 v3, v3, v46, 2
	v_cndmask_b32_e64 v38, 0, 2, vcc_lo
	v_cmp_ne_u32_e32 vcc_lo, 31, v46
	v_add_lshl_u32 v40, v38, v46, 2
	v_add_co_ci_u32_e64 v39, null, 0, v46, vcc_lo
	s_wait_dscnt 0x0
	s_delay_alu instid0(VALU_DEP_1)
	v_lshlrev_b32_e32 v41, 2, v39
	s_branch .LBB461_73
.LBB461_72:                             ;   in Loop: Header=BB461_73 Depth=2
	s_wait_xcnt 0x0
	s_or_b32 exec_lo, exec_lo, s6
	v_add_nc_u64_e32 v[36:37], s[52:53], v[36:37]
	s_add_co_i32 s24, s24, 1
	s_delay_alu instid0(SALU_CYCLE_1)
	s_cmp_ge_i32 s24, s21
	s_cbranch_scc1 .LBB461_2
.LBB461_73:                             ;   Parent Loop BB461_3 Depth=1
                                        ; =>  This Loop Header: Depth=2
                                        ;       Child Loop BB461_86 Depth 3
                                        ;       Child Loop BB461_89 Depth 3
	s_wait_dscnt 0x0
	v_mov_b32_e32 v0, s25
	s_and_saveexec_b32 s6, s4
	s_delay_alu instid0(SALU_CYCLE_1)
	s_xor_b32 s6, exec_lo, s6
	s_cbranch_execnz .LBB461_82
; %bb.74:                               ;   in Loop: Header=BB461_73 Depth=2
	s_and_not1_saveexec_b32 s11, s6
	s_cbranch_execnz .LBB461_83
.LBB461_75:                             ;   in Loop: Header=BB461_73 Depth=2
	s_or_b32 exec_lo, exec_lo, s11
	s_and_saveexec_b32 s6, s1
.LBB461_76:                             ;   in Loop: Header=BB461_73 Depth=2
	ds_store_b32 v47, v2
.LBB461_77:                             ;   in Loop: Header=BB461_73 Depth=2
	s_or_b32 exec_lo, exec_lo, s6
	ds_bpermute_b32 v38, v49, v0
	s_wait_storecnt_dscnt 0x0
	s_barrier_signal -1
	s_barrier_wait -1
	v_add_f32_e32 v0, v0, v38
	ds_bpermute_b32 v38, v1, v0
	s_wait_dscnt 0x0
	v_add_f32_e32 v0, v0, v38
	ds_bpermute_b32 v38, v3, v0
	s_wait_dscnt 0x0
	;; [unrolled: 3-line block ×3, first 2 shown]
	v_add_f32_e32 v0, v0, v38
	ds_bpermute_b32 v38, v41, v0
	s_and_saveexec_b32 s6, s3
	s_cbranch_execz .LBB461_79
; %bb.78:                               ;   in Loop: Header=BB461_73 Depth=2
	s_wait_dscnt 0x0
	v_add_f32_e32 v0, v0, v38
	ds_store_b32 v48, v0
.LBB461_79:                             ;   in Loop: Header=BB461_73 Depth=2
	s_or_b32 exec_lo, exec_lo, s6
	v_mov_b32_e32 v0, 0
	s_wait_dscnt 0x0
	s_barrier_signal -1
	s_barrier_wait -1
	s_and_saveexec_b32 s6, s2
	s_cbranch_execnz .LBB461_91
; %bb.80:                               ;   in Loop: Header=BB461_73 Depth=2
	s_or_b32 exec_lo, exec_lo, s6
	s_and_saveexec_b32 s6, s1
	s_cbranch_execnz .LBB461_92
.LBB461_81:                             ;   in Loop: Header=BB461_73 Depth=2
	s_or_b32 exec_lo, exec_lo, s6
	s_and_saveexec_b32 s6, s0
	s_cbranch_execz .LBB461_72
	s_branch .LBB461_93
.LBB461_82:                             ;   in Loop: Header=BB461_73 Depth=2
	s_mul_u64 s[8:9], s[24:25], s[26:27]
	s_delay_alu instid0(SALU_CYCLE_1)
	v_lshl_add_u64 v[4:5], s[8:9], 1, v[24:25]
	flat_load_b64 v[38:39], v[4:5]
	s_clause 0x3
	flat_load_u16 v0, v[28:29]
	flat_load_u16 v4, v[26:27]
	;; [unrolled: 1-line block ×4, first 2 shown]
	s_wait_loadcnt_dscnt 0x404
	v_lshrrev_b32_e32 v7, 16, v38
	s_wait_loadcnt_dscnt 0x303
	v_cvt_f32_f16_e32 v5, v0
	s_wait_loadcnt_dscnt 0x202
	v_cvt_f32_f16_e32 v4, v4
	v_cvt_f32_f16_e32 v6, v38
	v_lshrrev_b32_e32 v0, 16, v39
	v_cvt_f32_f16_e32 v7, v7
	v_cvt_f32_f16_e32 v38, v39
	s_delay_alu instid0(VALU_DEP_3) | instskip(NEXT) | instid1(VALU_DEP_3)
	v_cvt_f32_f16_e32 v39, v0
	v_pk_mul_f32 v[42:43], v[4:5], v[6:7]
	s_wait_loadcnt_dscnt 0x101
	v_cvt_f32_f16_e32 v7, v44
	s_wait_loadcnt_dscnt 0x0
	v_cvt_f32_f16_e32 v6, v45
	s_delay_alu instid0(VALU_DEP_1) | instskip(SKIP_1) | instid1(VALU_DEP_1)
	v_pk_mul_f32 v[38:39], v[6:7], v[38:39]
	v_add_f32_e32 v42, 0, v42
	v_add_f32_e32 v0, v42, v43
	s_delay_alu instid0(VALU_DEP_1) | instskip(NEXT) | instid1(VALU_DEP_1)
	v_add_f32_e32 v0, v0, v38
	v_add_f32_e32 v0, v0, v39
	s_wait_xcnt 0x0
	s_and_not1_saveexec_b32 s11, s6
	s_cbranch_execz .LBB461_75
.LBB461_83:                             ;   in Loop: Header=BB461_73 Depth=2
	s_and_saveexec_b32 s64, s5
	s_cbranch_execz .LBB461_90
; %bb.84:                               ;   in Loop: Header=BB461_73 Depth=2
	s_and_not1_b32 vcc_lo, exec_lo, s61
	s_cbranch_vccnz .LBB461_87
; %bb.85:                               ;   in Loop: Header=BB461_73 Depth=2
	v_mov_b64_e32 v[38:39], v[34:35]
	s_mov_b64 s[8:9], 0
.LBB461_86:                             ;   Parent Loop BB461_3 Depth=1
                                        ;     Parent Loop BB461_73 Depth=2
                                        ; =>    This Inner Loop Header: Depth=3
	flat_load_u16 v42, v[38:39]
	s_cmp_eq_u32 s8, 3
	s_wait_xcnt 0x0
	v_add_nc_u64_e32 v[38:39], s[44:45], v[38:39]
	s_cselect_b32 vcc_lo, -1, 0
	s_cmp_eq_u32 s8, 2
	s_cselect_b32 s6, -1, 0
	s_cmp_eq_u32 s8, 1
	s_cselect_b32 s7, -1, 0
	s_cmp_eq_u32 s8, 0
	s_add_nc_u64 s[8:9], s[8:9], 1
	s_wait_loadcnt_dscnt 0x0
	v_cvt_f32_f16_e32 v42, v42
	s_delay_alu instid0(VALU_DEP_1) | instskip(SKIP_1) | instid1(SALU_CYCLE_1)
	v_dual_cndmask_b32 v7, v7, v42, vcc_lo :: v_dual_cndmask_b32 v6, v6, v42, s6
	s_cselect_b32 vcc_lo, -1, 0
	v_dual_cndmask_b32 v5, v5, v42, s7 :: v_dual_cndmask_b32 v4, v4, v42, vcc_lo
	s_cmp_eq_u32 s59, s8
	s_cbranch_scc0 .LBB461_86
.LBB461_87:                             ;   in Loop: Header=BB461_73 Depth=2
	s_and_not1_b32 vcc_lo, exec_lo, s61
	s_cbranch_vccnz .LBB461_90
; %bb.88:                               ;   in Loop: Header=BB461_73 Depth=2
	v_mov_b64_e32 v[38:39], v[36:37]
	s_mov_b64 s[6:7], 0
.LBB461_89:                             ;   Parent Loop BB461_3 Depth=1
                                        ;     Parent Loop BB461_73 Depth=2
                                        ; =>    This Inner Loop Header: Depth=3
	flat_load_u16 v42, v[38:39]
	s_cmp_eq_u32 s6, 1
	s_wait_xcnt 0x0
	v_add_nc_u64_e32 v[38:39], 2, v[38:39]
	s_cselect_b32 vcc_lo, -1, 0
	s_cmp_eq_u32 s6, 2
	v_cndmask_b32_e32 v43, v4, v5, vcc_lo
	s_cselect_b32 vcc_lo, -1, 0
	s_cmp_eq_u32 s6, 3
	s_add_nc_u64 s[6:7], s[6:7], 1
	s_delay_alu instid0(VALU_DEP_1) | instskip(SKIP_2) | instid1(VALU_DEP_1)
	v_cndmask_b32_e32 v43, v43, v6, vcc_lo
	s_cselect_b32 vcc_lo, -1, 0
	s_cmp_lg_u32 s59, s6
	v_cndmask_b32_e32 v43, v43, v7, vcc_lo
	s_wait_loadcnt_dscnt 0x0
	s_delay_alu instid0(VALU_DEP_1)
	v_fma_mix_f32 v0, v43, v42, v0 op_sel_hi:[0,1,0]
	s_cbranch_scc1 .LBB461_89
.LBB461_90:                             ;   in Loop: Header=BB461_73 Depth=2
	s_or_b32 exec_lo, exec_lo, s64
	s_delay_alu instid0(SALU_CYCLE_1)
	s_or_b32 exec_lo, exec_lo, s11
	s_and_saveexec_b32 s6, s1
	s_cbranch_execnz .LBB461_76
	s_branch .LBB461_77
.LBB461_91:                             ;   in Loop: Header=BB461_73 Depth=2
	ds_load_b32 v0, v47
	s_or_b32 exec_lo, exec_lo, s6
	s_and_saveexec_b32 s6, s1
	s_cbranch_execz .LBB461_81
.LBB461_92:                             ;   in Loop: Header=BB461_73 Depth=2
	s_wait_dscnt 0x0
	ds_bpermute_b32 v38, v3, v0
	s_wait_dscnt 0x0
	v_add_f32_e32 v0, v0, v38
	ds_bpermute_b32 v38, v40, v0
	s_wait_dscnt 0x0
	v_add_f32_e32 v0, v0, v38
	ds_bpermute_b32 v38, v41, v0
	s_wait_dscnt 0x0
	v_add_f32_e32 v0, v0, v38
	s_or_b32 exec_lo, exec_lo, s6
	s_and_saveexec_b32 s6, s0
	s_cbranch_execz .LBB461_72
.LBB461_93:                             ;   in Loop: Header=BB461_73 Depth=2
	s_mul_u64 s[8:9], s[24:25], s[30:31]
	s_wait_dscnt 0x0
	v_mul_f32_e32 v0, s22, v0
	s_lshl_b64 s[8:9], s[8:9], 2
	s_delay_alu instid0(SALU_CYCLE_1)
	s_add_nc_u64 s[8:9], s[54:55], s[8:9]
	global_store_b32 v2, v0, s[8:9]
	s_branch .LBB461_72
.LBB461_94:
	s_sendmsg sendmsg(MSG_DEALLOC_VGPRS)
	s_endpgm
	.section	.rodata,"a",@progbits
	.p2align	6, 0x0
	.amdhsa_kernel _ZL23rocblas_gemvt_sn_kernelILb1ELi256ELi4ElPKDF16_ffEviiT4_lPKT3_lilS5_lilPT5_i
		.amdhsa_group_segment_fixed_size 128
		.amdhsa_private_segment_fixed_size 0
		.amdhsa_kernarg_size 360
		.amdhsa_user_sgpr_count 2
		.amdhsa_user_sgpr_dispatch_ptr 0
		.amdhsa_user_sgpr_queue_ptr 0
		.amdhsa_user_sgpr_kernarg_segment_ptr 1
		.amdhsa_user_sgpr_dispatch_id 0
		.amdhsa_user_sgpr_kernarg_preload_length 0
		.amdhsa_user_sgpr_kernarg_preload_offset 0
		.amdhsa_user_sgpr_private_segment_size 0
		.amdhsa_wavefront_size32 1
		.amdhsa_uses_dynamic_stack 0
		.amdhsa_enable_private_segment 0
		.amdhsa_system_sgpr_workgroup_id_x 1
		.amdhsa_system_sgpr_workgroup_id_y 0
		.amdhsa_system_sgpr_workgroup_id_z 1
		.amdhsa_system_sgpr_workgroup_info 0
		.amdhsa_system_vgpr_workitem_id 0
		.amdhsa_next_free_vgpr 70
		.amdhsa_next_free_sgpr 68
		.amdhsa_named_barrier_count 0
		.amdhsa_reserve_vcc 1
		.amdhsa_float_round_mode_32 0
		.amdhsa_float_round_mode_16_64 0
		.amdhsa_float_denorm_mode_32 3
		.amdhsa_float_denorm_mode_16_64 3
		.amdhsa_fp16_overflow 0
		.amdhsa_memory_ordered 1
		.amdhsa_forward_progress 1
		.amdhsa_inst_pref_size 34
		.amdhsa_round_robin_scheduling 0
		.amdhsa_exception_fp_ieee_invalid_op 0
		.amdhsa_exception_fp_denorm_src 0
		.amdhsa_exception_fp_ieee_div_zero 0
		.amdhsa_exception_fp_ieee_overflow 0
		.amdhsa_exception_fp_ieee_underflow 0
		.amdhsa_exception_fp_ieee_inexact 0
		.amdhsa_exception_int_div_zero 0
	.end_amdhsa_kernel
	.section	.text._ZL23rocblas_gemvt_sn_kernelILb1ELi256ELi4ElPKDF16_ffEviiT4_lPKT3_lilS5_lilPT5_i,"axG",@progbits,_ZL23rocblas_gemvt_sn_kernelILb1ELi256ELi4ElPKDF16_ffEviiT4_lPKT3_lilS5_lilPT5_i,comdat
.Lfunc_end461:
	.size	_ZL23rocblas_gemvt_sn_kernelILb1ELi256ELi4ElPKDF16_ffEviiT4_lPKT3_lilS5_lilPT5_i, .Lfunc_end461-_ZL23rocblas_gemvt_sn_kernelILb1ELi256ELi4ElPKDF16_ffEviiT4_lPKT3_lilS5_lilPT5_i
                                        ; -- End function
	.set _ZL23rocblas_gemvt_sn_kernelILb1ELi256ELi4ElPKDF16_ffEviiT4_lPKT3_lilS5_lilPT5_i.num_vgpr, 70
	.set _ZL23rocblas_gemvt_sn_kernelILb1ELi256ELi4ElPKDF16_ffEviiT4_lPKT3_lilS5_lilPT5_i.num_agpr, 0
	.set _ZL23rocblas_gemvt_sn_kernelILb1ELi256ELi4ElPKDF16_ffEviiT4_lPKT3_lilS5_lilPT5_i.numbered_sgpr, 68
	.set _ZL23rocblas_gemvt_sn_kernelILb1ELi256ELi4ElPKDF16_ffEviiT4_lPKT3_lilS5_lilPT5_i.num_named_barrier, 0
	.set _ZL23rocblas_gemvt_sn_kernelILb1ELi256ELi4ElPKDF16_ffEviiT4_lPKT3_lilS5_lilPT5_i.private_seg_size, 0
	.set _ZL23rocblas_gemvt_sn_kernelILb1ELi256ELi4ElPKDF16_ffEviiT4_lPKT3_lilS5_lilPT5_i.uses_vcc, 1
	.set _ZL23rocblas_gemvt_sn_kernelILb1ELi256ELi4ElPKDF16_ffEviiT4_lPKT3_lilS5_lilPT5_i.uses_flat_scratch, 1
	.set _ZL23rocblas_gemvt_sn_kernelILb1ELi256ELi4ElPKDF16_ffEviiT4_lPKT3_lilS5_lilPT5_i.has_dyn_sized_stack, 0
	.set _ZL23rocblas_gemvt_sn_kernelILb1ELi256ELi4ElPKDF16_ffEviiT4_lPKT3_lilS5_lilPT5_i.has_recursion, 0
	.set _ZL23rocblas_gemvt_sn_kernelILb1ELi256ELi4ElPKDF16_ffEviiT4_lPKT3_lilS5_lilPT5_i.has_indirect_call, 0
	.section	.AMDGPU.csdata,"",@progbits
; Kernel info:
; codeLenInByte = 4228
; TotalNumSgprs: 70
; NumVgprs: 70
; ScratchSize: 0
; MemoryBound: 0
; FloatMode: 240
; IeeeMode: 1
; LDSByteSize: 128 bytes/workgroup (compile time only)
; SGPRBlocks: 0
; VGPRBlocks: 4
; NumSGPRsForWavesPerEU: 70
; NumVGPRsForWavesPerEU: 70
; NamedBarCnt: 0
; Occupancy: 12
; WaveLimiterHint : 0
; COMPUTE_PGM_RSRC2:SCRATCH_EN: 0
; COMPUTE_PGM_RSRC2:USER_SGPR: 2
; COMPUTE_PGM_RSRC2:TRAP_HANDLER: 0
; COMPUTE_PGM_RSRC2:TGID_X_EN: 1
; COMPUTE_PGM_RSRC2:TGID_Y_EN: 0
; COMPUTE_PGM_RSRC2:TGID_Z_EN: 1
; COMPUTE_PGM_RSRC2:TIDIG_COMP_CNT: 0
	.section	.text._ZL20rocblas_gemvt_kernelILb1ELi256EPKDF16_PKfKPDF16_EviiT2_lPKT1_lilS9_lilS6_lPT3_lili,"axG",@progbits,_ZL20rocblas_gemvt_kernelILb1ELi256EPKDF16_PKfKPDF16_EviiT2_lPKT1_lilS9_lilS6_lPT3_lili,comdat
	.globl	_ZL20rocblas_gemvt_kernelILb1ELi256EPKDF16_PKfKPDF16_EviiT2_lPKT1_lilS9_lilS6_lPT3_lili ; -- Begin function _ZL20rocblas_gemvt_kernelILb1ELi256EPKDF16_PKfKPDF16_EviiT2_lPKT1_lilS9_lilS6_lPT3_lili
	.p2align	8
	.type	_ZL20rocblas_gemvt_kernelILb1ELi256EPKDF16_PKfKPDF16_EviiT2_lPKT1_lilS9_lilS6_lPT3_lili,@function
_ZL20rocblas_gemvt_kernelILb1ELi256EPKDF16_PKfKPDF16_EviiT2_lPKT1_lilS9_lilS6_lPT3_lili: ; @_ZL20rocblas_gemvt_kernelILb1ELi256EPKDF16_PKfKPDF16_EviiT2_lPKT1_lilS9_lilS6_lPT3_lili
; %bb.0:
	s_load_b32 s11, s[0:1], 0x88
	s_bfe_u32 s2, ttmp6, 0x40014
	s_lshr_b32 s3, ttmp7, 16
	s_add_co_i32 s2, s2, 1
	s_bfe_u32 s5, ttmp6, 0x40008
	s_mul_i32 s4, s3, s2
	s_getreg_b32 s2, hwreg(HW_REG_IB_STS2, 6, 4)
	s_add_co_i32 s5, s5, s4
	s_cmp_eq_u32 s2, 0
	s_mov_b32 s35, 0
	s_cselect_b32 s34, s3, s5
	s_wait_kmcnt 0x0
	s_cmp_ge_u32 s34, s11
	s_cbranch_scc1 .LBB462_45
; %bb.1:
	s_clause 0x3
	s_load_b32 s4, s[0:1], 0x28
	s_load_b32 s40, s[0:1], 0x48
	;; [unrolled: 1-line block ×4, first 2 shown]
	s_bfe_u32 s3, ttmp6, 0x4000c
	s_and_b32 s5, ttmp6, 15
	s_add_co_i32 s3, s3, 1
	s_load_b128 s[28:31], s[0:1], 0x38
	s_mul_i32 s3, ttmp9, s3
	s_clause 0x1
	s_load_b256 s[12:19], s[0:1], 0x8
	s_load_b256 s[20:27], s[0:1], 0x58
	s_add_co_i32 s3, s5, s3
	s_wait_xcnt 0x0
	v_cmp_eq_u32_e64 s0, 0, v0
	v_lshlrev_b32_e32 v16, 2, v0
	s_wait_kmcnt 0x0
	s_ashr_i32 s5, s4, 31
	s_ashr_i32 s41, s40, 31
	;; [unrolled: 1-line block ×3, first 2 shown]
	s_cmp_eq_u32 s2, 0
	v_cmp_gt_i32_e32 vcc_lo, s8, v0
	s_cselect_b32 s2, ttmp9, s3
	s_ashr_i32 s3, s8, 31
	s_delay_alu instid0(SALU_CYCLE_1) | instskip(SKIP_2) | instid1(SALU_CYCLE_1)
	s_lshr_b32 s3, s3, 24
	v_cndmask_b32_e32 v8, 0, v0, vcc_lo
	s_add_co_i32 s3, s8, s3
	s_and_b32 s36, s3, 0xffffff00
	s_delay_alu instid0(SALU_CYCLE_1) | instskip(SKIP_3) | instid1(VALU_DEP_1)
	v_dual_mov_b32 v1, 0 :: v_dual_bitop2_b32 v4, s36, v0 bitop3:0x54
	s_ashr_i32 s3, s2, 31
	s_cmp_gt_i32 s8, 0xff
	s_mul_u64 s[42:43], s[6:7], s[2:3]
	v_mul_u64_e32 v[6:7], s[40:41], v[0:1]
	v_ashrrev_i32_e32 v5, 31, v4
	v_cmp_gt_i32_e64 s1, s8, v4
	s_mul_u64 s[38:39], s[4:5], s[2:3]
	v_cmp_gt_u32_e64 s2, 0x80, v0
	v_cmp_gt_u32_e64 s3, 64, v0
	v_mul_u64_e32 v[2:3], s[40:41], v[4:5]
	v_cmp_gt_u32_e64 s4, 32, v0
	v_cmp_gt_u32_e64 s5, 16, v0
	;; [unrolled: 1-line block ×5, first 2 shown]
	v_lshlrev_b32_e32 v0, 1, v8
	s_cselect_b32 s33, -1, 0
	s_ashr_i32 s37, s36, 31
	s_lshl_b64 s[40:41], s[40:41], 9
	s_lshl_b64 s[18:19], s[18:19], 1
	;; [unrolled: 1-line block ×5, first 2 shown]
	v_lshlrev_b64_e32 v[4:5], 1, v[6:7]
	s_branch .LBB462_4
.LBB462_2:                              ;   in Loop: Header=BB462_4 Depth=1
	s_wait_xcnt 0x0
	s_or_b32 exec_lo, exec_lo, s10
.LBB462_3:                              ;   in Loop: Header=BB462_4 Depth=1
	s_add_co_i32 s34, s34, 0x10000
	s_delay_alu instid0(SALU_CYCLE_1)
	s_cmp_lt_u32 s34, s11
	s_cbranch_scc0 .LBB462_45
.LBB462_4:                              ; =>This Loop Header: Depth=1
                                        ;     Child Loop BB462_19 Depth 2
	s_mul_u64 s[44:45], s[14:15], s[34:35]
	s_wait_xcnt 0x0
	s_mul_u64 s[46:47], s[22:23], s[34:35]
	s_lshl_b64 s[44:45], s[44:45], 2
	s_lshl_b64 s[46:47], s[46:47], 2
	s_add_nc_u64 s[44:45], s[12:13], s[44:45]
	s_add_nc_u64 s[46:47], s[20:21], s[46:47]
	s_clause 0x1
	global_load_b32 v17, v1, s[44:45]
	global_load_b32 v6, v1, s[46:47]
	s_wait_loadcnt 0x1
	v_cmp_eq_f32_e64 s9, 0, v17
	s_wait_loadcnt 0x0
	v_cmp_eq_f32_e32 vcc_lo, 1.0, v6
	s_wait_xcnt 0x1
	v_readfirstlane_b32 s44, v6
	s_and_b32 s10, s9, vcc_lo
	s_delay_alu instid0(SALU_CYCLE_1)
	s_and_b32 vcc_lo, exec_lo, s10
	s_cbranch_vccnz .LBB462_3
; %bb.5:                                ;   in Loop: Header=BB462_4 Depth=1
	v_mov_b64_e32 v[8:9], 0
	v_mov_b64_e32 v[10:11], 0
	v_cmp_neq_f32_e64 s10, 0, v17
	s_and_b32 vcc_lo, exec_lo, s9
	s_cbranch_vccnz .LBB462_7
; %bb.6:                                ;   in Loop: Header=BB462_4 Depth=1
	s_wait_xcnt 0x0
	s_lshl_b64 s[46:47], s[34:35], 3
	s_delay_alu instid0(SALU_CYCLE_1)
	s_add_nc_u64 s[46:47], s[16:17], s[46:47]
	global_load_b64 v[6:7], v1, s[46:47]
	s_wait_loadcnt 0x0
	v_add_nc_u64_e32 v[10:11], s[18:19], v[6:7]
.LBB462_7:                              ;   in Loop: Header=BB462_4 Depth=1
	s_and_not1_b32 vcc_lo, exec_lo, s10
	s_cbranch_vccnz .LBB462_9
; %bb.8:                                ;   in Loop: Header=BB462_4 Depth=1
	s_wait_xcnt 0x0
	s_lshl_b64 s[46:47], s[34:35], 3
	s_delay_alu instid0(SALU_CYCLE_1)
	s_add_nc_u64 s[46:47], s[28:29], s[46:47]
	global_load_b64 v[6:7], v1, s[46:47]
	s_wait_loadcnt 0x0
	v_add_nc_u64_e32 v[8:9], s[30:31], v[6:7]
.LBB462_9:                              ;   in Loop: Header=BB462_4 Depth=1
	s_wait_xcnt 0x0
	s_lshl_b64 s[46:47], s[34:35], 3
	s_and_not1_b32 vcc_lo, exec_lo, s9
	s_add_nc_u64 s[46:47], s[24:25], s[46:47]
	global_load_b64 v[6:7], v1, s[46:47]
	s_wait_loadcnt 0x0
	v_add_nc_u64_e32 v[6:7], s[26:27], v[6:7]
	s_cbranch_vccnz .LBB462_13
; %bb.10:                               ;   in Loop: Header=BB462_4 Depth=1
	s_mov_b32 s10, 0
	s_mov_b32 s9, 0
                                        ; implicit-def: $vgpr12
	s_wait_xcnt 0x0
	s_and_saveexec_b32 s45, s0
	s_cbranch_execz .LBB462_14
; %bb.11:                               ;   in Loop: Header=BB462_4 Depth=1
	s_cmp_eq_f32 s44, 0
	s_cbranch_scc1 .LBB462_15
; %bb.12:                               ;   in Loop: Header=BB462_4 Depth=1
	v_add_nc_u64_e32 v[12:13], s[42:43], v[6:7]
	flat_load_u16 v12, v[12:13]
	s_wait_loadcnt_dscnt 0x0
	s_wait_xcnt 0x0
	v_fma_mixlo_f16 v12, s44, v12, 0 op_sel_hi:[0,1,0]
	s_branch .LBB462_16
.LBB462_13:                             ;   in Loop: Header=BB462_4 Depth=1
	s_mov_b32 s9, 0
                                        ; implicit-def: $vgpr12
	s_cbranch_execnz .LBB462_17
	s_branch .LBB462_43
.LBB462_14:                             ;   in Loop: Header=BB462_4 Depth=1
	s_or_b32 exec_lo, exec_lo, s45
	s_delay_alu instid0(SALU_CYCLE_1)
	s_and_b32 vcc_lo, exec_lo, s10
	s_cbranch_vccnz .LBB462_17
	s_branch .LBB462_43
.LBB462_15:                             ;   in Loop: Header=BB462_4 Depth=1
	v_mov_b32_e32 v12, 0
.LBB462_16:                             ;   in Loop: Header=BB462_4 Depth=1
	s_mov_b32 s9, exec_lo
	s_or_b32 exec_lo, exec_lo, s45
	s_delay_alu instid0(SALU_CYCLE_1)
	s_and_b32 vcc_lo, exec_lo, s10
	s_cbranch_vccz .LBB462_43
.LBB462_17:                             ;   in Loop: Header=BB462_4 Depth=1
	v_add_nc_u64_e32 v[10:11], v[10:11], v[0:1]
	v_mov_b32_e32 v18, 0
	s_and_not1_b32 vcc_lo, exec_lo, s33
	s_delay_alu instid0(VALU_DEP_2)
	v_lshl_add_u64 v[10:11], s[38:39], 1, v[10:11]
	s_cbranch_vccnz .LBB462_20
; %bb.18:                               ;   in Loop: Header=BB462_4 Depth=1
	v_add_nc_u64_e32 v[12:13], v[8:9], v[4:5]
	s_delay_alu instid0(VALU_DEP_2)
	v_mov_b64_e32 v[14:15], v[10:11]
	v_mov_b32_e32 v18, 0
	s_mov_b32 s10, 0
.LBB462_19:                             ;   Parent Loop BB462_4 Depth=1
                                        ; =>  This Inner Loop Header: Depth=2
	flat_load_u16 v19, v[14:15]
	flat_load_u16 v20, v[12:13]
	s_wait_xcnt 0x0
	v_add_nc_u64_e32 v[12:13], s[40:41], v[12:13]
	v_add_nc_u64_e32 v[14:15], 0x200, v[14:15]
	s_addk_co_i32 s10, 0x100
	s_delay_alu instid0(SALU_CYCLE_1) | instskip(SKIP_2) | instid1(VALU_DEP_1)
	s_cmp_ge_i32 s10, s36
	s_wait_loadcnt_dscnt 0x0
	v_mul_f16_e32 v19, v19, v20
	v_cvt_f32_f16_e32 v19, v19
	s_delay_alu instid0(VALU_DEP_1)
	v_add_f32_e32 v18, v18, v19
	s_cbranch_scc0 .LBB462_19
.LBB462_20:                             ;   in Loop: Header=BB462_4 Depth=1
	s_wait_xcnt 0x0
	s_and_saveexec_b32 s10, s1
	s_cbranch_execz .LBB462_22
; %bb.21:                               ;   in Loop: Header=BB462_4 Depth=1
	v_lshl_add_u64 v[10:11], s[36:37], 1, v[10:11]
	v_lshl_add_u64 v[8:9], v[2:3], 1, v[8:9]
	flat_load_u16 v12, v[10:11]
	flat_load_u16 v13, v[8:9]
	s_wait_loadcnt_dscnt 0x0
	s_wait_xcnt 0x0
	v_mul_f16_e32 v8, v12, v13
	s_delay_alu instid0(VALU_DEP_1) | instskip(NEXT) | instid1(VALU_DEP_1)
	v_cvt_f32_f16_e32 v8, v8
	v_add_f32_e32 v18, v18, v8
.LBB462_22:                             ;   in Loop: Header=BB462_4 Depth=1
	s_or_b32 exec_lo, exec_lo, s10
	ds_store_b32 v16, v18
	s_wait_dscnt 0x0
	s_barrier_signal -1
	s_barrier_wait -1
	s_and_saveexec_b32 s10, s2
	s_cbranch_execz .LBB462_24
; %bb.23:                               ;   in Loop: Header=BB462_4 Depth=1
	ds_load_2addr_stride64_b32 v[8:9], v16 offset1:2
	s_wait_dscnt 0x0
	v_add_f32_e32 v8, v9, v8
	ds_store_b32 v16, v8
.LBB462_24:                             ;   in Loop: Header=BB462_4 Depth=1
	s_or_b32 exec_lo, exec_lo, s10
	s_wait_dscnt 0x0
	s_barrier_signal -1
	s_barrier_wait -1
	s_and_saveexec_b32 s10, s3
	s_cbranch_execz .LBB462_26
; %bb.25:                               ;   in Loop: Header=BB462_4 Depth=1
	ds_load_2addr_stride64_b32 v[8:9], v16 offset1:1
	s_wait_dscnt 0x0
	v_add_f32_e32 v8, v9, v8
	ds_store_b32 v16, v8
.LBB462_26:                             ;   in Loop: Header=BB462_4 Depth=1
	s_or_b32 exec_lo, exec_lo, s10
	s_wait_dscnt 0x0
	s_barrier_signal -1
	s_barrier_wait -1
	s_and_saveexec_b32 s10, s4
	s_cbranch_execz .LBB462_28
; %bb.27:                               ;   in Loop: Header=BB462_4 Depth=1
	ds_load_2addr_b32 v[8:9], v16 offset1:32
	s_wait_dscnt 0x0
	v_add_f32_e32 v8, v9, v8
	ds_store_b32 v16, v8
.LBB462_28:                             ;   in Loop: Header=BB462_4 Depth=1
	s_or_b32 exec_lo, exec_lo, s10
	s_wait_dscnt 0x0
	s_barrier_signal -1
	s_barrier_wait -1
	s_and_saveexec_b32 s10, s5
	s_cbranch_execz .LBB462_30
; %bb.29:                               ;   in Loop: Header=BB462_4 Depth=1
	ds_load_2addr_b32 v[8:9], v16 offset1:16
	s_wait_dscnt 0x0
	v_add_f32_e32 v8, v9, v8
	ds_store_b32 v16, v8
.LBB462_30:                             ;   in Loop: Header=BB462_4 Depth=1
	s_or_b32 exec_lo, exec_lo, s10
	s_wait_dscnt 0x0
	s_barrier_signal -1
	s_barrier_wait -1
	s_and_saveexec_b32 s10, s6
	s_cbranch_execz .LBB462_32
; %bb.31:                               ;   in Loop: Header=BB462_4 Depth=1
	ds_load_2addr_b32 v[8:9], v16 offset1:8
	s_wait_dscnt 0x0
	v_add_f32_e32 v8, v9, v8
	ds_store_b32 v16, v8
.LBB462_32:                             ;   in Loop: Header=BB462_4 Depth=1
	s_or_b32 exec_lo, exec_lo, s10
	s_wait_dscnt 0x0
	s_barrier_signal -1
	s_barrier_wait -1
	s_and_saveexec_b32 s10, s7
	s_cbranch_execz .LBB462_34
; %bb.33:                               ;   in Loop: Header=BB462_4 Depth=1
	ds_load_2addr_b32 v[8:9], v16 offset1:4
	s_wait_dscnt 0x0
	v_add_f32_e32 v8, v9, v8
	ds_store_b32 v16, v8
.LBB462_34:                             ;   in Loop: Header=BB462_4 Depth=1
	s_or_b32 exec_lo, exec_lo, s10
	s_wait_dscnt 0x0
	s_barrier_signal -1
	s_barrier_wait -1
	s_and_saveexec_b32 s10, s8
	s_cbranch_execz .LBB462_36
; %bb.35:                               ;   in Loop: Header=BB462_4 Depth=1
	ds_load_2addr_b32 v[8:9], v16 offset1:2
	s_wait_dscnt 0x0
	v_add_f32_e32 v8, v9, v8
	ds_store_b32 v16, v8
.LBB462_36:                             ;   in Loop: Header=BB462_4 Depth=1
	s_or_b32 exec_lo, exec_lo, s10
	s_wait_dscnt 0x0
	s_barrier_signal -1
	s_barrier_wait -1
	s_and_saveexec_b32 s10, s0
	s_cbranch_execz .LBB462_38
; %bb.37:                               ;   in Loop: Header=BB462_4 Depth=1
	ds_load_b64 v[8:9], v1
	s_wait_dscnt 0x0
	v_add_f32_e32 v8, v9, v8
	ds_store_b32 v1, v8
.LBB462_38:                             ;   in Loop: Header=BB462_4 Depth=1
	s_or_b32 exec_lo, exec_lo, s10
	s_wait_dscnt 0x0
	s_barrier_signal -1
	s_barrier_wait -1
                                        ; implicit-def: $vgpr12
	s_and_saveexec_b32 s10, s0
	s_cbranch_execz .LBB462_42
; %bb.39:                               ;   in Loop: Header=BB462_4 Depth=1
	ds_load_b32 v8, v1
	s_cmp_eq_f32 s44, 0
	s_wait_dscnt 0x0
	v_mul_f32_e32 v8, v17, v8
	s_cbranch_scc1 .LBB462_41
; %bb.40:                               ;   in Loop: Header=BB462_4 Depth=1
	v_add_nc_u64_e32 v[10:11], s[42:43], v[6:7]
	flat_load_u16 v9, v[10:11]
	s_wait_loadcnt_dscnt 0x0
	v_fma_mix_f32 v8, s44, v9, v8 op_sel_hi:[0,1,0]
.LBB462_41:                             ;   in Loop: Header=BB462_4 Depth=1
	s_delay_alu instid0(VALU_DEP_1)
	v_cvt_f16_f32_e32 v12, v8
	s_or_b32 s9, s9, exec_lo
.LBB462_42:                             ;   in Loop: Header=BB462_4 Depth=1
	s_wait_xcnt 0x0
	s_or_b32 exec_lo, exec_lo, s10
.LBB462_43:                             ;   in Loop: Header=BB462_4 Depth=1
	s_wait_xcnt 0x0
	s_and_saveexec_b32 s10, s9
	s_cbranch_execz .LBB462_2
; %bb.44:                               ;   in Loop: Header=BB462_4 Depth=1
	v_add_nc_u64_e32 v[6:7], s[42:43], v[6:7]
	flat_store_b16 v[6:7], v12
	s_branch .LBB462_2
.LBB462_45:
	s_endpgm
	.section	.rodata,"a",@progbits
	.p2align	6, 0x0
	.amdhsa_kernel _ZL20rocblas_gemvt_kernelILb1ELi256EPKDF16_PKfKPDF16_EviiT2_lPKT1_lilS9_lilS6_lPT3_lili
		.amdhsa_group_segment_fixed_size 1024
		.amdhsa_private_segment_fixed_size 0
		.amdhsa_kernarg_size 140
		.amdhsa_user_sgpr_count 2
		.amdhsa_user_sgpr_dispatch_ptr 0
		.amdhsa_user_sgpr_queue_ptr 0
		.amdhsa_user_sgpr_kernarg_segment_ptr 1
		.amdhsa_user_sgpr_dispatch_id 0
		.amdhsa_user_sgpr_kernarg_preload_length 0
		.amdhsa_user_sgpr_kernarg_preload_offset 0
		.amdhsa_user_sgpr_private_segment_size 0
		.amdhsa_wavefront_size32 1
		.amdhsa_uses_dynamic_stack 0
		.amdhsa_enable_private_segment 0
		.amdhsa_system_sgpr_workgroup_id_x 1
		.amdhsa_system_sgpr_workgroup_id_y 0
		.amdhsa_system_sgpr_workgroup_id_z 1
		.amdhsa_system_sgpr_workgroup_info 0
		.amdhsa_system_vgpr_workitem_id 0
		.amdhsa_next_free_vgpr 21
		.amdhsa_next_free_sgpr 48
		.amdhsa_named_barrier_count 0
		.amdhsa_reserve_vcc 1
		.amdhsa_float_round_mode_32 0
		.amdhsa_float_round_mode_16_64 0
		.amdhsa_float_denorm_mode_32 3
		.amdhsa_float_denorm_mode_16_64 3
		.amdhsa_fp16_overflow 0
		.amdhsa_memory_ordered 1
		.amdhsa_forward_progress 1
		.amdhsa_inst_pref_size 12
		.amdhsa_round_robin_scheduling 0
		.amdhsa_exception_fp_ieee_invalid_op 0
		.amdhsa_exception_fp_denorm_src 0
		.amdhsa_exception_fp_ieee_div_zero 0
		.amdhsa_exception_fp_ieee_overflow 0
		.amdhsa_exception_fp_ieee_underflow 0
		.amdhsa_exception_fp_ieee_inexact 0
		.amdhsa_exception_int_div_zero 0
	.end_amdhsa_kernel
	.section	.text._ZL20rocblas_gemvt_kernelILb1ELi256EPKDF16_PKfKPDF16_EviiT2_lPKT1_lilS9_lilS6_lPT3_lili,"axG",@progbits,_ZL20rocblas_gemvt_kernelILb1ELi256EPKDF16_PKfKPDF16_EviiT2_lPKT1_lilS9_lilS6_lPT3_lili,comdat
.Lfunc_end462:
	.size	_ZL20rocblas_gemvt_kernelILb1ELi256EPKDF16_PKfKPDF16_EviiT2_lPKT1_lilS9_lilS6_lPT3_lili, .Lfunc_end462-_ZL20rocblas_gemvt_kernelILb1ELi256EPKDF16_PKfKPDF16_EviiT2_lPKT1_lilS9_lilS6_lPT3_lili
                                        ; -- End function
	.set _ZL20rocblas_gemvt_kernelILb1ELi256EPKDF16_PKfKPDF16_EviiT2_lPKT1_lilS9_lilS6_lPT3_lili.num_vgpr, 21
	.set _ZL20rocblas_gemvt_kernelILb1ELi256EPKDF16_PKfKPDF16_EviiT2_lPKT1_lilS9_lilS6_lPT3_lili.num_agpr, 0
	.set _ZL20rocblas_gemvt_kernelILb1ELi256EPKDF16_PKfKPDF16_EviiT2_lPKT1_lilS9_lilS6_lPT3_lili.numbered_sgpr, 48
	.set _ZL20rocblas_gemvt_kernelILb1ELi256EPKDF16_PKfKPDF16_EviiT2_lPKT1_lilS9_lilS6_lPT3_lili.num_named_barrier, 0
	.set _ZL20rocblas_gemvt_kernelILb1ELi256EPKDF16_PKfKPDF16_EviiT2_lPKT1_lilS9_lilS6_lPT3_lili.private_seg_size, 0
	.set _ZL20rocblas_gemvt_kernelILb1ELi256EPKDF16_PKfKPDF16_EviiT2_lPKT1_lilS9_lilS6_lPT3_lili.uses_vcc, 1
	.set _ZL20rocblas_gemvt_kernelILb1ELi256EPKDF16_PKfKPDF16_EviiT2_lPKT1_lilS9_lilS6_lPT3_lili.uses_flat_scratch, 0
	.set _ZL20rocblas_gemvt_kernelILb1ELi256EPKDF16_PKfKPDF16_EviiT2_lPKT1_lilS9_lilS6_lPT3_lili.has_dyn_sized_stack, 0
	.set _ZL20rocblas_gemvt_kernelILb1ELi256EPKDF16_PKfKPDF16_EviiT2_lPKT1_lilS9_lilS6_lPT3_lili.has_recursion, 0
	.set _ZL20rocblas_gemvt_kernelILb1ELi256EPKDF16_PKfKPDF16_EviiT2_lPKT1_lilS9_lilS6_lPT3_lili.has_indirect_call, 0
	.section	.AMDGPU.csdata,"",@progbits
; Kernel info:
; codeLenInByte = 1500
; TotalNumSgprs: 50
; NumVgprs: 21
; ScratchSize: 0
; MemoryBound: 0
; FloatMode: 240
; IeeeMode: 1
; LDSByteSize: 1024 bytes/workgroup (compile time only)
; SGPRBlocks: 0
; VGPRBlocks: 1
; NumSGPRsForWavesPerEU: 50
; NumVGPRsForWavesPerEU: 21
; NamedBarCnt: 0
; Occupancy: 16
; WaveLimiterHint : 1
; COMPUTE_PGM_RSRC2:SCRATCH_EN: 0
; COMPUTE_PGM_RSRC2:USER_SGPR: 2
; COMPUTE_PGM_RSRC2:TRAP_HANDLER: 0
; COMPUTE_PGM_RSRC2:TGID_X_EN: 1
; COMPUTE_PGM_RSRC2:TGID_Y_EN: 0
; COMPUTE_PGM_RSRC2:TGID_Z_EN: 1
; COMPUTE_PGM_RSRC2:TIDIG_COMP_CNT: 0
	.section	.text._ZL20rocblas_gemvt_kernelILb1ELi256EPKDF16_fKPDF16_EviiT2_lPKT1_lilS7_lilS4_lPT3_lili,"axG",@progbits,_ZL20rocblas_gemvt_kernelILb1ELi256EPKDF16_fKPDF16_EviiT2_lPKT1_lilS7_lilS4_lPT3_lili,comdat
	.globl	_ZL20rocblas_gemvt_kernelILb1ELi256EPKDF16_fKPDF16_EviiT2_lPKT1_lilS7_lilS4_lPT3_lili ; -- Begin function _ZL20rocblas_gemvt_kernelILb1ELi256EPKDF16_fKPDF16_EviiT2_lPKT1_lilS7_lilS4_lPT3_lili
	.p2align	8
	.type	_ZL20rocblas_gemvt_kernelILb1ELi256EPKDF16_fKPDF16_EviiT2_lPKT1_lilS7_lilS4_lPT3_lili,@function
_ZL20rocblas_gemvt_kernelILb1ELi256EPKDF16_fKPDF16_EviiT2_lPKT1_lilS7_lilS4_lPT3_lili: ; @_ZL20rocblas_gemvt_kernelILb1ELi256EPKDF16_fKPDF16_EviiT2_lPKT1_lilS7_lilS4_lPT3_lili
; %bb.0:
	s_load_b32 s9, s[0:1], 0x88
	s_bfe_u32 s2, ttmp6, 0x40014
	s_lshr_b32 s3, ttmp7, 16
	s_add_co_i32 s2, s2, 1
	s_bfe_u32 s5, ttmp6, 0x40008
	s_mul_i32 s2, s3, s2
	s_getreg_b32 s4, hwreg(HW_REG_IB_STS2, 6, 4)
	s_add_co_i32 s5, s5, s2
	s_cmp_eq_u32 s4, 0
	s_mov_b32 s11, 0
	s_cselect_b32 s10, s3, s5
	s_wait_kmcnt 0x0
	s_cmp_ge_u32 s10, s9
	s_cbranch_scc1 .LBB463_47
; %bb.1:
	s_clause 0x7
	s_load_b32 s2, s[0:1], 0x28
	s_load_b32 s28, s[0:1], 0x48
	;; [unrolled: 1-line block ×5, first 2 shown]
	s_load_b128 s[12:15], s[0:1], 0x18
	s_load_b32 s8, s[0:1], 0x0
	s_load_b128 s[20:23], s[0:1], 0x68
	v_lshlrev_b32_e32 v17, 2, v0
	s_wait_kmcnt 0x0
	s_ashr_i32 s3, s2, 31
	s_ashr_i32 s29, s28, 31
	;; [unrolled: 1-line block ×3, first 2 shown]
	s_cmp_eq_f32 s33, 0
	s_cselect_b32 s35, -1, 0
	s_cmp_neq_f32 s34, 1.0
	s_cselect_b32 s5, -1, 0
	s_cmp_neq_f32 s33, 0
	s_cselect_b32 s16, -1, 0
	s_delay_alu instid0(SALU_CYCLE_1)
	s_or_b32 s36, s16, s5
	s_cmp_neq_f32 s34, 0
	v_cndmask_b32_e64 v16, 0, 1, s16
	s_cselect_b32 s37, -1, 0
	s_bfe_u32 s5, ttmp6, 0x4000c
	s_and_b32 s16, ttmp6, 15
	s_add_co_i32 s5, s5, 1
	s_delay_alu instid0(SALU_CYCLE_1) | instskip(NEXT) | instid1(SALU_CYCLE_1)
	s_mul_i32 s5, ttmp9, s5
	s_add_co_i32 s16, s16, s5
	s_cmp_eq_u32 s4, 0
	s_cselect_b32 s4, ttmp9, s16
	s_load_b128 s[16:19], s[0:1], 0x38
	s_ashr_i32 s5, s8, 31
	v_cmp_gt_i32_e32 vcc_lo, s8, v0
	s_lshr_b32 s5, s5, 24
	s_wait_xcnt 0x0
	v_cmp_eq_u32_e64 s0, 0, v0
	s_add_co_i32 s5, s8, s5
	s_delay_alu instid0(SALU_CYCLE_1) | instskip(NEXT) | instid1(SALU_CYCLE_1)
	s_and_b32 s24, s5, 0xffffff00
	v_dual_mov_b32 v1, 0 :: v_dual_bitop2_b32 v6, s24, v0 bitop3:0x54
	v_cndmask_b32_e32 v8, 0, v0, vcc_lo
	s_ashr_i32 s5, s4, 31
	s_cmp_gt_i32 s8, 0xff
	s_delay_alu instid0(VALU_DEP_2)
	v_mul_u64_e32 v[4:5], s[28:29], v[0:1]
	v_ashrrev_i32_e32 v7, 31, v6
	s_mul_u64 s[30:31], s[6:7], s[4:5]
	s_mul_u64 s[26:27], s[2:3], s[4:5]
	v_cmp_gt_i32_e64 s1, s8, v6
	v_cmp_gt_u32_e64 s2, 0x80, v0
	v_mul_u64_e32 v[2:3], s[28:29], v[6:7]
	v_cmp_gt_u32_e64 s3, 64, v0
	v_cmp_gt_u32_e64 s4, 32, v0
	;; [unrolled: 1-line block ×6, first 2 shown]
	v_lshlrev_b32_e32 v0, 1, v8
	s_cselect_b32 s38, -1, 0
	s_ashr_i32 s25, s24, 31
	s_lshl_b64 s[28:29], s[28:29], 9
	s_lshl_b64 s[14:15], s[14:15], 1
	s_wait_kmcnt 0x0
	s_lshl_b64 s[18:19], s[18:19], 1
	s_lshl_b64 s[22:23], s[22:23], 1
	;; [unrolled: 1-line block ×3, first 2 shown]
	v_lshlrev_b64_e32 v[4:5], 1, v[4:5]
	s_branch .LBB463_4
.LBB463_2:                              ;   in Loop: Header=BB463_4 Depth=1
	s_wait_xcnt 0x0
	s_or_b32 exec_lo, exec_lo, s40
.LBB463_3:                              ;   in Loop: Header=BB463_4 Depth=1
	s_add_co_i32 s10, s10, 0x10000
	s_delay_alu instid0(SALU_CYCLE_1)
	s_cmp_lt_u32 s10, s9
	s_cbranch_scc0 .LBB463_47
.LBB463_4:                              ; =>This Loop Header: Depth=1
                                        ;     Child Loop BB463_21 Depth 2
	s_and_not1_b32 vcc_lo, exec_lo, s36
	s_cbranch_vccnz .LBB463_3
; %bb.5:                                ;   in Loop: Header=BB463_4 Depth=1
	s_and_not1_b32 vcc_lo, exec_lo, s35
	s_cbranch_vccnz .LBB463_7
; %bb.6:                                ;   in Loop: Header=BB463_4 Depth=1
	v_mov_b64_e32 v[8:9], 0
	v_mov_b64_e32 v[10:11], 0
	s_cbranch_execz .LBB463_8
	s_branch .LBB463_9
.LBB463_7:                              ;   in Loop: Header=BB463_4 Depth=1
	v_mov_b64_e32 v[8:9], 0
	v_mov_b64_e32 v[10:11], 0
.LBB463_8:                              ;   in Loop: Header=BB463_4 Depth=1
	s_lshl_b64 s[40:41], s[10:11], 3
	s_delay_alu instid0(SALU_CYCLE_1)
	s_add_nc_u64 s[40:41], s[12:13], s[40:41]
	global_load_b64 v[6:7], v1, s[40:41]
	s_wait_loadcnt 0x0
	v_add_nc_u64_e32 v[10:11], s[14:15], v[6:7]
.LBB463_9:                              ;   in Loop: Header=BB463_4 Depth=1
	v_cmp_ne_u32_e32 vcc_lo, 1, v16
	s_cbranch_vccnz .LBB463_11
; %bb.10:                               ;   in Loop: Header=BB463_4 Depth=1
	s_wait_xcnt 0x0
	s_lshl_b64 s[40:41], s[10:11], 3
	s_delay_alu instid0(SALU_CYCLE_1)
	s_add_nc_u64 s[40:41], s[16:17], s[40:41]
	global_load_b64 v[6:7], v1, s[40:41]
	s_wait_loadcnt 0x0
	v_add_nc_u64_e32 v[8:9], s[18:19], v[6:7]
.LBB463_11:                             ;   in Loop: Header=BB463_4 Depth=1
	s_wait_xcnt 0x0
	s_lshl_b64 s[40:41], s[10:11], 3
	s_and_not1_b32 vcc_lo, exec_lo, s35
	s_add_nc_u64 s[40:41], s[20:21], s[40:41]
	global_load_b64 v[6:7], v1, s[40:41]
	s_wait_loadcnt 0x0
	v_add_nc_u64_e32 v[6:7], s[22:23], v[6:7]
	s_cbranch_vccnz .LBB463_15
; %bb.12:                               ;   in Loop: Header=BB463_4 Depth=1
	s_wait_xcnt 0x0
	s_mov_b32 s40, 0
	s_mov_b32 s39, 0
                                        ; implicit-def: $vgpr12
	s_and_saveexec_b32 s41, s0
	s_cbranch_execz .LBB463_16
; %bb.13:                               ;   in Loop: Header=BB463_4 Depth=1
	s_and_not1_b32 vcc_lo, exec_lo, s37
	s_cbranch_vccnz .LBB463_17
; %bb.14:                               ;   in Loop: Header=BB463_4 Depth=1
	v_add_nc_u64_e32 v[12:13], s[30:31], v[6:7]
	flat_load_u16 v12, v[12:13]
	s_wait_loadcnt_dscnt 0x0
	s_wait_xcnt 0x0
	v_fma_mixlo_f16 v12, s34, v12, 0 op_sel_hi:[0,1,0]
	s_branch .LBB463_18
.LBB463_15:                             ;   in Loop: Header=BB463_4 Depth=1
	s_wait_xcnt 0x0
	s_mov_b32 s39, 0
                                        ; implicit-def: $vgpr12
	s_cbranch_execnz .LBB463_19
	s_branch .LBB463_45
.LBB463_16:                             ;   in Loop: Header=BB463_4 Depth=1
	s_or_b32 exec_lo, exec_lo, s41
	s_delay_alu instid0(SALU_CYCLE_1)
	s_and_b32 vcc_lo, exec_lo, s40
	s_cbranch_vccnz .LBB463_19
	s_branch .LBB463_45
.LBB463_17:                             ;   in Loop: Header=BB463_4 Depth=1
	v_mov_b32_e32 v12, 0
.LBB463_18:                             ;   in Loop: Header=BB463_4 Depth=1
	s_mov_b32 s39, exec_lo
	s_or_b32 exec_lo, exec_lo, s41
	s_delay_alu instid0(SALU_CYCLE_1)
	s_and_b32 vcc_lo, exec_lo, s40
	s_cbranch_vccz .LBB463_45
.LBB463_19:                             ;   in Loop: Header=BB463_4 Depth=1
	v_add_nc_u64_e32 v[10:11], v[10:11], v[0:1]
	v_mov_b32_e32 v18, 0
	s_and_not1_b32 vcc_lo, exec_lo, s38
	s_delay_alu instid0(VALU_DEP_2)
	v_lshl_add_u64 v[10:11], s[26:27], 1, v[10:11]
	s_cbranch_vccnz .LBB463_22
; %bb.20:                               ;   in Loop: Header=BB463_4 Depth=1
	v_add_nc_u64_e32 v[12:13], v[8:9], v[4:5]
	s_delay_alu instid0(VALU_DEP_2)
	v_mov_b64_e32 v[14:15], v[10:11]
	v_mov_b32_e32 v18, 0
	s_mov_b32 s40, 0
.LBB463_21:                             ;   Parent Loop BB463_4 Depth=1
                                        ; =>  This Inner Loop Header: Depth=2
	flat_load_u16 v19, v[14:15]
	flat_load_u16 v20, v[12:13]
	s_wait_xcnt 0x0
	v_add_nc_u64_e32 v[12:13], s[28:29], v[12:13]
	v_add_nc_u64_e32 v[14:15], 0x200, v[14:15]
	s_addk_co_i32 s40, 0x100
	s_delay_alu instid0(SALU_CYCLE_1) | instskip(SKIP_2) | instid1(VALU_DEP_1)
	s_cmp_ge_i32 s40, s24
	s_wait_loadcnt_dscnt 0x0
	v_mul_f16_e32 v19, v19, v20
	v_cvt_f32_f16_e32 v19, v19
	s_delay_alu instid0(VALU_DEP_1)
	v_add_f32_e32 v18, v18, v19
	s_cbranch_scc0 .LBB463_21
.LBB463_22:                             ;   in Loop: Header=BB463_4 Depth=1
	s_and_saveexec_b32 s40, s1
	s_cbranch_execz .LBB463_24
; %bb.23:                               ;   in Loop: Header=BB463_4 Depth=1
	s_delay_alu instid0(VALU_DEP_1)
	v_lshl_add_u64 v[10:11], s[24:25], 1, v[10:11]
	v_lshl_add_u64 v[8:9], v[2:3], 1, v[8:9]
	flat_load_u16 v12, v[10:11]
	flat_load_u16 v13, v[8:9]
	s_wait_loadcnt_dscnt 0x0
	s_wait_xcnt 0x0
	v_mul_f16_e32 v8, v12, v13
	s_delay_alu instid0(VALU_DEP_1) | instskip(NEXT) | instid1(VALU_DEP_1)
	v_cvt_f32_f16_e32 v8, v8
	v_add_f32_e32 v18, v18, v8
.LBB463_24:                             ;   in Loop: Header=BB463_4 Depth=1
	s_or_b32 exec_lo, exec_lo, s40
	ds_store_b32 v17, v18
	s_wait_dscnt 0x0
	s_barrier_signal -1
	s_barrier_wait -1
	s_and_saveexec_b32 s40, s2
	s_cbranch_execz .LBB463_26
; %bb.25:                               ;   in Loop: Header=BB463_4 Depth=1
	ds_load_2addr_stride64_b32 v[8:9], v17 offset1:2
	s_wait_dscnt 0x0
	v_add_f32_e32 v8, v9, v8
	ds_store_b32 v17, v8
.LBB463_26:                             ;   in Loop: Header=BB463_4 Depth=1
	s_or_b32 exec_lo, exec_lo, s40
	s_wait_dscnt 0x0
	s_barrier_signal -1
	s_barrier_wait -1
	s_and_saveexec_b32 s40, s3
	s_cbranch_execz .LBB463_28
; %bb.27:                               ;   in Loop: Header=BB463_4 Depth=1
	ds_load_2addr_stride64_b32 v[8:9], v17 offset1:1
	s_wait_dscnt 0x0
	v_add_f32_e32 v8, v9, v8
	ds_store_b32 v17, v8
.LBB463_28:                             ;   in Loop: Header=BB463_4 Depth=1
	s_or_b32 exec_lo, exec_lo, s40
	s_wait_dscnt 0x0
	s_barrier_signal -1
	s_barrier_wait -1
	s_and_saveexec_b32 s40, s4
	s_cbranch_execz .LBB463_30
; %bb.29:                               ;   in Loop: Header=BB463_4 Depth=1
	ds_load_2addr_b32 v[8:9], v17 offset1:32
	s_wait_dscnt 0x0
	v_add_f32_e32 v8, v9, v8
	ds_store_b32 v17, v8
.LBB463_30:                             ;   in Loop: Header=BB463_4 Depth=1
	s_or_b32 exec_lo, exec_lo, s40
	s_wait_dscnt 0x0
	s_barrier_signal -1
	s_barrier_wait -1
	s_and_saveexec_b32 s40, s5
	s_cbranch_execz .LBB463_32
; %bb.31:                               ;   in Loop: Header=BB463_4 Depth=1
	ds_load_2addr_b32 v[8:9], v17 offset1:16
	s_wait_dscnt 0x0
	v_add_f32_e32 v8, v9, v8
	ds_store_b32 v17, v8
.LBB463_32:                             ;   in Loop: Header=BB463_4 Depth=1
	;; [unrolled: 12-line block ×5, first 2 shown]
	s_or_b32 exec_lo, exec_lo, s40
	s_wait_dscnt 0x0
	s_barrier_signal -1
	s_barrier_wait -1
	s_and_saveexec_b32 s40, s0
	s_cbranch_execz .LBB463_40
; %bb.39:                               ;   in Loop: Header=BB463_4 Depth=1
	ds_load_b64 v[8:9], v1
	s_wait_dscnt 0x0
	v_add_f32_e32 v8, v9, v8
	ds_store_b32 v1, v8
.LBB463_40:                             ;   in Loop: Header=BB463_4 Depth=1
	s_or_b32 exec_lo, exec_lo, s40
	s_wait_dscnt 0x0
	s_barrier_signal -1
	s_barrier_wait -1
                                        ; implicit-def: $vgpr12
	s_and_saveexec_b32 s40, s0
	s_cbranch_execz .LBB463_44
; %bb.41:                               ;   in Loop: Header=BB463_4 Depth=1
	ds_load_b32 v8, v1
	s_and_not1_b32 vcc_lo, exec_lo, s37
	s_wait_dscnt 0x0
	v_mul_f32_e32 v8, s33, v8
	s_cbranch_vccnz .LBB463_43
; %bb.42:                               ;   in Loop: Header=BB463_4 Depth=1
	v_add_nc_u64_e32 v[10:11], s[30:31], v[6:7]
	flat_load_u16 v9, v[10:11]
	s_wait_loadcnt_dscnt 0x0
	v_fma_mix_f32 v8, s34, v9, v8 op_sel_hi:[0,1,0]
.LBB463_43:                             ;   in Loop: Header=BB463_4 Depth=1
	s_delay_alu instid0(VALU_DEP_1)
	v_cvt_f16_f32_e32 v12, v8
	s_or_b32 s39, s39, exec_lo
.LBB463_44:                             ;   in Loop: Header=BB463_4 Depth=1
	s_wait_xcnt 0x0
	s_or_b32 exec_lo, exec_lo, s40
.LBB463_45:                             ;   in Loop: Header=BB463_4 Depth=1
	s_and_saveexec_b32 s40, s39
	s_cbranch_execz .LBB463_2
; %bb.46:                               ;   in Loop: Header=BB463_4 Depth=1
	v_add_nc_u64_e32 v[6:7], s[30:31], v[6:7]
	flat_store_b16 v[6:7], v12
	s_branch .LBB463_2
.LBB463_47:
	s_endpgm
	.section	.rodata,"a",@progbits
	.p2align	6, 0x0
	.amdhsa_kernel _ZL20rocblas_gemvt_kernelILb1ELi256EPKDF16_fKPDF16_EviiT2_lPKT1_lilS7_lilS4_lPT3_lili
		.amdhsa_group_segment_fixed_size 1024
		.amdhsa_private_segment_fixed_size 0
		.amdhsa_kernarg_size 140
		.amdhsa_user_sgpr_count 2
		.amdhsa_user_sgpr_dispatch_ptr 0
		.amdhsa_user_sgpr_queue_ptr 0
		.amdhsa_user_sgpr_kernarg_segment_ptr 1
		.amdhsa_user_sgpr_dispatch_id 0
		.amdhsa_user_sgpr_kernarg_preload_length 0
		.amdhsa_user_sgpr_kernarg_preload_offset 0
		.amdhsa_user_sgpr_private_segment_size 0
		.amdhsa_wavefront_size32 1
		.amdhsa_uses_dynamic_stack 0
		.amdhsa_enable_private_segment 0
		.amdhsa_system_sgpr_workgroup_id_x 1
		.amdhsa_system_sgpr_workgroup_id_y 0
		.amdhsa_system_sgpr_workgroup_id_z 1
		.amdhsa_system_sgpr_workgroup_info 0
		.amdhsa_system_vgpr_workitem_id 0
		.amdhsa_next_free_vgpr 21
		.amdhsa_next_free_sgpr 42
		.amdhsa_named_barrier_count 0
		.amdhsa_reserve_vcc 1
		.amdhsa_float_round_mode_32 0
		.amdhsa_float_round_mode_16_64 0
		.amdhsa_float_denorm_mode_32 3
		.amdhsa_float_denorm_mode_16_64 3
		.amdhsa_fp16_overflow 0
		.amdhsa_memory_ordered 1
		.amdhsa_forward_progress 1
		.amdhsa_inst_pref_size 12
		.amdhsa_round_robin_scheduling 0
		.amdhsa_exception_fp_ieee_invalid_op 0
		.amdhsa_exception_fp_denorm_src 0
		.amdhsa_exception_fp_ieee_div_zero 0
		.amdhsa_exception_fp_ieee_overflow 0
		.amdhsa_exception_fp_ieee_underflow 0
		.amdhsa_exception_fp_ieee_inexact 0
		.amdhsa_exception_int_div_zero 0
	.end_amdhsa_kernel
	.section	.text._ZL20rocblas_gemvt_kernelILb1ELi256EPKDF16_fKPDF16_EviiT2_lPKT1_lilS7_lilS4_lPT3_lili,"axG",@progbits,_ZL20rocblas_gemvt_kernelILb1ELi256EPKDF16_fKPDF16_EviiT2_lPKT1_lilS7_lilS4_lPT3_lili,comdat
.Lfunc_end463:
	.size	_ZL20rocblas_gemvt_kernelILb1ELi256EPKDF16_fKPDF16_EviiT2_lPKT1_lilS7_lilS4_lPT3_lili, .Lfunc_end463-_ZL20rocblas_gemvt_kernelILb1ELi256EPKDF16_fKPDF16_EviiT2_lPKT1_lilS7_lilS4_lPT3_lili
                                        ; -- End function
	.set _ZL20rocblas_gemvt_kernelILb1ELi256EPKDF16_fKPDF16_EviiT2_lPKT1_lilS7_lilS4_lPT3_lili.num_vgpr, 21
	.set _ZL20rocblas_gemvt_kernelILb1ELi256EPKDF16_fKPDF16_EviiT2_lPKT1_lilS7_lilS4_lPT3_lili.num_agpr, 0
	.set _ZL20rocblas_gemvt_kernelILb1ELi256EPKDF16_fKPDF16_EviiT2_lPKT1_lilS7_lilS4_lPT3_lili.numbered_sgpr, 42
	.set _ZL20rocblas_gemvt_kernelILb1ELi256EPKDF16_fKPDF16_EviiT2_lPKT1_lilS7_lilS4_lPT3_lili.num_named_barrier, 0
	.set _ZL20rocblas_gemvt_kernelILb1ELi256EPKDF16_fKPDF16_EviiT2_lPKT1_lilS7_lilS4_lPT3_lili.private_seg_size, 0
	.set _ZL20rocblas_gemvt_kernelILb1ELi256EPKDF16_fKPDF16_EviiT2_lPKT1_lilS7_lilS4_lPT3_lili.uses_vcc, 1
	.set _ZL20rocblas_gemvt_kernelILb1ELi256EPKDF16_fKPDF16_EviiT2_lPKT1_lilS7_lilS4_lPT3_lili.uses_flat_scratch, 0
	.set _ZL20rocblas_gemvt_kernelILb1ELi256EPKDF16_fKPDF16_EviiT2_lPKT1_lilS7_lilS4_lPT3_lili.has_dyn_sized_stack, 0
	.set _ZL20rocblas_gemvt_kernelILb1ELi256EPKDF16_fKPDF16_EviiT2_lPKT1_lilS7_lilS4_lPT3_lili.has_recursion, 0
	.set _ZL20rocblas_gemvt_kernelILb1ELi256EPKDF16_fKPDF16_EviiT2_lPKT1_lilS7_lilS4_lPT3_lili.has_indirect_call, 0
	.section	.AMDGPU.csdata,"",@progbits
; Kernel info:
; codeLenInByte = 1480
; TotalNumSgprs: 44
; NumVgprs: 21
; ScratchSize: 0
; MemoryBound: 0
; FloatMode: 240
; IeeeMode: 1
; LDSByteSize: 1024 bytes/workgroup (compile time only)
; SGPRBlocks: 0
; VGPRBlocks: 1
; NumSGPRsForWavesPerEU: 44
; NumVGPRsForWavesPerEU: 21
; NamedBarCnt: 0
; Occupancy: 16
; WaveLimiterHint : 1
; COMPUTE_PGM_RSRC2:SCRATCH_EN: 0
; COMPUTE_PGM_RSRC2:USER_SGPR: 2
; COMPUTE_PGM_RSRC2:TRAP_HANDLER: 0
; COMPUTE_PGM_RSRC2:TGID_X_EN: 1
; COMPUTE_PGM_RSRC2:TGID_Y_EN: 0
; COMPUTE_PGM_RSRC2:TGID_Z_EN: 1
; COMPUTE_PGM_RSRC2:TIDIG_COMP_CNT: 0
	.section	.text._ZL32rocblas_gemvt_warp_reduce_kernelILb1ELi1024EiPKDF16_PKfKPDF16_EviiT3_lPKT2_lT1_lS9_lSA_lS6_lPT4_lSA_li,"axG",@progbits,_ZL32rocblas_gemvt_warp_reduce_kernelILb1ELi1024EiPKDF16_PKfKPDF16_EviiT3_lPKT2_lT1_lS9_lSA_lS6_lPT4_lSA_li,comdat
	.globl	_ZL32rocblas_gemvt_warp_reduce_kernelILb1ELi1024EiPKDF16_PKfKPDF16_EviiT3_lPKT2_lT1_lS9_lSA_lS6_lPT4_lSA_li ; -- Begin function _ZL32rocblas_gemvt_warp_reduce_kernelILb1ELi1024EiPKDF16_PKfKPDF16_EviiT3_lPKT2_lT1_lS9_lSA_lS6_lPT4_lSA_li
	.p2align	8
	.type	_ZL32rocblas_gemvt_warp_reduce_kernelILb1ELi1024EiPKDF16_PKfKPDF16_EviiT3_lPKT2_lT1_lS9_lSA_lS6_lPT4_lSA_li,@function
_ZL32rocblas_gemvt_warp_reduce_kernelILb1ELi1024EiPKDF16_PKfKPDF16_EviiT3_lPKT2_lT1_lS9_lSA_lS6_lPT4_lSA_li: ; @_ZL32rocblas_gemvt_warp_reduce_kernelILb1ELi1024EiPKDF16_PKfKPDF16_EviiT3_lPKT2_lT1_lS9_lSA_lS6_lPT4_lSA_li
; %bb.0:
	s_load_b32 s7, s[0:1], 0x88
	s_bfe_u32 s2, ttmp6, 0x40014
	s_lshr_b32 s3, ttmp7, 16
	s_add_co_i32 s2, s2, 1
	s_bfe_u32 s5, ttmp6, 0x40008
	s_mul_i32 s4, s3, s2
	s_getreg_b32 s2, hwreg(HW_REG_IB_STS2, 6, 4)
	s_add_co_i32 s5, s5, s4
	s_cmp_eq_u32 s2, 0
	s_mov_b32 s29, 0
	s_cselect_b32 s28, s3, s5
	s_wait_kmcnt 0x0
	s_cmp_ge_u32 s28, s7
	s_cbranch_scc1 .LBB464_38
; %bb.1:
	s_clause 0x6
	s_load_b32 s4, s[0:1], 0x0
	s_load_b256 s[8:15], s[0:1], 0x8
	s_load_b32 s3, s[0:1], 0x28
	s_load_b128 s[24:27], s[0:1], 0x38
	s_load_b32 s5, s[0:1], 0x48
	s_load_b256 s[16:23], s[0:1], 0x58
	s_load_b32 s6, s[0:1], 0x78
	s_wait_xcnt 0x0
	s_bfe_u32 s1, ttmp6, 0x4000c
	s_and_b32 s30, ttmp6, 15
	s_add_co_i32 s1, s1, 1
	v_dual_mov_b32 v3, 0 :: v_dual_bitop2_b32 v2, 31, v0 bitop3:0x40
	s_mul_i32 s1, ttmp9, s1
	v_lshrrev_b32_e32 v4, 3, v0
	s_add_co_i32 s30, s30, s1
	s_cmp_eq_u32 s2, 0
	v_lshlrev_b32_e32 v14, 2, v2
	s_cselect_b32 s31, ttmp9, s30
	v_and_b32_e32 v15, 0x7c, v4
	v_mbcnt_lo_u32_b32 v1, -1, 0
	s_wait_kmcnt 0x0
	s_ashr_i32 s2, s4, 31
	v_cmp_gt_i32_e32 vcc_lo, s4, v0
	s_lshr_b32 s2, s2, 22
	v_cmp_eq_u32_e64 s0, 0, v0
	s_add_co_i32 s2, s4, s2
	v_mul_lo_u32 v16, v0, s5
	s_and_b32 s30, s2, 0xfffffc00
	v_cmp_eq_u32_e64 s2, 0, v2
	v_dual_cndmask_b32 v2, 0, v0, vcc_lo :: v_dual_bitop2_b32 v5, s30, v0 bitop3:0x54
	s_mul_i32 s36, s6, s31
	v_cmp_gt_u32_e64 s1, 32, v0
	s_mul_i32 s34, s3, s31
	v_mul_lo_u32 v4, s5, v5
	v_lshlrev_b32_e32 v2, 1, v2
	v_cmp_gt_i32_e64 s3, s30, v0
	v_cmp_gt_i32_e64 s4, s4, v5
	v_lshl_or_b32 v17, v1, 2, 64
	s_ashr_i32 s37, s36, 31
	s_lshl_b32 s33, s5, 10
	s_lshl_b64 s[14:15], s[14:15], 1
	s_ashr_i32 s35, s34, 31
	s_ashr_i32 s31, s30, 31
	s_lshl_b64 s[26:27], s[26:27], 1
	v_ashrrev_i32_e32 v5, 31, v4
	s_lshl_b64 s[22:23], s[22:23], 1
	s_lshl_b64 s[36:37], s[36:37], 1
	s_branch .LBB464_4
.LBB464_2:                              ;   in Loop: Header=BB464_4 Depth=1
	s_wait_xcnt 0x0
	s_or_b32 exec_lo, exec_lo, s6
.LBB464_3:                              ;   in Loop: Header=BB464_4 Depth=1
	s_add_co_i32 s28, s28, 0x10000
	s_delay_alu instid0(SALU_CYCLE_1)
	s_cmp_lt_u32 s28, s7
	s_cbranch_scc0 .LBB464_38
.LBB464_4:                              ; =>This Loop Header: Depth=1
                                        ;     Child Loop BB464_27 Depth 2
	s_mul_u64 s[38:39], s[10:11], s[28:29]
	s_wait_xcnt 0x0
	s_mul_u64 s[40:41], s[18:19], s[28:29]
	s_lshl_b64 s[38:39], s[38:39], 2
	s_lshl_b64 s[40:41], s[40:41], 2
	s_add_nc_u64 s[38:39], s[8:9], s[38:39]
	s_add_nc_u64 s[40:41], s[16:17], s[40:41]
	s_clause 0x1
	global_load_b32 v18, v3, s[38:39]
	global_load_b32 v6, v3, s[40:41]
	s_wait_loadcnt 0x1
	v_cmp_eq_f32_e64 s5, 0, v18
	s_wait_loadcnt 0x0
	v_cmp_eq_f32_e32 vcc_lo, 1.0, v6
	s_wait_xcnt 0x1
	v_readfirstlane_b32 s38, v6
	s_and_b32 s6, s5, vcc_lo
	s_delay_alu instid0(SALU_CYCLE_1)
	s_and_b32 vcc_lo, exec_lo, s6
	s_cbranch_vccnz .LBB464_3
; %bb.5:                                ;   in Loop: Header=BB464_4 Depth=1
	v_mov_b64_e32 v[8:9], 0
	v_mov_b64_e32 v[10:11], 0
	v_cmp_neq_f32_e64 s6, 0, v18
	s_and_b32 vcc_lo, exec_lo, s5
	s_cbranch_vccnz .LBB464_7
; %bb.6:                                ;   in Loop: Header=BB464_4 Depth=1
	s_wait_xcnt 0x0
	s_lshl_b64 s[40:41], s[28:29], 3
	s_delay_alu instid0(SALU_CYCLE_1)
	s_add_nc_u64 s[40:41], s[12:13], s[40:41]
	global_load_b64 v[6:7], v3, s[40:41]
	s_wait_loadcnt 0x0
	v_add_nc_u64_e32 v[10:11], s[14:15], v[6:7]
.LBB464_7:                              ;   in Loop: Header=BB464_4 Depth=1
	s_and_not1_b32 vcc_lo, exec_lo, s6
	s_cbranch_vccnz .LBB464_9
; %bb.8:                                ;   in Loop: Header=BB464_4 Depth=1
	s_wait_xcnt 0x0
	s_lshl_b64 s[40:41], s[28:29], 3
	s_delay_alu instid0(SALU_CYCLE_1)
	s_add_nc_u64 s[40:41], s[24:25], s[40:41]
	global_load_b64 v[6:7], v3, s[40:41]
	s_wait_loadcnt 0x0
	v_add_nc_u64_e32 v[8:9], s[26:27], v[6:7]
.LBB464_9:                              ;   in Loop: Header=BB464_4 Depth=1
	s_wait_xcnt 0x0
	s_lshl_b64 s[40:41], s[28:29], 3
	s_and_not1_b32 vcc_lo, exec_lo, s5
	s_add_nc_u64 s[40:41], s[20:21], s[40:41]
	global_load_b64 v[6:7], v3, s[40:41]
	s_wait_loadcnt 0x0
	v_add_nc_u64_e32 v[6:7], s[22:23], v[6:7]
	s_cbranch_vccnz .LBB464_13
; %bb.10:                               ;   in Loop: Header=BB464_4 Depth=1
	s_mov_b32 s6, 0
	s_mov_b32 s5, 0
                                        ; implicit-def: $vgpr12
	s_wait_xcnt 0x0
	s_and_saveexec_b32 s39, s0
	s_cbranch_execz .LBB464_14
; %bb.11:                               ;   in Loop: Header=BB464_4 Depth=1
	s_cmp_eq_f32 s38, 0
	s_cbranch_scc1 .LBB464_15
; %bb.12:                               ;   in Loop: Header=BB464_4 Depth=1
	s_wait_dscnt 0x0
	v_add_nc_u64_e32 v[12:13], s[36:37], v[6:7]
	flat_load_u16 v12, v[12:13]
	s_wait_loadcnt_dscnt 0x0
	s_wait_xcnt 0x0
	v_fma_mixlo_f16 v12, s38, v12, 0 op_sel_hi:[0,1,0]
	s_branch .LBB464_16
.LBB464_13:                             ;   in Loop: Header=BB464_4 Depth=1
	s_mov_b32 s5, 0
                                        ; implicit-def: $vgpr12
	s_cbranch_execnz .LBB464_17
	s_branch .LBB464_36
.LBB464_14:                             ;   in Loop: Header=BB464_4 Depth=1
	s_or_b32 exec_lo, exec_lo, s39
	s_delay_alu instid0(SALU_CYCLE_1)
	s_and_b32 vcc_lo, exec_lo, s6
	s_cbranch_vccnz .LBB464_17
	s_branch .LBB464_36
.LBB464_15:                             ;   in Loop: Header=BB464_4 Depth=1
	v_mov_b32_e32 v12, 0
.LBB464_16:                             ;   in Loop: Header=BB464_4 Depth=1
	s_mov_b32 s5, exec_lo
	s_or_b32 exec_lo, exec_lo, s39
	s_delay_alu instid0(SALU_CYCLE_1)
	s_and_b32 vcc_lo, exec_lo, s6
	s_cbranch_vccz .LBB464_36
.LBB464_17:                             ;   in Loop: Header=BB464_4 Depth=1
	v_add_nc_u64_e32 v[10:11], v[10:11], v[2:3]
	v_mov_b32_e32 v19, 0
	s_delay_alu instid0(VALU_DEP_2)
	v_lshl_add_u64 v[10:11], s[34:35], 1, v[10:11]
	s_wait_xcnt 0x0
	s_and_saveexec_b32 s6, s3
	s_cbranch_execnz .LBB464_26
; %bb.18:                               ;   in Loop: Header=BB464_4 Depth=1
	s_or_b32 exec_lo, exec_lo, s6
	s_and_saveexec_b32 s6, s4
	s_cbranch_execnz .LBB464_29
.LBB464_19:                             ;   in Loop: Header=BB464_4 Depth=1
	s_or_b32 exec_lo, exec_lo, s6
	s_and_saveexec_b32 s6, s1
.LBB464_20:                             ;   in Loop: Header=BB464_4 Depth=1
	ds_store_b32 v14, v3
.LBB464_21:                             ;   in Loop: Header=BB464_4 Depth=1
	s_or_b32 exec_lo, exec_lo, s6
	ds_bpermute_b32 v9, v17, v19
	v_cmp_gt_u32_e32 vcc_lo, 24, v1
	s_wait_dscnt 0x0
	s_barrier_signal -1
	s_barrier_wait -1
	v_cndmask_b32_e64 v8, 0, 8, vcc_lo
	v_cmp_gt_u32_e32 vcc_lo, 28, v1
	s_delay_alu instid0(VALU_DEP_2)
	v_add_lshl_u32 v8, v8, v1, 2
	v_add_f32_e32 v10, v19, v9
	v_cndmask_b32_e64 v9, 0, 4, vcc_lo
	v_cmp_gt_u32_e32 vcc_lo, 30, v1
	ds_bpermute_b32 v11, v8, v10
	v_add_lshl_u32 v9, v9, v1, 2
	s_wait_dscnt 0x0
	v_add_f32_e32 v11, v10, v11
	v_cndmask_b32_e64 v10, 0, 2, vcc_lo
	v_cmp_ne_u32_e32 vcc_lo, 31, v1
	ds_bpermute_b32 v12, v9, v11
	v_add_lshl_u32 v10, v10, v1, 2
	v_add_co_ci_u32_e64 v13, null, 0, v1, vcc_lo
	s_wait_dscnt 0x0
	v_add_f32_e32 v11, v11, v12
	ds_bpermute_b32 v12, v10, v11
	s_wait_dscnt 0x0
	v_dual_add_f32 v12, v11, v12 :: v_dual_lshlrev_b32 v11, 2, v13
	ds_bpermute_b32 v13, v11, v12
	s_and_saveexec_b32 s6, s2
	s_cbranch_execz .LBB464_23
; %bb.22:                               ;   in Loop: Header=BB464_4 Depth=1
	s_wait_dscnt 0x0
	v_add_f32_e32 v12, v12, v13
	ds_store_b32 v15, v12
.LBB464_23:                             ;   in Loop: Header=BB464_4 Depth=1
	s_or_b32 exec_lo, exec_lo, s6
	s_wait_dscnt 0x0
	v_mov_b32_e32 v13, 0
	s_barrier_signal -1
	s_barrier_wait -1
	s_and_saveexec_b32 s6, s1
	s_cbranch_execnz .LBB464_30
; %bb.24:                               ;   in Loop: Header=BB464_4 Depth=1
	s_or_b32 exec_lo, exec_lo, s6
	s_and_saveexec_b32 s6, s1
	s_cbranch_execnz .LBB464_31
.LBB464_25:                             ;   in Loop: Header=BB464_4 Depth=1
	s_or_b32 exec_lo, exec_lo, s6
                                        ; implicit-def: $vgpr12
	s_and_saveexec_b32 s6, s0
	s_cbranch_execnz .LBB464_32
	s_branch .LBB464_35
.LBB464_26:                             ;   in Loop: Header=BB464_4 Depth=1
	s_wait_dscnt 0x0
	v_mov_b64_e32 v[12:13], v[10:11]
	v_dual_mov_b32 v19, 0 :: v_dual_mov_b32 v20, v0
	v_mov_b32_e32 v21, v16
	s_mov_b32 s39, 0
.LBB464_27:                             ;   Parent Loop BB464_4 Depth=1
                                        ; =>  This Inner Loop Header: Depth=2
	v_readfirstlane_b32 s40, v8
	v_readfirstlane_b32 s41, v9
	flat_load_u16 v22, v[12:13]
	flat_load_u16 v23, v21, s[40:41] scale_offset
	s_wait_xcnt 0x1
	v_add_nc_u64_e32 v[12:13], 0x800, v[12:13]
	s_wait_xcnt 0x0
	v_add_nc_u32_e32 v21, s33, v21
	s_wait_loadcnt_dscnt 0x0
	v_mul_f16_e32 v22, v22, v23
	s_delay_alu instid0(VALU_DEP_1) | instskip(NEXT) | instid1(VALU_DEP_1)
	v_cvt_f32_f16_e32 v22, v22
	v_dual_add_f32 v19, v19, v22 :: v_dual_add_nc_u32 v20, 0x400, v20
	s_delay_alu instid0(VALU_DEP_1) | instskip(SKIP_1) | instid1(SALU_CYCLE_1)
	v_cmp_le_i32_e32 vcc_lo, s30, v20
	s_or_b32 s39, vcc_lo, s39
	s_and_not1_b32 exec_lo, exec_lo, s39
	s_cbranch_execnz .LBB464_27
; %bb.28:                               ;   in Loop: Header=BB464_4 Depth=1
	s_or_b32 exec_lo, exec_lo, s39
	s_delay_alu instid0(SALU_CYCLE_1)
	s_or_b32 exec_lo, exec_lo, s6
	s_and_saveexec_b32 s6, s4
	s_cbranch_execz .LBB464_19
.LBB464_29:                             ;   in Loop: Header=BB464_4 Depth=1
	v_lshl_add_u64 v[10:11], s[30:31], 1, v[10:11]
	v_lshl_add_u64 v[8:9], v[4:5], 1, v[8:9]
	flat_load_u16 v12, v[10:11]
	s_wait_dscnt 0x1
	flat_load_u16 v13, v[8:9]
	s_wait_loadcnt_dscnt 0x0
	s_wait_xcnt 0x0
	v_mul_f16_e32 v8, v12, v13
	s_delay_alu instid0(VALU_DEP_1) | instskip(NEXT) | instid1(VALU_DEP_1)
	v_cvt_f32_f16_e32 v8, v8
	v_add_f32_e32 v19, v19, v8
	s_or_b32 exec_lo, exec_lo, s6
	s_and_saveexec_b32 s6, s1
	s_cbranch_execnz .LBB464_20
	s_branch .LBB464_21
.LBB464_30:                             ;   in Loop: Header=BB464_4 Depth=1
	ds_load_b32 v13, v14
	s_or_b32 exec_lo, exec_lo, s6
	s_and_saveexec_b32 s6, s1
	s_cbranch_execz .LBB464_25
.LBB464_31:                             ;   in Loop: Header=BB464_4 Depth=1
	s_wait_dscnt 0x0
	ds_bpermute_b32 v12, v17, v13
	s_wait_dscnt 0x0
	v_add_f32_e32 v12, v13, v12
	ds_bpermute_b32 v8, v8, v12
	s_wait_dscnt 0x0
	v_add_f32_e32 v8, v12, v8
	ds_bpermute_b32 v9, v9, v8
	s_wait_dscnt 0x0
	v_add_f32_e32 v8, v8, v9
	ds_bpermute_b32 v9, v10, v8
	s_wait_dscnt 0x0
	v_add_f32_e32 v8, v8, v9
	ds_bpermute_b32 v9, v11, v8
	s_wait_dscnt 0x0
	v_add_f32_e32 v13, v8, v9
	s_or_b32 exec_lo, exec_lo, s6
                                        ; implicit-def: $vgpr12
	s_and_saveexec_b32 s6, s0
	s_cbranch_execz .LBB464_35
.LBB464_32:                             ;   in Loop: Header=BB464_4 Depth=1
	s_wait_dscnt 0x0
	v_mul_f32_e32 v8, v18, v13
	s_cmp_eq_f32 s38, 0
	s_cbranch_scc1 .LBB464_34
; %bb.33:                               ;   in Loop: Header=BB464_4 Depth=1
	v_add_nc_u64_e32 v[10:11], s[36:37], v[6:7]
	flat_load_u16 v9, v[10:11]
	s_wait_loadcnt_dscnt 0x0
	v_fma_mix_f32 v8, s38, v9, v8 op_sel_hi:[0,1,0]
.LBB464_34:                             ;   in Loop: Header=BB464_4 Depth=1
	s_delay_alu instid0(VALU_DEP_1)
	v_cvt_f16_f32_e32 v12, v8
	s_or_b32 s5, s5, exec_lo
.LBB464_35:                             ;   in Loop: Header=BB464_4 Depth=1
	s_wait_xcnt 0x0
	s_or_b32 exec_lo, exec_lo, s6
.LBB464_36:                             ;   in Loop: Header=BB464_4 Depth=1
	s_wait_xcnt 0x0
	s_and_saveexec_b32 s6, s5
	s_cbranch_execz .LBB464_2
; %bb.37:                               ;   in Loop: Header=BB464_4 Depth=1
	v_add_nc_u64_e32 v[6:7], s[36:37], v[6:7]
	flat_store_b16 v[6:7], v12
	s_branch .LBB464_2
.LBB464_38:
	s_endpgm
	.section	.rodata,"a",@progbits
	.p2align	6, 0x0
	.amdhsa_kernel _ZL32rocblas_gemvt_warp_reduce_kernelILb1ELi1024EiPKDF16_PKfKPDF16_EviiT3_lPKT2_lT1_lS9_lSA_lS6_lPT4_lSA_li
		.amdhsa_group_segment_fixed_size 128
		.amdhsa_private_segment_fixed_size 0
		.amdhsa_kernarg_size 140
		.amdhsa_user_sgpr_count 2
		.amdhsa_user_sgpr_dispatch_ptr 0
		.amdhsa_user_sgpr_queue_ptr 0
		.amdhsa_user_sgpr_kernarg_segment_ptr 1
		.amdhsa_user_sgpr_dispatch_id 0
		.amdhsa_user_sgpr_kernarg_preload_length 0
		.amdhsa_user_sgpr_kernarg_preload_offset 0
		.amdhsa_user_sgpr_private_segment_size 0
		.amdhsa_wavefront_size32 1
		.amdhsa_uses_dynamic_stack 0
		.amdhsa_enable_private_segment 0
		.amdhsa_system_sgpr_workgroup_id_x 1
		.amdhsa_system_sgpr_workgroup_id_y 0
		.amdhsa_system_sgpr_workgroup_id_z 1
		.amdhsa_system_sgpr_workgroup_info 0
		.amdhsa_system_vgpr_workitem_id 0
		.amdhsa_next_free_vgpr 24
		.amdhsa_next_free_sgpr 42
		.amdhsa_named_barrier_count 0
		.amdhsa_reserve_vcc 1
		.amdhsa_float_round_mode_32 0
		.amdhsa_float_round_mode_16_64 0
		.amdhsa_float_denorm_mode_32 3
		.amdhsa_float_denorm_mode_16_64 3
		.amdhsa_fp16_overflow 0
		.amdhsa_memory_ordered 1
		.amdhsa_forward_progress 1
		.amdhsa_inst_pref_size 12
		.amdhsa_round_robin_scheduling 0
		.amdhsa_exception_fp_ieee_invalid_op 0
		.amdhsa_exception_fp_denorm_src 0
		.amdhsa_exception_fp_ieee_div_zero 0
		.amdhsa_exception_fp_ieee_overflow 0
		.amdhsa_exception_fp_ieee_underflow 0
		.amdhsa_exception_fp_ieee_inexact 0
		.amdhsa_exception_int_div_zero 0
	.end_amdhsa_kernel
	.section	.text._ZL32rocblas_gemvt_warp_reduce_kernelILb1ELi1024EiPKDF16_PKfKPDF16_EviiT3_lPKT2_lT1_lS9_lSA_lS6_lPT4_lSA_li,"axG",@progbits,_ZL32rocblas_gemvt_warp_reduce_kernelILb1ELi1024EiPKDF16_PKfKPDF16_EviiT3_lPKT2_lT1_lS9_lSA_lS6_lPT4_lSA_li,comdat
.Lfunc_end464:
	.size	_ZL32rocblas_gemvt_warp_reduce_kernelILb1ELi1024EiPKDF16_PKfKPDF16_EviiT3_lPKT2_lT1_lS9_lSA_lS6_lPT4_lSA_li, .Lfunc_end464-_ZL32rocblas_gemvt_warp_reduce_kernelILb1ELi1024EiPKDF16_PKfKPDF16_EviiT3_lPKT2_lT1_lS9_lSA_lS6_lPT4_lSA_li
                                        ; -- End function
	.set _ZL32rocblas_gemvt_warp_reduce_kernelILb1ELi1024EiPKDF16_PKfKPDF16_EviiT3_lPKT2_lT1_lS9_lSA_lS6_lPT4_lSA_li.num_vgpr, 24
	.set _ZL32rocblas_gemvt_warp_reduce_kernelILb1ELi1024EiPKDF16_PKfKPDF16_EviiT3_lPKT2_lT1_lS9_lSA_lS6_lPT4_lSA_li.num_agpr, 0
	.set _ZL32rocblas_gemvt_warp_reduce_kernelILb1ELi1024EiPKDF16_PKfKPDF16_EviiT3_lPKT2_lT1_lS9_lSA_lS6_lPT4_lSA_li.numbered_sgpr, 42
	.set _ZL32rocblas_gemvt_warp_reduce_kernelILb1ELi1024EiPKDF16_PKfKPDF16_EviiT3_lPKT2_lT1_lS9_lSA_lS6_lPT4_lSA_li.num_named_barrier, 0
	.set _ZL32rocblas_gemvt_warp_reduce_kernelILb1ELi1024EiPKDF16_PKfKPDF16_EviiT3_lPKT2_lT1_lS9_lSA_lS6_lPT4_lSA_li.private_seg_size, 0
	.set _ZL32rocblas_gemvt_warp_reduce_kernelILb1ELi1024EiPKDF16_PKfKPDF16_EviiT3_lPKT2_lT1_lS9_lSA_lS6_lPT4_lSA_li.uses_vcc, 1
	.set _ZL32rocblas_gemvt_warp_reduce_kernelILb1ELi1024EiPKDF16_PKfKPDF16_EviiT3_lPKT2_lT1_lS9_lSA_lS6_lPT4_lSA_li.uses_flat_scratch, 0
	.set _ZL32rocblas_gemvt_warp_reduce_kernelILb1ELi1024EiPKDF16_PKfKPDF16_EviiT3_lPKT2_lT1_lS9_lSA_lS6_lPT4_lSA_li.has_dyn_sized_stack, 0
	.set _ZL32rocblas_gemvt_warp_reduce_kernelILb1ELi1024EiPKDF16_PKfKPDF16_EviiT3_lPKT2_lT1_lS9_lSA_lS6_lPT4_lSA_li.has_recursion, 0
	.set _ZL32rocblas_gemvt_warp_reduce_kernelILb1ELi1024EiPKDF16_PKfKPDF16_EviiT3_lPKT2_lT1_lS9_lSA_lS6_lPT4_lSA_li.has_indirect_call, 0
	.section	.AMDGPU.csdata,"",@progbits
; Kernel info:
; codeLenInByte = 1500
; TotalNumSgprs: 44
; NumVgprs: 24
; ScratchSize: 0
; MemoryBound: 0
; FloatMode: 240
; IeeeMode: 1
; LDSByteSize: 128 bytes/workgroup (compile time only)
; SGPRBlocks: 0
; VGPRBlocks: 1
; NumSGPRsForWavesPerEU: 44
; NumVGPRsForWavesPerEU: 24
; NamedBarCnt: 0
; Occupancy: 16
; WaveLimiterHint : 1
; COMPUTE_PGM_RSRC2:SCRATCH_EN: 0
; COMPUTE_PGM_RSRC2:USER_SGPR: 2
; COMPUTE_PGM_RSRC2:TRAP_HANDLER: 0
; COMPUTE_PGM_RSRC2:TGID_X_EN: 1
; COMPUTE_PGM_RSRC2:TGID_Y_EN: 0
; COMPUTE_PGM_RSRC2:TGID_Z_EN: 1
; COMPUTE_PGM_RSRC2:TIDIG_COMP_CNT: 0
	.section	.text._ZL32rocblas_gemvt_warp_reduce_kernelILb1ELi1024ElPKDF16_PKfKPDF16_EviiT3_lPKT2_lT1_lS9_lSA_lS6_lPT4_lSA_li,"axG",@progbits,_ZL32rocblas_gemvt_warp_reduce_kernelILb1ELi1024ElPKDF16_PKfKPDF16_EviiT3_lPKT2_lT1_lS9_lSA_lS6_lPT4_lSA_li,comdat
	.globl	_ZL32rocblas_gemvt_warp_reduce_kernelILb1ELi1024ElPKDF16_PKfKPDF16_EviiT3_lPKT2_lT1_lS9_lSA_lS6_lPT4_lSA_li ; -- Begin function _ZL32rocblas_gemvt_warp_reduce_kernelILb1ELi1024ElPKDF16_PKfKPDF16_EviiT3_lPKT2_lT1_lS9_lSA_lS6_lPT4_lSA_li
	.p2align	8
	.type	_ZL32rocblas_gemvt_warp_reduce_kernelILb1ELi1024ElPKDF16_PKfKPDF16_EviiT3_lPKT2_lT1_lS9_lSA_lS6_lPT4_lSA_li,@function
_ZL32rocblas_gemvt_warp_reduce_kernelILb1ELi1024ElPKDF16_PKfKPDF16_EviiT3_lPKT2_lT1_lS9_lSA_lS6_lPT4_lSA_li: ; @_ZL32rocblas_gemvt_warp_reduce_kernelILb1ELi1024ElPKDF16_PKfKPDF16_EviiT3_lPKT2_lT1_lS9_lSA_lS6_lPT4_lSA_li
; %bb.0:
	s_load_b32 s7, s[0:1], 0x88
	s_bfe_u32 s2, ttmp6, 0x40014
	s_lshr_b32 s3, ttmp7, 16
	s_add_co_i32 s2, s2, 1
	s_bfe_u32 s5, ttmp6, 0x40008
	s_mul_i32 s4, s3, s2
	s_getreg_b32 s2, hwreg(HW_REG_IB_STS2, 6, 4)
	s_add_co_i32 s5, s5, s4
	s_cmp_eq_u32 s2, 0
	s_mov_b32 s29, 0
	s_cselect_b32 s28, s3, s5
	s_wait_kmcnt 0x0
	s_cmp_ge_u32 s28, s7
	s_cbranch_scc1 .LBB465_38
; %bb.1:
	s_clause 0x1
	s_load_b32 s6, s[0:1], 0x0
	s_load_b64 s[36:37], s[0:1], 0x48
	s_bfe_u32 s3, ttmp6, 0x4000c
	s_and_b32 s4, ttmp6, 15
	s_add_co_i32 s3, s3, 1
	s_clause 0x2
	s_load_b256 s[8:15], s[0:1], 0x8
	s_load_b128 s[24:27], s[0:1], 0x38
	s_load_b256 s[16:23], s[0:1], 0x58
	s_mul_i32 s3, ttmp9, s3
	v_mbcnt_lo_u32_b32 v19, -1, 0
	s_add_co_i32 s4, s4, s3
	s_cmp_eq_u32 s2, 0
	s_load_b64 s[34:35], s[0:1], 0x28
	s_cselect_b32 s2, ttmp9, s4
	s_load_b64 s[4:5], s[0:1], 0x78
	s_wait_xcnt 0x0
	v_cmp_eq_u32_e64 s0, 0, v0
	v_lshl_or_b32 v20, v19, 2, 64
	s_wait_kmcnt 0x0
	s_ashr_i32 s3, s6, 31
	v_cmp_gt_i32_e32 vcc_lo, s6, v0
	s_lshr_b32 s3, s3, 22
	s_lshl_b64 s[14:15], s[14:15], 1
	s_add_co_i32 s3, s6, s3
	s_lshl_b64 s[26:27], s[26:27], 1
	s_and_b32 s30, s3, 0xfffffc00
	s_delay_alu instid0(SALU_CYCLE_1) | instskip(SKIP_3) | instid1(VALU_DEP_2)
	v_dual_mov_b32 v3, 0 :: v_dual_bitop2_b32 v6, s30, v0 bitop3:0x54
	s_ashr_i32 s3, s2, 31
	v_cndmask_b32_e32 v2, 0, v0, vcc_lo
	s_mul_u64 s[34:35], s[34:35], s[2:3]
	v_dual_mov_b32 v1, v3 :: v_dual_ashrrev_i32 v7, 31, v6
	s_mul_u64 s[38:39], s[4:5], s[2:3]
	v_cmp_gt_i32_e64 s2, s6, v6
	v_cmp_gt_i32_e64 s1, s30, v0
	s_delay_alu instid0(VALU_DEP_3)
	v_mul_u64_e32 v[8:9], s[36:37], v[0:1]
	v_mul_u64_e32 v[4:5], s[36:37], v[6:7]
	v_dual_lshrrev_b32 v6, 3, v0 :: v_dual_bitop2_b32 v7, 31, v0 bitop3:0x40
	v_cmp_gt_u32_e64 s3, 32, v0
	v_lshlrev_b32_e32 v2, 1, v2
	s_ashr_i32 s31, s30, 31
	v_lshlrev_b32_e32 v1, 2, v7
	v_cmp_eq_u32_e64 s4, 0, v7
	v_and_b32_e32 v18, 0x7c, v6
	s_lshl_b64 s[36:37], s[36:37], 11
	s_lshl_b64 s[22:23], s[22:23], 1
	;; [unrolled: 1-line block ×3, first 2 shown]
	v_lshlrev_b64_e32 v[6:7], 1, v[8:9]
	s_branch .LBB465_4
.LBB465_2:                              ;   in Loop: Header=BB465_4 Depth=1
	s_wait_xcnt 0x0
	s_or_b32 exec_lo, exec_lo, s6
.LBB465_3:                              ;   in Loop: Header=BB465_4 Depth=1
	s_add_co_i32 s28, s28, 0x10000
	s_delay_alu instid0(SALU_CYCLE_1)
	s_cmp_lt_u32 s28, s7
	s_cbranch_scc0 .LBB465_38
.LBB465_4:                              ; =>This Loop Header: Depth=1
                                        ;     Child Loop BB465_27 Depth 2
	s_wait_xcnt 0x1
	s_mul_u64 s[40:41], s[10:11], s[28:29]
	s_wait_xcnt 0x0
	s_mul_u64 s[42:43], s[18:19], s[28:29]
	s_lshl_b64 s[40:41], s[40:41], 2
	s_lshl_b64 s[42:43], s[42:43], 2
	s_add_nc_u64 s[40:41], s[8:9], s[40:41]
	s_add_nc_u64 s[42:43], s[16:17], s[42:43]
	s_clause 0x1
	global_load_b32 v21, v3, s[40:41]
	global_load_b32 v8, v3, s[42:43]
	s_wait_loadcnt 0x1
	v_cmp_eq_f32_e64 s5, 0, v21
	s_wait_loadcnt 0x0
	v_cmp_eq_f32_e32 vcc_lo, 1.0, v8
	v_readfirstlane_b32 s33, v8
	s_and_b32 s6, s5, vcc_lo
	s_delay_alu instid0(SALU_CYCLE_1)
	s_and_b32 vcc_lo, exec_lo, s6
	s_cbranch_vccnz .LBB465_3
; %bb.5:                                ;   in Loop: Header=BB465_4 Depth=1
	v_mov_b64_e32 v[10:11], 0
	v_mov_b64_e32 v[12:13], 0
	v_cmp_neq_f32_e64 s6, 0, v21
	s_and_b32 vcc_lo, exec_lo, s5
	s_cbranch_vccnz .LBB465_7
; %bb.6:                                ;   in Loop: Header=BB465_4 Depth=1
	s_wait_xcnt 0x1
	s_lshl_b64 s[40:41], s[28:29], 3
	s_delay_alu instid0(SALU_CYCLE_1)
	s_add_nc_u64 s[40:41], s[12:13], s[40:41]
	global_load_b64 v[8:9], v3, s[40:41]
	s_wait_loadcnt 0x0
	v_add_nc_u64_e32 v[12:13], s[14:15], v[8:9]
.LBB465_7:                              ;   in Loop: Header=BB465_4 Depth=1
	s_and_not1_b32 vcc_lo, exec_lo, s6
	s_cbranch_vccnz .LBB465_9
; %bb.8:                                ;   in Loop: Header=BB465_4 Depth=1
	s_wait_xcnt 0x0
	s_lshl_b64 s[40:41], s[28:29], 3
	s_delay_alu instid0(SALU_CYCLE_1)
	s_add_nc_u64 s[40:41], s[24:25], s[40:41]
	global_load_b64 v[8:9], v3, s[40:41]
	s_wait_loadcnt 0x0
	v_add_nc_u64_e32 v[10:11], s[26:27], v[8:9]
.LBB465_9:                              ;   in Loop: Header=BB465_4 Depth=1
	s_wait_xcnt 0x0
	s_lshl_b64 s[40:41], s[28:29], 3
	s_and_not1_b32 vcc_lo, exec_lo, s5
	s_add_nc_u64 s[40:41], s[20:21], s[40:41]
	global_load_b64 v[8:9], v3, s[40:41]
	s_wait_loadcnt 0x0
	v_add_nc_u64_e32 v[8:9], s[22:23], v[8:9]
	s_cbranch_vccnz .LBB465_13
; %bb.10:                               ;   in Loop: Header=BB465_4 Depth=1
	s_mov_b32 s6, 0
	s_mov_b32 s5, 0
                                        ; implicit-def: $vgpr14
	s_wait_xcnt 0x0
	s_and_saveexec_b32 s40, s0
	s_cbranch_execz .LBB465_14
; %bb.11:                               ;   in Loop: Header=BB465_4 Depth=1
	s_cmp_eq_f32 s33, 0
	s_cbranch_scc1 .LBB465_15
; %bb.12:                               ;   in Loop: Header=BB465_4 Depth=1
	s_wait_dscnt 0x0
	v_add_nc_u64_e32 v[14:15], s[38:39], v[8:9]
	flat_load_u16 v14, v[14:15]
	s_wait_loadcnt_dscnt 0x0
	s_wait_xcnt 0x0
	v_fma_mixlo_f16 v14, s33, v14, 0 op_sel_hi:[0,1,0]
	s_branch .LBB465_16
.LBB465_13:                             ;   in Loop: Header=BB465_4 Depth=1
	s_mov_b32 s5, 0
                                        ; implicit-def: $vgpr14
	s_cbranch_execnz .LBB465_17
	s_branch .LBB465_36
.LBB465_14:                             ;   in Loop: Header=BB465_4 Depth=1
	s_or_b32 exec_lo, exec_lo, s40
	s_delay_alu instid0(SALU_CYCLE_1)
	s_and_b32 vcc_lo, exec_lo, s6
	s_cbranch_vccnz .LBB465_17
	s_branch .LBB465_36
.LBB465_15:                             ;   in Loop: Header=BB465_4 Depth=1
	v_mov_b32_e32 v14, 0
.LBB465_16:                             ;   in Loop: Header=BB465_4 Depth=1
	s_mov_b32 s5, exec_lo
	s_or_b32 exec_lo, exec_lo, s40
	s_delay_alu instid0(SALU_CYCLE_1)
	s_and_b32 vcc_lo, exec_lo, s6
	s_cbranch_vccz .LBB465_36
.LBB465_17:                             ;   in Loop: Header=BB465_4 Depth=1
	v_add_nc_u64_e32 v[12:13], v[12:13], v[2:3]
	v_mov_b32_e32 v22, 0
	s_delay_alu instid0(VALU_DEP_2)
	v_lshl_add_u64 v[12:13], s[34:35], 1, v[12:13]
	s_wait_xcnt 0x0
	s_and_saveexec_b32 s6, s1
	s_cbranch_execnz .LBB465_26
; %bb.18:                               ;   in Loop: Header=BB465_4 Depth=1
	s_or_b32 exec_lo, exec_lo, s6
	s_and_saveexec_b32 s6, s2
	s_cbranch_execnz .LBB465_29
.LBB465_19:                             ;   in Loop: Header=BB465_4 Depth=1
	s_or_b32 exec_lo, exec_lo, s6
	s_and_saveexec_b32 s6, s3
.LBB465_20:                             ;   in Loop: Header=BB465_4 Depth=1
	ds_store_b32 v1, v3
.LBB465_21:                             ;   in Loop: Header=BB465_4 Depth=1
	s_or_b32 exec_lo, exec_lo, s6
	ds_bpermute_b32 v11, v20, v22
	v_cmp_gt_u32_e32 vcc_lo, 24, v19
	s_wait_dscnt 0x0
	s_barrier_signal -1
	s_barrier_wait -1
	v_cndmask_b32_e64 v10, 0, 8, vcc_lo
	v_cmp_gt_u32_e32 vcc_lo, 28, v19
	s_delay_alu instid0(VALU_DEP_2)
	v_add_lshl_u32 v10, v10, v19, 2
	v_add_f32_e32 v12, v22, v11
	v_cndmask_b32_e64 v11, 0, 4, vcc_lo
	v_cmp_gt_u32_e32 vcc_lo, 30, v19
	ds_bpermute_b32 v13, v10, v12
	v_add_lshl_u32 v11, v11, v19, 2
	s_wait_dscnt 0x0
	v_add_f32_e32 v13, v12, v13
	v_cndmask_b32_e64 v12, 0, 2, vcc_lo
	v_cmp_ne_u32_e32 vcc_lo, 31, v19
	ds_bpermute_b32 v14, v11, v13
	v_add_lshl_u32 v12, v12, v19, 2
	v_add_co_ci_u32_e64 v15, null, 0, v19, vcc_lo
	s_wait_dscnt 0x0
	v_add_f32_e32 v13, v13, v14
	ds_bpermute_b32 v14, v12, v13
	s_wait_dscnt 0x0
	v_dual_add_f32 v14, v13, v14 :: v_dual_lshlrev_b32 v13, 2, v15
	ds_bpermute_b32 v15, v13, v14
	s_and_saveexec_b32 s6, s4
	s_cbranch_execz .LBB465_23
; %bb.22:                               ;   in Loop: Header=BB465_4 Depth=1
	s_wait_dscnt 0x0
	v_add_f32_e32 v14, v14, v15
	ds_store_b32 v18, v14
.LBB465_23:                             ;   in Loop: Header=BB465_4 Depth=1
	s_or_b32 exec_lo, exec_lo, s6
	s_wait_dscnt 0x0
	v_mov_b32_e32 v15, 0
	s_barrier_signal -1
	s_barrier_wait -1
	s_and_saveexec_b32 s6, s3
	s_cbranch_execnz .LBB465_30
; %bb.24:                               ;   in Loop: Header=BB465_4 Depth=1
	s_or_b32 exec_lo, exec_lo, s6
	s_and_saveexec_b32 s6, s3
	s_cbranch_execnz .LBB465_31
.LBB465_25:                             ;   in Loop: Header=BB465_4 Depth=1
	s_or_b32 exec_lo, exec_lo, s6
                                        ; implicit-def: $vgpr14
	s_and_saveexec_b32 s6, s0
	s_cbranch_execnz .LBB465_32
	s_branch .LBB465_35
.LBB465_26:                             ;   in Loop: Header=BB465_4 Depth=1
	s_wait_dscnt 0x0
	v_add_nc_u64_e32 v[14:15], v[10:11], v[6:7]
	v_mov_b64_e32 v[16:17], v[12:13]
	v_dual_mov_b32 v22, 0 :: v_dual_mov_b32 v23, v0
	s_mov_b32 s40, 0
.LBB465_27:                             ;   Parent Loop BB465_4 Depth=1
                                        ; =>  This Inner Loop Header: Depth=2
	flat_load_u16 v24, v[16:17]
	flat_load_u16 v25, v[14:15]
	s_wait_xcnt 0x1
	v_add_nc_u64_e32 v[16:17], 0x800, v[16:17]
	s_wait_xcnt 0x0
	v_add_nc_u64_e32 v[14:15], s[36:37], v[14:15]
	s_wait_loadcnt_dscnt 0x0
	v_mul_f16_e32 v24, v24, v25
	s_delay_alu instid0(VALU_DEP_1) | instskip(NEXT) | instid1(VALU_DEP_1)
	v_cvt_f32_f16_e32 v24, v24
	v_dual_add_f32 v22, v22, v24 :: v_dual_add_nc_u32 v23, 0x400, v23
	s_delay_alu instid0(VALU_DEP_1) | instskip(SKIP_1) | instid1(SALU_CYCLE_1)
	v_cmp_le_i32_e32 vcc_lo, s30, v23
	s_or_b32 s40, vcc_lo, s40
	s_and_not1_b32 exec_lo, exec_lo, s40
	s_cbranch_execnz .LBB465_27
; %bb.28:                               ;   in Loop: Header=BB465_4 Depth=1
	s_or_b32 exec_lo, exec_lo, s40
	s_delay_alu instid0(SALU_CYCLE_1)
	s_or_b32 exec_lo, exec_lo, s6
	s_and_saveexec_b32 s6, s2
	s_cbranch_execz .LBB465_19
.LBB465_29:                             ;   in Loop: Header=BB465_4 Depth=1
	v_lshl_add_u64 v[12:13], s[30:31], 1, v[12:13]
	v_lshl_add_u64 v[10:11], v[4:5], 1, v[10:11]
	flat_load_u16 v14, v[12:13]
	s_wait_dscnt 0x1
	flat_load_u16 v15, v[10:11]
	s_wait_loadcnt_dscnt 0x0
	s_wait_xcnt 0x0
	v_mul_f16_e32 v10, v14, v15
	s_delay_alu instid0(VALU_DEP_1) | instskip(NEXT) | instid1(VALU_DEP_1)
	v_cvt_f32_f16_e32 v10, v10
	v_add_f32_e32 v22, v22, v10
	s_or_b32 exec_lo, exec_lo, s6
	s_and_saveexec_b32 s6, s3
	s_cbranch_execnz .LBB465_20
	s_branch .LBB465_21
.LBB465_30:                             ;   in Loop: Header=BB465_4 Depth=1
	ds_load_b32 v15, v1
	s_or_b32 exec_lo, exec_lo, s6
	s_and_saveexec_b32 s6, s3
	s_cbranch_execz .LBB465_25
.LBB465_31:                             ;   in Loop: Header=BB465_4 Depth=1
	s_wait_dscnt 0x0
	ds_bpermute_b32 v14, v20, v15
	s_wait_dscnt 0x0
	v_add_f32_e32 v14, v15, v14
	ds_bpermute_b32 v10, v10, v14
	s_wait_dscnt 0x0
	v_add_f32_e32 v10, v14, v10
	;; [unrolled: 3-line block ×5, first 2 shown]
	s_or_b32 exec_lo, exec_lo, s6
                                        ; implicit-def: $vgpr14
	s_and_saveexec_b32 s6, s0
	s_cbranch_execz .LBB465_35
.LBB465_32:                             ;   in Loop: Header=BB465_4 Depth=1
	s_wait_dscnt 0x0
	v_mul_f32_e32 v10, v21, v15
	s_cmp_eq_f32 s33, 0
	s_cbranch_scc1 .LBB465_34
; %bb.33:                               ;   in Loop: Header=BB465_4 Depth=1
	v_add_nc_u64_e32 v[12:13], s[38:39], v[8:9]
	flat_load_u16 v11, v[12:13]
	s_wait_loadcnt_dscnt 0x0
	v_fma_mix_f32 v10, s33, v11, v10 op_sel_hi:[0,1,0]
.LBB465_34:                             ;   in Loop: Header=BB465_4 Depth=1
	s_delay_alu instid0(VALU_DEP_1)
	v_cvt_f16_f32_e32 v14, v10
	s_or_b32 s5, s5, exec_lo
.LBB465_35:                             ;   in Loop: Header=BB465_4 Depth=1
	s_wait_xcnt 0x0
	s_or_b32 exec_lo, exec_lo, s6
.LBB465_36:                             ;   in Loop: Header=BB465_4 Depth=1
	s_wait_xcnt 0x0
	s_and_saveexec_b32 s6, s5
	s_cbranch_execz .LBB465_2
; %bb.37:                               ;   in Loop: Header=BB465_4 Depth=1
	v_add_nc_u64_e32 v[8:9], s[38:39], v[8:9]
	flat_store_b16 v[8:9], v14
	s_branch .LBB465_2
.LBB465_38:
	s_endpgm
	.section	.rodata,"a",@progbits
	.p2align	6, 0x0
	.amdhsa_kernel _ZL32rocblas_gemvt_warp_reduce_kernelILb1ELi1024ElPKDF16_PKfKPDF16_EviiT3_lPKT2_lT1_lS9_lSA_lS6_lPT4_lSA_li
		.amdhsa_group_segment_fixed_size 128
		.amdhsa_private_segment_fixed_size 0
		.amdhsa_kernarg_size 140
		.amdhsa_user_sgpr_count 2
		.amdhsa_user_sgpr_dispatch_ptr 0
		.amdhsa_user_sgpr_queue_ptr 0
		.amdhsa_user_sgpr_kernarg_segment_ptr 1
		.amdhsa_user_sgpr_dispatch_id 0
		.amdhsa_user_sgpr_kernarg_preload_length 0
		.amdhsa_user_sgpr_kernarg_preload_offset 0
		.amdhsa_user_sgpr_private_segment_size 0
		.amdhsa_wavefront_size32 1
		.amdhsa_uses_dynamic_stack 0
		.amdhsa_enable_private_segment 0
		.amdhsa_system_sgpr_workgroup_id_x 1
		.amdhsa_system_sgpr_workgroup_id_y 0
		.amdhsa_system_sgpr_workgroup_id_z 1
		.amdhsa_system_sgpr_workgroup_info 0
		.amdhsa_system_vgpr_workitem_id 0
		.amdhsa_next_free_vgpr 26
		.amdhsa_next_free_sgpr 44
		.amdhsa_named_barrier_count 0
		.amdhsa_reserve_vcc 1
		.amdhsa_float_round_mode_32 0
		.amdhsa_float_round_mode_16_64 0
		.amdhsa_float_denorm_mode_32 3
		.amdhsa_float_denorm_mode_16_64 3
		.amdhsa_fp16_overflow 0
		.amdhsa_memory_ordered 1
		.amdhsa_forward_progress 1
		.amdhsa_inst_pref_size 12
		.amdhsa_round_robin_scheduling 0
		.amdhsa_exception_fp_ieee_invalid_op 0
		.amdhsa_exception_fp_denorm_src 0
		.amdhsa_exception_fp_ieee_div_zero 0
		.amdhsa_exception_fp_ieee_overflow 0
		.amdhsa_exception_fp_ieee_underflow 0
		.amdhsa_exception_fp_ieee_inexact 0
		.amdhsa_exception_int_div_zero 0
	.end_amdhsa_kernel
	.section	.text._ZL32rocblas_gemvt_warp_reduce_kernelILb1ELi1024ElPKDF16_PKfKPDF16_EviiT3_lPKT2_lT1_lS9_lSA_lS6_lPT4_lSA_li,"axG",@progbits,_ZL32rocblas_gemvt_warp_reduce_kernelILb1ELi1024ElPKDF16_PKfKPDF16_EviiT3_lPKT2_lT1_lS9_lSA_lS6_lPT4_lSA_li,comdat
.Lfunc_end465:
	.size	_ZL32rocblas_gemvt_warp_reduce_kernelILb1ELi1024ElPKDF16_PKfKPDF16_EviiT3_lPKT2_lT1_lS9_lSA_lS6_lPT4_lSA_li, .Lfunc_end465-_ZL32rocblas_gemvt_warp_reduce_kernelILb1ELi1024ElPKDF16_PKfKPDF16_EviiT3_lPKT2_lT1_lS9_lSA_lS6_lPT4_lSA_li
                                        ; -- End function
	.set _ZL32rocblas_gemvt_warp_reduce_kernelILb1ELi1024ElPKDF16_PKfKPDF16_EviiT3_lPKT2_lT1_lS9_lSA_lS6_lPT4_lSA_li.num_vgpr, 26
	.set _ZL32rocblas_gemvt_warp_reduce_kernelILb1ELi1024ElPKDF16_PKfKPDF16_EviiT3_lPKT2_lT1_lS9_lSA_lS6_lPT4_lSA_li.num_agpr, 0
	.set _ZL32rocblas_gemvt_warp_reduce_kernelILb1ELi1024ElPKDF16_PKfKPDF16_EviiT3_lPKT2_lT1_lS9_lSA_lS6_lPT4_lSA_li.numbered_sgpr, 44
	.set _ZL32rocblas_gemvt_warp_reduce_kernelILb1ELi1024ElPKDF16_PKfKPDF16_EviiT3_lPKT2_lT1_lS9_lSA_lS6_lPT4_lSA_li.num_named_barrier, 0
	.set _ZL32rocblas_gemvt_warp_reduce_kernelILb1ELi1024ElPKDF16_PKfKPDF16_EviiT3_lPKT2_lT1_lS9_lSA_lS6_lPT4_lSA_li.private_seg_size, 0
	.set _ZL32rocblas_gemvt_warp_reduce_kernelILb1ELi1024ElPKDF16_PKfKPDF16_EviiT3_lPKT2_lT1_lS9_lSA_lS6_lPT4_lSA_li.uses_vcc, 1
	.set _ZL32rocblas_gemvt_warp_reduce_kernelILb1ELi1024ElPKDF16_PKfKPDF16_EviiT3_lPKT2_lT1_lS9_lSA_lS6_lPT4_lSA_li.uses_flat_scratch, 0
	.set _ZL32rocblas_gemvt_warp_reduce_kernelILb1ELi1024ElPKDF16_PKfKPDF16_EviiT3_lPKT2_lT1_lS9_lSA_lS6_lPT4_lSA_li.has_dyn_sized_stack, 0
	.set _ZL32rocblas_gemvt_warp_reduce_kernelILb1ELi1024ElPKDF16_PKfKPDF16_EviiT3_lPKT2_lT1_lS9_lSA_lS6_lPT4_lSA_li.has_recursion, 0
	.set _ZL32rocblas_gemvt_warp_reduce_kernelILb1ELi1024ElPKDF16_PKfKPDF16_EviiT3_lPKT2_lT1_lS9_lSA_lS6_lPT4_lSA_li.has_indirect_call, 0
	.section	.AMDGPU.csdata,"",@progbits
; Kernel info:
; codeLenInByte = 1504
; TotalNumSgprs: 46
; NumVgprs: 26
; ScratchSize: 0
; MemoryBound: 0
; FloatMode: 240
; IeeeMode: 1
; LDSByteSize: 128 bytes/workgroup (compile time only)
; SGPRBlocks: 0
; VGPRBlocks: 1
; NumSGPRsForWavesPerEU: 46
; NumVGPRsForWavesPerEU: 26
; NamedBarCnt: 0
; Occupancy: 16
; WaveLimiterHint : 1
; COMPUTE_PGM_RSRC2:SCRATCH_EN: 0
; COMPUTE_PGM_RSRC2:USER_SGPR: 2
; COMPUTE_PGM_RSRC2:TRAP_HANDLER: 0
; COMPUTE_PGM_RSRC2:TGID_X_EN: 1
; COMPUTE_PGM_RSRC2:TGID_Y_EN: 0
; COMPUTE_PGM_RSRC2:TGID_Z_EN: 1
; COMPUTE_PGM_RSRC2:TIDIG_COMP_CNT: 0
	.section	.text._ZL32rocblas_gemvt_warp_reduce_kernelILb1ELi1024EiPKDF16_fKPDF16_EviiT3_lPKT2_lT1_lS7_lS8_lS4_lPT4_lS8_li,"axG",@progbits,_ZL32rocblas_gemvt_warp_reduce_kernelILb1ELi1024EiPKDF16_fKPDF16_EviiT3_lPKT2_lT1_lS7_lS8_lS4_lPT4_lS8_li,comdat
	.globl	_ZL32rocblas_gemvt_warp_reduce_kernelILb1ELi1024EiPKDF16_fKPDF16_EviiT3_lPKT2_lT1_lS7_lS8_lS4_lPT4_lS8_li ; -- Begin function _ZL32rocblas_gemvt_warp_reduce_kernelILb1ELi1024EiPKDF16_fKPDF16_EviiT3_lPKT2_lT1_lS7_lS8_lS4_lPT4_lS8_li
	.p2align	8
	.type	_ZL32rocblas_gemvt_warp_reduce_kernelILb1ELi1024EiPKDF16_fKPDF16_EviiT3_lPKT2_lT1_lS7_lS8_lS4_lPT4_lS8_li,@function
_ZL32rocblas_gemvt_warp_reduce_kernelILb1ELi1024EiPKDF16_fKPDF16_EviiT3_lPKT2_lT1_lS7_lS8_lS4_lPT4_lS8_li: ; @_ZL32rocblas_gemvt_warp_reduce_kernelILb1ELi1024EiPKDF16_fKPDF16_EviiT3_lPKT2_lT1_lS7_lS8_lS4_lPT4_lS8_li
; %bb.0:
	s_load_b32 s5, s[0:1], 0x88
	s_bfe_u32 s2, ttmp6, 0x40014
	s_lshr_b32 s3, ttmp7, 16
	s_add_co_i32 s2, s2, 1
	s_bfe_u32 s6, ttmp6, 0x40008
	s_mul_i32 s4, s3, s2
	s_getreg_b32 s2, hwreg(HW_REG_IB_STS2, 6, 4)
	s_add_co_i32 s6, s6, s4
	s_cmp_eq_u32 s2, 0
	s_mov_b32 s7, 0
	s_cselect_b32 s6, s3, s6
	s_wait_kmcnt 0x0
	s_cmp_ge_u32 s6, s5
	s_cbranch_scc1 .LBB466_40
; %bb.1:
	s_clause 0x8
	s_load_b32 s26, s[0:1], 0x8
	s_load_b32 s27, s[0:1], 0x58
	s_load_b128 s[8:11], s[0:1], 0x18
	s_load_b32 s3, s[0:1], 0x28
	s_load_b32 s4, s[0:1], 0x0
	s_load_b128 s[12:15], s[0:1], 0x38
	s_load_b32 s21, s[0:1], 0x48
	s_load_b128 s[16:19], s[0:1], 0x68
	s_load_b32 s22, s[0:1], 0x78
	v_dual_mov_b32 v3, 0 :: v_dual_bitop2_b32 v2, 31, v0 bitop3:0x40
	v_lshrrev_b32_e32 v4, 3, v0
	v_mbcnt_lo_u32_b32 v14, -1, 0
	s_wait_xcnt 0x0
	v_cmp_gt_u32_e64 s1, 32, v0
	v_lshlrev_b32_e32 v15, 2, v2
	v_and_b32_e32 v16, 0x7c, v4
	v_lshl_or_b32 v18, v14, 2, 64
	s_wait_kmcnt 0x0
	s_cmp_eq_f32 s26, 0
	v_mul_lo_u32 v17, v0, s21
	s_cselect_b32 s28, -1, 0
	s_cmp_neq_f32 s27, 1.0
	v_cmp_gt_i32_e32 vcc_lo, s4, v0
	s_cselect_b32 s20, -1, 0
	s_cmp_neq_f32 s26, 0
	s_cselect_b32 s0, -1, 0
	s_delay_alu instid0(SALU_CYCLE_1)
	s_or_b32 s29, s0, s20
	s_cmp_neq_f32 s27, 0
	v_cndmask_b32_e64 v1, 0, 1, s0
	v_cmp_eq_u32_e64 s0, 0, v0
	s_cselect_b32 s30, -1, 0
	s_bfe_u32 s20, ttmp6, 0x4000c
	s_and_b32 s23, ttmp6, 15
	s_add_co_i32 s20, s20, 1
	s_delay_alu instid0(SALU_CYCLE_1) | instskip(NEXT) | instid1(SALU_CYCLE_1)
	s_mul_i32 s20, ttmp9, s20
	s_add_co_i32 s23, s23, s20
	s_cmp_eq_u32 s2, 0
	s_cselect_b32 s23, ttmp9, s23
	s_ashr_i32 s2, s4, 31
	s_mul_i32 s24, s22, s23
	s_lshr_b32 s20, s2, 22
	v_cmp_eq_u32_e64 s2, 0, v2
	s_add_co_i32 s20, s4, s20
	s_mul_i32 s22, s3, s23
	s_and_b32 s20, s20, 0xfffffc00
	s_delay_alu instid0(SALU_CYCLE_1)
	v_dual_cndmask_b32 v2, 0, v0, vcc_lo :: v_dual_bitop2_b32 v5, s20, v0 bitop3:0x54
	v_cmp_gt_i32_e64 s3, s20, v0
	s_ashr_i32 s25, s24, 31
	s_lshl_b32 s31, s21, 10
	s_lshl_b64 s[10:11], s[10:11], 1
	v_mul_lo_u32 v4, s21, v5
	v_lshlrev_b32_e32 v2, 1, v2
	v_cmp_gt_i32_e64 s4, s4, v5
	s_ashr_i32 s23, s22, 31
	s_ashr_i32 s21, s20, 31
	s_lshl_b64 s[14:15], s[14:15], 1
	s_lshl_b64 s[18:19], s[18:19], 1
	;; [unrolled: 1-line block ×3, first 2 shown]
	v_ashrrev_i32_e32 v5, 31, v4
	s_branch .LBB466_4
.LBB466_2:                              ;   in Loop: Header=BB466_4 Depth=1
	s_wait_xcnt 0x0
	s_or_b32 exec_lo, exec_lo, s34
.LBB466_3:                              ;   in Loop: Header=BB466_4 Depth=1
	s_add_co_i32 s6, s6, 0x10000
	s_delay_alu instid0(SALU_CYCLE_1)
	s_cmp_lt_u32 s6, s5
	s_cbranch_scc0 .LBB466_40
.LBB466_4:                              ; =>This Loop Header: Depth=1
                                        ;     Child Loop BB466_29 Depth 2
	s_and_not1_b32 vcc_lo, exec_lo, s29
	s_cbranch_vccnz .LBB466_3
; %bb.5:                                ;   in Loop: Header=BB466_4 Depth=1
	s_and_not1_b32 vcc_lo, exec_lo, s28
	s_cbranch_vccnz .LBB466_7
; %bb.6:                                ;   in Loop: Header=BB466_4 Depth=1
	v_mov_b64_e32 v[8:9], 0
	v_mov_b64_e32 v[10:11], 0
	s_cbranch_execz .LBB466_8
	s_branch .LBB466_9
.LBB466_7:                              ;   in Loop: Header=BB466_4 Depth=1
	v_mov_b64_e32 v[8:9], 0
	v_mov_b64_e32 v[10:11], 0
.LBB466_8:                              ;   in Loop: Header=BB466_4 Depth=1
	s_lshl_b64 s[34:35], s[6:7], 3
	s_delay_alu instid0(SALU_CYCLE_1)
	s_add_nc_u64 s[34:35], s[8:9], s[34:35]
	global_load_b64 v[6:7], v3, s[34:35]
	s_wait_loadcnt 0x0
	v_add_nc_u64_e32 v[10:11], s[10:11], v[6:7]
.LBB466_9:                              ;   in Loop: Header=BB466_4 Depth=1
	v_cmp_ne_u32_e32 vcc_lo, 1, v1
	s_cbranch_vccnz .LBB466_11
; %bb.10:                               ;   in Loop: Header=BB466_4 Depth=1
	s_wait_xcnt 0x0
	s_lshl_b64 s[34:35], s[6:7], 3
	s_delay_alu instid0(SALU_CYCLE_1)
	s_add_nc_u64 s[34:35], s[12:13], s[34:35]
	global_load_b64 v[6:7], v3, s[34:35]
	s_wait_loadcnt 0x0
	v_add_nc_u64_e32 v[8:9], s[14:15], v[6:7]
.LBB466_11:                             ;   in Loop: Header=BB466_4 Depth=1
	s_wait_xcnt 0x0
	s_lshl_b64 s[34:35], s[6:7], 3
	s_and_not1_b32 vcc_lo, exec_lo, s28
	s_add_nc_u64 s[34:35], s[16:17], s[34:35]
	global_load_b64 v[6:7], v3, s[34:35]
	s_wait_loadcnt 0x0
	v_add_nc_u64_e32 v[6:7], s[18:19], v[6:7]
	s_cbranch_vccnz .LBB466_15
; %bb.12:                               ;   in Loop: Header=BB466_4 Depth=1
	s_wait_xcnt 0x0
	s_mov_b32 s34, 0
	s_mov_b32 s33, 0
                                        ; implicit-def: $vgpr12
	s_and_saveexec_b32 s35, s0
	s_cbranch_execz .LBB466_16
; %bb.13:                               ;   in Loop: Header=BB466_4 Depth=1
	s_and_not1_b32 vcc_lo, exec_lo, s30
	s_cbranch_vccnz .LBB466_17
; %bb.14:                               ;   in Loop: Header=BB466_4 Depth=1
	s_wait_dscnt 0x0
	v_add_nc_u64_e32 v[12:13], s[24:25], v[6:7]
	flat_load_u16 v12, v[12:13]
	s_wait_loadcnt_dscnt 0x0
	s_wait_xcnt 0x0
	v_fma_mixlo_f16 v12, s27, v12, 0 op_sel_hi:[0,1,0]
	s_branch .LBB466_18
.LBB466_15:                             ;   in Loop: Header=BB466_4 Depth=1
	s_wait_xcnt 0x0
	s_mov_b32 s33, 0
                                        ; implicit-def: $vgpr12
	s_cbranch_execnz .LBB466_19
	s_branch .LBB466_38
.LBB466_16:                             ;   in Loop: Header=BB466_4 Depth=1
	s_or_b32 exec_lo, exec_lo, s35
	s_delay_alu instid0(SALU_CYCLE_1)
	s_and_b32 vcc_lo, exec_lo, s34
	s_cbranch_vccnz .LBB466_19
	s_branch .LBB466_38
.LBB466_17:                             ;   in Loop: Header=BB466_4 Depth=1
	v_mov_b32_e32 v12, 0
.LBB466_18:                             ;   in Loop: Header=BB466_4 Depth=1
	s_mov_b32 s33, exec_lo
	s_or_b32 exec_lo, exec_lo, s35
	s_delay_alu instid0(SALU_CYCLE_1)
	s_and_b32 vcc_lo, exec_lo, s34
	s_cbranch_vccz .LBB466_38
.LBB466_19:                             ;   in Loop: Header=BB466_4 Depth=1
	v_add_nc_u64_e32 v[10:11], v[10:11], v[2:3]
	v_mov_b32_e32 v19, 0
	s_delay_alu instid0(VALU_DEP_2)
	v_lshl_add_u64 v[10:11], s[22:23], 1, v[10:11]
	s_and_saveexec_b32 s34, s3
	s_cbranch_execnz .LBB466_28
; %bb.20:                               ;   in Loop: Header=BB466_4 Depth=1
	s_or_b32 exec_lo, exec_lo, s34
	s_and_saveexec_b32 s34, s4
	s_cbranch_execnz .LBB466_31
.LBB466_21:                             ;   in Loop: Header=BB466_4 Depth=1
	s_or_b32 exec_lo, exec_lo, s34
	s_and_saveexec_b32 s34, s1
.LBB466_22:                             ;   in Loop: Header=BB466_4 Depth=1
	ds_store_b32 v15, v3
.LBB466_23:                             ;   in Loop: Header=BB466_4 Depth=1
	s_or_b32 exec_lo, exec_lo, s34
	ds_bpermute_b32 v9, v18, v19
	v_cmp_gt_u32_e32 vcc_lo, 24, v14
	s_wait_dscnt 0x0
	s_barrier_signal -1
	s_barrier_wait -1
	v_cndmask_b32_e64 v8, 0, 8, vcc_lo
	v_cmp_gt_u32_e32 vcc_lo, 28, v14
	s_delay_alu instid0(VALU_DEP_2)
	v_add_lshl_u32 v8, v8, v14, 2
	v_add_f32_e32 v10, v19, v9
	v_cndmask_b32_e64 v9, 0, 4, vcc_lo
	v_cmp_gt_u32_e32 vcc_lo, 30, v14
	ds_bpermute_b32 v11, v8, v10
	v_add_lshl_u32 v9, v9, v14, 2
	s_wait_dscnt 0x0
	v_add_f32_e32 v11, v10, v11
	v_cndmask_b32_e64 v10, 0, 2, vcc_lo
	v_cmp_ne_u32_e32 vcc_lo, 31, v14
	ds_bpermute_b32 v12, v9, v11
	v_add_lshl_u32 v10, v10, v14, 2
	v_add_co_ci_u32_e64 v13, null, 0, v14, vcc_lo
	s_wait_dscnt 0x0
	v_add_f32_e32 v11, v11, v12
	ds_bpermute_b32 v12, v10, v11
	s_wait_dscnt 0x0
	v_dual_add_f32 v12, v11, v12 :: v_dual_lshlrev_b32 v11, 2, v13
	ds_bpermute_b32 v13, v11, v12
	s_and_saveexec_b32 s34, s2
	s_cbranch_execz .LBB466_25
; %bb.24:                               ;   in Loop: Header=BB466_4 Depth=1
	s_wait_dscnt 0x0
	v_add_f32_e32 v12, v12, v13
	ds_store_b32 v16, v12
.LBB466_25:                             ;   in Loop: Header=BB466_4 Depth=1
	s_or_b32 exec_lo, exec_lo, s34
	s_wait_dscnt 0x0
	v_mov_b32_e32 v13, 0
	s_barrier_signal -1
	s_barrier_wait -1
	s_and_saveexec_b32 s34, s1
	s_cbranch_execnz .LBB466_32
; %bb.26:                               ;   in Loop: Header=BB466_4 Depth=1
	s_or_b32 exec_lo, exec_lo, s34
	s_and_saveexec_b32 s34, s1
	s_cbranch_execnz .LBB466_33
.LBB466_27:                             ;   in Loop: Header=BB466_4 Depth=1
	s_or_b32 exec_lo, exec_lo, s34
                                        ; implicit-def: $vgpr12
	s_and_saveexec_b32 s34, s0
	s_cbranch_execnz .LBB466_34
	s_branch .LBB466_37
.LBB466_28:                             ;   in Loop: Header=BB466_4 Depth=1
	s_wait_dscnt 0x0
	s_delay_alu instid0(VALU_DEP_1)
	v_mov_b64_e32 v[12:13], v[10:11]
	v_dual_mov_b32 v19, 0 :: v_dual_mov_b32 v20, v0
	v_mov_b32_e32 v21, v17
	s_mov_b32 s35, 0
.LBB466_29:                             ;   Parent Loop BB466_4 Depth=1
                                        ; =>  This Inner Loop Header: Depth=2
	v_readfirstlane_b32 s36, v8
	v_readfirstlane_b32 s37, v9
	flat_load_u16 v22, v[12:13]
	flat_load_u16 v23, v21, s[36:37] scale_offset
	s_wait_xcnt 0x1
	v_add_nc_u64_e32 v[12:13], 0x800, v[12:13]
	s_wait_xcnt 0x0
	v_add_nc_u32_e32 v21, s31, v21
	s_wait_loadcnt_dscnt 0x0
	v_mul_f16_e32 v22, v22, v23
	s_delay_alu instid0(VALU_DEP_1) | instskip(NEXT) | instid1(VALU_DEP_1)
	v_cvt_f32_f16_e32 v22, v22
	v_dual_add_f32 v19, v19, v22 :: v_dual_add_nc_u32 v20, 0x400, v20
	s_delay_alu instid0(VALU_DEP_1) | instskip(SKIP_1) | instid1(SALU_CYCLE_1)
	v_cmp_le_i32_e32 vcc_lo, s20, v20
	s_or_b32 s35, vcc_lo, s35
	s_and_not1_b32 exec_lo, exec_lo, s35
	s_cbranch_execnz .LBB466_29
; %bb.30:                               ;   in Loop: Header=BB466_4 Depth=1
	s_or_b32 exec_lo, exec_lo, s35
	s_delay_alu instid0(SALU_CYCLE_1)
	s_or_b32 exec_lo, exec_lo, s34
	s_and_saveexec_b32 s34, s4
	s_cbranch_execz .LBB466_21
.LBB466_31:                             ;   in Loop: Header=BB466_4 Depth=1
	v_lshl_add_u64 v[10:11], s[20:21], 1, v[10:11]
	v_lshl_add_u64 v[8:9], v[4:5], 1, v[8:9]
	flat_load_u16 v12, v[10:11]
	s_wait_dscnt 0x1
	flat_load_u16 v13, v[8:9]
	s_wait_loadcnt_dscnt 0x0
	s_wait_xcnt 0x0
	v_mul_f16_e32 v8, v12, v13
	s_delay_alu instid0(VALU_DEP_1) | instskip(NEXT) | instid1(VALU_DEP_1)
	v_cvt_f32_f16_e32 v8, v8
	v_add_f32_e32 v19, v19, v8
	s_or_b32 exec_lo, exec_lo, s34
	s_and_saveexec_b32 s34, s1
	s_cbranch_execnz .LBB466_22
	s_branch .LBB466_23
.LBB466_32:                             ;   in Loop: Header=BB466_4 Depth=1
	ds_load_b32 v13, v15
	s_or_b32 exec_lo, exec_lo, s34
	s_and_saveexec_b32 s34, s1
	s_cbranch_execz .LBB466_27
.LBB466_33:                             ;   in Loop: Header=BB466_4 Depth=1
	s_wait_dscnt 0x0
	ds_bpermute_b32 v12, v18, v13
	s_wait_dscnt 0x0
	v_add_f32_e32 v12, v13, v12
	ds_bpermute_b32 v8, v8, v12
	s_wait_dscnt 0x0
	v_add_f32_e32 v8, v12, v8
	;; [unrolled: 3-line block ×5, first 2 shown]
	s_or_b32 exec_lo, exec_lo, s34
                                        ; implicit-def: $vgpr12
	s_and_saveexec_b32 s34, s0
	s_cbranch_execz .LBB466_37
.LBB466_34:                             ;   in Loop: Header=BB466_4 Depth=1
	s_wait_dscnt 0x0
	v_mul_f32_e32 v8, s26, v13
	s_and_not1_b32 vcc_lo, exec_lo, s30
	s_cbranch_vccnz .LBB466_36
; %bb.35:                               ;   in Loop: Header=BB466_4 Depth=1
	v_add_nc_u64_e32 v[10:11], s[24:25], v[6:7]
	flat_load_u16 v9, v[10:11]
	s_wait_loadcnt_dscnt 0x0
	v_fma_mix_f32 v8, s27, v9, v8 op_sel_hi:[0,1,0]
.LBB466_36:                             ;   in Loop: Header=BB466_4 Depth=1
	s_delay_alu instid0(VALU_DEP_1)
	v_cvt_f16_f32_e32 v12, v8
	s_or_b32 s33, s33, exec_lo
.LBB466_37:                             ;   in Loop: Header=BB466_4 Depth=1
	s_wait_xcnt 0x0
	s_or_b32 exec_lo, exec_lo, s34
.LBB466_38:                             ;   in Loop: Header=BB466_4 Depth=1
	s_and_saveexec_b32 s34, s33
	s_cbranch_execz .LBB466_2
; %bb.39:                               ;   in Loop: Header=BB466_4 Depth=1
	v_add_nc_u64_e32 v[6:7], s[24:25], v[6:7]
	flat_store_b16 v[6:7], v12
	s_branch .LBB466_2
.LBB466_40:
	s_endpgm
	.section	.rodata,"a",@progbits
	.p2align	6, 0x0
	.amdhsa_kernel _ZL32rocblas_gemvt_warp_reduce_kernelILb1ELi1024EiPKDF16_fKPDF16_EviiT3_lPKT2_lT1_lS7_lS8_lS4_lPT4_lS8_li
		.amdhsa_group_segment_fixed_size 128
		.amdhsa_private_segment_fixed_size 0
		.amdhsa_kernarg_size 140
		.amdhsa_user_sgpr_count 2
		.amdhsa_user_sgpr_dispatch_ptr 0
		.amdhsa_user_sgpr_queue_ptr 0
		.amdhsa_user_sgpr_kernarg_segment_ptr 1
		.amdhsa_user_sgpr_dispatch_id 0
		.amdhsa_user_sgpr_kernarg_preload_length 0
		.amdhsa_user_sgpr_kernarg_preload_offset 0
		.amdhsa_user_sgpr_private_segment_size 0
		.amdhsa_wavefront_size32 1
		.amdhsa_uses_dynamic_stack 0
		.amdhsa_enable_private_segment 0
		.amdhsa_system_sgpr_workgroup_id_x 1
		.amdhsa_system_sgpr_workgroup_id_y 0
		.amdhsa_system_sgpr_workgroup_id_z 1
		.amdhsa_system_sgpr_workgroup_info 0
		.amdhsa_system_vgpr_workitem_id 0
		.amdhsa_next_free_vgpr 24
		.amdhsa_next_free_sgpr 38
		.amdhsa_named_barrier_count 0
		.amdhsa_reserve_vcc 1
		.amdhsa_float_round_mode_32 0
		.amdhsa_float_round_mode_16_64 0
		.amdhsa_float_denorm_mode_32 3
		.amdhsa_float_denorm_mode_16_64 3
		.amdhsa_fp16_overflow 0
		.amdhsa_memory_ordered 1
		.amdhsa_forward_progress 1
		.amdhsa_inst_pref_size 12
		.amdhsa_round_robin_scheduling 0
		.amdhsa_exception_fp_ieee_invalid_op 0
		.amdhsa_exception_fp_denorm_src 0
		.amdhsa_exception_fp_ieee_div_zero 0
		.amdhsa_exception_fp_ieee_overflow 0
		.amdhsa_exception_fp_ieee_underflow 0
		.amdhsa_exception_fp_ieee_inexact 0
		.amdhsa_exception_int_div_zero 0
	.end_amdhsa_kernel
	.section	.text._ZL32rocblas_gemvt_warp_reduce_kernelILb1ELi1024EiPKDF16_fKPDF16_EviiT3_lPKT2_lT1_lS7_lS8_lS4_lPT4_lS8_li,"axG",@progbits,_ZL32rocblas_gemvt_warp_reduce_kernelILb1ELi1024EiPKDF16_fKPDF16_EviiT3_lPKT2_lT1_lS7_lS8_lS4_lPT4_lS8_li,comdat
.Lfunc_end466:
	.size	_ZL32rocblas_gemvt_warp_reduce_kernelILb1ELi1024EiPKDF16_fKPDF16_EviiT3_lPKT2_lT1_lS7_lS8_lS4_lPT4_lS8_li, .Lfunc_end466-_ZL32rocblas_gemvt_warp_reduce_kernelILb1ELi1024EiPKDF16_fKPDF16_EviiT3_lPKT2_lT1_lS7_lS8_lS4_lPT4_lS8_li
                                        ; -- End function
	.set _ZL32rocblas_gemvt_warp_reduce_kernelILb1ELi1024EiPKDF16_fKPDF16_EviiT3_lPKT2_lT1_lS7_lS8_lS4_lPT4_lS8_li.num_vgpr, 24
	.set _ZL32rocblas_gemvt_warp_reduce_kernelILb1ELi1024EiPKDF16_fKPDF16_EviiT3_lPKT2_lT1_lS7_lS8_lS4_lPT4_lS8_li.num_agpr, 0
	.set _ZL32rocblas_gemvt_warp_reduce_kernelILb1ELi1024EiPKDF16_fKPDF16_EviiT3_lPKT2_lT1_lS7_lS8_lS4_lPT4_lS8_li.numbered_sgpr, 38
	.set _ZL32rocblas_gemvt_warp_reduce_kernelILb1ELi1024EiPKDF16_fKPDF16_EviiT3_lPKT2_lT1_lS7_lS8_lS4_lPT4_lS8_li.num_named_barrier, 0
	.set _ZL32rocblas_gemvt_warp_reduce_kernelILb1ELi1024EiPKDF16_fKPDF16_EviiT3_lPKT2_lT1_lS7_lS8_lS4_lPT4_lS8_li.private_seg_size, 0
	.set _ZL32rocblas_gemvt_warp_reduce_kernelILb1ELi1024EiPKDF16_fKPDF16_EviiT3_lPKT2_lT1_lS7_lS8_lS4_lPT4_lS8_li.uses_vcc, 1
	.set _ZL32rocblas_gemvt_warp_reduce_kernelILb1ELi1024EiPKDF16_fKPDF16_EviiT3_lPKT2_lT1_lS7_lS8_lS4_lPT4_lS8_li.uses_flat_scratch, 0
	.set _ZL32rocblas_gemvt_warp_reduce_kernelILb1ELi1024EiPKDF16_fKPDF16_EviiT3_lPKT2_lT1_lS7_lS8_lS4_lPT4_lS8_li.has_dyn_sized_stack, 0
	.set _ZL32rocblas_gemvt_warp_reduce_kernelILb1ELi1024EiPKDF16_fKPDF16_EviiT3_lPKT2_lT1_lS7_lS8_lS4_lPT4_lS8_li.has_recursion, 0
	.set _ZL32rocblas_gemvt_warp_reduce_kernelILb1ELi1024EiPKDF16_fKPDF16_EviiT3_lPKT2_lT1_lS7_lS8_lS4_lPT4_lS8_li.has_indirect_call, 0
	.section	.AMDGPU.csdata,"",@progbits
; Kernel info:
; codeLenInByte = 1484
; TotalNumSgprs: 40
; NumVgprs: 24
; ScratchSize: 0
; MemoryBound: 0
; FloatMode: 240
; IeeeMode: 1
; LDSByteSize: 128 bytes/workgroup (compile time only)
; SGPRBlocks: 0
; VGPRBlocks: 1
; NumSGPRsForWavesPerEU: 40
; NumVGPRsForWavesPerEU: 24
; NamedBarCnt: 0
; Occupancy: 16
; WaveLimiterHint : 1
; COMPUTE_PGM_RSRC2:SCRATCH_EN: 0
; COMPUTE_PGM_RSRC2:USER_SGPR: 2
; COMPUTE_PGM_RSRC2:TRAP_HANDLER: 0
; COMPUTE_PGM_RSRC2:TGID_X_EN: 1
; COMPUTE_PGM_RSRC2:TGID_Y_EN: 0
; COMPUTE_PGM_RSRC2:TGID_Z_EN: 1
; COMPUTE_PGM_RSRC2:TIDIG_COMP_CNT: 0
	.section	.text._ZL32rocblas_gemvt_warp_reduce_kernelILb1ELi1024ElPKDF16_fKPDF16_EviiT3_lPKT2_lT1_lS7_lS8_lS4_lPT4_lS8_li,"axG",@progbits,_ZL32rocblas_gemvt_warp_reduce_kernelILb1ELi1024ElPKDF16_fKPDF16_EviiT3_lPKT2_lT1_lS7_lS8_lS4_lPT4_lS8_li,comdat
	.globl	_ZL32rocblas_gemvt_warp_reduce_kernelILb1ELi1024ElPKDF16_fKPDF16_EviiT3_lPKT2_lT1_lS7_lS8_lS4_lPT4_lS8_li ; -- Begin function _ZL32rocblas_gemvt_warp_reduce_kernelILb1ELi1024ElPKDF16_fKPDF16_EviiT3_lPKT2_lT1_lS7_lS8_lS4_lPT4_lS8_li
	.p2align	8
	.type	_ZL32rocblas_gemvt_warp_reduce_kernelILb1ELi1024ElPKDF16_fKPDF16_EviiT3_lPKT2_lT1_lS7_lS8_lS4_lPT4_lS8_li,@function
_ZL32rocblas_gemvt_warp_reduce_kernelILb1ELi1024ElPKDF16_fKPDF16_EviiT3_lPKT2_lT1_lS7_lS8_lS4_lPT4_lS8_li: ; @_ZL32rocblas_gemvt_warp_reduce_kernelILb1ELi1024ElPKDF16_fKPDF16_EviiT3_lPKT2_lT1_lS7_lS8_lS4_lPT4_lS8_li
; %bb.0:
	s_load_b32 s5, s[0:1], 0x88
	s_bfe_u32 s2, ttmp6, 0x40014
	s_lshr_b32 s3, ttmp7, 16
	s_add_co_i32 s2, s2, 1
	s_bfe_u32 s6, ttmp6, 0x40008
	s_mul_i32 s4, s3, s2
	s_getreg_b32 s2, hwreg(HW_REG_IB_STS2, 6, 4)
	s_add_co_i32 s6, s6, s4
	s_cmp_eq_u32 s2, 0
	s_mov_b32 s7, 0
	s_cselect_b32 s6, s3, s6
	s_wait_kmcnt 0x0
	s_cmp_ge_u32 s6, s5
	s_cbranch_scc1 .LBB467_40
; %bb.1:
	s_clause 0x7
	s_load_b32 s28, s[0:1], 0x8
	s_load_b32 s29, s[0:1], 0x58
	s_load_b128 s[8:11], s[0:1], 0x18
	s_load_b64 s[22:23], s[0:1], 0x28
	s_load_b32 s4, s[0:1], 0x0
	s_load_b128 s[12:15], s[0:1], 0x68
	s_load_b64 s[24:25], s[0:1], 0x48
	s_load_b64 s[26:27], s[0:1], 0x78
	v_mbcnt_lo_u32_b32 v20, -1, 0
	s_delay_alu instid0(VALU_DEP_1)
	v_lshl_or_b32 v21, v20, 2, 64
	s_wait_kmcnt 0x0
	s_cmp_eq_f32 s28, 0
	s_cselect_b32 s30, -1, 0
	s_cmp_neq_f32 s29, 1.0
	s_cselect_b32 s3, -1, 0
	s_cmp_neq_f32 s28, 0
	s_cselect_b32 s16, -1, 0
	s_delay_alu instid0(SALU_CYCLE_1)
	s_or_b32 s31, s16, s3
	s_cmp_neq_f32 s29, 0
	v_cndmask_b32_e64 v18, 0, 1, s16
	s_cselect_b32 s33, -1, 0
	s_bfe_u32 s3, ttmp6, 0x4000c
	s_and_b32 s16, ttmp6, 15
	s_add_co_i32 s3, s3, 1
	s_delay_alu instid0(SALU_CYCLE_1) | instskip(NEXT) | instid1(SALU_CYCLE_1)
	s_mul_i32 s3, ttmp9, s3
	s_add_co_i32 s16, s16, s3
	s_cmp_eq_u32 s2, 0
	s_cselect_b32 s2, ttmp9, s16
	s_load_b128 s[16:19], s[0:1], 0x38
	s_ashr_i32 s3, s4, 31
	v_cmp_gt_i32_e32 vcc_lo, s4, v0
	s_lshr_b32 s3, s3, 22
	s_wait_xcnt 0x0
	v_cmp_eq_u32_e64 s0, 0, v0
	s_add_co_i32 s3, s4, s3
	s_lshl_b64 s[10:11], s[10:11], 1
	s_and_b32 s20, s3, 0xfffffc00
	s_delay_alu instid0(SALU_CYCLE_1) | instskip(SKIP_3) | instid1(VALU_DEP_2)
	v_dual_mov_b32 v3, 0 :: v_dual_bitop2_b32 v8, s20, v0 bitop3:0x54
	s_ashr_i32 s3, s2, 31
	v_cndmask_b32_e32 v2, 0, v0, vcc_lo
	s_mul_u64 s[26:27], s[26:27], s[2:3]
	v_dual_mov_b32 v1, v3 :: v_dual_ashrrev_i32 v9, 31, v8
	s_mul_u64 s[22:23], s[22:23], s[2:3]
	v_cmp_gt_i32_e64 s2, s4, v8
	v_cmp_gt_i32_e64 s1, s20, v0
	s_delay_alu instid0(VALU_DEP_3)
	v_mul_u64_e32 v[6:7], s[24:25], v[0:1]
	v_mul_u64_e32 v[4:5], s[24:25], v[8:9]
	v_dual_lshrrev_b32 v8, 3, v0 :: v_dual_bitop2_b32 v9, 31, v0 bitop3:0x40
	v_cmp_gt_u32_e64 s3, 32, v0
	v_lshlrev_b32_e32 v2, 1, v2
	s_ashr_i32 s21, s20, 31
	v_lshlrev_b32_e32 v1, 2, v9
	v_cmp_eq_u32_e64 s4, 0, v9
	v_and_b32_e32 v19, 0x7c, v8
	s_lshl_b64 s[24:25], s[24:25], 11
	s_wait_kmcnt 0x0
	s_lshl_b64 s[18:19], s[18:19], 1
	s_lshl_b64 s[14:15], s[14:15], 1
	;; [unrolled: 1-line block ×3, first 2 shown]
	v_lshlrev_b64_e32 v[6:7], 1, v[6:7]
	s_branch .LBB467_4
.LBB467_2:                              ;   in Loop: Header=BB467_4 Depth=1
	s_wait_xcnt 0x0
	s_or_b32 exec_lo, exec_lo, s35
.LBB467_3:                              ;   in Loop: Header=BB467_4 Depth=1
	s_add_co_i32 s6, s6, 0x10000
	s_delay_alu instid0(SALU_CYCLE_1)
	s_cmp_lt_u32 s6, s5
	s_cbranch_scc0 .LBB467_40
.LBB467_4:                              ; =>This Loop Header: Depth=1
                                        ;     Child Loop BB467_29 Depth 2
	s_and_not1_b32 vcc_lo, exec_lo, s31
	s_cbranch_vccnz .LBB467_3
; %bb.5:                                ;   in Loop: Header=BB467_4 Depth=1
	s_and_not1_b32 vcc_lo, exec_lo, s30
	s_cbranch_vccnz .LBB467_7
; %bb.6:                                ;   in Loop: Header=BB467_4 Depth=1
	v_mov_b64_e32 v[10:11], 0
	v_mov_b64_e32 v[12:13], 0
	s_cbranch_execz .LBB467_8
	s_branch .LBB467_9
.LBB467_7:                              ;   in Loop: Header=BB467_4 Depth=1
	v_mov_b64_e32 v[10:11], 0
	v_mov_b64_e32 v[12:13], 0
.LBB467_8:                              ;   in Loop: Header=BB467_4 Depth=1
	s_lshl_b64 s[34:35], s[6:7], 3
	s_delay_alu instid0(SALU_CYCLE_1)
	s_add_nc_u64 s[34:35], s[8:9], s[34:35]
	global_load_b64 v[8:9], v3, s[34:35]
	s_wait_loadcnt 0x0
	v_add_nc_u64_e32 v[12:13], s[10:11], v[8:9]
.LBB467_9:                              ;   in Loop: Header=BB467_4 Depth=1
	v_cmp_ne_u32_e32 vcc_lo, 1, v18
	s_cbranch_vccnz .LBB467_11
; %bb.10:                               ;   in Loop: Header=BB467_4 Depth=1
	s_wait_xcnt 0x0
	s_lshl_b64 s[34:35], s[6:7], 3
	s_delay_alu instid0(SALU_CYCLE_1)
	s_add_nc_u64 s[34:35], s[16:17], s[34:35]
	global_load_b64 v[8:9], v3, s[34:35]
	s_wait_loadcnt 0x0
	v_add_nc_u64_e32 v[10:11], s[18:19], v[8:9]
.LBB467_11:                             ;   in Loop: Header=BB467_4 Depth=1
	s_wait_xcnt 0x0
	s_lshl_b64 s[34:35], s[6:7], 3
	s_and_not1_b32 vcc_lo, exec_lo, s30
	s_add_nc_u64 s[34:35], s[12:13], s[34:35]
	global_load_b64 v[8:9], v3, s[34:35]
	s_wait_loadcnt 0x0
	v_add_nc_u64_e32 v[8:9], s[14:15], v[8:9]
	s_cbranch_vccnz .LBB467_15
; %bb.12:                               ;   in Loop: Header=BB467_4 Depth=1
	s_wait_xcnt 0x0
	s_mov_b32 s35, 0
	s_mov_b32 s34, 0
                                        ; implicit-def: $vgpr14
	s_and_saveexec_b32 s36, s0
	s_cbranch_execz .LBB467_16
; %bb.13:                               ;   in Loop: Header=BB467_4 Depth=1
	s_and_not1_b32 vcc_lo, exec_lo, s33
	s_cbranch_vccnz .LBB467_17
; %bb.14:                               ;   in Loop: Header=BB467_4 Depth=1
	s_wait_dscnt 0x0
	v_add_nc_u64_e32 v[14:15], s[26:27], v[8:9]
	flat_load_u16 v14, v[14:15]
	s_wait_loadcnt_dscnt 0x0
	s_wait_xcnt 0x0
	v_fma_mixlo_f16 v14, s29, v14, 0 op_sel_hi:[0,1,0]
	s_branch .LBB467_18
.LBB467_15:                             ;   in Loop: Header=BB467_4 Depth=1
	s_wait_xcnt 0x0
	s_mov_b32 s34, 0
                                        ; implicit-def: $vgpr14
	s_cbranch_execnz .LBB467_19
	s_branch .LBB467_38
.LBB467_16:                             ;   in Loop: Header=BB467_4 Depth=1
	s_or_b32 exec_lo, exec_lo, s36
	s_delay_alu instid0(SALU_CYCLE_1)
	s_and_b32 vcc_lo, exec_lo, s35
	s_cbranch_vccnz .LBB467_19
	s_branch .LBB467_38
.LBB467_17:                             ;   in Loop: Header=BB467_4 Depth=1
	v_mov_b32_e32 v14, 0
.LBB467_18:                             ;   in Loop: Header=BB467_4 Depth=1
	s_mov_b32 s34, exec_lo
	s_or_b32 exec_lo, exec_lo, s36
	s_delay_alu instid0(SALU_CYCLE_1)
	s_and_b32 vcc_lo, exec_lo, s35
	s_cbranch_vccz .LBB467_38
.LBB467_19:                             ;   in Loop: Header=BB467_4 Depth=1
	v_add_nc_u64_e32 v[12:13], v[12:13], v[2:3]
	v_mov_b32_e32 v22, 0
	s_delay_alu instid0(VALU_DEP_2)
	v_lshl_add_u64 v[12:13], s[22:23], 1, v[12:13]
	s_and_saveexec_b32 s35, s1
	s_cbranch_execnz .LBB467_28
; %bb.20:                               ;   in Loop: Header=BB467_4 Depth=1
	s_or_b32 exec_lo, exec_lo, s35
	s_and_saveexec_b32 s35, s2
	s_cbranch_execnz .LBB467_31
.LBB467_21:                             ;   in Loop: Header=BB467_4 Depth=1
	s_or_b32 exec_lo, exec_lo, s35
	s_and_saveexec_b32 s35, s3
.LBB467_22:                             ;   in Loop: Header=BB467_4 Depth=1
	ds_store_b32 v1, v3
.LBB467_23:                             ;   in Loop: Header=BB467_4 Depth=1
	s_or_b32 exec_lo, exec_lo, s35
	ds_bpermute_b32 v11, v21, v22
	v_cmp_gt_u32_e32 vcc_lo, 24, v20
	s_wait_dscnt 0x0
	s_barrier_signal -1
	s_barrier_wait -1
	v_cndmask_b32_e64 v10, 0, 8, vcc_lo
	v_cmp_gt_u32_e32 vcc_lo, 28, v20
	s_delay_alu instid0(VALU_DEP_2)
	v_add_lshl_u32 v10, v10, v20, 2
	v_add_f32_e32 v12, v22, v11
	v_cndmask_b32_e64 v11, 0, 4, vcc_lo
	v_cmp_gt_u32_e32 vcc_lo, 30, v20
	ds_bpermute_b32 v13, v10, v12
	v_add_lshl_u32 v11, v11, v20, 2
	s_wait_dscnt 0x0
	v_add_f32_e32 v13, v12, v13
	v_cndmask_b32_e64 v12, 0, 2, vcc_lo
	v_cmp_ne_u32_e32 vcc_lo, 31, v20
	ds_bpermute_b32 v14, v11, v13
	v_add_lshl_u32 v12, v12, v20, 2
	v_add_co_ci_u32_e64 v15, null, 0, v20, vcc_lo
	s_wait_dscnt 0x0
	v_add_f32_e32 v13, v13, v14
	ds_bpermute_b32 v14, v12, v13
	s_wait_dscnt 0x0
	v_dual_add_f32 v14, v13, v14 :: v_dual_lshlrev_b32 v13, 2, v15
	ds_bpermute_b32 v15, v13, v14
	s_and_saveexec_b32 s35, s4
	s_cbranch_execz .LBB467_25
; %bb.24:                               ;   in Loop: Header=BB467_4 Depth=1
	s_wait_dscnt 0x0
	v_add_f32_e32 v14, v14, v15
	ds_store_b32 v19, v14
.LBB467_25:                             ;   in Loop: Header=BB467_4 Depth=1
	s_or_b32 exec_lo, exec_lo, s35
	s_wait_dscnt 0x0
	v_mov_b32_e32 v15, 0
	s_barrier_signal -1
	s_barrier_wait -1
	s_and_saveexec_b32 s35, s3
	s_cbranch_execnz .LBB467_32
; %bb.26:                               ;   in Loop: Header=BB467_4 Depth=1
	s_or_b32 exec_lo, exec_lo, s35
	s_and_saveexec_b32 s35, s3
	s_cbranch_execnz .LBB467_33
.LBB467_27:                             ;   in Loop: Header=BB467_4 Depth=1
	s_or_b32 exec_lo, exec_lo, s35
                                        ; implicit-def: $vgpr14
	s_and_saveexec_b32 s35, s0
	s_cbranch_execnz .LBB467_34
	s_branch .LBB467_37
.LBB467_28:                             ;   in Loop: Header=BB467_4 Depth=1
	s_wait_dscnt 0x0
	v_add_nc_u64_e32 v[14:15], v[10:11], v[6:7]
	v_mov_b64_e32 v[16:17], v[12:13]
	v_dual_mov_b32 v22, 0 :: v_dual_mov_b32 v23, v0
	s_mov_b32 s36, 0
.LBB467_29:                             ;   Parent Loop BB467_4 Depth=1
                                        ; =>  This Inner Loop Header: Depth=2
	flat_load_u16 v24, v[16:17]
	flat_load_u16 v25, v[14:15]
	s_wait_xcnt 0x1
	v_add_nc_u64_e32 v[16:17], 0x800, v[16:17]
	s_wait_xcnt 0x0
	v_add_nc_u64_e32 v[14:15], s[24:25], v[14:15]
	s_wait_loadcnt_dscnt 0x0
	v_mul_f16_e32 v24, v24, v25
	s_delay_alu instid0(VALU_DEP_1) | instskip(NEXT) | instid1(VALU_DEP_1)
	v_cvt_f32_f16_e32 v24, v24
	v_dual_add_f32 v22, v22, v24 :: v_dual_add_nc_u32 v23, 0x400, v23
	s_delay_alu instid0(VALU_DEP_1) | instskip(SKIP_1) | instid1(SALU_CYCLE_1)
	v_cmp_le_i32_e32 vcc_lo, s20, v23
	s_or_b32 s36, vcc_lo, s36
	s_and_not1_b32 exec_lo, exec_lo, s36
	s_cbranch_execnz .LBB467_29
; %bb.30:                               ;   in Loop: Header=BB467_4 Depth=1
	s_or_b32 exec_lo, exec_lo, s36
	s_delay_alu instid0(SALU_CYCLE_1)
	s_or_b32 exec_lo, exec_lo, s35
	s_and_saveexec_b32 s35, s2
	s_cbranch_execz .LBB467_21
.LBB467_31:                             ;   in Loop: Header=BB467_4 Depth=1
	v_lshl_add_u64 v[12:13], s[20:21], 1, v[12:13]
	v_lshl_add_u64 v[10:11], v[4:5], 1, v[10:11]
	flat_load_u16 v14, v[12:13]
	s_wait_dscnt 0x1
	flat_load_u16 v15, v[10:11]
	s_wait_loadcnt_dscnt 0x0
	s_wait_xcnt 0x0
	v_mul_f16_e32 v10, v14, v15
	s_delay_alu instid0(VALU_DEP_1) | instskip(NEXT) | instid1(VALU_DEP_1)
	v_cvt_f32_f16_e32 v10, v10
	v_add_f32_e32 v22, v22, v10
	s_or_b32 exec_lo, exec_lo, s35
	s_and_saveexec_b32 s35, s3
	s_cbranch_execnz .LBB467_22
	s_branch .LBB467_23
.LBB467_32:                             ;   in Loop: Header=BB467_4 Depth=1
	ds_load_b32 v15, v1
	s_or_b32 exec_lo, exec_lo, s35
	s_and_saveexec_b32 s35, s3
	s_cbranch_execz .LBB467_27
.LBB467_33:                             ;   in Loop: Header=BB467_4 Depth=1
	s_wait_dscnt 0x0
	ds_bpermute_b32 v14, v21, v15
	s_wait_dscnt 0x0
	v_add_f32_e32 v14, v15, v14
	ds_bpermute_b32 v10, v10, v14
	s_wait_dscnt 0x0
	v_add_f32_e32 v10, v14, v10
	;; [unrolled: 3-line block ×5, first 2 shown]
	s_or_b32 exec_lo, exec_lo, s35
                                        ; implicit-def: $vgpr14
	s_and_saveexec_b32 s35, s0
	s_cbranch_execz .LBB467_37
.LBB467_34:                             ;   in Loop: Header=BB467_4 Depth=1
	s_wait_dscnt 0x0
	v_mul_f32_e32 v10, s28, v15
	s_and_not1_b32 vcc_lo, exec_lo, s33
	s_cbranch_vccnz .LBB467_36
; %bb.35:                               ;   in Loop: Header=BB467_4 Depth=1
	v_add_nc_u64_e32 v[12:13], s[26:27], v[8:9]
	flat_load_u16 v11, v[12:13]
	s_wait_loadcnt_dscnt 0x0
	v_fma_mix_f32 v10, s29, v11, v10 op_sel_hi:[0,1,0]
.LBB467_36:                             ;   in Loop: Header=BB467_4 Depth=1
	s_delay_alu instid0(VALU_DEP_1)
	v_cvt_f16_f32_e32 v14, v10
	s_or_b32 s34, s34, exec_lo
.LBB467_37:                             ;   in Loop: Header=BB467_4 Depth=1
	s_wait_xcnt 0x0
	s_or_b32 exec_lo, exec_lo, s35
.LBB467_38:                             ;   in Loop: Header=BB467_4 Depth=1
	s_and_saveexec_b32 s35, s34
	s_cbranch_execz .LBB467_2
; %bb.39:                               ;   in Loop: Header=BB467_4 Depth=1
	v_add_nc_u64_e32 v[8:9], s[26:27], v[8:9]
	flat_store_b16 v[8:9], v14
	s_branch .LBB467_2
.LBB467_40:
	s_endpgm
	.section	.rodata,"a",@progbits
	.p2align	6, 0x0
	.amdhsa_kernel _ZL32rocblas_gemvt_warp_reduce_kernelILb1ELi1024ElPKDF16_fKPDF16_EviiT3_lPKT2_lT1_lS7_lS8_lS4_lPT4_lS8_li
		.amdhsa_group_segment_fixed_size 128
		.amdhsa_private_segment_fixed_size 0
		.amdhsa_kernarg_size 140
		.amdhsa_user_sgpr_count 2
		.amdhsa_user_sgpr_dispatch_ptr 0
		.amdhsa_user_sgpr_queue_ptr 0
		.amdhsa_user_sgpr_kernarg_segment_ptr 1
		.amdhsa_user_sgpr_dispatch_id 0
		.amdhsa_user_sgpr_kernarg_preload_length 0
		.amdhsa_user_sgpr_kernarg_preload_offset 0
		.amdhsa_user_sgpr_private_segment_size 0
		.amdhsa_wavefront_size32 1
		.amdhsa_uses_dynamic_stack 0
		.amdhsa_enable_private_segment 0
		.amdhsa_system_sgpr_workgroup_id_x 1
		.amdhsa_system_sgpr_workgroup_id_y 0
		.amdhsa_system_sgpr_workgroup_id_z 1
		.amdhsa_system_sgpr_workgroup_info 0
		.amdhsa_system_vgpr_workitem_id 0
		.amdhsa_next_free_vgpr 26
		.amdhsa_next_free_sgpr 37
		.amdhsa_named_barrier_count 0
		.amdhsa_reserve_vcc 1
		.amdhsa_float_round_mode_32 0
		.amdhsa_float_round_mode_16_64 0
		.amdhsa_float_denorm_mode_32 3
		.amdhsa_float_denorm_mode_16_64 3
		.amdhsa_fp16_overflow 0
		.amdhsa_memory_ordered 1
		.amdhsa_forward_progress 1
		.amdhsa_inst_pref_size 12
		.amdhsa_round_robin_scheduling 0
		.amdhsa_exception_fp_ieee_invalid_op 0
		.amdhsa_exception_fp_denorm_src 0
		.amdhsa_exception_fp_ieee_div_zero 0
		.amdhsa_exception_fp_ieee_overflow 0
		.amdhsa_exception_fp_ieee_underflow 0
		.amdhsa_exception_fp_ieee_inexact 0
		.amdhsa_exception_int_div_zero 0
	.end_amdhsa_kernel
	.section	.text._ZL32rocblas_gemvt_warp_reduce_kernelILb1ELi1024ElPKDF16_fKPDF16_EviiT3_lPKT2_lT1_lS7_lS8_lS4_lPT4_lS8_li,"axG",@progbits,_ZL32rocblas_gemvt_warp_reduce_kernelILb1ELi1024ElPKDF16_fKPDF16_EviiT3_lPKT2_lT1_lS7_lS8_lS4_lPT4_lS8_li,comdat
.Lfunc_end467:
	.size	_ZL32rocblas_gemvt_warp_reduce_kernelILb1ELi1024ElPKDF16_fKPDF16_EviiT3_lPKT2_lT1_lS7_lS8_lS4_lPT4_lS8_li, .Lfunc_end467-_ZL32rocblas_gemvt_warp_reduce_kernelILb1ELi1024ElPKDF16_fKPDF16_EviiT3_lPKT2_lT1_lS7_lS8_lS4_lPT4_lS8_li
                                        ; -- End function
	.set _ZL32rocblas_gemvt_warp_reduce_kernelILb1ELi1024ElPKDF16_fKPDF16_EviiT3_lPKT2_lT1_lS7_lS8_lS4_lPT4_lS8_li.num_vgpr, 26
	.set _ZL32rocblas_gemvt_warp_reduce_kernelILb1ELi1024ElPKDF16_fKPDF16_EviiT3_lPKT2_lT1_lS7_lS8_lS4_lPT4_lS8_li.num_agpr, 0
	.set _ZL32rocblas_gemvt_warp_reduce_kernelILb1ELi1024ElPKDF16_fKPDF16_EviiT3_lPKT2_lT1_lS7_lS8_lS4_lPT4_lS8_li.numbered_sgpr, 37
	.set _ZL32rocblas_gemvt_warp_reduce_kernelILb1ELi1024ElPKDF16_fKPDF16_EviiT3_lPKT2_lT1_lS7_lS8_lS4_lPT4_lS8_li.num_named_barrier, 0
	.set _ZL32rocblas_gemvt_warp_reduce_kernelILb1ELi1024ElPKDF16_fKPDF16_EviiT3_lPKT2_lT1_lS7_lS8_lS4_lPT4_lS8_li.private_seg_size, 0
	.set _ZL32rocblas_gemvt_warp_reduce_kernelILb1ELi1024ElPKDF16_fKPDF16_EviiT3_lPKT2_lT1_lS7_lS8_lS4_lPT4_lS8_li.uses_vcc, 1
	.set _ZL32rocblas_gemvt_warp_reduce_kernelILb1ELi1024ElPKDF16_fKPDF16_EviiT3_lPKT2_lT1_lS7_lS8_lS4_lPT4_lS8_li.uses_flat_scratch, 0
	.set _ZL32rocblas_gemvt_warp_reduce_kernelILb1ELi1024ElPKDF16_fKPDF16_EviiT3_lPKT2_lT1_lS7_lS8_lS4_lPT4_lS8_li.has_dyn_sized_stack, 0
	.set _ZL32rocblas_gemvt_warp_reduce_kernelILb1ELi1024ElPKDF16_fKPDF16_EviiT3_lPKT2_lT1_lS7_lS8_lS4_lPT4_lS8_li.has_recursion, 0
	.set _ZL32rocblas_gemvt_warp_reduce_kernelILb1ELi1024ElPKDF16_fKPDF16_EviiT3_lPKT2_lT1_lS7_lS8_lS4_lPT4_lS8_li.has_indirect_call, 0
	.section	.AMDGPU.csdata,"",@progbits
; Kernel info:
; codeLenInByte = 1484
; TotalNumSgprs: 39
; NumVgprs: 26
; ScratchSize: 0
; MemoryBound: 0
; FloatMode: 240
; IeeeMode: 1
; LDSByteSize: 128 bytes/workgroup (compile time only)
; SGPRBlocks: 0
; VGPRBlocks: 1
; NumSGPRsForWavesPerEU: 39
; NumVGPRsForWavesPerEU: 26
; NamedBarCnt: 0
; Occupancy: 16
; WaveLimiterHint : 1
; COMPUTE_PGM_RSRC2:SCRATCH_EN: 0
; COMPUTE_PGM_RSRC2:USER_SGPR: 2
; COMPUTE_PGM_RSRC2:TRAP_HANDLER: 0
; COMPUTE_PGM_RSRC2:TGID_X_EN: 1
; COMPUTE_PGM_RSRC2:TGID_Y_EN: 0
; COMPUTE_PGM_RSRC2:TGID_Z_EN: 1
; COMPUTE_PGM_RSRC2:TIDIG_COMP_CNT: 0
	.section	.text._ZL34rocblas_gemvn_sm_mn_batched_kernelILi32ELi24EDF16_PKffEviiT2_lPKT1_lilS5_lilS2_lPT3_lili,"axG",@progbits,_ZL34rocblas_gemvn_sm_mn_batched_kernelILi32ELi24EDF16_PKffEviiT2_lPKT1_lilS5_lilS2_lPT3_lili,comdat
	.globl	_ZL34rocblas_gemvn_sm_mn_batched_kernelILi32ELi24EDF16_PKffEviiT2_lPKT1_lilS5_lilS2_lPT3_lili ; -- Begin function _ZL34rocblas_gemvn_sm_mn_batched_kernelILi32ELi24EDF16_PKffEviiT2_lPKT1_lilS5_lilS2_lPT3_lili
	.p2align	8
	.type	_ZL34rocblas_gemvn_sm_mn_batched_kernelILi32ELi24EDF16_PKffEviiT2_lPKT1_lilS5_lilS2_lPT3_lili,@function
_ZL34rocblas_gemvn_sm_mn_batched_kernelILi32ELi24EDF16_PKffEviiT2_lPKT1_lilS5_lilS2_lPT3_lili: ; @_ZL34rocblas_gemvn_sm_mn_batched_kernelILi32ELi24EDF16_PKffEviiT2_lPKT1_lilS5_lilS2_lPT3_lili
; %bb.0:
	s_endpgm
	.section	.rodata,"a",@progbits
	.p2align	6, 0x0
	.amdhsa_kernel _ZL34rocblas_gemvn_sm_mn_batched_kernelILi32ELi24EDF16_PKffEviiT2_lPKT1_lilS5_lilS2_lPT3_lili
		.amdhsa_group_segment_fixed_size 0
		.amdhsa_private_segment_fixed_size 0
		.amdhsa_kernarg_size 140
		.amdhsa_user_sgpr_count 2
		.amdhsa_user_sgpr_dispatch_ptr 0
		.amdhsa_user_sgpr_queue_ptr 0
		.amdhsa_user_sgpr_kernarg_segment_ptr 1
		.amdhsa_user_sgpr_dispatch_id 0
		.amdhsa_user_sgpr_kernarg_preload_length 0
		.amdhsa_user_sgpr_kernarg_preload_offset 0
		.amdhsa_user_sgpr_private_segment_size 0
		.amdhsa_wavefront_size32 1
		.amdhsa_uses_dynamic_stack 0
		.amdhsa_enable_private_segment 0
		.amdhsa_system_sgpr_workgroup_id_x 1
		.amdhsa_system_sgpr_workgroup_id_y 0
		.amdhsa_system_sgpr_workgroup_id_z 0
		.amdhsa_system_sgpr_workgroup_info 0
		.amdhsa_system_vgpr_workitem_id 0
		.amdhsa_next_free_vgpr 1
		.amdhsa_next_free_sgpr 1
		.amdhsa_named_barrier_count 0
		.amdhsa_reserve_vcc 0
		.amdhsa_float_round_mode_32 0
		.amdhsa_float_round_mode_16_64 0
		.amdhsa_float_denorm_mode_32 3
		.amdhsa_float_denorm_mode_16_64 3
		.amdhsa_fp16_overflow 0
		.amdhsa_memory_ordered 1
		.amdhsa_forward_progress 1
		.amdhsa_inst_pref_size 1
		.amdhsa_round_robin_scheduling 0
		.amdhsa_exception_fp_ieee_invalid_op 0
		.amdhsa_exception_fp_denorm_src 0
		.amdhsa_exception_fp_ieee_div_zero 0
		.amdhsa_exception_fp_ieee_overflow 0
		.amdhsa_exception_fp_ieee_underflow 0
		.amdhsa_exception_fp_ieee_inexact 0
		.amdhsa_exception_int_div_zero 0
	.end_amdhsa_kernel
	.section	.text._ZL34rocblas_gemvn_sm_mn_batched_kernelILi32ELi24EDF16_PKffEviiT2_lPKT1_lilS5_lilS2_lPT3_lili,"axG",@progbits,_ZL34rocblas_gemvn_sm_mn_batched_kernelILi32ELi24EDF16_PKffEviiT2_lPKT1_lilS5_lilS2_lPT3_lili,comdat
.Lfunc_end468:
	.size	_ZL34rocblas_gemvn_sm_mn_batched_kernelILi32ELi24EDF16_PKffEviiT2_lPKT1_lilS5_lilS2_lPT3_lili, .Lfunc_end468-_ZL34rocblas_gemvn_sm_mn_batched_kernelILi32ELi24EDF16_PKffEviiT2_lPKT1_lilS5_lilS2_lPT3_lili
                                        ; -- End function
	.set _ZL34rocblas_gemvn_sm_mn_batched_kernelILi32ELi24EDF16_PKffEviiT2_lPKT1_lilS5_lilS2_lPT3_lili.num_vgpr, 0
	.set _ZL34rocblas_gemvn_sm_mn_batched_kernelILi32ELi24EDF16_PKffEviiT2_lPKT1_lilS5_lilS2_lPT3_lili.num_agpr, 0
	.set _ZL34rocblas_gemvn_sm_mn_batched_kernelILi32ELi24EDF16_PKffEviiT2_lPKT1_lilS5_lilS2_lPT3_lili.numbered_sgpr, 0
	.set _ZL34rocblas_gemvn_sm_mn_batched_kernelILi32ELi24EDF16_PKffEviiT2_lPKT1_lilS5_lilS2_lPT3_lili.num_named_barrier, 0
	.set _ZL34rocblas_gemvn_sm_mn_batched_kernelILi32ELi24EDF16_PKffEviiT2_lPKT1_lilS5_lilS2_lPT3_lili.private_seg_size, 0
	.set _ZL34rocblas_gemvn_sm_mn_batched_kernelILi32ELi24EDF16_PKffEviiT2_lPKT1_lilS5_lilS2_lPT3_lili.uses_vcc, 0
	.set _ZL34rocblas_gemvn_sm_mn_batched_kernelILi32ELi24EDF16_PKffEviiT2_lPKT1_lilS5_lilS2_lPT3_lili.uses_flat_scratch, 0
	.set _ZL34rocblas_gemvn_sm_mn_batched_kernelILi32ELi24EDF16_PKffEviiT2_lPKT1_lilS5_lilS2_lPT3_lili.has_dyn_sized_stack, 0
	.set _ZL34rocblas_gemvn_sm_mn_batched_kernelILi32ELi24EDF16_PKffEviiT2_lPKT1_lilS5_lilS2_lPT3_lili.has_recursion, 0
	.set _ZL34rocblas_gemvn_sm_mn_batched_kernelILi32ELi24EDF16_PKffEviiT2_lPKT1_lilS5_lilS2_lPT3_lili.has_indirect_call, 0
	.section	.AMDGPU.csdata,"",@progbits
; Kernel info:
; codeLenInByte = 4
; TotalNumSgprs: 0
; NumVgprs: 0
; ScratchSize: 0
; MemoryBound: 0
; FloatMode: 240
; IeeeMode: 1
; LDSByteSize: 0 bytes/workgroup (compile time only)
; SGPRBlocks: 0
; VGPRBlocks: 0
; NumSGPRsForWavesPerEU: 1
; NumVGPRsForWavesPerEU: 1
; NamedBarCnt: 0
; Occupancy: 16
; WaveLimiterHint : 0
; COMPUTE_PGM_RSRC2:SCRATCH_EN: 0
; COMPUTE_PGM_RSRC2:USER_SGPR: 2
; COMPUTE_PGM_RSRC2:TRAP_HANDLER: 0
; COMPUTE_PGM_RSRC2:TGID_X_EN: 1
; COMPUTE_PGM_RSRC2:TGID_Y_EN: 0
; COMPUTE_PGM_RSRC2:TGID_Z_EN: 0
; COMPUTE_PGM_RSRC2:TIDIG_COMP_CNT: 0
	.section	.text._ZL34rocblas_gemvn_sm_mn_batched_kernelILi32ELi24EDF16_ffEviiT2_lPKT1_lilS3_lilS0_lPT3_lili,"axG",@progbits,_ZL34rocblas_gemvn_sm_mn_batched_kernelILi32ELi24EDF16_ffEviiT2_lPKT1_lilS3_lilS0_lPT3_lili,comdat
	.globl	_ZL34rocblas_gemvn_sm_mn_batched_kernelILi32ELi24EDF16_ffEviiT2_lPKT1_lilS3_lilS0_lPT3_lili ; -- Begin function _ZL34rocblas_gemvn_sm_mn_batched_kernelILi32ELi24EDF16_ffEviiT2_lPKT1_lilS3_lilS0_lPT3_lili
	.p2align	8
	.type	_ZL34rocblas_gemvn_sm_mn_batched_kernelILi32ELi24EDF16_ffEviiT2_lPKT1_lilS3_lilS0_lPT3_lili,@function
_ZL34rocblas_gemvn_sm_mn_batched_kernelILi32ELi24EDF16_ffEviiT2_lPKT1_lilS3_lilS0_lPT3_lili: ; @_ZL34rocblas_gemvn_sm_mn_batched_kernelILi32ELi24EDF16_ffEviiT2_lPKT1_lilS3_lilS0_lPT3_lili
; %bb.0:
	s_endpgm
	.section	.rodata,"a",@progbits
	.p2align	6, 0x0
	.amdhsa_kernel _ZL34rocblas_gemvn_sm_mn_batched_kernelILi32ELi24EDF16_ffEviiT2_lPKT1_lilS3_lilS0_lPT3_lili
		.amdhsa_group_segment_fixed_size 0
		.amdhsa_private_segment_fixed_size 0
		.amdhsa_kernarg_size 140
		.amdhsa_user_sgpr_count 2
		.amdhsa_user_sgpr_dispatch_ptr 0
		.amdhsa_user_sgpr_queue_ptr 0
		.amdhsa_user_sgpr_kernarg_segment_ptr 1
		.amdhsa_user_sgpr_dispatch_id 0
		.amdhsa_user_sgpr_kernarg_preload_length 0
		.amdhsa_user_sgpr_kernarg_preload_offset 0
		.amdhsa_user_sgpr_private_segment_size 0
		.amdhsa_wavefront_size32 1
		.amdhsa_uses_dynamic_stack 0
		.amdhsa_enable_private_segment 0
		.amdhsa_system_sgpr_workgroup_id_x 1
		.amdhsa_system_sgpr_workgroup_id_y 0
		.amdhsa_system_sgpr_workgroup_id_z 0
		.amdhsa_system_sgpr_workgroup_info 0
		.amdhsa_system_vgpr_workitem_id 0
		.amdhsa_next_free_vgpr 1
		.amdhsa_next_free_sgpr 1
		.amdhsa_named_barrier_count 0
		.amdhsa_reserve_vcc 0
		.amdhsa_float_round_mode_32 0
		.amdhsa_float_round_mode_16_64 0
		.amdhsa_float_denorm_mode_32 3
		.amdhsa_float_denorm_mode_16_64 3
		.amdhsa_fp16_overflow 0
		.amdhsa_memory_ordered 1
		.amdhsa_forward_progress 1
		.amdhsa_inst_pref_size 1
		.amdhsa_round_robin_scheduling 0
		.amdhsa_exception_fp_ieee_invalid_op 0
		.amdhsa_exception_fp_denorm_src 0
		.amdhsa_exception_fp_ieee_div_zero 0
		.amdhsa_exception_fp_ieee_overflow 0
		.amdhsa_exception_fp_ieee_underflow 0
		.amdhsa_exception_fp_ieee_inexact 0
		.amdhsa_exception_int_div_zero 0
	.end_amdhsa_kernel
	.section	.text._ZL34rocblas_gemvn_sm_mn_batched_kernelILi32ELi24EDF16_ffEviiT2_lPKT1_lilS3_lilS0_lPT3_lili,"axG",@progbits,_ZL34rocblas_gemvn_sm_mn_batched_kernelILi32ELi24EDF16_ffEviiT2_lPKT1_lilS3_lilS0_lPT3_lili,comdat
.Lfunc_end469:
	.size	_ZL34rocblas_gemvn_sm_mn_batched_kernelILi32ELi24EDF16_ffEviiT2_lPKT1_lilS3_lilS0_lPT3_lili, .Lfunc_end469-_ZL34rocblas_gemvn_sm_mn_batched_kernelILi32ELi24EDF16_ffEviiT2_lPKT1_lilS3_lilS0_lPT3_lili
                                        ; -- End function
	.set _ZL34rocblas_gemvn_sm_mn_batched_kernelILi32ELi24EDF16_ffEviiT2_lPKT1_lilS3_lilS0_lPT3_lili.num_vgpr, 0
	.set _ZL34rocblas_gemvn_sm_mn_batched_kernelILi32ELi24EDF16_ffEviiT2_lPKT1_lilS3_lilS0_lPT3_lili.num_agpr, 0
	.set _ZL34rocblas_gemvn_sm_mn_batched_kernelILi32ELi24EDF16_ffEviiT2_lPKT1_lilS3_lilS0_lPT3_lili.numbered_sgpr, 0
	.set _ZL34rocblas_gemvn_sm_mn_batched_kernelILi32ELi24EDF16_ffEviiT2_lPKT1_lilS3_lilS0_lPT3_lili.num_named_barrier, 0
	.set _ZL34rocblas_gemvn_sm_mn_batched_kernelILi32ELi24EDF16_ffEviiT2_lPKT1_lilS3_lilS0_lPT3_lili.private_seg_size, 0
	.set _ZL34rocblas_gemvn_sm_mn_batched_kernelILi32ELi24EDF16_ffEviiT2_lPKT1_lilS3_lilS0_lPT3_lili.uses_vcc, 0
	.set _ZL34rocblas_gemvn_sm_mn_batched_kernelILi32ELi24EDF16_ffEviiT2_lPKT1_lilS3_lilS0_lPT3_lili.uses_flat_scratch, 0
	.set _ZL34rocblas_gemvn_sm_mn_batched_kernelILi32ELi24EDF16_ffEviiT2_lPKT1_lilS3_lilS0_lPT3_lili.has_dyn_sized_stack, 0
	.set _ZL34rocblas_gemvn_sm_mn_batched_kernelILi32ELi24EDF16_ffEviiT2_lPKT1_lilS3_lilS0_lPT3_lili.has_recursion, 0
	.set _ZL34rocblas_gemvn_sm_mn_batched_kernelILi32ELi24EDF16_ffEviiT2_lPKT1_lilS3_lilS0_lPT3_lili.has_indirect_call, 0
	.section	.AMDGPU.csdata,"",@progbits
; Kernel info:
; codeLenInByte = 4
; TotalNumSgprs: 0
; NumVgprs: 0
; ScratchSize: 0
; MemoryBound: 0
; FloatMode: 240
; IeeeMode: 1
; LDSByteSize: 0 bytes/workgroup (compile time only)
; SGPRBlocks: 0
; VGPRBlocks: 0
; NumSGPRsForWavesPerEU: 1
; NumVGPRsForWavesPerEU: 1
; NamedBarCnt: 0
; Occupancy: 16
; WaveLimiterHint : 0
; COMPUTE_PGM_RSRC2:SCRATCH_EN: 0
; COMPUTE_PGM_RSRC2:USER_SGPR: 2
; COMPUTE_PGM_RSRC2:TRAP_HANDLER: 0
; COMPUTE_PGM_RSRC2:TGID_X_EN: 1
; COMPUTE_PGM_RSRC2:TGID_Y_EN: 0
; COMPUTE_PGM_RSRC2:TGID_Z_EN: 0
; COMPUTE_PGM_RSRC2:TIDIG_COMP_CNT: 0
	.section	.text._ZL20rocblas_gemvn_kernelILi64ELi4EiDF16_PKffEviiT3_lPKT2_lT1_lS5_lS6_lS2_lPT4_lS6_li,"axG",@progbits,_ZL20rocblas_gemvn_kernelILi64ELi4EiDF16_PKffEviiT3_lPKT2_lT1_lS5_lS6_lS2_lPT4_lS6_li,comdat
	.globl	_ZL20rocblas_gemvn_kernelILi64ELi4EiDF16_PKffEviiT3_lPKT2_lT1_lS5_lS6_lS2_lPT4_lS6_li ; -- Begin function _ZL20rocblas_gemvn_kernelILi64ELi4EiDF16_PKffEviiT3_lPKT2_lT1_lS5_lS6_lS2_lPT4_lS6_li
	.p2align	8
	.type	_ZL20rocblas_gemvn_kernelILi64ELi4EiDF16_PKffEviiT3_lPKT2_lT1_lS5_lS6_lS2_lPT4_lS6_li,@function
_ZL20rocblas_gemvn_kernelILi64ELi4EiDF16_PKffEviiT3_lPKT2_lT1_lS5_lS6_lS2_lPT4_lS6_li: ; @_ZL20rocblas_gemvn_kernelILi64ELi4EiDF16_PKffEviiT3_lPKT2_lT1_lS5_lS6_lS2_lPT4_lS6_li
; %bb.0:
	s_load_b64 s[2:3], s[0:1], 0x9c
	s_wait_kmcnt 0x0
	s_lshr_b32 s4, s2, 16
	s_and_b32 s2, s2, 0xffff
	s_and_b32 s3, s3, 0xffff
	s_mul_i32 s2, s4, s2
	s_delay_alu instid0(SALU_CYCLE_1) | instskip(NEXT) | instid1(SALU_CYCLE_1)
	s_mul_i32 s2, s2, s3
	s_cmp_lg_u32 s2, 0x100
	s_cbranch_scc1 .LBB470_53
; %bb.1:
	s_load_b32 s31, s[0:1], 0x88
	s_bfe_u32 s2, ttmp6, 0x40014
	s_lshr_b32 s3, ttmp7, 16
	s_add_co_i32 s2, s2, 1
	s_bfe_u32 s5, ttmp6, 0x40008
	s_mul_i32 s4, s3, s2
	s_getreg_b32 s2, hwreg(HW_REG_IB_STS2, 6, 4)
	s_add_co_i32 s5, s5, s4
	s_cmp_eq_u32 s2, 0
	s_mov_b32 s35, 0
	s_cselect_b32 s34, s3, s5
	s_wait_kmcnt 0x0
	s_cmp_ge_u32 s34, s31
	s_cbranch_scc1 .LBB470_53
; %bb.2:
	s_clause 0x7
	s_load_b256 s[8:15], s[0:1], 0x8
	s_load_b96 s[28:30], s[0:1], 0x40
	s_load_b96 s[4:6], s[0:1], 0x70
	s_load_b64 s[36:37], s[0:1], 0x0
	s_load_b32 s33, s[0:1], 0x28
	s_load_b128 s[24:27], s[0:1], 0x30
	s_load_b256 s[16:23], s[0:1], 0x50
	s_load_b64 s[38:39], s[0:1], 0x80
	s_wait_xcnt 0x0
	s_bfe_u32 s0, ttmp6, 0x4000c
	v_and_b32_e32 v6, 0x3ff, v0
	s_add_co_i32 s0, s0, 1
	v_bfe_u32 v5, v0, 10, 10
	s_and_b32 s1, ttmp6, 15
	s_mul_i32 s0, ttmp9, s0
	s_delay_alu instid0(SALU_CYCLE_1) | instskip(NEXT) | instid1(VALU_DEP_1)
	s_add_co_i32 s7, s1, s0
	v_lshl_add_u32 v4, v5, 6, v6
	s_wait_kmcnt 0x0
	s_lshl_b64 s[0:1], s[14:15], 1
	s_lshl_b64 s[14:15], s[28:29], 1
	;; [unrolled: 1-line block ×3, first 2 shown]
	s_ashr_i32 s3, s6, 31
	s_cmp_eq_u32 s2, 0
	s_mov_b32 s2, s6
	s_cselect_b32 s7, ttmp9, s7
	s_mov_b32 s28, s36
	s_lshl_b32 s42, s7, 8
	s_delay_alu instid0(SALU_CYCLE_1)
	v_dual_mov_b32 v1, 0 :: v_dual_add_nc_u32 v0, s42, v4
	v_or_b32_e32 v16, s42, v6
	s_ashr_i32 s29, s36, 31
	s_add_nc_u64 s[12:13], s[12:13], s[0:1]
	s_ashr_i32 s0, s37, 31
	v_mul_u64_e32 v[2:3], s[2:3], v[0:1]
	v_cmp_gt_i64_e32 vcc_lo, s[28:29], v[0:1]
	v_dual_lshlrev_b32 v0, 2, v5 :: v_dual_add_nc_u32 v7, 64, v16
	v_add_nc_u32_e32 v8, 0x80, v16
	s_lshr_b32 s0, s0, 28
	v_mul_lo_u32 v13, v5, s30
	s_add_co_i32 s0, s37, s0
	v_or_b32_e32 v9, s42, v4
	v_cmp_gt_i32_e64 s3, s36, v8
	v_lshlrev_b32_e32 v8, 2, v6
	v_cmp_gt_i32_e64 s2, s36, v7
	v_add_nc_u32_e32 v7, 0xc0, v16
	s_and_b32 s43, s0, -16
	s_add_nc_u64 s[22:23], s[22:23], s[4:5]
	s_sub_co_i32 s4, s37, s43
	v_cmp_gt_u32_e64 s5, 0x100, v4
	s_cmp_gt_i32 s4, 0
	v_cmp_gt_i32_e64 s4, s36, v7
	v_mul_lo_u32 v4, s6, v9
	v_dual_lshlrev_b32 v26, 2, v13 :: v_dual_bitop2_b32 v7, 2, v0 bitop3:0x54
	v_or_b32_e32 v10, 3, v0
	v_mul_lo_u32 v11, s33, v0
	v_mul_lo_u32 v12, v5, s33
	s_delay_alu instid0(VALU_DEP_4)
	v_mad_u32 v18, s33, v7, v6
	v_mad_u32 v20, s30, v0, s30
	;; [unrolled: 1-line block ×3, first 2 shown]
	v_mul_lo_u32 v21, s30, v7
	v_mul_lo_u32 v22, s30, v10
	v_cmp_gt_i32_e64 s0, s43, v0
	v_cmp_gt_i32_e64 s1, s36, v16
	v_lshl_add_u32 v17, v5, 10, v8
	v_lshl_add_u32 v23, v5, 8, v8
	v_ashrrev_i32_e32 v5, 31, v4
	v_cmp_gt_i32_e64 s6, s36, v9
	v_add3_u32 v24, v11, s33, v6
	v_lshl_add_u32 v25, v12, 2, v6
	s_add_nc_u64 s[14:15], s[26:27], s[14:15]
	s_cselect_b32 s44, -1, 0
	s_and_b32 s36, s5, vcc_lo
	s_lshl_b32 s45, s33, 4
	s_lshl_b32 s46, s30, 4
	s_branch .LBB470_5
.LBB470_3:                              ;   in Loop: Header=BB470_5 Depth=1
	s_wait_xcnt 0x0
	s_or_b32 exec_lo, exec_lo, s7
.LBB470_4:                              ;   in Loop: Header=BB470_5 Depth=1
	s_add_co_i32 s34, s34, 0x10000
	s_delay_alu instid0(SALU_CYCLE_1)
	s_cmp_lt_u32 s34, s31
	s_cbranch_scc0 .LBB470_53
.LBB470_5:                              ; =>This Loop Header: Depth=1
                                        ;     Child Loop BB470_21 Depth 2
	s_wait_xcnt 0x1
	s_mul_u64 s[26:27], s[10:11], s[34:35]
	s_wait_xcnt 0x0
	s_mul_u64 s[28:29], s[20:21], s[34:35]
	s_lshl_b64 s[26:27], s[26:27], 2
	s_lshl_b64 s[28:29], s[28:29], 2
	s_add_nc_u64 s[26:27], s[8:9], s[26:27]
	s_add_nc_u64 s[28:29], s[18:19], s[28:29]
	s_clause 0x1
	global_load_b32 v27, v1, s[26:27]
	global_load_b32 v6, v1, s[28:29]
	s_wait_loadcnt 0x1
	v_cmp_eq_f32_e32 vcc_lo, 0, v27
	s_wait_loadcnt 0x0
	v_cmp_eq_f32_e64 s7, 1.0, v6
	v_readfirstlane_b32 s48, v6
	s_and_b32 s7, vcc_lo, s7
	s_delay_alu instid0(SALU_CYCLE_1)
	s_and_b32 vcc_lo, exec_lo, s7
	s_cbranch_vccnz .LBB470_4
; %bb.6:                                ;   in Loop: Header=BB470_5 Depth=1
	v_cmp_neq_f32_e32 vcc_lo, 0, v27
	s_wait_xcnt 0x1
	s_mul_u64 s[26:27], s[38:39], s[34:35]
	s_delay_alu instid0(SALU_CYCLE_1) | instskip(NEXT) | instid1(SALU_CYCLE_1)
	s_lshl_b64 s[26:27], s[26:27], 2
	s_add_nc_u64 s[26:27], s[22:23], s[26:27]
	s_cbranch_vccnz .LBB470_10
; %bb.7:                                ;   in Loop: Header=BB470_5 Depth=1
	s_mov_b32 s7, 0
	s_mov_b32 s47, 0
                                        ; implicit-def: $vgpr8
	s_wait_xcnt 0x0
	s_and_saveexec_b32 s28, s36
	s_cbranch_execz .LBB470_11
; %bb.8:                                ;   in Loop: Header=BB470_5 Depth=1
	s_cmp_eq_f32 s48, 0
	s_cbranch_scc1 .LBB470_13
; %bb.9:                                ;   in Loop: Header=BB470_5 Depth=1
	v_lshl_add_u64 v[6:7], v[2:3], 2, s[26:27]
	global_load_b32 v6, v[6:7], off
	s_wait_loadcnt 0x0
	v_mul_f32_e32 v8, s48, v6
	s_branch .LBB470_14
.LBB470_10:                             ;   in Loop: Header=BB470_5 Depth=1
	s_mov_b32 s47, 0
                                        ; implicit-def: $vgpr8
	s_cbranch_execz .LBB470_12
	s_branch .LBB470_15
.LBB470_11:                             ;   in Loop: Header=BB470_5 Depth=1
	s_or_b32 exec_lo, exec_lo, s28
	s_delay_alu instid0(SALU_CYCLE_1)
	s_and_b32 vcc_lo, exec_lo, s7
	s_cbranch_vccnz .LBB470_15
.LBB470_12:                             ;   in Loop: Header=BB470_5 Depth=1
	v_mov_b64_e32 v[6:7], v[2:3]
	s_wait_xcnt 0x0
	s_and_saveexec_b32 s7, s47
	s_cbranch_execz .LBB470_3
	s_branch .LBB470_52
.LBB470_13:                             ;   in Loop: Header=BB470_5 Depth=1
	v_mov_b32_e32 v8, 0
.LBB470_14:                             ;   in Loop: Header=BB470_5 Depth=1
	s_mov_b32 s47, exec_lo
	s_wait_xcnt 0x0
	s_or_b32 exec_lo, exec_lo, s28
	s_delay_alu instid0(SALU_CYCLE_1)
	s_and_b32 vcc_lo, exec_lo, s7
	s_cbranch_vccz .LBB470_12
.LBB470_15:                             ;   in Loop: Header=BB470_5 Depth=1
	s_wait_xcnt 0x0
	s_mul_u64 s[28:29], s[24:25], s[34:35]
	s_mul_u64 s[40:41], s[16:17], s[34:35]
	v_dual_mov_b32 v28, 0 :: v_dual_mov_b32 v32, v0
	v_dual_mov_b32 v29, 0 :: v_dual_mov_b32 v30, 0
	v_mov_b32_e32 v31, 0
	s_lshl_b64 s[28:29], s[28:29], 1
	s_lshl_b64 s[40:41], s[40:41], 1
	s_add_nc_u64 s[28:29], s[12:13], s[28:29]
	s_add_nc_u64 s[40:41], s[14:15], s[40:41]
	s_and_saveexec_b32 s7, s0
	s_cbranch_execz .LBB470_27
; %bb.16:                               ;   in Loop: Header=BB470_5 Depth=1
	v_dual_mov_b32 v28, 0 :: v_dual_mov_b32 v33, v25
	v_dual_mov_b32 v34, v19 :: v_dual_mov_b32 v35, v18
	;; [unrolled: 1-line block ×4, first 2 shown]
	v_mov_b32_e32 v31, 0
	s_mov_b32 s49, 0
	s_mov_b32 s50, 0
	s_branch .LBB470_21
.LBB470_17:                             ;   in Loop: Header=BB470_21 Depth=2
	s_wait_xcnt 0x0
	s_or_b32 exec_lo, exec_lo, s54
	s_wait_loadcnt 0x3
	v_fma_mix_f32 v6, v47, v51, v30 op_sel_hi:[0,1,0]
	s_wait_loadcnt 0x2
	s_delay_alu instid0(VALU_DEP_1) | instskip(SKIP_1) | instid1(VALU_DEP_1)
	v_fma_mix_f32 v6, v48, v52, v6 op_sel_hi:[0,1,0]
	s_wait_loadcnt 0x1
	v_fma_mix_f32 v6, v49, v53, v6 op_sel_hi:[0,1,0]
	s_wait_loadcnt 0x0
	s_delay_alu instid0(VALU_DEP_1)
	v_fma_mix_f32 v30, v50, v54, v6 op_sel_hi:[0,1,0]
.LBB470_18:                             ;   in Loop: Header=BB470_21 Depth=2
	s_or_b32 exec_lo, exec_lo, s53
	s_wait_loadcnt 0x3
	v_fma_mix_f32 v6, v47, v12, v29 op_sel_hi:[0,1,0]
	s_wait_loadcnt 0x2
	s_delay_alu instid0(VALU_DEP_1) | instskip(SKIP_1) | instid1(VALU_DEP_1)
	v_fma_mix_f32 v6, v48, v13, v6 op_sel_hi:[0,1,0]
	s_wait_loadcnt 0x1
	v_fma_mix_f32 v6, v49, v45, v6 op_sel_hi:[0,1,0]
	s_wait_loadcnt 0x0
	s_delay_alu instid0(VALU_DEP_1)
	v_fma_mix_f32 v29, v50, v46, v6 op_sel_hi:[0,1,0]
.LBB470_19:                             ;   in Loop: Header=BB470_21 Depth=2
	s_or_b32 exec_lo, exec_lo, s52
	s_wait_loadcnt 0x3
	v_fma_mix_f32 v6, v37, v41, v28 op_sel_hi:[1,1,0]
	s_wait_loadcnt 0x2
	s_delay_alu instid0(VALU_DEP_1) | instskip(SKIP_1) | instid1(VALU_DEP_1)
	v_fma_mix_f32 v6, v38, v42, v6 op_sel_hi:[1,1,0]
	s_wait_loadcnt 0x1
	v_fma_mix_f32 v6, v39, v43, v6 op_sel_hi:[1,1,0]
	s_wait_loadcnt 0x0
	s_delay_alu instid0(VALU_DEP_1)
	v_fma_mix_f32 v28, v40, v44, v6 op_sel_hi:[1,1,0]
.LBB470_20:                             ;   in Loop: Header=BB470_21 Depth=2
	s_or_b32 exec_lo, exec_lo, s51
	v_dual_add_nc_u32 v32, 16, v32 :: v_dual_add_nc_u32 v35, s45, v35
	v_dual_add_nc_u32 v36, s45, v36 :: v_dual_add_nc_u32 v34, s45, v34
	v_add_nc_u32_e32 v33, s45, v33
	s_delay_alu instid0(VALU_DEP_3) | instskip(SKIP_2) | instid1(SALU_CYCLE_1)
	v_cmp_le_i32_e32 vcc_lo, s43, v32
	s_add_co_i32 s50, s50, s46
	s_or_b32 s49, vcc_lo, s49
	s_and_not1_b32 exec_lo, exec_lo, s49
	s_cbranch_execz .LBB470_26
.LBB470_21:                             ;   Parent Loop BB470_5 Depth=1
                                        ; =>  This Inner Loop Header: Depth=2
	s_and_saveexec_b32 s51, s1
	s_cbranch_execz .LBB470_20
; %bb.22:                               ;   in Loop: Header=BB470_21 Depth=2
	v_dual_add_nc_u32 v7, s50, v26 :: v_dual_add_nc_u32 v9, s50, v20
	v_dual_add_nc_u32 v11, s50, v21 :: v_dual_add_nc_u32 v13, s50, v22
	;; [unrolled: 1-line block ×4, first 2 shown]
	s_clause 0x3
	global_load_u16 v37, v7, s[40:41] scale_offset
	global_load_u16 v38, v9, s[40:41] scale_offset
	;; [unrolled: 1-line block ×4, first 2 shown]
	s_clause 0x3
	global_load_u16 v41, v6, s[28:29] scale_offset
	global_load_u16 v42, v8, s[28:29] scale_offset
	;; [unrolled: 1-line block ×4, first 2 shown]
	s_wait_xcnt 0x0
	s_and_saveexec_b32 s52, s2
	s_cbranch_execz .LBB470_19
; %bb.23:                               ;   in Loop: Header=BB470_21 Depth=2
	v_dual_ashrrev_i32 v7, 31, v6 :: v_dual_ashrrev_i32 v9, 31, v8
	v_dual_ashrrev_i32 v13, 31, v12 :: v_dual_ashrrev_i32 v11, 31, v10
	s_wait_loadcnt 0x7
	v_cvt_f32_f16_e32 v47, v37
	s_delay_alu instid0(VALU_DEP_3)
	v_lshl_add_u64 v[14:15], v[6:7], 1, s[28:29]
	v_lshl_add_u64 v[8:9], v[8:9], 1, s[28:29]
	;; [unrolled: 1-line block ×4, first 2 shown]
	s_wait_loadcnt 0x6
	v_cvt_f32_f16_e32 v48, v38
	s_clause 0x3
	global_load_u16 v12, v[14:15], off offset:128
	global_load_u16 v13, v[8:9], off offset:128
	;; [unrolled: 1-line block ×4, first 2 shown]
	s_wait_loadcnt 0x9
	v_cvt_f32_f16_e32 v49, v39
	s_wait_loadcnt 0x8
	v_cvt_f32_f16_e32 v50, v40
	s_wait_xcnt 0x0
	s_and_saveexec_b32 s53, s3
	s_cbranch_execz .LBB470_18
; %bb.24:                               ;   in Loop: Header=BB470_21 Depth=2
	s_clause 0x3
	global_load_u16 v51, v[14:15], off offset:256
	global_load_u16 v52, v[8:9], off offset:256
	;; [unrolled: 1-line block ×4, first 2 shown]
	s_wait_xcnt 0x0
	s_and_saveexec_b32 s54, s4
	s_cbranch_execz .LBB470_17
; %bb.25:                               ;   in Loop: Header=BB470_21 Depth=2
	s_clause 0x3
	global_load_u16 v14, v[14:15], off offset:384
	global_load_u16 v8, v[8:9], off offset:384
	;; [unrolled: 1-line block ×4, first 2 shown]
	s_wait_loadcnt 0x3
	v_fma_mix_f32 v9, v47, v14, v31 op_sel_hi:[0,1,0]
	s_wait_loadcnt 0x2
	s_delay_alu instid0(VALU_DEP_1) | instskip(SKIP_1) | instid1(VALU_DEP_1)
	v_fma_mix_f32 v8, v48, v8, v9 op_sel_hi:[0,1,0]
	s_wait_loadcnt 0x1
	v_fma_mix_f32 v6, v49, v6, v8 op_sel_hi:[0,1,0]
	s_wait_loadcnt 0x0
	s_delay_alu instid0(VALU_DEP_1)
	v_fma_mix_f32 v31, v50, v7, v6 op_sel_hi:[0,1,0]
	s_branch .LBB470_17
.LBB470_26:                             ;   in Loop: Header=BB470_5 Depth=1
	s_or_b32 exec_lo, exec_lo, s49
.LBB470_27:                             ;   in Loop: Header=BB470_5 Depth=1
	s_delay_alu instid0(SALU_CYCLE_1) | instskip(NEXT) | instid1(SALU_CYCLE_1)
	s_or_b32 exec_lo, exec_lo, s7
	s_and_not1_b32 vcc_lo, exec_lo, s44
	s_cbranch_vccnz .LBB470_45
; %bb.28:                               ;   in Loop: Header=BB470_5 Depth=1
	v_cmp_gt_i32_e32 vcc_lo, s37, v32
	v_dual_mov_b32 v14, 0 :: v_dual_bitop2_b32 v6, 1, v32 bitop3:0x54
	v_dual_mov_b32 v15, 0 :: v_dual_mov_b32 v33, 0
	v_mov_b32_e32 v34, 0
	s_and_saveexec_b32 s49, vcc_lo
	s_cbranch_execz .LBB470_36
; %bb.29:                               ;   in Loop: Header=BB470_5 Depth=1
	v_mul_lo_u32 v7, v32, s30
	v_dual_mov_b32 v33, 0 :: v_dual_mov_b32 v15, 0
	v_mov_b32_e32 v14, 0
	s_mov_b32 s50, exec_lo
	global_load_u16 v7, v7, s[40:41] scale_offset
	s_wait_xcnt 0x0
	v_cmpx_gt_i32_e64 s37, v6
	s_cbranch_execz .LBB470_35
; %bb.30:                               ;   in Loop: Header=BB470_5 Depth=1
	v_mul_lo_u32 v8, v6, s30
	v_dual_mov_b32 v15, 0 :: v_dual_bitop2_b32 v9, 2, v32 bitop3:0x54
	v_mov_b32_e32 v14, 0
	s_mov_b32 s51, exec_lo
	global_load_u16 v8, v8, s[40:41] scale_offset
	s_wait_xcnt 0x0
	v_cmpx_gt_i32_e64 s37, v9
	s_cbranch_execz .LBB470_34
; %bb.31:                               ;   in Loop: Header=BB470_5 Depth=1
	v_mul_lo_u32 v9, v9, s30
	v_dual_mov_b32 v14, 0 :: v_dual_bitop2_b32 v10, 3, v32 bitop3:0x54
	s_mov_b32 s52, exec_lo
	global_load_u16 v9, v9, s[40:41] scale_offset
	s_wait_xcnt 0x0
	v_cmpx_gt_i32_e64 s37, v10
	s_cbranch_execz .LBB470_33
; %bb.32:                               ;   in Loop: Header=BB470_5 Depth=1
	v_mul_lo_u32 v10, v10, s30
	global_load_u16 v10, v10, s[40:41] scale_offset
	s_wait_loadcnt 0x0
	v_cvt_f32_f16_e32 v14, v10
.LBB470_33:                             ;   in Loop: Header=BB470_5 Depth=1
	s_wait_xcnt 0x0
	s_or_b32 exec_lo, exec_lo, s52
	s_wait_loadcnt 0x0
	v_cvt_f32_f16_e32 v15, v9
.LBB470_34:                             ;   in Loop: Header=BB470_5 Depth=1
	s_or_b32 exec_lo, exec_lo, s51
	s_wait_loadcnt 0x0
	v_cvt_f32_f16_e32 v33, v8
.LBB470_35:                             ;   in Loop: Header=BB470_5 Depth=1
	s_or_b32 exec_lo, exec_lo, s50
	s_wait_loadcnt 0x0
	v_cvt_f32_f16_e32 v34, v7
.LBB470_36:                             ;   in Loop: Header=BB470_5 Depth=1
	s_or_b32 exec_lo, exec_lo, s49
	s_and_saveexec_b32 s7, s1
	s_cbranch_execz .LBB470_44
; %bb.37:                               ;   in Loop: Header=BB470_5 Depth=1
	v_mul_lo_u32 v8, v32, s33
	v_mul_lo_u32 v10, v6, s33
	s_delay_alu instid0(VALU_DEP_2) | instskip(SKIP_1) | instid1(VALU_DEP_3)
	v_cndmask_b32_e32 v8, 0, v8, vcc_lo
	v_cmp_gt_i32_e32 vcc_lo, s37, v6
	v_dual_cndmask_b32 v10, 0, v10, vcc_lo :: v_dual_bitop2_b32 v7, 2, v32 bitop3:0x54
	s_delay_alu instid0(VALU_DEP_1) | instskip(SKIP_2) | instid1(VALU_DEP_4)
	v_mul_lo_u32 v11, v7, s33
	v_cmp_gt_i32_e32 vcc_lo, s37, v7
	v_or_b32_e32 v9, 3, v32
	v_dual_add_nc_u32 v6, v8, v16 :: v_dual_add_nc_u32 v8, v10, v16
	s_delay_alu instid0(VALU_DEP_4) | instskip(NEXT) | instid1(VALU_DEP_3)
	v_cndmask_b32_e32 v7, 0, v11, vcc_lo
	v_mul_lo_u32 v12, v9, s33
	v_cmp_gt_i32_e32 vcc_lo, s37, v9
	s_delay_alu instid0(VALU_DEP_2) | instskip(NEXT) | instid1(VALU_DEP_1)
	v_cndmask_b32_e32 v9, 0, v12, vcc_lo
	v_dual_add_nc_u32 v10, v7, v16 :: v_dual_add_nc_u32 v12, v9, v16
	s_clause 0x3
	global_load_u16 v32, v6, s[28:29] scale_offset
	global_load_u16 v35, v8, s[28:29] scale_offset
	;; [unrolled: 1-line block ×4, first 2 shown]
	s_wait_xcnt 0x0
	s_and_saveexec_b32 s40, s2
	s_cbranch_execz .LBB470_43
; %bb.38:                               ;   in Loop: Header=BB470_5 Depth=1
	v_dual_ashrrev_i32 v7, 31, v6 :: v_dual_ashrrev_i32 v9, 31, v8
	v_dual_ashrrev_i32 v11, 31, v10 :: v_dual_ashrrev_i32 v13, 31, v12
	s_delay_alu instid0(VALU_DEP_2) | instskip(NEXT) | instid1(VALU_DEP_3)
	v_lshl_add_u64 v[6:7], v[6:7], 1, s[28:29]
	v_lshl_add_u64 v[8:9], v[8:9], 1, s[28:29]
	s_delay_alu instid0(VALU_DEP_3) | instskip(NEXT) | instid1(VALU_DEP_4)
	v_lshl_add_u64 v[10:11], v[10:11], 1, s[28:29]
	v_lshl_add_u64 v[12:13], v[12:13], 1, s[28:29]
	s_clause 0x3
	global_load_u16 v38, v[6:7], off offset:128
	global_load_u16 v39, v[8:9], off offset:128
	;; [unrolled: 1-line block ×4, first 2 shown]
	s_wait_xcnt 0x0
	s_and_saveexec_b32 s28, s3
	s_cbranch_execz .LBB470_42
; %bb.39:                               ;   in Loop: Header=BB470_5 Depth=1
	s_clause 0x3
	global_load_u16 v42, v[6:7], off offset:256
	global_load_u16 v43, v[8:9], off offset:256
	;; [unrolled: 1-line block ×4, first 2 shown]
	s_wait_xcnt 0x0
	s_and_saveexec_b32 s29, s4
	s_cbranch_execz .LBB470_41
; %bb.40:                               ;   in Loop: Header=BB470_5 Depth=1
	s_clause 0x3
	global_load_u16 v46, v[6:7], off offset:384
	global_load_u16 v47, v[8:9], off offset:384
	;; [unrolled: 1-line block ×4, first 2 shown]
	s_wait_loadcnt 0x3
	s_wait_xcnt 0x3
	v_fma_mix_f32 v6, v34, v46, v31 op_sel_hi:[0,1,0]
	s_wait_loadcnt 0x2
	s_delay_alu instid0(VALU_DEP_1) | instskip(SKIP_1) | instid1(VALU_DEP_1)
	v_fma_mix_f32 v6, v33, v47, v6 op_sel_hi:[0,1,0]
	s_wait_loadcnt 0x1
	v_fma_mix_f32 v6, v15, v48, v6 op_sel_hi:[0,1,0]
	s_wait_loadcnt 0x0
	s_delay_alu instid0(VALU_DEP_1)
	v_fma_mix_f32 v31, v14, v49, v6 op_sel_hi:[0,1,0]
.LBB470_41:                             ;   in Loop: Header=BB470_5 Depth=1
	s_wait_xcnt 0x0
	s_or_b32 exec_lo, exec_lo, s29
	s_wait_loadcnt 0x3
	v_fma_mix_f32 v6, v34, v42, v30 op_sel_hi:[0,1,0]
	s_wait_loadcnt 0x2
	s_delay_alu instid0(VALU_DEP_1) | instskip(SKIP_1) | instid1(VALU_DEP_1)
	v_fma_mix_f32 v6, v33, v43, v6 op_sel_hi:[0,1,0]
	s_wait_loadcnt 0x1
	v_fma_mix_f32 v6, v15, v44, v6 op_sel_hi:[0,1,0]
	s_wait_loadcnt 0x0
	s_delay_alu instid0(VALU_DEP_1)
	v_fma_mix_f32 v30, v14, v45, v6 op_sel_hi:[0,1,0]
.LBB470_42:                             ;   in Loop: Header=BB470_5 Depth=1
	s_or_b32 exec_lo, exec_lo, s28
	s_wait_loadcnt 0x3
	v_fma_mix_f32 v6, v34, v38, v29 op_sel_hi:[0,1,0]
	s_wait_loadcnt 0x2
	s_delay_alu instid0(VALU_DEP_1) | instskip(SKIP_1) | instid1(VALU_DEP_1)
	v_fma_mix_f32 v6, v33, v39, v6 op_sel_hi:[0,1,0]
	s_wait_loadcnt 0x1
	v_fma_mix_f32 v6, v15, v40, v6 op_sel_hi:[0,1,0]
	s_wait_loadcnt 0x0
	s_delay_alu instid0(VALU_DEP_1)
	v_fma_mix_f32 v29, v14, v41, v6 op_sel_hi:[0,1,0]
.LBB470_43:                             ;   in Loop: Header=BB470_5 Depth=1
	s_or_b32 exec_lo, exec_lo, s40
	s_wait_loadcnt 0x3
	v_fma_mix_f32 v6, v34, v32, v28 op_sel_hi:[0,1,0]
	s_wait_loadcnt 0x2
	s_delay_alu instid0(VALU_DEP_1) | instskip(SKIP_1) | instid1(VALU_DEP_1)
	v_fma_mix_f32 v6, v33, v35, v6 op_sel_hi:[0,1,0]
	s_wait_loadcnt 0x1
	v_fma_mix_f32 v6, v15, v36, v6 op_sel_hi:[0,1,0]
	s_wait_loadcnt 0x0
	s_delay_alu instid0(VALU_DEP_1)
	v_fma_mix_f32 v28, v14, v37, v6 op_sel_hi:[0,1,0]
.LBB470_44:                             ;   in Loop: Header=BB470_5 Depth=1
	s_or_b32 exec_lo, exec_lo, s7
.LBB470_45:                             ;   in Loop: Header=BB470_5 Depth=1
	ds_store_2addr_stride64_b32 v17, v28, v29 offset1:1
	ds_store_2addr_stride64_b32 v17, v30, v31 offset0:2 offset1:3
	s_wait_dscnt 0x0
	s_barrier_signal -1
	s_barrier_wait -1
                                        ; implicit-def: $vgpr8
	s_and_saveexec_b32 s7, s5
	s_cbranch_execz .LBB470_51
; %bb.46:                               ;   in Loop: Header=BB470_5 Depth=1
	ds_load_2addr_stride64_b32 v[6:7], v23 offset1:4
	ds_load_2addr_stride64_b32 v[8:9], v23 offset0:8 offset1:12
	s_mov_b32 s29, s47
	s_wait_dscnt 0x1
	v_add_f32_e32 v6, v6, v7
	s_wait_dscnt 0x0
	s_delay_alu instid0(VALU_DEP_1) | instskip(NEXT) | instid1(VALU_DEP_1)
	v_add_f32_e32 v6, v8, v6
                                        ; implicit-def: $vgpr8
	v_add_f32_e32 v6, v9, v6
	ds_store_b32 v23, v6
	s_and_saveexec_b32 s28, s6
	s_cbranch_execz .LBB470_50
; %bb.47:                               ;   in Loop: Header=BB470_5 Depth=1
	v_mul_f32_e32 v8, v27, v6
	s_cmp_eq_f32 s48, 0
	s_cbranch_scc1 .LBB470_49
; %bb.48:                               ;   in Loop: Header=BB470_5 Depth=1
	v_lshl_add_u64 v[6:7], v[4:5], 2, s[26:27]
	global_load_b32 v6, v[6:7], off
	s_wait_loadcnt 0x0
	v_fmac_f32_e32 v8, s48, v6
.LBB470_49:                             ;   in Loop: Header=BB470_5 Depth=1
	s_or_b32 s29, s47, exec_lo
.LBB470_50:                             ;   in Loop: Header=BB470_5 Depth=1
	s_wait_xcnt 0x0
	s_or_b32 exec_lo, exec_lo, s28
	s_delay_alu instid0(SALU_CYCLE_1) | instskip(SKIP_1) | instid1(SALU_CYCLE_1)
	s_and_not1_b32 s28, s47, exec_lo
	s_and_b32 s29, s29, exec_lo
	s_or_b32 s47, s28, s29
.LBB470_51:                             ;   in Loop: Header=BB470_5 Depth=1
	s_or_b32 exec_lo, exec_lo, s7
	v_mov_b64_e32 v[6:7], v[4:5]
	s_and_saveexec_b32 s7, s47
	s_cbranch_execz .LBB470_3
.LBB470_52:                             ;   in Loop: Header=BB470_5 Depth=1
	s_delay_alu instid0(VALU_DEP_1)
	v_lshl_add_u64 v[6:7], v[6:7], 2, s[26:27]
	global_store_b32 v[6:7], v8, off
	s_branch .LBB470_3
.LBB470_53:
	s_endpgm
	.section	.rodata,"a",@progbits
	.p2align	6, 0x0
	.amdhsa_kernel _ZL20rocblas_gemvn_kernelILi64ELi4EiDF16_PKffEviiT3_lPKT2_lT1_lS5_lS6_lS2_lPT4_lS6_li
		.amdhsa_group_segment_fixed_size 4096
		.amdhsa_private_segment_fixed_size 0
		.amdhsa_kernarg_size 400
		.amdhsa_user_sgpr_count 2
		.amdhsa_user_sgpr_dispatch_ptr 0
		.amdhsa_user_sgpr_queue_ptr 0
		.amdhsa_user_sgpr_kernarg_segment_ptr 1
		.amdhsa_user_sgpr_dispatch_id 0
		.amdhsa_user_sgpr_kernarg_preload_length 0
		.amdhsa_user_sgpr_kernarg_preload_offset 0
		.amdhsa_user_sgpr_private_segment_size 0
		.amdhsa_wavefront_size32 1
		.amdhsa_uses_dynamic_stack 0
		.amdhsa_enable_private_segment 0
		.amdhsa_system_sgpr_workgroup_id_x 1
		.amdhsa_system_sgpr_workgroup_id_y 0
		.amdhsa_system_sgpr_workgroup_id_z 1
		.amdhsa_system_sgpr_workgroup_info 0
		.amdhsa_system_vgpr_workitem_id 1
		.amdhsa_next_free_vgpr 55
		.amdhsa_next_free_sgpr 55
		.amdhsa_named_barrier_count 0
		.amdhsa_reserve_vcc 1
		.amdhsa_float_round_mode_32 0
		.amdhsa_float_round_mode_16_64 0
		.amdhsa_float_denorm_mode_32 3
		.amdhsa_float_denorm_mode_16_64 3
		.amdhsa_fp16_overflow 0
		.amdhsa_memory_ordered 1
		.amdhsa_forward_progress 1
		.amdhsa_inst_pref_size 23
		.amdhsa_round_robin_scheduling 0
		.amdhsa_exception_fp_ieee_invalid_op 0
		.amdhsa_exception_fp_denorm_src 0
		.amdhsa_exception_fp_ieee_div_zero 0
		.amdhsa_exception_fp_ieee_overflow 0
		.amdhsa_exception_fp_ieee_underflow 0
		.amdhsa_exception_fp_ieee_inexact 0
		.amdhsa_exception_int_div_zero 0
	.end_amdhsa_kernel
	.section	.text._ZL20rocblas_gemvn_kernelILi64ELi4EiDF16_PKffEviiT3_lPKT2_lT1_lS5_lS6_lS2_lPT4_lS6_li,"axG",@progbits,_ZL20rocblas_gemvn_kernelILi64ELi4EiDF16_PKffEviiT3_lPKT2_lT1_lS5_lS6_lS2_lPT4_lS6_li,comdat
.Lfunc_end470:
	.size	_ZL20rocblas_gemvn_kernelILi64ELi4EiDF16_PKffEviiT3_lPKT2_lT1_lS5_lS6_lS2_lPT4_lS6_li, .Lfunc_end470-_ZL20rocblas_gemvn_kernelILi64ELi4EiDF16_PKffEviiT3_lPKT2_lT1_lS5_lS6_lS2_lPT4_lS6_li
                                        ; -- End function
	.set _ZL20rocblas_gemvn_kernelILi64ELi4EiDF16_PKffEviiT3_lPKT2_lT1_lS5_lS6_lS2_lPT4_lS6_li.num_vgpr, 55
	.set _ZL20rocblas_gemvn_kernelILi64ELi4EiDF16_PKffEviiT3_lPKT2_lT1_lS5_lS6_lS2_lPT4_lS6_li.num_agpr, 0
	.set _ZL20rocblas_gemvn_kernelILi64ELi4EiDF16_PKffEviiT3_lPKT2_lT1_lS5_lS6_lS2_lPT4_lS6_li.numbered_sgpr, 55
	.set _ZL20rocblas_gemvn_kernelILi64ELi4EiDF16_PKffEviiT3_lPKT2_lT1_lS5_lS6_lS2_lPT4_lS6_li.num_named_barrier, 0
	.set _ZL20rocblas_gemvn_kernelILi64ELi4EiDF16_PKffEviiT3_lPKT2_lT1_lS5_lS6_lS2_lPT4_lS6_li.private_seg_size, 0
	.set _ZL20rocblas_gemvn_kernelILi64ELi4EiDF16_PKffEviiT3_lPKT2_lT1_lS5_lS6_lS2_lPT4_lS6_li.uses_vcc, 1
	.set _ZL20rocblas_gemvn_kernelILi64ELi4EiDF16_PKffEviiT3_lPKT2_lT1_lS5_lS6_lS2_lPT4_lS6_li.uses_flat_scratch, 0
	.set _ZL20rocblas_gemvn_kernelILi64ELi4EiDF16_PKffEviiT3_lPKT2_lT1_lS5_lS6_lS2_lPT4_lS6_li.has_dyn_sized_stack, 0
	.set _ZL20rocblas_gemvn_kernelILi64ELi4EiDF16_PKffEviiT3_lPKT2_lT1_lS5_lS6_lS2_lPT4_lS6_li.has_recursion, 0
	.set _ZL20rocblas_gemvn_kernelILi64ELi4EiDF16_PKffEviiT3_lPKT2_lT1_lS5_lS6_lS2_lPT4_lS6_li.has_indirect_call, 0
	.section	.AMDGPU.csdata,"",@progbits
; Kernel info:
; codeLenInByte = 2928
; TotalNumSgprs: 57
; NumVgprs: 55
; ScratchSize: 0
; MemoryBound: 0
; FloatMode: 240
; IeeeMode: 1
; LDSByteSize: 4096 bytes/workgroup (compile time only)
; SGPRBlocks: 0
; VGPRBlocks: 3
; NumSGPRsForWavesPerEU: 57
; NumVGPRsForWavesPerEU: 55
; NamedBarCnt: 0
; Occupancy: 16
; WaveLimiterHint : 1
; COMPUTE_PGM_RSRC2:SCRATCH_EN: 0
; COMPUTE_PGM_RSRC2:USER_SGPR: 2
; COMPUTE_PGM_RSRC2:TRAP_HANDLER: 0
; COMPUTE_PGM_RSRC2:TGID_X_EN: 1
; COMPUTE_PGM_RSRC2:TGID_Y_EN: 0
; COMPUTE_PGM_RSRC2:TGID_Z_EN: 1
; COMPUTE_PGM_RSRC2:TIDIG_COMP_CNT: 1
	.section	.text._ZL20rocblas_gemvn_kernelILi64ELi4ElDF16_PKffEviiT3_lPKT2_lT1_lS5_lS6_lS2_lPT4_lS6_li,"axG",@progbits,_ZL20rocblas_gemvn_kernelILi64ELi4ElDF16_PKffEviiT3_lPKT2_lT1_lS5_lS6_lS2_lPT4_lS6_li,comdat
	.globl	_ZL20rocblas_gemvn_kernelILi64ELi4ElDF16_PKffEviiT3_lPKT2_lT1_lS5_lS6_lS2_lPT4_lS6_li ; -- Begin function _ZL20rocblas_gemvn_kernelILi64ELi4ElDF16_PKffEviiT3_lPKT2_lT1_lS5_lS6_lS2_lPT4_lS6_li
	.p2align	8
	.type	_ZL20rocblas_gemvn_kernelILi64ELi4ElDF16_PKffEviiT3_lPKT2_lT1_lS5_lS6_lS2_lPT4_lS6_li,@function
_ZL20rocblas_gemvn_kernelILi64ELi4ElDF16_PKffEviiT3_lPKT2_lT1_lS5_lS6_lS2_lPT4_lS6_li: ; @_ZL20rocblas_gemvn_kernelILi64ELi4ElDF16_PKffEviiT3_lPKT2_lT1_lS5_lS6_lS2_lPT4_lS6_li
; %bb.0:
	s_load_b64 s[2:3], s[0:1], 0x9c
	s_wait_kmcnt 0x0
	s_lshr_b32 s4, s2, 16
	s_and_b32 s2, s2, 0xffff
	s_and_b32 s3, s3, 0xffff
	s_mul_i32 s2, s4, s2
	s_delay_alu instid0(SALU_CYCLE_1) | instskip(NEXT) | instid1(SALU_CYCLE_1)
	s_mul_i32 s2, s2, s3
	s_cmp_lg_u32 s2, 0x100
	s_cbranch_scc1 .LBB471_53
; %bb.1:
	s_load_b32 s33, s[0:1], 0x88
	s_bfe_u32 s2, ttmp6, 0x40014
	s_lshr_b32 s3, ttmp7, 16
	s_add_co_i32 s2, s2, 1
	s_bfe_u32 s5, ttmp6, 0x40008
	s_mul_i32 s4, s3, s2
	s_getreg_b32 s2, hwreg(HW_REG_IB_STS2, 6, 4)
	s_add_co_i32 s5, s5, s4
	s_cmp_eq_u32 s2, 0
	s_mov_b32 s11, 0
	s_cselect_b32 s10, s3, s5
	s_wait_kmcnt 0x0
	s_cmp_ge_u32 s10, s33
	s_cbranch_scc1 .LBB471_53
; %bb.2:
	s_clause 0x2
	s_load_b512 s[12:27], s[0:1], 0x8
	s_load_b512 s[36:51], s[0:1], 0x48
	s_load_b64 s[28:29], s[0:1], 0x0
	s_wait_xcnt 0x0
	s_bfe_u32 s0, ttmp6, 0x4000c
	v_and_b32_e32 v24, 0x3ff, v0
	s_add_co_i32 s0, s0, 1
	v_bfe_u32 v4, v0, 10, 10
	s_and_b32 s1, ttmp6, 15
	s_mul_i32 s0, ttmp9, s0
	v_dual_mov_b32 v1, 0 :: v_dual_lshlrev_b32 v2, 2, v24
	s_add_co_i32 s1, s1, s0
	v_lshl_add_u32 v6, v4, 6, v24
	s_delay_alu instid0(VALU_DEP_2) | instskip(NEXT) | instid1(VALU_DEP_3)
	v_dual_mov_b32 v5, v1 :: v_dual_lshlrev_b32 v48, 2, v4
	v_lshl_add_u32 v49, v4, 10, v2
	v_lshl_add_u32 v50, v4, 8, v2
	s_wait_kmcnt 0x0
	s_lshl_b64 s[4:5], s[18:19], 1
	s_lshl_b64 s[18:19], s[26:27], 1
	;; [unrolled: 1-line block ×3, first 2 shown]
	s_cmp_eq_u32 s2, 0
	s_mov_b32 s2, s28
	s_cselect_b32 s0, ttmp9, s1
	s_ashr_i32 s3, s28, 31
	s_lshl_b32 s1, s0, 8
	v_cmp_gt_u32_e64 s0, 0x100, v6
	v_dual_add_nc_u32 v0, s1, v6 :: v_dual_bitop2_b32 v6, s1, v6 bitop3:0x54
	v_mul_u64_e32 v[10:11], s[36:37], v[4:5]
	v_mul_u64_e32 v[12:13], s[20:21], v[4:5]
	v_mad_nc_u64_u32 v[8:9], s36, v48, s[36:37]
	s_delay_alu instid0(VALU_DEP_4)
	v_cmp_gt_i64_e32 vcc_lo, s[2:3], v[0:1]
	v_mul_u64_e32 v[2:3], s[48:49], v[0:1]
	v_dual_ashrrev_i32 v7, 31, v6 :: v_dual_bitop2_b32 v0, 3, v48 bitop3:0x54
	v_mad_nc_u64_u32 v[22:23], s20, v48, s[20:21]
	s_ashr_i32 s2, s29, 31
	v_or_b32_e32 v24, s1, v24
	s_delay_alu instid0(VALU_DEP_3)
	v_mul_u64_e32 v[14:15], s[20:21], v[0:1]
	v_mul_u64_e32 v[16:17], s[36:37], v[0:1]
	v_or_b32_e32 v0, 2, v48
	v_mul_u64_e32 v[4:5], s[48:49], v[6:7]
	v_mad_u32 v9, s37, v48, v9
	s_lshr_b32 s2, s2, 28
	v_ashrrev_i32_e32 v25, 31, v24
	v_mul_u64_e32 v[18:19], s[20:21], v[0:1]
	v_mul_u64_e32 v[20:21], s[36:37], v[0:1]
	v_mad_u32 v23, s21, v48, v23
	s_add_co_i32 s2, s29, s2
	v_add_nc_u32_e32 v7, 0x80, v24
	s_and_b32 s52, s2, -16
	v_add_nc_u32_e32 v0, 64, v24
	v_add_nc_u32_e32 v26, 0xc0, v24
	s_sub_co_i32 s3, s29, s52
	s_add_nc_u64 s[16:17], s[16:17], s[4:5]
	s_cmp_gt_i32 s3, 0
	v_cmp_gt_i32_e64 s3, s28, v6
	v_cmp_gt_i32_e64 s5, s28, v7
	v_lshlrev_b64_e32 v[6:7], 1, v[24:25]
	s_add_nc_u64 s[30:31], s[44:45], s[6:7]
	v_cmp_gt_i32_e64 s1, s52, v48
	v_cmp_gt_i32_e64 s2, s28, v24
	;; [unrolled: 1-line block ×4, first 2 shown]
	v_lshl_add_u64 v[8:9], v[8:9], 1, s[24:25]
	v_lshl_add_u64 v[10:11], v[10:11], 3, s[24:25]
	;; [unrolled: 1-line block ×4, first 2 shown]
	s_add_nc_u64 s[26:27], s[24:25], s[18:19]
	s_cselect_b32 s53, -1, 0
	v_lshl_add_u64 v[14:15], v[14:15], 1, s[16:17]
	v_lshl_add_u64 v[16:17], v[16:17], 1, s[24:25]
	s_lshl_b64 s[34:35], s[38:39], 1
	s_and_b32 s28, s0, vcc_lo
	s_lshl_b64 s[44:45], s[22:23], 1
	s_lshl_b64 s[46:47], s[20:21], 5
	v_lshl_add_u64 v[18:19], v[18:19], 1, s[16:17]
	v_lshl_add_u64 v[20:21], v[20:21], 1, s[24:25]
	s_lshl_b64 s[24:25], s[36:37], 5
	s_branch .LBB471_5
.LBB471_3:                              ;   in Loop: Header=BB471_5 Depth=1
	s_wait_xcnt 0x0
	s_or_b32 exec_lo, exec_lo, s7
.LBB471_4:                              ;   in Loop: Header=BB471_5 Depth=1
	s_add_co_i32 s10, s10, 0x10000
	s_delay_alu instid0(SALU_CYCLE_1)
	s_cmp_lt_u32 s10, s33
	s_cbranch_scc0 .LBB471_53
.LBB471_5:                              ; =>This Loop Header: Depth=1
                                        ;     Child Loop BB471_21 Depth 2
	s_wait_xcnt 0x1
	s_mul_u64 s[8:9], s[14:15], s[10:11]
	s_wait_xcnt 0x0
	s_mul_u64 s[48:49], s[42:43], s[10:11]
	s_lshl_b64 s[8:9], s[8:9], 2
	s_lshl_b64 s[48:49], s[48:49], 2
	s_add_nc_u64 s[8:9], s[12:13], s[8:9]
	s_add_nc_u64 s[48:49], s[40:41], s[48:49]
	s_clause 0x1
	global_load_b32 v51, v1, s[8:9]
	global_load_b32 v0, v1, s[48:49]
	s_wait_loadcnt 0x1
	v_cmp_eq_f32_e32 vcc_lo, 0, v51
	s_wait_loadcnt 0x0
	v_cmp_eq_f32_e64 s7, 1.0, v0
	v_readfirstlane_b32 s55, v0
	s_and_b32 s7, vcc_lo, s7
	s_delay_alu instid0(SALU_CYCLE_1)
	s_and_b32 vcc_lo, exec_lo, s7
	s_cbranch_vccnz .LBB471_4
; %bb.6:                                ;   in Loop: Header=BB471_5 Depth=1
	v_cmp_neq_f32_e32 vcc_lo, 0, v51
	s_wait_xcnt 0x1
	s_mul_u64 s[8:9], s[50:51], s[10:11]
	s_delay_alu instid0(SALU_CYCLE_1)
	s_lshl_b64 s[8:9], s[8:9], 2
	s_wait_xcnt 0x0
	s_add_nc_u64 s[48:49], s[30:31], s[8:9]
	s_cbranch_vccnz .LBB471_10
; %bb.7:                                ;   in Loop: Header=BB471_5 Depth=1
	s_mov_b32 s7, 0
	s_mov_b32 s54, 0
                                        ; implicit-def: $vgpr0
	s_and_saveexec_b32 s8, s28
	s_cbranch_execz .LBB471_11
; %bb.8:                                ;   in Loop: Header=BB471_5 Depth=1
	s_cmp_eq_f32 s55, 0
	s_cbranch_scc1 .LBB471_13
; %bb.9:                                ;   in Loop: Header=BB471_5 Depth=1
	v_lshl_add_u64 v[24:25], v[2:3], 2, s[48:49]
	global_load_b32 v0, v[24:25], off
	s_wait_loadcnt 0x0
	v_mul_f32_e32 v0, s55, v0
	s_branch .LBB471_14
.LBB471_10:                             ;   in Loop: Header=BB471_5 Depth=1
	s_mov_b32 s54, 0
                                        ; implicit-def: $vgpr0
	s_cbranch_execz .LBB471_12
	s_branch .LBB471_15
.LBB471_11:                             ;   in Loop: Header=BB471_5 Depth=1
	s_or_b32 exec_lo, exec_lo, s8
	s_delay_alu instid0(SALU_CYCLE_1)
	s_and_b32 vcc_lo, exec_lo, s7
	s_cbranch_vccnz .LBB471_15
.LBB471_12:                             ;   in Loop: Header=BB471_5 Depth=1
	v_mov_b64_e32 v[24:25], v[2:3]
	s_and_saveexec_b32 s7, s54
	s_cbranch_execz .LBB471_3
	s_branch .LBB471_52
.LBB471_13:                             ;   in Loop: Header=BB471_5 Depth=1
	v_mov_b32_e32 v0, 0
.LBB471_14:                             ;   in Loop: Header=BB471_5 Depth=1
	s_mov_b32 s54, exec_lo
	s_wait_xcnt 0x0
	s_or_b32 exec_lo, exec_lo, s8
	s_delay_alu instid0(SALU_CYCLE_1)
	s_and_b32 vcc_lo, exec_lo, s7
	s_cbranch_vccz .LBB471_12
.LBB471_15:                             ;   in Loop: Header=BB471_5 Depth=1
	v_dual_mov_b32 v52, 0 :: v_dual_mov_b32 v0, v48
	v_dual_mov_b32 v53, 0 :: v_dual_mov_b32 v54, 0
	v_mov_b32_e32 v55, 0
	s_and_saveexec_b32 s7, s1
	s_cbranch_execz .LBB471_27
; %bb.16:                               ;   in Loop: Header=BB471_5 Depth=1
	s_mul_u64 s[8:9], s[34:35], s[10:11]
	s_mul_u64 s[56:57], s[44:45], s[10:11]
	v_add_nc_u64_e32 v[24:25], s[8:9], v[10:11]
	v_add_nc_u64_e32 v[26:27], s[56:57], v[14:15]
	;; [unrolled: 1-line block ×8, first 2 shown]
	v_dual_mov_b32 v52, 0 :: v_dual_mov_b32 v0, v48
	v_dual_mov_b32 v53, 0 :: v_dual_mov_b32 v54, 0
	v_mov_b32_e32 v55, 0
	s_mov_b32 s8, 0
	s_branch .LBB471_21
.LBB471_17:                             ;   in Loop: Header=BB471_21 Depth=2
	s_wait_xcnt 0x0
	s_or_b32 exec_lo, exec_lo, s58
	s_wait_loadcnt 0x3
	v_fma_mix_f32 v40, v68, v72, v54 op_sel_hi:[0,1,0]
	s_wait_loadcnt 0x2
	s_delay_alu instid0(VALU_DEP_1) | instskip(SKIP_1) | instid1(VALU_DEP_1)
	v_fma_mix_f32 v40, v69, v73, v40 op_sel_hi:[0,1,0]
	s_wait_loadcnt 0x1
	v_fma_mix_f32 v40, v70, v74, v40 op_sel_hi:[0,1,0]
	s_wait_loadcnt 0x0
	s_delay_alu instid0(VALU_DEP_1)
	v_fma_mix_f32 v54, v71, v75, v40 op_sel_hi:[0,1,0]
.LBB471_18:                             ;   in Loop: Header=BB471_21 Depth=2
	s_or_b32 exec_lo, exec_lo, s57
	s_wait_loadcnt 0x3
	v_fma_mix_f32 v40, v68, v64, v53 op_sel_hi:[0,1,0]
	s_wait_loadcnt 0x2
	s_delay_alu instid0(VALU_DEP_1) | instskip(SKIP_1) | instid1(VALU_DEP_1)
	v_fma_mix_f32 v40, v69, v65, v40 op_sel_hi:[0,1,0]
	s_wait_loadcnt 0x1
	v_fma_mix_f32 v40, v70, v66, v40 op_sel_hi:[0,1,0]
	s_wait_loadcnt 0x0
	s_delay_alu instid0(VALU_DEP_1)
	v_fma_mix_f32 v53, v71, v67, v40 op_sel_hi:[0,1,0]
.LBB471_19:                             ;   in Loop: Header=BB471_21 Depth=2
	s_or_b32 exec_lo, exec_lo, s56
	s_wait_loadcnt 0x3
	v_fma_mix_f32 v40, v56, v60, v52 op_sel_hi:[1,1,0]
	s_wait_loadcnt 0x2
	s_delay_alu instid0(VALU_DEP_1) | instskip(SKIP_1) | instid1(VALU_DEP_1)
	v_fma_mix_f32 v40, v57, v61, v40 op_sel_hi:[1,1,0]
	s_wait_loadcnt 0x1
	v_fma_mix_f32 v40, v58, v62, v40 op_sel_hi:[1,1,0]
	s_wait_loadcnt 0x0
	s_delay_alu instid0(VALU_DEP_1)
	v_fma_mix_f32 v52, v59, v63, v40 op_sel_hi:[1,1,0]
.LBB471_20:                             ;   in Loop: Header=BB471_21 Depth=2
	s_or_b32 exec_lo, exec_lo, s9
	v_add_nc_u32_e32 v0, 16, v0
	v_add_nc_u64_e32 v[24:25], s[24:25], v[24:25]
	v_add_nc_u64_e32 v[26:27], s[46:47], v[26:27]
	;; [unrolled: 1-line block ×7, first 2 shown]
	v_cmp_le_i32_e32 vcc_lo, s52, v0
	v_add_nc_u64_e32 v[38:39], s[46:47], v[38:39]
	s_or_b32 s8, vcc_lo, s8
	s_delay_alu instid0(SALU_CYCLE_1)
	s_and_not1_b32 exec_lo, exec_lo, s8
	s_cbranch_execz .LBB471_26
.LBB471_21:                             ;   Parent Loop BB471_5 Depth=1
                                        ; =>  This Inner Loop Header: Depth=2
	s_and_saveexec_b32 s9, s2
	s_cbranch_execz .LBB471_20
; %bb.22:                               ;   in Loop: Header=BB471_21 Depth=2
	v_add_nc_u64_e32 v[46:47], s[18:19], v[24:25]
	v_add_nc_u64_e32 v[58:59], s[18:19], v[36:37]
	v_add_nc_u64_e32 v[60:61], s[18:19], v[34:35]
	v_add_nc_u64_e32 v[62:63], s[18:19], v[28:29]
	v_add_nc_u64_e32 v[40:41], v[30:31], v[6:7]
	v_add_nc_u64_e32 v[42:43], v[38:39], v[6:7]
	v_add_nc_u64_e32 v[44:45], v[32:33], v[6:7]
	global_load_u16 v56, v[46:47], off
	s_wait_xcnt 0x0
	v_add_nc_u64_e32 v[46:47], v[26:27], v[6:7]
	global_load_u16 v57, v[58:59], off
	global_load_u16 v58, v[60:61], off
	;; [unrolled: 1-line block ×7, first 2 shown]
	s_wait_xcnt 0x0
	s_and_saveexec_b32 s56, s4
	s_cbranch_execz .LBB471_19
; %bb.23:                               ;   in Loop: Header=BB471_21 Depth=2
	global_load_u16 v64, v[40:41], off offset:128
	global_load_u16 v65, v[42:43], off offset:128
	;; [unrolled: 1-line block ×4, first 2 shown]
	s_wait_loadcnt 0xb
	v_cvt_f32_f16_e32 v68, v56
	s_wait_loadcnt 0xa
	v_cvt_f32_f16_e32 v69, v57
	;; [unrolled: 2-line block ×4, first 2 shown]
	s_wait_xcnt 0x0
	s_and_saveexec_b32 s57, s5
	s_cbranch_execz .LBB471_18
; %bb.24:                               ;   in Loop: Header=BB471_21 Depth=2
	global_load_u16 v72, v[40:41], off offset:256
	global_load_u16 v73, v[42:43], off offset:256
	;; [unrolled: 1-line block ×4, first 2 shown]
	s_wait_xcnt 0x0
	s_and_saveexec_b32 s58, s6
	s_cbranch_execz .LBB471_17
; %bb.25:                               ;   in Loop: Header=BB471_21 Depth=2
	global_load_u16 v40, v[40:41], off offset:384
	global_load_u16 v41, v[42:43], off offset:384
	;; [unrolled: 1-line block ×4, first 2 shown]
	s_wait_loadcnt 0x3
	v_fma_mix_f32 v40, v68, v40, v55 op_sel_hi:[0,1,0]
	s_wait_loadcnt 0x2
	s_delay_alu instid0(VALU_DEP_1) | instskip(SKIP_1) | instid1(VALU_DEP_1)
	v_fma_mix_f32 v40, v69, v41, v40 op_sel_hi:[0,1,0]
	s_wait_loadcnt 0x1
	v_fma_mix_f32 v40, v70, v42, v40 op_sel_hi:[0,1,0]
	s_wait_loadcnt 0x0
	s_delay_alu instid0(VALU_DEP_1)
	v_fma_mix_f32 v55, v71, v43, v40 op_sel_hi:[0,1,0]
	s_branch .LBB471_17
.LBB471_26:                             ;   in Loop: Header=BB471_5 Depth=1
	s_or_b32 exec_lo, exec_lo, s8
.LBB471_27:                             ;   in Loop: Header=BB471_5 Depth=1
	s_delay_alu instid0(SALU_CYCLE_1) | instskip(NEXT) | instid1(SALU_CYCLE_1)
	s_or_b32 exec_lo, exec_lo, s7
	s_and_not1_b32 vcc_lo, exec_lo, s53
	s_cbranch_vccnz .LBB471_45
; %bb.28:                               ;   in Loop: Header=BB471_5 Depth=1
	v_cmp_gt_i32_e32 vcc_lo, s29, v0
	v_dual_mov_b32 v32, 0 :: v_dual_bitop2_b32 v24, 1, v0 bitop3:0x54
	v_dual_mov_b32 v33, 0 :: v_dual_mov_b32 v34, 0
	v_mov_b32_e32 v35, 0
	s_and_saveexec_b32 s56, vcc_lo
	s_cbranch_execz .LBB471_36
; %bb.29:                               ;   in Loop: Header=BB471_5 Depth=1
	v_mul_u64_e32 v[26:27], s[36:37], v[0:1]
	s_mul_u64 s[8:9], s[38:39], s[10:11]
	v_dual_mov_b32 v34, 0 :: v_dual_mov_b32 v33, 0
	s_lshl_b64 s[8:9], s[8:9], 1
	v_mov_b32_e32 v32, 0
	s_add_nc_u64 s[8:9], s[26:27], s[8:9]
	s_mov_b32 s57, exec_lo
	s_delay_alu instid0(VALU_DEP_3)
	v_lshl_add_u64 v[26:27], v[26:27], 1, s[8:9]
	global_load_u16 v28, v[26:27], off
	s_wait_xcnt 0x0
	v_cmpx_gt_i32_e64 s29, v24
	s_cbranch_execz .LBB471_35
; %bb.30:                               ;   in Loop: Header=BB471_5 Depth=1
	v_dual_mov_b32 v25, v1 :: v_dual_mov_b32 v33, 0
	v_mov_b32_e32 v32, 0
	s_mov_b32 s58, exec_lo
	s_delay_alu instid0(VALU_DEP_2) | instskip(NEXT) | instid1(VALU_DEP_1)
	v_mul_u64_e32 v[26:27], s[36:37], v[24:25]
	v_lshl_add_u64 v[26:27], v[26:27], 1, s[8:9]
	global_load_u16 v25, v[26:27], off
	s_wait_xcnt 0x0
	v_or_b32_e32 v26, 2, v0
	s_delay_alu instid0(VALU_DEP_1)
	v_cmpx_gt_i32_e64 s29, v26
	s_cbranch_execz .LBB471_34
; %bb.31:                               ;   in Loop: Header=BB471_5 Depth=1
	v_dual_mov_b32 v27, v1 :: v_dual_mov_b32 v32, 0
	s_mov_b32 s59, exec_lo
	s_delay_alu instid0(VALU_DEP_1) | instskip(NEXT) | instid1(VALU_DEP_1)
	v_mul_u64_e32 v[26:27], s[36:37], v[26:27]
	v_lshl_add_u64 v[26:27], v[26:27], 1, s[8:9]
	global_load_u16 v29, v[26:27], off
	s_wait_xcnt 0x0
	v_or_b32_e32 v26, 3, v0
	s_delay_alu instid0(VALU_DEP_1)
	v_cmpx_gt_i32_e64 s29, v26
	s_cbranch_execz .LBB471_33
; %bb.32:                               ;   in Loop: Header=BB471_5 Depth=1
	v_mov_b32_e32 v27, v1
	s_delay_alu instid0(VALU_DEP_1) | instskip(NEXT) | instid1(VALU_DEP_1)
	v_mul_u64_e32 v[26:27], s[36:37], v[26:27]
	v_lshl_add_u64 v[26:27], v[26:27], 1, s[8:9]
	global_load_u16 v26, v[26:27], off
	s_wait_loadcnt 0x0
	v_cvt_f32_f16_e32 v32, v26
.LBB471_33:                             ;   in Loop: Header=BB471_5 Depth=1
	s_wait_xcnt 0x0
	s_or_b32 exec_lo, exec_lo, s59
	s_wait_loadcnt 0x0
	v_cvt_f32_f16_e32 v33, v29
.LBB471_34:                             ;   in Loop: Header=BB471_5 Depth=1
	s_or_b32 exec_lo, exec_lo, s58
	s_wait_loadcnt 0x0
	v_cvt_f32_f16_e32 v34, v25
.LBB471_35:                             ;   in Loop: Header=BB471_5 Depth=1
	s_or_b32 exec_lo, exec_lo, s57
	s_wait_loadcnt 0x0
	v_cvt_f32_f16_e32 v35, v28
.LBB471_36:                             ;   in Loop: Header=BB471_5 Depth=1
	s_or_b32 exec_lo, exec_lo, s56
	s_and_saveexec_b32 s56, s2
	s_cbranch_execz .LBB471_44
; %bb.37:                               ;   in Loop: Header=BB471_5 Depth=1
	v_dual_mov_b32 v25, v1 :: v_dual_bitop2_b32 v26, 2, v0 bitop3:0x54
	v_mov_b32_e32 v27, v1
	v_mul_u64_e32 v[28:29], s[20:21], v[0:1]
	v_or_b32_e32 v0, 3, v0
	s_delay_alu instid0(VALU_DEP_4)
	v_mul_u64_e32 v[30:31], s[20:21], v[24:25]
	s_mul_u64 s[8:9], s[22:23], s[10:11]
	v_mul_u64_e32 v[36:37], s[20:21], v[26:27]
	v_cmp_gt_i32_e64 s7, s29, v24
	v_mul_u64_e32 v[38:39], s[20:21], v[0:1]
	s_lshl_b64 s[58:59], s[8:9], 1
	v_cmp_gt_i32_e64 s8, s29, v26
	v_cmp_gt_i32_e64 s9, s29, v0
	v_dual_cndmask_b32 v25, 0, v29 :: v_dual_cndmask_b32 v24, 0, v28
	v_dual_cndmask_b32 v27, 0, v31, s7 :: v_dual_cndmask_b32 v26, 0, v30, s7
	s_delay_alu instid0(VALU_DEP_4) | instskip(NEXT) | instid1(VALU_DEP_4)
	v_dual_cndmask_b32 v29, 0, v37, s8 :: v_dual_cndmask_b32 v28, 0, v36, s8
	v_dual_cndmask_b32 v31, 0, v39, s9 :: v_dual_cndmask_b32 v30, 0, v38, s9
	s_add_nc_u64 s[8:9], s[16:17], s[58:59]
	s_delay_alu instid0(SALU_CYCLE_1) | instskip(SKIP_3) | instid1(VALU_DEP_4)
	v_lshl_add_u64 v[24:25], v[24:25], 1, s[8:9]
	v_lshl_add_u64 v[26:27], v[26:27], 1, s[8:9]
	;; [unrolled: 1-line block ×4, first 2 shown]
	v_add_nc_u64_e32 v[30:31], v[24:25], v[6:7]
	s_delay_alu instid0(VALU_DEP_4) | instskip(NEXT) | instid1(VALU_DEP_4)
	v_add_nc_u64_e32 v[28:29], v[26:27], v[6:7]
	v_add_nc_u64_e32 v[26:27], v[36:37], v[6:7]
	s_delay_alu instid0(VALU_DEP_4)
	v_add_nc_u64_e32 v[24:25], v[38:39], v[6:7]
	s_clause 0x3
	global_load_u16 v0, v[30:31], off
	global_load_u16 v36, v[28:29], off
	;; [unrolled: 1-line block ×4, first 2 shown]
	s_wait_xcnt 0x0
	s_and_saveexec_b32 s7, s4
	s_cbranch_execz .LBB471_43
; %bb.38:                               ;   in Loop: Header=BB471_5 Depth=1
	s_clause 0x3
	global_load_u16 v39, v[30:31], off offset:128
	global_load_u16 v40, v[28:29], off offset:128
	global_load_u16 v41, v[26:27], off offset:128
	global_load_u16 v42, v[24:25], off offset:128
	s_wait_xcnt 0x0
	s_and_saveexec_b32 s8, s5
	s_cbranch_execz .LBB471_42
; %bb.39:                               ;   in Loop: Header=BB471_5 Depth=1
	s_clause 0x3
	global_load_u16 v43, v[30:31], off offset:256
	global_load_u16 v44, v[28:29], off offset:256
	global_load_u16 v45, v[26:27], off offset:256
	global_load_u16 v46, v[24:25], off offset:256
	;; [unrolled: 9-line block ×3, first 2 shown]
	s_wait_loadcnt 0x3
	s_wait_xcnt 0x0
	v_fma_mix_f32 v25, v35, v30, v55 op_sel_hi:[0,1,0]
	s_wait_loadcnt 0x2
	s_delay_alu instid0(VALU_DEP_1) | instskip(SKIP_1) | instid1(VALU_DEP_1)
	v_fma_mix_f32 v25, v34, v28, v25 op_sel_hi:[0,1,0]
	s_wait_loadcnt 0x1
	v_fma_mix_f32 v25, v33, v26, v25 op_sel_hi:[0,1,0]
	s_wait_loadcnt 0x0
	s_delay_alu instid0(VALU_DEP_1)
	v_fma_mix_f32 v55, v32, v24, v25 op_sel_hi:[0,1,0]
.LBB471_41:                             ;   in Loop: Header=BB471_5 Depth=1
	s_or_b32 exec_lo, exec_lo, s9
	s_wait_loadcnt 0x3
	v_fma_mix_f32 v24, v35, v43, v54 op_sel_hi:[0,1,0]
	s_wait_loadcnt 0x2
	s_delay_alu instid0(VALU_DEP_1) | instskip(SKIP_1) | instid1(VALU_DEP_1)
	v_fma_mix_f32 v24, v34, v44, v24 op_sel_hi:[0,1,0]
	s_wait_loadcnt 0x1
	v_fma_mix_f32 v24, v33, v45, v24 op_sel_hi:[0,1,0]
	s_wait_loadcnt 0x0
	s_delay_alu instid0(VALU_DEP_1)
	v_fma_mix_f32 v54, v32, v46, v24 op_sel_hi:[0,1,0]
.LBB471_42:                             ;   in Loop: Header=BB471_5 Depth=1
	s_or_b32 exec_lo, exec_lo, s8
	s_wait_loadcnt 0x3
	v_fma_mix_f32 v24, v35, v39, v53 op_sel_hi:[0,1,0]
	s_wait_loadcnt 0x2
	s_delay_alu instid0(VALU_DEP_1) | instskip(SKIP_1) | instid1(VALU_DEP_1)
	v_fma_mix_f32 v24, v34, v40, v24 op_sel_hi:[0,1,0]
	s_wait_loadcnt 0x1
	v_fma_mix_f32 v24, v33, v41, v24 op_sel_hi:[0,1,0]
	s_wait_loadcnt 0x0
	s_delay_alu instid0(VALU_DEP_1)
	v_fma_mix_f32 v53, v32, v42, v24 op_sel_hi:[0,1,0]
.LBB471_43:                             ;   in Loop: Header=BB471_5 Depth=1
	s_or_b32 exec_lo, exec_lo, s7
	s_wait_loadcnt 0x3
	v_fma_mix_f32 v0, v35, v0, v52 op_sel_hi:[0,1,0]
	s_wait_loadcnt 0x2
	s_delay_alu instid0(VALU_DEP_1) | instskip(SKIP_1) | instid1(VALU_DEP_1)
	v_fma_mix_f32 v0, v34, v36, v0 op_sel_hi:[0,1,0]
	s_wait_loadcnt 0x1
	v_fma_mix_f32 v0, v33, v37, v0 op_sel_hi:[0,1,0]
	s_wait_loadcnt 0x0
	s_delay_alu instid0(VALU_DEP_1)
	v_fma_mix_f32 v52, v32, v38, v0 op_sel_hi:[0,1,0]
.LBB471_44:                             ;   in Loop: Header=BB471_5 Depth=1
	s_or_b32 exec_lo, exec_lo, s56
.LBB471_45:                             ;   in Loop: Header=BB471_5 Depth=1
	ds_store_2addr_stride64_b32 v49, v52, v53 offset1:1
	ds_store_2addr_stride64_b32 v49, v54, v55 offset0:2 offset1:3
	s_wait_dscnt 0x0
	s_barrier_signal -1
	s_barrier_wait -1
                                        ; implicit-def: $vgpr0
	s_and_saveexec_b32 s7, s0
	s_cbranch_execz .LBB471_51
; %bb.46:                               ;   in Loop: Header=BB471_5 Depth=1
	ds_load_2addr_stride64_b32 v[24:25], v50 offset1:4
	ds_load_2addr_stride64_b32 v[26:27], v50 offset0:8 offset1:12
	s_mov_b32 s9, s54
	s_wait_dscnt 0x1
	v_add_f32_e32 v0, v24, v25
	s_wait_dscnt 0x0
	s_delay_alu instid0(VALU_DEP_1) | instskip(NEXT) | instid1(VALU_DEP_1)
	v_add_f32_e32 v0, v26, v0
	v_add_f32_e32 v24, v27, v0
                                        ; implicit-def: $vgpr0
	ds_store_b32 v50, v24
	s_and_saveexec_b32 s8, s3
	s_cbranch_execz .LBB471_50
; %bb.47:                               ;   in Loop: Header=BB471_5 Depth=1
	v_mul_f32_e32 v0, v51, v24
	s_cmp_eq_f32 s55, 0
	s_cbranch_scc1 .LBB471_49
; %bb.48:                               ;   in Loop: Header=BB471_5 Depth=1
	v_lshl_add_u64 v[24:25], v[4:5], 2, s[48:49]
	global_load_b32 v24, v[24:25], off
	s_wait_loadcnt 0x0
	v_fmac_f32_e32 v0, s55, v24
.LBB471_49:                             ;   in Loop: Header=BB471_5 Depth=1
	s_or_b32 s9, s54, exec_lo
.LBB471_50:                             ;   in Loop: Header=BB471_5 Depth=1
	s_wait_xcnt 0x0
	s_or_b32 exec_lo, exec_lo, s8
	s_delay_alu instid0(SALU_CYCLE_1) | instskip(SKIP_1) | instid1(SALU_CYCLE_1)
	s_and_not1_b32 s8, s54, exec_lo
	s_and_b32 s9, s9, exec_lo
	s_or_b32 s54, s8, s9
.LBB471_51:                             ;   in Loop: Header=BB471_5 Depth=1
	s_or_b32 exec_lo, exec_lo, s7
	v_mov_b64_e32 v[24:25], v[4:5]
	s_and_saveexec_b32 s7, s54
	s_cbranch_execz .LBB471_3
.LBB471_52:                             ;   in Loop: Header=BB471_5 Depth=1
	s_delay_alu instid0(VALU_DEP_1)
	v_lshl_add_u64 v[24:25], v[24:25], 2, s[48:49]
	global_store_b32 v[24:25], v0, off
	s_branch .LBB471_3
.LBB471_53:
	s_sendmsg sendmsg(MSG_DEALLOC_VGPRS)
	s_endpgm
	.section	.rodata,"a",@progbits
	.p2align	6, 0x0
	.amdhsa_kernel _ZL20rocblas_gemvn_kernelILi64ELi4ElDF16_PKffEviiT3_lPKT2_lT1_lS5_lS6_lS2_lPT4_lS6_li
		.amdhsa_group_segment_fixed_size 4096
		.amdhsa_private_segment_fixed_size 0
		.amdhsa_kernarg_size 400
		.amdhsa_user_sgpr_count 2
		.amdhsa_user_sgpr_dispatch_ptr 0
		.amdhsa_user_sgpr_queue_ptr 0
		.amdhsa_user_sgpr_kernarg_segment_ptr 1
		.amdhsa_user_sgpr_dispatch_id 0
		.amdhsa_user_sgpr_kernarg_preload_length 0
		.amdhsa_user_sgpr_kernarg_preload_offset 0
		.amdhsa_user_sgpr_private_segment_size 0
		.amdhsa_wavefront_size32 1
		.amdhsa_uses_dynamic_stack 0
		.amdhsa_enable_private_segment 0
		.amdhsa_system_sgpr_workgroup_id_x 1
		.amdhsa_system_sgpr_workgroup_id_y 0
		.amdhsa_system_sgpr_workgroup_id_z 1
		.amdhsa_system_sgpr_workgroup_info 0
		.amdhsa_system_vgpr_workitem_id 1
		.amdhsa_next_free_vgpr 76
		.amdhsa_next_free_sgpr 60
		.amdhsa_named_barrier_count 0
		.amdhsa_reserve_vcc 1
		.amdhsa_float_round_mode_32 0
		.amdhsa_float_round_mode_16_64 0
		.amdhsa_float_denorm_mode_32 3
		.amdhsa_float_denorm_mode_16_64 3
		.amdhsa_fp16_overflow 0
		.amdhsa_memory_ordered 1
		.amdhsa_forward_progress 1
		.amdhsa_inst_pref_size 23
		.amdhsa_round_robin_scheduling 0
		.amdhsa_exception_fp_ieee_invalid_op 0
		.amdhsa_exception_fp_denorm_src 0
		.amdhsa_exception_fp_ieee_div_zero 0
		.amdhsa_exception_fp_ieee_overflow 0
		.amdhsa_exception_fp_ieee_underflow 0
		.amdhsa_exception_fp_ieee_inexact 0
		.amdhsa_exception_int_div_zero 0
	.end_amdhsa_kernel
	.section	.text._ZL20rocblas_gemvn_kernelILi64ELi4ElDF16_PKffEviiT3_lPKT2_lT1_lS5_lS6_lS2_lPT4_lS6_li,"axG",@progbits,_ZL20rocblas_gemvn_kernelILi64ELi4ElDF16_PKffEviiT3_lPKT2_lT1_lS5_lS6_lS2_lPT4_lS6_li,comdat
.Lfunc_end471:
	.size	_ZL20rocblas_gemvn_kernelILi64ELi4ElDF16_PKffEviiT3_lPKT2_lT1_lS5_lS6_lS2_lPT4_lS6_li, .Lfunc_end471-_ZL20rocblas_gemvn_kernelILi64ELi4ElDF16_PKffEviiT3_lPKT2_lT1_lS5_lS6_lS2_lPT4_lS6_li
                                        ; -- End function
	.set _ZL20rocblas_gemvn_kernelILi64ELi4ElDF16_PKffEviiT3_lPKT2_lT1_lS5_lS6_lS2_lPT4_lS6_li.num_vgpr, 76
	.set _ZL20rocblas_gemvn_kernelILi64ELi4ElDF16_PKffEviiT3_lPKT2_lT1_lS5_lS6_lS2_lPT4_lS6_li.num_agpr, 0
	.set _ZL20rocblas_gemvn_kernelILi64ELi4ElDF16_PKffEviiT3_lPKT2_lT1_lS5_lS6_lS2_lPT4_lS6_li.numbered_sgpr, 60
	.set _ZL20rocblas_gemvn_kernelILi64ELi4ElDF16_PKffEviiT3_lPKT2_lT1_lS5_lS6_lS2_lPT4_lS6_li.num_named_barrier, 0
	.set _ZL20rocblas_gemvn_kernelILi64ELi4ElDF16_PKffEviiT3_lPKT2_lT1_lS5_lS6_lS2_lPT4_lS6_li.private_seg_size, 0
	.set _ZL20rocblas_gemvn_kernelILi64ELi4ElDF16_PKffEviiT3_lPKT2_lT1_lS5_lS6_lS2_lPT4_lS6_li.uses_vcc, 1
	.set _ZL20rocblas_gemvn_kernelILi64ELi4ElDF16_PKffEviiT3_lPKT2_lT1_lS5_lS6_lS2_lPT4_lS6_li.uses_flat_scratch, 0
	.set _ZL20rocblas_gemvn_kernelILi64ELi4ElDF16_PKffEviiT3_lPKT2_lT1_lS5_lS6_lS2_lPT4_lS6_li.has_dyn_sized_stack, 0
	.set _ZL20rocblas_gemvn_kernelILi64ELi4ElDF16_PKffEviiT3_lPKT2_lT1_lS5_lS6_lS2_lPT4_lS6_li.has_recursion, 0
	.set _ZL20rocblas_gemvn_kernelILi64ELi4ElDF16_PKffEviiT3_lPKT2_lT1_lS5_lS6_lS2_lPT4_lS6_li.has_indirect_call, 0
	.section	.AMDGPU.csdata,"",@progbits
; Kernel info:
; codeLenInByte = 2892
; TotalNumSgprs: 62
; NumVgprs: 76
; ScratchSize: 0
; MemoryBound: 0
; FloatMode: 240
; IeeeMode: 1
; LDSByteSize: 4096 bytes/workgroup (compile time only)
; SGPRBlocks: 0
; VGPRBlocks: 4
; NumSGPRsForWavesPerEU: 62
; NumVGPRsForWavesPerEU: 76
; NamedBarCnt: 0
; Occupancy: 12
; WaveLimiterHint : 1
; COMPUTE_PGM_RSRC2:SCRATCH_EN: 0
; COMPUTE_PGM_RSRC2:USER_SGPR: 2
; COMPUTE_PGM_RSRC2:TRAP_HANDLER: 0
; COMPUTE_PGM_RSRC2:TGID_X_EN: 1
; COMPUTE_PGM_RSRC2:TGID_Y_EN: 0
; COMPUTE_PGM_RSRC2:TGID_Z_EN: 1
; COMPUTE_PGM_RSRC2:TIDIG_COMP_CNT: 1
	.section	.text._ZL20rocblas_gemvn_kernelILi64ELi4EiDF16_ffEviiT3_lPKT2_lT1_lS3_lS4_lS0_lPT4_lS4_li,"axG",@progbits,_ZL20rocblas_gemvn_kernelILi64ELi4EiDF16_ffEviiT3_lPKT2_lT1_lS3_lS4_lS0_lPT4_lS4_li,comdat
	.globl	_ZL20rocblas_gemvn_kernelILi64ELi4EiDF16_ffEviiT3_lPKT2_lT1_lS3_lS4_lS0_lPT4_lS4_li ; -- Begin function _ZL20rocblas_gemvn_kernelILi64ELi4EiDF16_ffEviiT3_lPKT2_lT1_lS3_lS4_lS0_lPT4_lS4_li
	.p2align	8
	.type	_ZL20rocblas_gemvn_kernelILi64ELi4EiDF16_ffEviiT3_lPKT2_lT1_lS3_lS4_lS0_lPT4_lS4_li,@function
_ZL20rocblas_gemvn_kernelILi64ELi4EiDF16_ffEviiT3_lPKT2_lT1_lS3_lS4_lS0_lPT4_lS4_li: ; @_ZL20rocblas_gemvn_kernelILi64ELi4EiDF16_ffEviiT3_lPKT2_lT1_lS3_lS4_lS0_lPT4_lS4_li
; %bb.0:
	s_load_b64 s[2:3], s[0:1], 0x9c
	s_wait_kmcnt 0x0
	s_lshr_b32 s4, s2, 16
	s_and_b32 s2, s2, 0xffff
	s_and_b32 s3, s3, 0xffff
	s_mul_i32 s2, s4, s2
	s_delay_alu instid0(SALU_CYCLE_1) | instskip(NEXT) | instid1(SALU_CYCLE_1)
	s_mul_i32 s2, s2, s3
	s_cmp_lg_u32 s2, 0x100
	s_cbranch_scc1 .LBB472_53
; %bb.1:
	s_load_b32 s19, s[0:1], 0x88
	s_bfe_u32 s2, ttmp6, 0x40014
	s_lshr_b32 s3, ttmp7, 16
	s_add_co_i32 s2, s2, 1
	s_bfe_u32 s5, ttmp6, 0x40008
	s_mul_i32 s4, s3, s2
	s_getreg_b32 s2, hwreg(HW_REG_IB_STS2, 6, 4)
	s_add_co_i32 s5, s5, s4
	s_cmp_eq_u32 s2, 0
	s_mov_b32 s29, 0
	s_cselect_b32 s28, s3, s5
	s_wait_kmcnt 0x0
	s_cmp_ge_u32 s28, s19
	s_cbranch_scc1 .LBB472_53
; %bb.2:
	s_clause 0x7
	s_load_b128 s[4:7], s[0:1], 0x18
	s_load_b96 s[16:18], s[0:1], 0x40
	s_load_b128 s[12:15], s[0:1], 0x68
	s_load_b32 s30, s[0:1], 0x78
	s_load_b96 s[20:22], s[0:1], 0x0
	s_load_b96 s[24:26], s[0:1], 0x50
	s_load_b32 s23, s[0:1], 0x28
	s_load_b128 s[8:11], s[0:1], 0x30
	v_and_b32_e32 v4, 0x3ff, v0
	v_bfe_u32 v3, v0, 10, 10
	s_delay_alu instid0(VALU_DEP_1) | instskip(NEXT) | instid1(VALU_DEP_3)
	v_dual_mov_b32 v1, 0 :: v_dual_lshlrev_b32 v14, 2, v3
	v_lshl_add_u32 v5, v3, 6, v4
	s_wait_kmcnt 0x0
	s_lshl_b64 s[6:7], s[6:7], 1
	s_lshl_b64 s[34:35], s[16:17], 1
	;; [unrolled: 1-line block ×3, first 2 shown]
	s_ashr_i32 s31, s30, 31
	s_cmp_eq_f32 s22, 0
	s_load_b64 s[14:15], s[0:1], 0x80
	s_add_nc_u64 s[16:17], s[4:5], s[6:7]
	s_wait_xcnt 0x0
	s_mov_b32 s0, s20
	s_cselect_b32 s27, -1, 0
	s_cmp_neq_f32 s22, 0
	v_mul_lo_u32 v11, v3, s18
	v_mad_u32 v20, s18, v14, s18
	s_add_nc_u64 s[10:11], s[10:11], s[34:35]
	s_cselect_b32 s1, -1, 0
	s_cmp_neq_f32 s26, 1.0
	s_add_nc_u64 s[12:13], s[12:13], s[36:37]
	s_cselect_b32 s3, -1, 0
	s_bfe_u32 s4, ttmp6, 0x4000c
	s_and_b32 s5, ttmp6, 15
	s_add_co_i32 s4, s4, 1
	s_or_b32 s33, s1, s3
	s_mul_i32 s4, ttmp9, s4
	v_lshlrev_b32_e32 v25, 2, v11
	s_add_co_i32 s5, s5, s4
	s_cmp_eq_u32 s2, 0
	s_cselect_b32 s2, ttmp9, s5
	s_ashr_i32 s1, s20, 31
	s_lshl_b32 s38, s2, 8
	s_delay_alu instid0(SALU_CYCLE_1) | instskip(SKIP_3) | instid1(VALU_DEP_3)
	v_dual_lshlrev_b32 v6, 2, v4 :: v_dual_add_nc_u32 v0, s38, v5
	v_or_b32_e32 v7, s38, v5
	s_cmp_neq_f32 s26, 0
	v_cmp_gt_u32_e64 s5, 0x100, v5
	v_lshl_add_u32 v16, v3, 10, v6
	v_cmp_gt_i64_e32 vcc_lo, s[0:1], v[0:1]
	v_mul_u64_e32 v[0:1], s[30:31], v[0:1]
	v_mul_lo_u32 v2, s30, v7
	v_or_b32_e32 v15, s38, v4
	s_cselect_b32 s39, -1, 0
	s_ashr_i32 s2, s21, 31
	v_lshl_add_u32 v17, v3, 8, v6
	s_lshr_b32 s1, s2, 28
	v_add_nc_u32_e32 v10, 0xc0, v15
	s_add_co_i32 s1, s21, s1
	v_mul_lo_u32 v5, s23, v14
	s_and_b32 s40, s1, -16
	s_delay_alu instid0(VALU_DEP_2)
	v_cmp_gt_i32_e64 s3, s20, v10
	v_mul_lo_u32 v10, v3, s23
	v_dual_ashrrev_i32 v3, 31, v2 :: v_dual_add_nc_u32 v8, 64, v15
	v_add_nc_u32_e32 v9, 0x80, v15
	s_sub_co_i32 s4, s21, s40
	v_cmp_gt_i32_e64 s0, s20, v15
	s_cmp_gt_i32 s4, 0
	v_cmp_gt_i32_e64 s1, s20, v8
	v_cmp_gt_i32_e64 s2, s20, v9
	v_or_b32_e32 v8, 2, v14
	v_or_b32_e32 v9, 3, v14
	v_cmp_gt_i32_e64 s4, s40, v14
	v_cmp_gt_i32_e64 s6, s20, v7
	v_add3_u32 v23, v5, s23, v4
	v_mad_u32 v18, s23, v8, v4
	v_mad_u32 v19, s23, v9, v4
	v_mul_lo_u32 v21, s18, v8
	v_mul_lo_u32 v22, s18, v9
	v_lshl_add_u32 v24, v10, 2, v4
	s_cselect_b32 s41, -1, 0
	s_and_b32 s20, s5, vcc_lo
	s_lshl_b32 s42, s23, 4
	s_lshl_b32 s43, s18, 4
	s_branch .LBB472_5
.LBB472_3:                              ;   in Loop: Header=BB472_5 Depth=1
	s_wait_xcnt 0x0
	s_or_b32 exec_lo, exec_lo, s7
.LBB472_4:                              ;   in Loop: Header=BB472_5 Depth=1
	s_add_co_i32 s28, s28, 0x10000
	s_delay_alu instid0(SALU_CYCLE_1)
	s_cmp_lt_u32 s28, s19
	s_cbranch_scc0 .LBB472_53
.LBB472_5:                              ; =>This Loop Header: Depth=1
                                        ;     Child Loop BB472_21 Depth 2
	s_and_not1_b32 vcc_lo, exec_lo, s33
	s_cbranch_vccnz .LBB472_4
; %bb.6:                                ;   in Loop: Header=BB472_5 Depth=1
	s_wait_kmcnt 0x0
	s_mul_u64 s[30:31], s[14:15], s[28:29]
	s_and_not1_b32 vcc_lo, exec_lo, s27
	s_lshl_b64 s[30:31], s[30:31], 2
	s_delay_alu instid0(SALU_CYCLE_1)
	s_add_nc_u64 s[30:31], s[12:13], s[30:31]
	s_cbranch_vccnz .LBB472_10
; %bb.7:                                ;   in Loop: Header=BB472_5 Depth=1
	s_mov_b32 s7, 0
	s_mov_b32 s44, 0
                                        ; implicit-def: $vgpr6
	s_and_saveexec_b32 s34, s20
	s_cbranch_execz .LBB472_11
; %bb.8:                                ;   in Loop: Header=BB472_5 Depth=1
	s_and_not1_b32 vcc_lo, exec_lo, s39
	s_cbranch_vccnz .LBB472_13
; %bb.9:                                ;   in Loop: Header=BB472_5 Depth=1
	v_lshl_add_u64 v[4:5], v[0:1], 2, s[30:31]
	global_load_b32 v4, v[4:5], off
	s_wait_loadcnt 0x0
	v_mul_f32_e32 v6, s26, v4
	s_branch .LBB472_14
.LBB472_10:                             ;   in Loop: Header=BB472_5 Depth=1
	s_mov_b32 s44, 0
                                        ; implicit-def: $vgpr6
	s_cbranch_execz .LBB472_12
	s_branch .LBB472_15
.LBB472_11:                             ;   in Loop: Header=BB472_5 Depth=1
	s_or_b32 exec_lo, exec_lo, s34
	s_delay_alu instid0(SALU_CYCLE_1)
	s_and_b32 vcc_lo, exec_lo, s7
	s_cbranch_vccnz .LBB472_15
.LBB472_12:                             ;   in Loop: Header=BB472_5 Depth=1
	v_mov_b64_e32 v[4:5], v[0:1]
	s_and_saveexec_b32 s7, s44
	s_cbranch_execz .LBB472_3
	s_branch .LBB472_52
.LBB472_13:                             ;   in Loop: Header=BB472_5 Depth=1
	v_mov_b32_e32 v6, 0
.LBB472_14:                             ;   in Loop: Header=BB472_5 Depth=1
	s_mov_b32 s44, exec_lo
	s_wait_xcnt 0x0
	s_or_b32 exec_lo, exec_lo, s34
	s_delay_alu instid0(SALU_CYCLE_1)
	s_and_b32 vcc_lo, exec_lo, s7
	s_cbranch_vccz .LBB472_12
.LBB472_15:                             ;   in Loop: Header=BB472_5 Depth=1
	s_mul_u64 s[34:35], s[8:9], s[28:29]
	s_mul_u64 s[36:37], s[24:25], s[28:29]
	v_dual_mov_b32 v26, 0 :: v_dual_mov_b32 v12, v14
	v_dual_mov_b32 v27, 0 :: v_dual_mov_b32 v28, 0
	v_mov_b32_e32 v29, 0
	s_lshl_b64 s[34:35], s[34:35], 1
	s_lshl_b64 s[36:37], s[36:37], 1
	s_add_nc_u64 s[34:35], s[16:17], s[34:35]
	s_add_nc_u64 s[36:37], s[10:11], s[36:37]
	s_and_saveexec_b32 s7, s4
	s_cbranch_execz .LBB472_27
; %bb.16:                               ;   in Loop: Header=BB472_5 Depth=1
	v_dual_mov_b32 v26, 0 :: v_dual_mov_b32 v13, v24
	v_dual_mov_b32 v30, v19 :: v_dual_mov_b32 v31, v18
	;; [unrolled: 1-line block ×4, first 2 shown]
	v_mov_b32_e32 v29, 0
	s_mov_b32 s45, 0
	s_mov_b32 s46, 0
	s_branch .LBB472_21
.LBB472_17:                             ;   in Loop: Header=BB472_21 Depth=2
	s_wait_xcnt 0x0
	s_or_b32 exec_lo, exec_lo, s50
	s_wait_loadcnt 0x3
	v_fma_mix_f32 v4, v45, v49, v28 op_sel_hi:[0,1,0]
	s_wait_loadcnt 0x2
	s_delay_alu instid0(VALU_DEP_1) | instskip(SKIP_1) | instid1(VALU_DEP_1)
	v_fma_mix_f32 v4, v46, v50, v4 op_sel_hi:[0,1,0]
	s_wait_loadcnt 0x1
	v_fma_mix_f32 v4, v47, v51, v4 op_sel_hi:[0,1,0]
	s_wait_loadcnt 0x0
	s_delay_alu instid0(VALU_DEP_1)
	v_fma_mix_f32 v28, v48, v52, v4 op_sel_hi:[0,1,0]
.LBB472_18:                             ;   in Loop: Header=BB472_21 Depth=2
	s_or_b32 exec_lo, exec_lo, s49
	s_wait_loadcnt 0x3
	v_fma_mix_f32 v4, v45, v41, v27 op_sel_hi:[0,1,0]
	s_wait_loadcnt 0x2
	s_delay_alu instid0(VALU_DEP_1) | instskip(SKIP_1) | instid1(VALU_DEP_1)
	v_fma_mix_f32 v4, v46, v42, v4 op_sel_hi:[0,1,0]
	s_wait_loadcnt 0x1
	v_fma_mix_f32 v4, v47, v43, v4 op_sel_hi:[0,1,0]
	s_wait_loadcnt 0x0
	s_delay_alu instid0(VALU_DEP_1)
	v_fma_mix_f32 v27, v48, v44, v4 op_sel_hi:[0,1,0]
.LBB472_19:                             ;   in Loop: Header=BB472_21 Depth=2
	s_or_b32 exec_lo, exec_lo, s48
	s_wait_loadcnt 0x3
	v_fma_mix_f32 v4, v33, v37, v26 op_sel_hi:[1,1,0]
	s_wait_loadcnt 0x2
	s_delay_alu instid0(VALU_DEP_1) | instskip(SKIP_1) | instid1(VALU_DEP_1)
	v_fma_mix_f32 v4, v34, v38, v4 op_sel_hi:[1,1,0]
	s_wait_loadcnt 0x1
	v_fma_mix_f32 v4, v35, v39, v4 op_sel_hi:[1,1,0]
	s_wait_loadcnt 0x0
	s_delay_alu instid0(VALU_DEP_1)
	v_fma_mix_f32 v26, v36, v40, v4 op_sel_hi:[1,1,0]
.LBB472_20:                             ;   in Loop: Header=BB472_21 Depth=2
	s_or_b32 exec_lo, exec_lo, s47
	v_dual_add_nc_u32 v12, 16, v12 :: v_dual_add_nc_u32 v31, s42, v31
	v_dual_add_nc_u32 v32, s42, v32 :: v_dual_add_nc_u32 v30, s42, v30
	v_add_nc_u32_e32 v13, s42, v13
	s_delay_alu instid0(VALU_DEP_3) | instskip(SKIP_2) | instid1(SALU_CYCLE_1)
	v_cmp_le_i32_e32 vcc_lo, s40, v12
	s_add_co_i32 s46, s46, s43
	s_or_b32 s45, vcc_lo, s45
	s_and_not1_b32 exec_lo, exec_lo, s45
	s_cbranch_execz .LBB472_26
.LBB472_21:                             ;   Parent Loop BB472_5 Depth=1
                                        ; =>  This Inner Loop Header: Depth=2
	s_and_saveexec_b32 s47, s0
	s_cbranch_execz .LBB472_20
; %bb.22:                               ;   in Loop: Header=BB472_21 Depth=2
	v_dual_add_nc_u32 v5, s46, v25 :: v_dual_add_nc_u32 v7, s46, v20
	v_dual_add_nc_u32 v9, s46, v21 :: v_dual_add_nc_u32 v11, s46, v22
	;; [unrolled: 1-line block ×4, first 2 shown]
	s_clause 0x3
	global_load_u16 v33, v5, s[36:37] scale_offset
	global_load_u16 v34, v7, s[36:37] scale_offset
	;; [unrolled: 1-line block ×4, first 2 shown]
	s_clause 0x3
	global_load_u16 v37, v4, s[34:35] scale_offset
	global_load_u16 v38, v6, s[34:35] scale_offset
	;; [unrolled: 1-line block ×4, first 2 shown]
	s_wait_xcnt 0x0
	s_and_saveexec_b32 s48, s1
	s_cbranch_execz .LBB472_19
; %bb.23:                               ;   in Loop: Header=BB472_21 Depth=2
	v_dual_ashrrev_i32 v5, 31, v4 :: v_dual_ashrrev_i32 v7, 31, v6
	v_dual_ashrrev_i32 v11, 31, v10 :: v_dual_ashrrev_i32 v9, 31, v8
	s_wait_loadcnt 0x7
	v_cvt_f32_f16_e32 v45, v33
	s_delay_alu instid0(VALU_DEP_3)
	v_lshl_add_u64 v[4:5], v[4:5], 1, s[34:35]
	v_lshl_add_u64 v[6:7], v[6:7], 1, s[34:35]
	;; [unrolled: 1-line block ×4, first 2 shown]
	s_wait_loadcnt 0x6
	v_cvt_f32_f16_e32 v46, v34
	s_clause 0x3
	global_load_u16 v41, v[4:5], off offset:128
	global_load_u16 v42, v[6:7], off offset:128
	;; [unrolled: 1-line block ×4, first 2 shown]
	s_wait_loadcnt 0x9
	v_cvt_f32_f16_e32 v47, v35
	s_wait_loadcnt 0x8
	v_cvt_f32_f16_e32 v48, v36
	s_wait_xcnt 0x0
	s_and_saveexec_b32 s49, s2
	s_cbranch_execz .LBB472_18
; %bb.24:                               ;   in Loop: Header=BB472_21 Depth=2
	s_clause 0x3
	global_load_u16 v49, v[4:5], off offset:256
	global_load_u16 v50, v[6:7], off offset:256
	;; [unrolled: 1-line block ×4, first 2 shown]
	s_wait_xcnt 0x0
	s_and_saveexec_b32 s50, s3
	s_cbranch_execz .LBB472_17
; %bb.25:                               ;   in Loop: Header=BB472_21 Depth=2
	s_clause 0x3
	global_load_u16 v53, v[4:5], off offset:384
	global_load_u16 v54, v[6:7], off offset:384
	;; [unrolled: 1-line block ×4, first 2 shown]
	s_wait_loadcnt 0x3
	s_wait_xcnt 0x3
	v_fma_mix_f32 v4, v45, v53, v29 op_sel_hi:[0,1,0]
	s_wait_loadcnt 0x2
	s_delay_alu instid0(VALU_DEP_1) | instskip(SKIP_1) | instid1(VALU_DEP_1)
	v_fma_mix_f32 v4, v46, v54, v4 op_sel_hi:[0,1,0]
	s_wait_loadcnt 0x1
	v_fma_mix_f32 v4, v47, v55, v4 op_sel_hi:[0,1,0]
	s_wait_loadcnt 0x0
	s_delay_alu instid0(VALU_DEP_1)
	v_fma_mix_f32 v29, v48, v56, v4 op_sel_hi:[0,1,0]
	s_branch .LBB472_17
.LBB472_26:                             ;   in Loop: Header=BB472_5 Depth=1
	s_or_b32 exec_lo, exec_lo, s45
.LBB472_27:                             ;   in Loop: Header=BB472_5 Depth=1
	s_delay_alu instid0(SALU_CYCLE_1) | instskip(NEXT) | instid1(SALU_CYCLE_1)
	s_or_b32 exec_lo, exec_lo, s7
	s_and_not1_b32 vcc_lo, exec_lo, s41
	s_cbranch_vccnz .LBB472_45
; %bb.28:                               ;   in Loop: Header=BB472_5 Depth=1
	v_cmp_gt_i32_e32 vcc_lo, s21, v12
	v_dual_mov_b32 v30, 0 :: v_dual_bitop2_b32 v4, 1, v12 bitop3:0x54
	v_dual_mov_b32 v31, 0 :: v_dual_mov_b32 v32, 0
	v_mov_b32_e32 v33, 0
	s_and_saveexec_b32 s45, vcc_lo
	s_cbranch_execz .LBB472_36
; %bb.29:                               ;   in Loop: Header=BB472_5 Depth=1
	v_mul_lo_u32 v5, v12, s18
	v_dual_mov_b32 v32, 0 :: v_dual_mov_b32 v31, 0
	v_mov_b32_e32 v30, 0
	s_mov_b32 s46, exec_lo
	global_load_u16 v5, v5, s[36:37] scale_offset
	s_wait_xcnt 0x0
	v_cmpx_gt_i32_e64 s21, v4
	s_cbranch_execz .LBB472_35
; %bb.30:                               ;   in Loop: Header=BB472_5 Depth=1
	v_mul_lo_u32 v6, v4, s18
	v_dual_mov_b32 v31, 0 :: v_dual_bitop2_b32 v7, 2, v12 bitop3:0x54
	v_mov_b32_e32 v30, 0
	s_mov_b32 s47, exec_lo
	global_load_u16 v6, v6, s[36:37] scale_offset
	s_wait_xcnt 0x0
	v_cmpx_gt_i32_e64 s21, v7
	s_cbranch_execz .LBB472_34
; %bb.31:                               ;   in Loop: Header=BB472_5 Depth=1
	v_mul_lo_u32 v7, v7, s18
	v_dual_mov_b32 v30, 0 :: v_dual_bitop2_b32 v8, 3, v12 bitop3:0x54
	s_mov_b32 s48, exec_lo
	global_load_u16 v7, v7, s[36:37] scale_offset
	s_wait_xcnt 0x0
	v_cmpx_gt_i32_e64 s21, v8
	s_cbranch_execz .LBB472_33
; %bb.32:                               ;   in Loop: Header=BB472_5 Depth=1
	v_mul_lo_u32 v8, v8, s18
	global_load_u16 v8, v8, s[36:37] scale_offset
	s_wait_loadcnt 0x0
	v_cvt_f32_f16_e32 v30, v8
.LBB472_33:                             ;   in Loop: Header=BB472_5 Depth=1
	s_wait_xcnt 0x0
	s_or_b32 exec_lo, exec_lo, s48
	s_wait_loadcnt 0x0
	v_cvt_f32_f16_e32 v31, v7
.LBB472_34:                             ;   in Loop: Header=BB472_5 Depth=1
	s_or_b32 exec_lo, exec_lo, s47
	s_wait_loadcnt 0x0
	v_cvt_f32_f16_e32 v32, v6
.LBB472_35:                             ;   in Loop: Header=BB472_5 Depth=1
	s_or_b32 exec_lo, exec_lo, s46
	s_wait_loadcnt 0x0
	v_cvt_f32_f16_e32 v33, v5
.LBB472_36:                             ;   in Loop: Header=BB472_5 Depth=1
	s_or_b32 exec_lo, exec_lo, s45
	s_and_saveexec_b32 s7, s0
	s_cbranch_execz .LBB472_44
; %bb.37:                               ;   in Loop: Header=BB472_5 Depth=1
	v_mul_lo_u32 v6, v12, s23
	v_or_b32_e32 v5, 2, v12
	v_mul_lo_u32 v8, v4, s23
	s_delay_alu instid0(VALU_DEP_3) | instskip(NEXT) | instid1(VALU_DEP_3)
	v_cndmask_b32_e32 v6, 0, v6, vcc_lo
	v_mul_lo_u32 v9, v5, s23
	v_cmp_gt_i32_e32 vcc_lo, s21, v4
	s_delay_alu instid0(VALU_DEP_4) | instskip(SKIP_1) | instid1(VALU_DEP_4)
	v_cndmask_b32_e32 v8, 0, v8, vcc_lo
	v_cmp_gt_i32_e32 vcc_lo, s21, v5
	v_dual_cndmask_b32 v5, 0, v9, vcc_lo :: v_dual_bitop2_b32 v7, 3, v12 bitop3:0x54
	s_delay_alu instid0(VALU_DEP_1) | instskip(SKIP_1) | instid1(VALU_DEP_2)
	v_mul_lo_u32 v10, v7, s23
	v_cmp_gt_i32_e32 vcc_lo, s21, v7
	v_dual_cndmask_b32 v7, 0, v10 :: v_dual_add_nc_u32 v4, v6, v15
	s_delay_alu instid0(VALU_DEP_4) | instskip(NEXT) | instid1(VALU_DEP_2)
	v_dual_add_nc_u32 v8, v8, v15 :: v_dual_add_nc_u32 v12, v5, v15
	v_add_nc_u32_e32 v10, v7, v15
	s_clause 0x3
	global_load_u16 v34, v4, s[34:35] scale_offset
	global_load_u16 v35, v8, s[34:35] scale_offset
	;; [unrolled: 1-line block ×4, first 2 shown]
	s_wait_xcnt 0x0
	s_and_saveexec_b32 s36, s1
	s_cbranch_execz .LBB472_43
; %bb.38:                               ;   in Loop: Header=BB472_5 Depth=1
	v_dual_ashrrev_i32 v5, 31, v4 :: v_dual_ashrrev_i32 v11, 31, v10
	v_ashrrev_i32_e32 v9, 31, v8
	v_ashrrev_i32_e32 v13, 31, v12
	s_delay_alu instid0(VALU_DEP_3) | instskip(NEXT) | instid1(VALU_DEP_4)
	v_lshl_add_u64 v[6:7], v[4:5], 1, s[34:35]
	v_lshl_add_u64 v[10:11], v[10:11], 1, s[34:35]
	s_delay_alu instid0(VALU_DEP_4) | instskip(NEXT) | instid1(VALU_DEP_4)
	v_lshl_add_u64 v[4:5], v[8:9], 1, s[34:35]
	v_lshl_add_u64 v[8:9], v[12:13], 1, s[34:35]
	s_clause 0x3
	global_load_u16 v12, v[6:7], off offset:128
	global_load_u16 v13, v[4:5], off offset:128
	;; [unrolled: 1-line block ×4, first 2 shown]
	s_wait_xcnt 0x0
	s_and_saveexec_b32 s34, s2
	s_cbranch_execz .LBB472_42
; %bb.39:                               ;   in Loop: Header=BB472_5 Depth=1
	s_clause 0x3
	global_load_u16 v40, v[6:7], off offset:256
	global_load_u16 v41, v[4:5], off offset:256
	global_load_u16 v42, v[8:9], off offset:256
	global_load_u16 v43, v[10:11], off offset:256
	s_wait_xcnt 0x0
	s_and_saveexec_b32 s35, s3
	s_cbranch_execz .LBB472_41
; %bb.40:                               ;   in Loop: Header=BB472_5 Depth=1
	s_clause 0x3
	global_load_u16 v44, v[6:7], off offset:384
	global_load_u16 v45, v[4:5], off offset:384
	;; [unrolled: 1-line block ×4, first 2 shown]
	s_wait_loadcnt 0x3
	s_wait_xcnt 0x2
	v_fma_mix_f32 v4, v33, v44, v29 op_sel_hi:[0,1,0]
	s_wait_loadcnt 0x2
	s_delay_alu instid0(VALU_DEP_1) | instskip(SKIP_1) | instid1(VALU_DEP_1)
	v_fma_mix_f32 v4, v32, v45, v4 op_sel_hi:[0,1,0]
	s_wait_loadcnt 0x1
	v_fma_mix_f32 v4, v31, v46, v4 op_sel_hi:[0,1,0]
	s_wait_loadcnt 0x0
	s_delay_alu instid0(VALU_DEP_1)
	v_fma_mix_f32 v29, v30, v47, v4 op_sel_hi:[0,1,0]
.LBB472_41:                             ;   in Loop: Header=BB472_5 Depth=1
	s_wait_xcnt 0x0
	s_or_b32 exec_lo, exec_lo, s35
	s_wait_loadcnt 0x3
	v_fma_mix_f32 v4, v33, v40, v28 op_sel_hi:[0,1,0]
	s_wait_loadcnt 0x2
	s_delay_alu instid0(VALU_DEP_1) | instskip(SKIP_1) | instid1(VALU_DEP_1)
	v_fma_mix_f32 v4, v32, v41, v4 op_sel_hi:[0,1,0]
	s_wait_loadcnt 0x1
	v_fma_mix_f32 v4, v31, v42, v4 op_sel_hi:[0,1,0]
	s_wait_loadcnt 0x0
	s_delay_alu instid0(VALU_DEP_1)
	v_fma_mix_f32 v28, v30, v43, v4 op_sel_hi:[0,1,0]
.LBB472_42:                             ;   in Loop: Header=BB472_5 Depth=1
	s_or_b32 exec_lo, exec_lo, s34
	s_wait_loadcnt 0x3
	v_fma_mix_f32 v4, v33, v12, v27 op_sel_hi:[0,1,0]
	s_wait_loadcnt 0x2
	s_delay_alu instid0(VALU_DEP_1) | instskip(SKIP_1) | instid1(VALU_DEP_1)
	v_fma_mix_f32 v4, v32, v13, v4 op_sel_hi:[0,1,0]
	s_wait_loadcnt 0x1
	v_fma_mix_f32 v4, v31, v38, v4 op_sel_hi:[0,1,0]
	s_wait_loadcnt 0x0
	s_delay_alu instid0(VALU_DEP_1)
	v_fma_mix_f32 v27, v30, v39, v4 op_sel_hi:[0,1,0]
.LBB472_43:                             ;   in Loop: Header=BB472_5 Depth=1
	s_or_b32 exec_lo, exec_lo, s36
	s_wait_loadcnt 0x3
	v_fma_mix_f32 v4, v33, v34, v26 op_sel_hi:[0,1,0]
	s_wait_loadcnt 0x2
	s_delay_alu instid0(VALU_DEP_1) | instskip(SKIP_1) | instid1(VALU_DEP_1)
	v_fma_mix_f32 v4, v32, v35, v4 op_sel_hi:[0,1,0]
	s_wait_loadcnt 0x1
	v_fma_mix_f32 v4, v31, v36, v4 op_sel_hi:[0,1,0]
	s_wait_loadcnt 0x0
	s_delay_alu instid0(VALU_DEP_1)
	v_fma_mix_f32 v26, v30, v37, v4 op_sel_hi:[0,1,0]
.LBB472_44:                             ;   in Loop: Header=BB472_5 Depth=1
	s_or_b32 exec_lo, exec_lo, s7
.LBB472_45:                             ;   in Loop: Header=BB472_5 Depth=1
	ds_store_2addr_stride64_b32 v16, v26, v27 offset1:1
	ds_store_2addr_stride64_b32 v16, v28, v29 offset0:2 offset1:3
	s_wait_dscnt 0x0
	s_barrier_signal -1
	s_barrier_wait -1
                                        ; implicit-def: $vgpr6
	s_and_saveexec_b32 s7, s5
	s_cbranch_execz .LBB472_51
; %bb.46:                               ;   in Loop: Header=BB472_5 Depth=1
	ds_load_2addr_stride64_b32 v[4:5], v17 offset1:4
	ds_load_2addr_stride64_b32 v[6:7], v17 offset0:8 offset1:12
	s_mov_b32 s35, s44
	s_wait_dscnt 0x1
	v_add_f32_e32 v4, v4, v5
	s_wait_dscnt 0x0
	s_delay_alu instid0(VALU_DEP_1) | instskip(NEXT) | instid1(VALU_DEP_1)
	v_add_f32_e32 v4, v6, v4
                                        ; implicit-def: $vgpr6
	v_add_f32_e32 v4, v7, v4
	ds_store_b32 v17, v4
	s_and_saveexec_b32 s34, s6
	s_cbranch_execz .LBB472_50
; %bb.47:                               ;   in Loop: Header=BB472_5 Depth=1
	v_mul_f32_e32 v6, s22, v4
	s_and_not1_b32 vcc_lo, exec_lo, s39
	s_cbranch_vccnz .LBB472_49
; %bb.48:                               ;   in Loop: Header=BB472_5 Depth=1
	v_lshl_add_u64 v[4:5], v[2:3], 2, s[30:31]
	global_load_b32 v4, v[4:5], off
	s_wait_loadcnt 0x0
	v_fmac_f32_e32 v6, s26, v4
.LBB472_49:                             ;   in Loop: Header=BB472_5 Depth=1
	s_or_b32 s35, s44, exec_lo
.LBB472_50:                             ;   in Loop: Header=BB472_5 Depth=1
	s_wait_xcnt 0x0
	s_or_b32 exec_lo, exec_lo, s34
	s_delay_alu instid0(SALU_CYCLE_1) | instskip(SKIP_1) | instid1(SALU_CYCLE_1)
	s_and_not1_b32 s34, s44, exec_lo
	s_and_b32 s35, s35, exec_lo
	s_or_b32 s44, s34, s35
.LBB472_51:                             ;   in Loop: Header=BB472_5 Depth=1
	s_or_b32 exec_lo, exec_lo, s7
	v_mov_b64_e32 v[4:5], v[2:3]
	s_and_saveexec_b32 s7, s44
	s_cbranch_execz .LBB472_3
.LBB472_52:                             ;   in Loop: Header=BB472_5 Depth=1
	s_delay_alu instid0(VALU_DEP_1)
	v_lshl_add_u64 v[4:5], v[4:5], 2, s[30:31]
	global_store_b32 v[4:5], v6, off
	s_branch .LBB472_3
.LBB472_53:
	s_endpgm
	.section	.rodata,"a",@progbits
	.p2align	6, 0x0
	.amdhsa_kernel _ZL20rocblas_gemvn_kernelILi64ELi4EiDF16_ffEviiT3_lPKT2_lT1_lS3_lS4_lS0_lPT4_lS4_li
		.amdhsa_group_segment_fixed_size 4096
		.amdhsa_private_segment_fixed_size 0
		.amdhsa_kernarg_size 400
		.amdhsa_user_sgpr_count 2
		.amdhsa_user_sgpr_dispatch_ptr 0
		.amdhsa_user_sgpr_queue_ptr 0
		.amdhsa_user_sgpr_kernarg_segment_ptr 1
		.amdhsa_user_sgpr_dispatch_id 0
		.amdhsa_user_sgpr_kernarg_preload_length 0
		.amdhsa_user_sgpr_kernarg_preload_offset 0
		.amdhsa_user_sgpr_private_segment_size 0
		.amdhsa_wavefront_size32 1
		.amdhsa_uses_dynamic_stack 0
		.amdhsa_enable_private_segment 0
		.amdhsa_system_sgpr_workgroup_id_x 1
		.amdhsa_system_sgpr_workgroup_id_y 0
		.amdhsa_system_sgpr_workgroup_id_z 1
		.amdhsa_system_sgpr_workgroup_info 0
		.amdhsa_system_vgpr_workitem_id 1
		.amdhsa_next_free_vgpr 57
		.amdhsa_next_free_sgpr 51
		.amdhsa_named_barrier_count 0
		.amdhsa_reserve_vcc 1
		.amdhsa_float_round_mode_32 0
		.amdhsa_float_round_mode_16_64 0
		.amdhsa_float_denorm_mode_32 3
		.amdhsa_float_denorm_mode_16_64 3
		.amdhsa_fp16_overflow 0
		.amdhsa_memory_ordered 1
		.amdhsa_forward_progress 1
		.amdhsa_inst_pref_size 23
		.amdhsa_round_robin_scheduling 0
		.amdhsa_exception_fp_ieee_invalid_op 0
		.amdhsa_exception_fp_denorm_src 0
		.amdhsa_exception_fp_ieee_div_zero 0
		.amdhsa_exception_fp_ieee_overflow 0
		.amdhsa_exception_fp_ieee_underflow 0
		.amdhsa_exception_fp_ieee_inexact 0
		.amdhsa_exception_int_div_zero 0
	.end_amdhsa_kernel
	.section	.text._ZL20rocblas_gemvn_kernelILi64ELi4EiDF16_ffEviiT3_lPKT2_lT1_lS3_lS4_lS0_lPT4_lS4_li,"axG",@progbits,_ZL20rocblas_gemvn_kernelILi64ELi4EiDF16_ffEviiT3_lPKT2_lT1_lS3_lS4_lS0_lPT4_lS4_li,comdat
.Lfunc_end472:
	.size	_ZL20rocblas_gemvn_kernelILi64ELi4EiDF16_ffEviiT3_lPKT2_lT1_lS3_lS4_lS0_lPT4_lS4_li, .Lfunc_end472-_ZL20rocblas_gemvn_kernelILi64ELi4EiDF16_ffEviiT3_lPKT2_lT1_lS3_lS4_lS0_lPT4_lS4_li
                                        ; -- End function
	.set _ZL20rocblas_gemvn_kernelILi64ELi4EiDF16_ffEviiT3_lPKT2_lT1_lS3_lS4_lS0_lPT4_lS4_li.num_vgpr, 57
	.set _ZL20rocblas_gemvn_kernelILi64ELi4EiDF16_ffEviiT3_lPKT2_lT1_lS3_lS4_lS0_lPT4_lS4_li.num_agpr, 0
	.set _ZL20rocblas_gemvn_kernelILi64ELi4EiDF16_ffEviiT3_lPKT2_lT1_lS3_lS4_lS0_lPT4_lS4_li.numbered_sgpr, 51
	.set _ZL20rocblas_gemvn_kernelILi64ELi4EiDF16_ffEviiT3_lPKT2_lT1_lS3_lS4_lS0_lPT4_lS4_li.num_named_barrier, 0
	.set _ZL20rocblas_gemvn_kernelILi64ELi4EiDF16_ffEviiT3_lPKT2_lT1_lS3_lS4_lS0_lPT4_lS4_li.private_seg_size, 0
	.set _ZL20rocblas_gemvn_kernelILi64ELi4EiDF16_ffEviiT3_lPKT2_lT1_lS3_lS4_lS0_lPT4_lS4_li.uses_vcc, 1
	.set _ZL20rocblas_gemvn_kernelILi64ELi4EiDF16_ffEviiT3_lPKT2_lT1_lS3_lS4_lS0_lPT4_lS4_li.uses_flat_scratch, 0
	.set _ZL20rocblas_gemvn_kernelILi64ELi4EiDF16_ffEviiT3_lPKT2_lT1_lS3_lS4_lS0_lPT4_lS4_li.has_dyn_sized_stack, 0
	.set _ZL20rocblas_gemvn_kernelILi64ELi4EiDF16_ffEviiT3_lPKT2_lT1_lS3_lS4_lS0_lPT4_lS4_li.has_recursion, 0
	.set _ZL20rocblas_gemvn_kernelILi64ELi4EiDF16_ffEviiT3_lPKT2_lT1_lS3_lS4_lS0_lPT4_lS4_li.has_indirect_call, 0
	.section	.AMDGPU.csdata,"",@progbits
; Kernel info:
; codeLenInByte = 2852
; TotalNumSgprs: 53
; NumVgprs: 57
; ScratchSize: 0
; MemoryBound: 0
; FloatMode: 240
; IeeeMode: 1
; LDSByteSize: 4096 bytes/workgroup (compile time only)
; SGPRBlocks: 0
; VGPRBlocks: 3
; NumSGPRsForWavesPerEU: 53
; NumVGPRsForWavesPerEU: 57
; NamedBarCnt: 0
; Occupancy: 16
; WaveLimiterHint : 1
; COMPUTE_PGM_RSRC2:SCRATCH_EN: 0
; COMPUTE_PGM_RSRC2:USER_SGPR: 2
; COMPUTE_PGM_RSRC2:TRAP_HANDLER: 0
; COMPUTE_PGM_RSRC2:TGID_X_EN: 1
; COMPUTE_PGM_RSRC2:TGID_Y_EN: 0
; COMPUTE_PGM_RSRC2:TGID_Z_EN: 1
; COMPUTE_PGM_RSRC2:TIDIG_COMP_CNT: 1
	.section	.text._ZL20rocblas_gemvn_kernelILi64ELi4ElDF16_ffEviiT3_lPKT2_lT1_lS3_lS4_lS0_lPT4_lS4_li,"axG",@progbits,_ZL20rocblas_gemvn_kernelILi64ELi4ElDF16_ffEviiT3_lPKT2_lT1_lS3_lS4_lS0_lPT4_lS4_li,comdat
	.globl	_ZL20rocblas_gemvn_kernelILi64ELi4ElDF16_ffEviiT3_lPKT2_lT1_lS3_lS4_lS0_lPT4_lS4_li ; -- Begin function _ZL20rocblas_gemvn_kernelILi64ELi4ElDF16_ffEviiT3_lPKT2_lT1_lS3_lS4_lS0_lPT4_lS4_li
	.p2align	8
	.type	_ZL20rocblas_gemvn_kernelILi64ELi4ElDF16_ffEviiT3_lPKT2_lT1_lS3_lS4_lS0_lPT4_lS4_li,@function
_ZL20rocblas_gemvn_kernelILi64ELi4ElDF16_ffEviiT3_lPKT2_lT1_lS3_lS4_lS0_lPT4_lS4_li: ; @_ZL20rocblas_gemvn_kernelILi64ELi4ElDF16_ffEviiT3_lPKT2_lT1_lS3_lS4_lS0_lPT4_lS4_li
; %bb.0:
	s_load_b64 s[2:3], s[0:1], 0x9c
	s_wait_kmcnt 0x0
	s_lshr_b32 s4, s2, 16
	s_and_b32 s2, s2, 0xffff
	s_and_b32 s3, s3, 0xffff
	s_mul_i32 s2, s4, s2
	s_delay_alu instid0(SALU_CYCLE_1) | instskip(NEXT) | instid1(SALU_CYCLE_1)
	s_mul_i32 s2, s2, s3
	s_cmp_lg_u32 s2, 0x100
	s_cbranch_scc1 .LBB473_53
; %bb.1:
	s_load_b32 s33, s[0:1], 0x88
	s_bfe_u32 s2, ttmp6, 0x40014
	s_lshr_b32 s3, ttmp7, 16
	s_add_co_i32 s2, s2, 1
	s_bfe_u32 s4, ttmp6, 0x40008
	s_mul_i32 s2, s3, s2
	s_getreg_b32 s6, hwreg(HW_REG_IB_STS2, 6, 4)
	s_add_co_i32 s4, s4, s2
	s_cmp_eq_u32 s6, 0
	s_mov_b32 s35, 0
	s_cselect_b32 s34, s3, s4
	s_wait_kmcnt 0x0
	s_cmp_ge_u32 s34, s33
	s_cbranch_scc1 .LBB473_53
; %bb.2:
	s_clause 0x3
	s_load_b512 s[8:23], s[0:1], 0x18
	s_load_b256 s[24:31], s[0:1], 0x68
	s_load_b96 s[36:38], s[0:1], 0x0
	s_load_b32 s39, s[0:1], 0x58
	v_and_b32_e32 v6, 0x3ff, v0
	v_bfe_u32 v2, v0, 10, 10
	s_delay_alu instid0(VALU_DEP_2) | instskip(NEXT) | instid1(VALU_DEP_2)
	v_dual_mov_b32 v1, 0 :: v_dual_lshlrev_b32 v0, 2, v6
	v_lshl_add_u32 v7, v2, 6, v6
	s_delay_alu instid0(VALU_DEP_2) | instskip(NEXT) | instid1(VALU_DEP_3)
	v_dual_mov_b32 v3, v1 :: v_dual_lshlrev_b32 v48, 2, v2
	v_lshl_add_u32 v49, v2, 10, v0
	v_lshl_add_u32 v50, v2, 8, v0
	s_wait_xcnt 0x0
	v_cmp_gt_u32_e64 s0, 0x100, v7
	s_wait_kmcnt 0x0
	s_lshl_b64 s[4:5], s[10:11], 1
	s_lshl_b64 s[10:11], s[18:19], 1
	;; [unrolled: 1-line block ×3, first 2 shown]
	s_cmp_eq_f32 s38, 0
	v_mul_u64_e32 v[10:11], s[20:21], v[2:3]
	v_mul_u64_e32 v[12:13], s[12:13], v[2:3]
	v_mad_nc_u64_u32 v[4:5], s20, v48, s[20:21]
	s_cselect_b32 s46, -1, 0
	s_cmp_neq_f32 s38, 0
	v_mad_nc_u64_u32 v[8:9], s12, v48, s[12:13]
	s_add_nc_u64 s[24:25], s[24:25], s[2:3]
	s_add_nc_u64 s[26:27], s[16:17], s[10:11]
	s_cselect_b32 s1, -1, 0
	s_cmp_neq_f32 s39, 1.0
	s_cselect_b32 s7, -1, 0
	s_bfe_u32 s18, ttmp6, 0x4000c
	s_and_b32 s19, ttmp6, 15
	s_add_co_i32 s18, s18, 1
	s_or_b32 s47, s1, s7
	s_mul_i32 s18, ttmp9, s18
	v_mad_u32 v5, s21, v48, v5
	s_add_co_i32 s19, s19, s18
	s_cmp_eq_u32 s6, 0
	s_mov_b32 s6, s36
	s_cselect_b32 s1, ttmp9, s19
	s_ashr_i32 s7, s36, 31
	s_lshl_b32 s1, s1, 8
	s_cmp_neq_f32 s39, 0
	v_dual_add_nc_u32 v0, s1, v7 :: v_dual_bitop2_b32 v14, s1, v7 bitop3:0x54
	v_or_b32_e32 v24, s1, v6
	v_mad_u32 v9, s13, v48, v9
	s_cselect_b32 s48, -1, 0
	s_delay_alu instid0(VALU_DEP_3)
	v_cmp_gt_i64_e32 vcc_lo, s[6:7], v[0:1]
	v_mul_u64_e32 v[2:3], s[28:29], v[0:1]
	v_dual_ashrrev_i32 v15, 31, v14 :: v_dual_bitop2_b32 v0, 3, v48 bitop3:0x54
	s_ashr_i32 s1, s37, 31
	v_ashrrev_i32_e32 v25, 31, v24
	s_lshr_b32 s3, s1, 28
	s_delay_alu instid0(VALU_DEP_2)
	v_mul_u64_e32 v[16:17], s[12:13], v[0:1]
	v_mul_u64_e32 v[18:19], s[20:21], v[0:1]
	v_or_b32_e32 v0, 2, v48
	v_mul_u64_e32 v[6:7], s[28:29], v[14:15]
	v_add_nc_u32_e32 v15, 0x80, v24
	s_add_co_i32 s3, s37, s3
	v_add_nc_u32_e32 v26, 0xc0, v24
	v_mul_u64_e32 v[20:21], s[12:13], v[0:1]
	v_mul_u64_e32 v[22:23], s[20:21], v[0:1]
	v_add_nc_u32_e32 v0, 64, v24
	s_and_b32 s49, s3, -16
	s_add_nc_u64 s[18:19], s[8:9], s[4:5]
	v_cmp_gt_i32_e64 s2, s36, v14
	v_cmp_gt_i32_e64 s4, s36, v15
	s_sub_co_i32 s6, s37, s49
	v_lshlrev_b64_e32 v[14:15], 1, v[24:25]
	v_lshl_add_u64 v[4:5], v[4:5], 1, s[16:17]
	v_lshl_add_u64 v[8:9], v[8:9], 1, s[18:19]
	v_cmp_gt_i32_e64 s1, s36, v24
	v_lshl_add_u64 v[10:11], v[10:11], 3, s[16:17]
	v_lshl_add_u64 v[12:13], v[12:13], 3, s[18:19]
	v_cmp_gt_i32_e64 s3, s36, v0
	v_cmp_gt_i32_e64 s5, s36, v26
	s_cmp_gt_i32 s6, 0
	v_cmp_gt_i32_e64 s6, s49, v48
	s_cselect_b32 s36, -1, 0
	s_and_b32 s50, s0, vcc_lo
	s_lshl_b64 s[28:29], s[22:23], 1
	s_lshl_b64 s[40:41], s[14:15], 1
	;; [unrolled: 1-line block ×3, first 2 shown]
	v_lshl_add_u64 v[16:17], v[16:17], 1, s[18:19]
	v_lshl_add_u64 v[18:19], v[18:19], 1, s[16:17]
	;; [unrolled: 1-line block ×4, first 2 shown]
	s_lshl_b64 s[16:17], s[20:21], 5
	s_branch .LBB473_5
.LBB473_3:                              ;   in Loop: Header=BB473_5 Depth=1
	s_wait_xcnt 0x0
	s_or_b32 exec_lo, exec_lo, s7
.LBB473_4:                              ;   in Loop: Header=BB473_5 Depth=1
	s_add_co_i32 s34, s34, 0x10000
	s_delay_alu instid0(SALU_CYCLE_1)
	s_cmp_lt_u32 s34, s33
	s_cbranch_scc0 .LBB473_53
.LBB473_5:                              ; =>This Loop Header: Depth=1
                                        ;     Child Loop BB473_21 Depth 2
	s_and_not1_b32 vcc_lo, exec_lo, s47
	s_cbranch_vccnz .LBB473_4
; %bb.6:                                ;   in Loop: Header=BB473_5 Depth=1
	s_mul_u64 s[8:9], s[30:31], s[34:35]
	s_and_not1_b32 vcc_lo, exec_lo, s46
	s_lshl_b64 s[8:9], s[8:9], 2
	s_delay_alu instid0(SALU_CYCLE_1)
	s_add_nc_u64 s[44:45], s[24:25], s[8:9]
	s_cbranch_vccnz .LBB473_10
; %bb.7:                                ;   in Loop: Header=BB473_5 Depth=1
	s_mov_b32 s7, 0
	s_mov_b32 s51, 0
                                        ; implicit-def: $vgpr0
	s_and_saveexec_b32 s8, s50
	s_cbranch_execz .LBB473_11
; %bb.8:                                ;   in Loop: Header=BB473_5 Depth=1
	s_and_not1_b32 vcc_lo, exec_lo, s48
	s_cbranch_vccnz .LBB473_13
; %bb.9:                                ;   in Loop: Header=BB473_5 Depth=1
	v_lshl_add_u64 v[24:25], v[2:3], 2, s[44:45]
	global_load_b32 v0, v[24:25], off
	s_wait_loadcnt 0x0
	v_mul_f32_e32 v0, s39, v0
	s_branch .LBB473_14
.LBB473_10:                             ;   in Loop: Header=BB473_5 Depth=1
	s_mov_b32 s51, 0
                                        ; implicit-def: $vgpr0
	s_cbranch_execz .LBB473_12
	s_branch .LBB473_15
.LBB473_11:                             ;   in Loop: Header=BB473_5 Depth=1
	s_or_b32 exec_lo, exec_lo, s8
	s_delay_alu instid0(SALU_CYCLE_1)
	s_and_b32 vcc_lo, exec_lo, s7
	s_cbranch_vccnz .LBB473_15
.LBB473_12:                             ;   in Loop: Header=BB473_5 Depth=1
	v_mov_b64_e32 v[24:25], v[2:3]
	s_and_saveexec_b32 s7, s51
	s_cbranch_execz .LBB473_3
	s_branch .LBB473_52
.LBB473_13:                             ;   in Loop: Header=BB473_5 Depth=1
	v_mov_b32_e32 v0, 0
.LBB473_14:                             ;   in Loop: Header=BB473_5 Depth=1
	s_mov_b32 s51, exec_lo
	s_wait_xcnt 0x0
	s_or_b32 exec_lo, exec_lo, s8
	s_delay_alu instid0(SALU_CYCLE_1)
	s_and_b32 vcc_lo, exec_lo, s7
	s_cbranch_vccz .LBB473_12
.LBB473_15:                             ;   in Loop: Header=BB473_5 Depth=1
	v_dual_mov_b32 v51, 0 :: v_dual_mov_b32 v0, v48
	v_dual_mov_b32 v52, 0 :: v_dual_mov_b32 v53, 0
	v_mov_b32_e32 v54, 0
	s_and_saveexec_b32 s7, s6
	s_cbranch_execz .LBB473_27
; %bb.16:                               ;   in Loop: Header=BB473_5 Depth=1
	s_mul_u64 s[8:9], s[28:29], s[34:35]
	s_mul_u64 s[52:53], s[40:41], s[34:35]
	v_add_nc_u64_e32 v[24:25], s[8:9], v[10:11]
	v_add_nc_u64_e32 v[26:27], s[52:53], v[16:17]
	;; [unrolled: 1-line block ×8, first 2 shown]
	v_dual_mov_b32 v51, 0 :: v_dual_mov_b32 v0, v48
	v_dual_mov_b32 v52, 0 :: v_dual_mov_b32 v53, 0
	v_mov_b32_e32 v54, 0
	s_mov_b32 s8, 0
	s_branch .LBB473_21
.LBB473_17:                             ;   in Loop: Header=BB473_21 Depth=2
	s_wait_xcnt 0x0
	s_or_b32 exec_lo, exec_lo, s54
	s_wait_loadcnt 0x3
	v_fma_mix_f32 v40, v67, v71, v53 op_sel_hi:[0,1,0]
	s_wait_loadcnt 0x2
	s_delay_alu instid0(VALU_DEP_1) | instskip(SKIP_1) | instid1(VALU_DEP_1)
	v_fma_mix_f32 v40, v68, v72, v40 op_sel_hi:[0,1,0]
	s_wait_loadcnt 0x1
	v_fma_mix_f32 v40, v69, v73, v40 op_sel_hi:[0,1,0]
	s_wait_loadcnt 0x0
	s_delay_alu instid0(VALU_DEP_1)
	v_fma_mix_f32 v53, v70, v74, v40 op_sel_hi:[0,1,0]
.LBB473_18:                             ;   in Loop: Header=BB473_21 Depth=2
	s_or_b32 exec_lo, exec_lo, s53
	s_wait_loadcnt 0x3
	v_fma_mix_f32 v40, v67, v63, v52 op_sel_hi:[0,1,0]
	s_wait_loadcnt 0x2
	s_delay_alu instid0(VALU_DEP_1) | instskip(SKIP_1) | instid1(VALU_DEP_1)
	v_fma_mix_f32 v40, v68, v64, v40 op_sel_hi:[0,1,0]
	s_wait_loadcnt 0x1
	v_fma_mix_f32 v40, v69, v65, v40 op_sel_hi:[0,1,0]
	s_wait_loadcnt 0x0
	s_delay_alu instid0(VALU_DEP_1)
	v_fma_mix_f32 v52, v70, v66, v40 op_sel_hi:[0,1,0]
.LBB473_19:                             ;   in Loop: Header=BB473_21 Depth=2
	s_or_b32 exec_lo, exec_lo, s52
	s_wait_loadcnt 0x3
	v_fma_mix_f32 v40, v55, v59, v51 op_sel_hi:[1,1,0]
	s_wait_loadcnt 0x2
	s_delay_alu instid0(VALU_DEP_1) | instskip(SKIP_1) | instid1(VALU_DEP_1)
	v_fma_mix_f32 v40, v56, v60, v40 op_sel_hi:[1,1,0]
	s_wait_loadcnt 0x1
	v_fma_mix_f32 v40, v57, v61, v40 op_sel_hi:[1,1,0]
	s_wait_loadcnt 0x0
	s_delay_alu instid0(VALU_DEP_1)
	v_fma_mix_f32 v51, v58, v62, v40 op_sel_hi:[1,1,0]
.LBB473_20:                             ;   in Loop: Header=BB473_21 Depth=2
	s_or_b32 exec_lo, exec_lo, s9
	v_add_nc_u32_e32 v0, 16, v0
	v_add_nc_u64_e32 v[24:25], s[16:17], v[24:25]
	v_add_nc_u64_e32 v[26:27], s[42:43], v[26:27]
	;; [unrolled: 1-line block ×7, first 2 shown]
	v_cmp_le_i32_e32 vcc_lo, s49, v0
	v_add_nc_u64_e32 v[38:39], s[42:43], v[38:39]
	s_or_b32 s8, vcc_lo, s8
	s_delay_alu instid0(SALU_CYCLE_1)
	s_and_not1_b32 exec_lo, exec_lo, s8
	s_cbranch_execz .LBB473_26
.LBB473_21:                             ;   Parent Loop BB473_5 Depth=1
                                        ; =>  This Inner Loop Header: Depth=2
	s_and_saveexec_b32 s9, s1
	s_cbranch_execz .LBB473_20
; %bb.22:                               ;   in Loop: Header=BB473_21 Depth=2
	v_add_nc_u64_e32 v[46:47], s[10:11], v[24:25]
	v_add_nc_u64_e32 v[64:65], s[10:11], v[36:37]
	;; [unrolled: 1-line block ×7, first 2 shown]
	global_load_u16 v55, v[46:47], off
	s_wait_xcnt 0x0
	v_add_nc_u64_e32 v[46:47], v[26:27], v[14:15]
	global_load_u16 v56, v[64:65], off
	global_load_u16 v57, v[66:67], off
	;; [unrolled: 1-line block ×7, first 2 shown]
	s_wait_xcnt 0x0
	s_and_saveexec_b32 s52, s3
	s_cbranch_execz .LBB473_19
; %bb.23:                               ;   in Loop: Header=BB473_21 Depth=2
	global_load_u16 v63, v[40:41], off offset:128
	global_load_u16 v64, v[42:43], off offset:128
	;; [unrolled: 1-line block ×4, first 2 shown]
	s_wait_loadcnt 0xb
	v_cvt_f32_f16_e32 v67, v55
	s_wait_loadcnt 0xa
	v_cvt_f32_f16_e32 v68, v56
	;; [unrolled: 2-line block ×4, first 2 shown]
	s_wait_xcnt 0x0
	s_and_saveexec_b32 s53, s4
	s_cbranch_execz .LBB473_18
; %bb.24:                               ;   in Loop: Header=BB473_21 Depth=2
	global_load_u16 v71, v[40:41], off offset:256
	global_load_u16 v72, v[42:43], off offset:256
	;; [unrolled: 1-line block ×4, first 2 shown]
	s_wait_xcnt 0x0
	s_and_saveexec_b32 s54, s5
	s_cbranch_execz .LBB473_17
; %bb.25:                               ;   in Loop: Header=BB473_21 Depth=2
	global_load_u16 v40, v[40:41], off offset:384
	global_load_u16 v41, v[42:43], off offset:384
	;; [unrolled: 1-line block ×4, first 2 shown]
	s_wait_loadcnt 0x3
	v_fma_mix_f32 v40, v67, v40, v54 op_sel_hi:[0,1,0]
	s_wait_loadcnt 0x2
	s_delay_alu instid0(VALU_DEP_1) | instskip(SKIP_1) | instid1(VALU_DEP_1)
	v_fma_mix_f32 v40, v68, v41, v40 op_sel_hi:[0,1,0]
	s_wait_loadcnt 0x1
	v_fma_mix_f32 v40, v69, v42, v40 op_sel_hi:[0,1,0]
	s_wait_loadcnt 0x0
	s_delay_alu instid0(VALU_DEP_1)
	v_fma_mix_f32 v54, v70, v43, v40 op_sel_hi:[0,1,0]
	s_branch .LBB473_17
.LBB473_26:                             ;   in Loop: Header=BB473_5 Depth=1
	s_or_b32 exec_lo, exec_lo, s8
.LBB473_27:                             ;   in Loop: Header=BB473_5 Depth=1
	s_delay_alu instid0(SALU_CYCLE_1) | instskip(NEXT) | instid1(SALU_CYCLE_1)
	s_or_b32 exec_lo, exec_lo, s7
	s_and_not1_b32 vcc_lo, exec_lo, s36
	s_cbranch_vccnz .LBB473_45
; %bb.28:                               ;   in Loop: Header=BB473_5 Depth=1
	v_cmp_gt_i32_e32 vcc_lo, s37, v0
	v_dual_mov_b32 v32, 0 :: v_dual_bitop2_b32 v24, 1, v0 bitop3:0x54
	v_dual_mov_b32 v33, 0 :: v_dual_mov_b32 v34, 0
	v_mov_b32_e32 v35, 0
	s_and_saveexec_b32 s52, vcc_lo
	s_cbranch_execz .LBB473_36
; %bb.29:                               ;   in Loop: Header=BB473_5 Depth=1
	v_mul_u64_e32 v[26:27], s[20:21], v[0:1]
	s_mul_u64 s[8:9], s[22:23], s[34:35]
	v_dual_mov_b32 v34, 0 :: v_dual_mov_b32 v33, 0
	s_lshl_b64 s[8:9], s[8:9], 1
	v_mov_b32_e32 v32, 0
	s_add_nc_u64 s[8:9], s[26:27], s[8:9]
	s_mov_b32 s53, exec_lo
	s_delay_alu instid0(VALU_DEP_3)
	v_lshl_add_u64 v[26:27], v[26:27], 1, s[8:9]
	global_load_u16 v28, v[26:27], off
	s_wait_xcnt 0x0
	v_cmpx_gt_i32_e64 s37, v24
	s_cbranch_execz .LBB473_35
; %bb.30:                               ;   in Loop: Header=BB473_5 Depth=1
	v_dual_mov_b32 v25, v1 :: v_dual_mov_b32 v33, 0
	v_mov_b32_e32 v32, 0
	s_mov_b32 s54, exec_lo
	s_delay_alu instid0(VALU_DEP_2) | instskip(NEXT) | instid1(VALU_DEP_1)
	v_mul_u64_e32 v[26:27], s[20:21], v[24:25]
	v_lshl_add_u64 v[26:27], v[26:27], 1, s[8:9]
	global_load_u16 v25, v[26:27], off
	s_wait_xcnt 0x0
	v_or_b32_e32 v26, 2, v0
	s_delay_alu instid0(VALU_DEP_1)
	v_cmpx_gt_i32_e64 s37, v26
	s_cbranch_execz .LBB473_34
; %bb.31:                               ;   in Loop: Header=BB473_5 Depth=1
	v_dual_mov_b32 v27, v1 :: v_dual_mov_b32 v32, 0
	s_mov_b32 s55, exec_lo
	s_delay_alu instid0(VALU_DEP_1) | instskip(NEXT) | instid1(VALU_DEP_1)
	v_mul_u64_e32 v[26:27], s[20:21], v[26:27]
	v_lshl_add_u64 v[26:27], v[26:27], 1, s[8:9]
	global_load_u16 v29, v[26:27], off
	s_wait_xcnt 0x0
	v_or_b32_e32 v26, 3, v0
	s_delay_alu instid0(VALU_DEP_1)
	v_cmpx_gt_i32_e64 s37, v26
	s_cbranch_execz .LBB473_33
; %bb.32:                               ;   in Loop: Header=BB473_5 Depth=1
	v_mov_b32_e32 v27, v1
	s_delay_alu instid0(VALU_DEP_1) | instskip(NEXT) | instid1(VALU_DEP_1)
	v_mul_u64_e32 v[26:27], s[20:21], v[26:27]
	v_lshl_add_u64 v[26:27], v[26:27], 1, s[8:9]
	global_load_u16 v26, v[26:27], off
	s_wait_loadcnt 0x0
	v_cvt_f32_f16_e32 v32, v26
.LBB473_33:                             ;   in Loop: Header=BB473_5 Depth=1
	s_wait_xcnt 0x0
	s_or_b32 exec_lo, exec_lo, s55
	s_wait_loadcnt 0x0
	v_cvt_f32_f16_e32 v33, v29
.LBB473_34:                             ;   in Loop: Header=BB473_5 Depth=1
	s_or_b32 exec_lo, exec_lo, s54
	s_wait_loadcnt 0x0
	v_cvt_f32_f16_e32 v34, v25
.LBB473_35:                             ;   in Loop: Header=BB473_5 Depth=1
	s_or_b32 exec_lo, exec_lo, s53
	s_wait_loadcnt 0x0
	v_cvt_f32_f16_e32 v35, v28
.LBB473_36:                             ;   in Loop: Header=BB473_5 Depth=1
	s_or_b32 exec_lo, exec_lo, s52
	s_and_saveexec_b32 s52, s1
	s_cbranch_execz .LBB473_44
; %bb.37:                               ;   in Loop: Header=BB473_5 Depth=1
	v_dual_mov_b32 v25, v1 :: v_dual_bitop2_b32 v26, 2, v0 bitop3:0x54
	v_mov_b32_e32 v27, v1
	v_mul_u64_e32 v[28:29], s[12:13], v[0:1]
	v_or_b32_e32 v0, 3, v0
	s_delay_alu instid0(VALU_DEP_4)
	v_mul_u64_e32 v[30:31], s[12:13], v[24:25]
	s_mul_u64 s[8:9], s[14:15], s[34:35]
	v_mul_u64_e32 v[36:37], s[12:13], v[26:27]
	v_cmp_gt_i32_e64 s7, s37, v24
	v_mul_u64_e32 v[38:39], s[12:13], v[0:1]
	s_lshl_b64 s[54:55], s[8:9], 1
	v_cmp_gt_i32_e64 s8, s37, v26
	v_cmp_gt_i32_e64 s9, s37, v0
	v_dual_cndmask_b32 v25, 0, v29 :: v_dual_cndmask_b32 v24, 0, v28
	v_dual_cndmask_b32 v27, 0, v31, s7 :: v_dual_cndmask_b32 v26, 0, v30, s7
	s_delay_alu instid0(VALU_DEP_4) | instskip(NEXT) | instid1(VALU_DEP_4)
	v_dual_cndmask_b32 v29, 0, v37, s8 :: v_dual_cndmask_b32 v28, 0, v36, s8
	v_dual_cndmask_b32 v31, 0, v39, s9 :: v_dual_cndmask_b32 v30, 0, v38, s9
	s_add_nc_u64 s[8:9], s[18:19], s[54:55]
	s_delay_alu instid0(SALU_CYCLE_1) | instskip(SKIP_3) | instid1(VALU_DEP_4)
	v_lshl_add_u64 v[24:25], v[24:25], 1, s[8:9]
	v_lshl_add_u64 v[26:27], v[26:27], 1, s[8:9]
	;; [unrolled: 1-line block ×4, first 2 shown]
	v_add_nc_u64_e32 v[28:29], v[24:25], v[14:15]
	s_delay_alu instid0(VALU_DEP_4) | instskip(NEXT) | instid1(VALU_DEP_4)
	v_add_nc_u64_e32 v[24:25], v[26:27], v[14:15]
	v_add_nc_u64_e32 v[26:27], v[36:37], v[14:15]
	s_delay_alu instid0(VALU_DEP_4)
	v_add_nc_u64_e32 v[30:31], v[30:31], v[14:15]
	s_clause 0x3
	global_load_u16 v0, v[28:29], off
	global_load_u16 v36, v[24:25], off
	;; [unrolled: 1-line block ×4, first 2 shown]
	s_wait_xcnt 0x0
	s_and_saveexec_b32 s7, s3
	s_cbranch_execz .LBB473_43
; %bb.38:                               ;   in Loop: Header=BB473_5 Depth=1
	s_clause 0x3
	global_load_u16 v39, v[28:29], off offset:128
	global_load_u16 v40, v[24:25], off offset:128
	global_load_u16 v41, v[26:27], off offset:128
	global_load_u16 v42, v[30:31], off offset:128
	s_wait_xcnt 0x0
	s_and_saveexec_b32 s8, s4
	s_cbranch_execz .LBB473_42
; %bb.39:                               ;   in Loop: Header=BB473_5 Depth=1
	s_clause 0x3
	global_load_u16 v43, v[28:29], off offset:256
	global_load_u16 v44, v[24:25], off offset:256
	global_load_u16 v45, v[26:27], off offset:256
	global_load_u16 v46, v[30:31], off offset:256
	;; [unrolled: 9-line block ×3, first 2 shown]
	s_wait_loadcnt 0x3
	s_wait_xcnt 0x2
	v_fma_mix_f32 v24, v35, v47, v54 op_sel_hi:[0,1,0]
	s_wait_loadcnt 0x2
	s_delay_alu instid0(VALU_DEP_1) | instskip(SKIP_1) | instid1(VALU_DEP_1)
	v_fma_mix_f32 v24, v34, v55, v24 op_sel_hi:[0,1,0]
	s_wait_loadcnt 0x1
	v_fma_mix_f32 v24, v33, v56, v24 op_sel_hi:[0,1,0]
	s_wait_loadcnt 0x0
	s_delay_alu instid0(VALU_DEP_1)
	v_fma_mix_f32 v54, v32, v57, v24 op_sel_hi:[0,1,0]
.LBB473_41:                             ;   in Loop: Header=BB473_5 Depth=1
	s_wait_xcnt 0x0
	s_or_b32 exec_lo, exec_lo, s9
	s_wait_loadcnt 0x3
	v_fma_mix_f32 v24, v35, v43, v53 op_sel_hi:[0,1,0]
	s_wait_loadcnt 0x2
	s_delay_alu instid0(VALU_DEP_1) | instskip(SKIP_1) | instid1(VALU_DEP_1)
	v_fma_mix_f32 v24, v34, v44, v24 op_sel_hi:[0,1,0]
	s_wait_loadcnt 0x1
	v_fma_mix_f32 v24, v33, v45, v24 op_sel_hi:[0,1,0]
	s_wait_loadcnt 0x0
	s_delay_alu instid0(VALU_DEP_1)
	v_fma_mix_f32 v53, v32, v46, v24 op_sel_hi:[0,1,0]
.LBB473_42:                             ;   in Loop: Header=BB473_5 Depth=1
	s_or_b32 exec_lo, exec_lo, s8
	s_wait_loadcnt 0x3
	v_fma_mix_f32 v24, v35, v39, v52 op_sel_hi:[0,1,0]
	s_wait_loadcnt 0x2
	s_delay_alu instid0(VALU_DEP_1) | instskip(SKIP_1) | instid1(VALU_DEP_1)
	v_fma_mix_f32 v24, v34, v40, v24 op_sel_hi:[0,1,0]
	s_wait_loadcnt 0x1
	v_fma_mix_f32 v24, v33, v41, v24 op_sel_hi:[0,1,0]
	s_wait_loadcnt 0x0
	s_delay_alu instid0(VALU_DEP_1)
	v_fma_mix_f32 v52, v32, v42, v24 op_sel_hi:[0,1,0]
.LBB473_43:                             ;   in Loop: Header=BB473_5 Depth=1
	s_or_b32 exec_lo, exec_lo, s7
	s_wait_loadcnt 0x3
	v_fma_mix_f32 v0, v35, v0, v51 op_sel_hi:[0,1,0]
	s_wait_loadcnt 0x2
	s_delay_alu instid0(VALU_DEP_1) | instskip(SKIP_1) | instid1(VALU_DEP_1)
	v_fma_mix_f32 v0, v34, v36, v0 op_sel_hi:[0,1,0]
	s_wait_loadcnt 0x1
	v_fma_mix_f32 v0, v33, v37, v0 op_sel_hi:[0,1,0]
	s_wait_loadcnt 0x0
	s_delay_alu instid0(VALU_DEP_1)
	v_fma_mix_f32 v51, v32, v38, v0 op_sel_hi:[0,1,0]
.LBB473_44:                             ;   in Loop: Header=BB473_5 Depth=1
	s_or_b32 exec_lo, exec_lo, s52
.LBB473_45:                             ;   in Loop: Header=BB473_5 Depth=1
	ds_store_2addr_stride64_b32 v49, v51, v52 offset1:1
	ds_store_2addr_stride64_b32 v49, v53, v54 offset0:2 offset1:3
	s_wait_dscnt 0x0
	s_barrier_signal -1
	s_barrier_wait -1
                                        ; implicit-def: $vgpr0
	s_and_saveexec_b32 s7, s0
	s_cbranch_execz .LBB473_51
; %bb.46:                               ;   in Loop: Header=BB473_5 Depth=1
	ds_load_2addr_stride64_b32 v[24:25], v50 offset1:4
	ds_load_2addr_stride64_b32 v[26:27], v50 offset0:8 offset1:12
	s_mov_b32 s9, s51
	s_wait_dscnt 0x1
	v_add_f32_e32 v0, v24, v25
	s_wait_dscnt 0x0
	s_delay_alu instid0(VALU_DEP_1) | instskip(NEXT) | instid1(VALU_DEP_1)
	v_add_f32_e32 v0, v26, v0
	v_add_f32_e32 v24, v27, v0
                                        ; implicit-def: $vgpr0
	ds_store_b32 v50, v24
	s_and_saveexec_b32 s8, s2
	s_cbranch_execz .LBB473_50
; %bb.47:                               ;   in Loop: Header=BB473_5 Depth=1
	v_mul_f32_e32 v0, s38, v24
	s_and_not1_b32 vcc_lo, exec_lo, s48
	s_cbranch_vccnz .LBB473_49
; %bb.48:                               ;   in Loop: Header=BB473_5 Depth=1
	v_lshl_add_u64 v[24:25], v[6:7], 2, s[44:45]
	global_load_b32 v24, v[24:25], off
	s_wait_loadcnt 0x0
	v_fmac_f32_e32 v0, s39, v24
.LBB473_49:                             ;   in Loop: Header=BB473_5 Depth=1
	s_or_b32 s9, s51, exec_lo
.LBB473_50:                             ;   in Loop: Header=BB473_5 Depth=1
	s_wait_xcnt 0x0
	s_or_b32 exec_lo, exec_lo, s8
	s_delay_alu instid0(SALU_CYCLE_1) | instskip(SKIP_1) | instid1(SALU_CYCLE_1)
	s_and_not1_b32 s8, s51, exec_lo
	s_and_b32 s9, s9, exec_lo
	s_or_b32 s51, s8, s9
.LBB473_51:                             ;   in Loop: Header=BB473_5 Depth=1
	s_or_b32 exec_lo, exec_lo, s7
	v_mov_b64_e32 v[24:25], v[6:7]
	s_and_saveexec_b32 s7, s51
	s_cbranch_execz .LBB473_3
.LBB473_52:                             ;   in Loop: Header=BB473_5 Depth=1
	s_delay_alu instid0(VALU_DEP_1)
	v_lshl_add_u64 v[24:25], v[24:25], 2, s[44:45]
	global_store_b32 v[24:25], v0, off
	s_branch .LBB473_3
.LBB473_53:
	s_sendmsg sendmsg(MSG_DEALLOC_VGPRS)
	s_endpgm
	.section	.rodata,"a",@progbits
	.p2align	6, 0x0
	.amdhsa_kernel _ZL20rocblas_gemvn_kernelILi64ELi4ElDF16_ffEviiT3_lPKT2_lT1_lS3_lS4_lS0_lPT4_lS4_li
		.amdhsa_group_segment_fixed_size 4096
		.amdhsa_private_segment_fixed_size 0
		.amdhsa_kernarg_size 400
		.amdhsa_user_sgpr_count 2
		.amdhsa_user_sgpr_dispatch_ptr 0
		.amdhsa_user_sgpr_queue_ptr 0
		.amdhsa_user_sgpr_kernarg_segment_ptr 1
		.amdhsa_user_sgpr_dispatch_id 0
		.amdhsa_user_sgpr_kernarg_preload_length 0
		.amdhsa_user_sgpr_kernarg_preload_offset 0
		.amdhsa_user_sgpr_private_segment_size 0
		.amdhsa_wavefront_size32 1
		.amdhsa_uses_dynamic_stack 0
		.amdhsa_enable_private_segment 0
		.amdhsa_system_sgpr_workgroup_id_x 1
		.amdhsa_system_sgpr_workgroup_id_y 0
		.amdhsa_system_sgpr_workgroup_id_z 1
		.amdhsa_system_sgpr_workgroup_info 0
		.amdhsa_system_vgpr_workitem_id 1
		.amdhsa_next_free_vgpr 75
		.amdhsa_next_free_sgpr 56
		.amdhsa_named_barrier_count 0
		.amdhsa_reserve_vcc 1
		.amdhsa_float_round_mode_32 0
		.amdhsa_float_round_mode_16_64 0
		.amdhsa_float_denorm_mode_32 3
		.amdhsa_float_denorm_mode_16_64 3
		.amdhsa_fp16_overflow 0
		.amdhsa_memory_ordered 1
		.amdhsa_forward_progress 1
		.amdhsa_inst_pref_size 23
		.amdhsa_round_robin_scheduling 0
		.amdhsa_exception_fp_ieee_invalid_op 0
		.amdhsa_exception_fp_denorm_src 0
		.amdhsa_exception_fp_ieee_div_zero 0
		.amdhsa_exception_fp_ieee_overflow 0
		.amdhsa_exception_fp_ieee_underflow 0
		.amdhsa_exception_fp_ieee_inexact 0
		.amdhsa_exception_int_div_zero 0
	.end_amdhsa_kernel
	.section	.text._ZL20rocblas_gemvn_kernelILi64ELi4ElDF16_ffEviiT3_lPKT2_lT1_lS3_lS4_lS0_lPT4_lS4_li,"axG",@progbits,_ZL20rocblas_gemvn_kernelILi64ELi4ElDF16_ffEviiT3_lPKT2_lT1_lS3_lS4_lS0_lPT4_lS4_li,comdat
.Lfunc_end473:
	.size	_ZL20rocblas_gemvn_kernelILi64ELi4ElDF16_ffEviiT3_lPKT2_lT1_lS3_lS4_lS0_lPT4_lS4_li, .Lfunc_end473-_ZL20rocblas_gemvn_kernelILi64ELi4ElDF16_ffEviiT3_lPKT2_lT1_lS3_lS4_lS0_lPT4_lS4_li
                                        ; -- End function
	.set _ZL20rocblas_gemvn_kernelILi64ELi4ElDF16_ffEviiT3_lPKT2_lT1_lS3_lS4_lS0_lPT4_lS4_li.num_vgpr, 75
	.set _ZL20rocblas_gemvn_kernelILi64ELi4ElDF16_ffEviiT3_lPKT2_lT1_lS3_lS4_lS0_lPT4_lS4_li.num_agpr, 0
	.set _ZL20rocblas_gemvn_kernelILi64ELi4ElDF16_ffEviiT3_lPKT2_lT1_lS3_lS4_lS0_lPT4_lS4_li.numbered_sgpr, 56
	.set _ZL20rocblas_gemvn_kernelILi64ELi4ElDF16_ffEviiT3_lPKT2_lT1_lS3_lS4_lS0_lPT4_lS4_li.num_named_barrier, 0
	.set _ZL20rocblas_gemvn_kernelILi64ELi4ElDF16_ffEviiT3_lPKT2_lT1_lS3_lS4_lS0_lPT4_lS4_li.private_seg_size, 0
	.set _ZL20rocblas_gemvn_kernelILi64ELi4ElDF16_ffEviiT3_lPKT2_lT1_lS3_lS4_lS0_lPT4_lS4_li.uses_vcc, 1
	.set _ZL20rocblas_gemvn_kernelILi64ELi4ElDF16_ffEviiT3_lPKT2_lT1_lS3_lS4_lS0_lPT4_lS4_li.uses_flat_scratch, 0
	.set _ZL20rocblas_gemvn_kernelILi64ELi4ElDF16_ffEviiT3_lPKT2_lT1_lS3_lS4_lS0_lPT4_lS4_li.has_dyn_sized_stack, 0
	.set _ZL20rocblas_gemvn_kernelILi64ELi4ElDF16_ffEviiT3_lPKT2_lT1_lS3_lS4_lS0_lPT4_lS4_li.has_recursion, 0
	.set _ZL20rocblas_gemvn_kernelILi64ELi4ElDF16_ffEviiT3_lPKT2_lT1_lS3_lS4_lS0_lPT4_lS4_li.has_indirect_call, 0
	.section	.AMDGPU.csdata,"",@progbits
; Kernel info:
; codeLenInByte = 2836
; TotalNumSgprs: 58
; NumVgprs: 75
; ScratchSize: 0
; MemoryBound: 0
; FloatMode: 240
; IeeeMode: 1
; LDSByteSize: 4096 bytes/workgroup (compile time only)
; SGPRBlocks: 0
; VGPRBlocks: 4
; NumSGPRsForWavesPerEU: 58
; NumVGPRsForWavesPerEU: 75
; NamedBarCnt: 0
; Occupancy: 12
; WaveLimiterHint : 1
; COMPUTE_PGM_RSRC2:SCRATCH_EN: 0
; COMPUTE_PGM_RSRC2:USER_SGPR: 2
; COMPUTE_PGM_RSRC2:TRAP_HANDLER: 0
; COMPUTE_PGM_RSRC2:TGID_X_EN: 1
; COMPUTE_PGM_RSRC2:TGID_Y_EN: 0
; COMPUTE_PGM_RSRC2:TGID_Z_EN: 1
; COMPUTE_PGM_RSRC2:TIDIG_COMP_CNT: 1
	.section	.text._ZL20rocblas_gemvn_kernelILi32ELi16EiDF16_PKffEviiT3_lPKT2_lT1_lS5_lS6_lS2_lPT4_lS6_li,"axG",@progbits,_ZL20rocblas_gemvn_kernelILi32ELi16EiDF16_PKffEviiT3_lPKT2_lT1_lS5_lS6_lS2_lPT4_lS6_li,comdat
	.globl	_ZL20rocblas_gemvn_kernelILi32ELi16EiDF16_PKffEviiT3_lPKT2_lT1_lS5_lS6_lS2_lPT4_lS6_li ; -- Begin function _ZL20rocblas_gemvn_kernelILi32ELi16EiDF16_PKffEviiT3_lPKT2_lT1_lS5_lS6_lS2_lPT4_lS6_li
	.p2align	8
	.type	_ZL20rocblas_gemvn_kernelILi32ELi16EiDF16_PKffEviiT3_lPKT2_lT1_lS5_lS6_lS2_lPT4_lS6_li,@function
_ZL20rocblas_gemvn_kernelILi32ELi16EiDF16_PKffEviiT3_lPKT2_lT1_lS5_lS6_lS2_lPT4_lS6_li: ; @_ZL20rocblas_gemvn_kernelILi32ELi16EiDF16_PKffEviiT3_lPKT2_lT1_lS5_lS6_lS2_lPT4_lS6_li
; %bb.0:
	s_load_b64 s[2:3], s[0:1], 0x9c
	s_wait_kmcnt 0x0
	s_lshr_b32 s4, s2, 16
	s_and_b32 s2, s2, 0xffff
	s_and_b32 s3, s3, 0xffff
	s_mul_i32 s2, s4, s2
	s_delay_alu instid0(SALU_CYCLE_1) | instskip(NEXT) | instid1(SALU_CYCLE_1)
	s_mul_i32 s2, s2, s3
	s_cmp_lg_u32 s2, 0x200
	s_cbranch_scc1 .LBB474_53
; %bb.1:
	s_load_b32 s31, s[0:1], 0x88
	s_bfe_u32 s2, ttmp6, 0x40014
	s_lshr_b32 s3, ttmp7, 16
	s_add_co_i32 s2, s2, 1
	s_bfe_u32 s5, ttmp6, 0x40008
	s_mul_i32 s4, s3, s2
	s_getreg_b32 s2, hwreg(HW_REG_IB_STS2, 6, 4)
	s_add_co_i32 s5, s5, s4
	s_cmp_eq_u32 s2, 0
	s_mov_b32 s35, 0
	s_cselect_b32 s34, s3, s5
	s_wait_kmcnt 0x0
	s_cmp_ge_u32 s34, s31
	s_cbranch_scc1 .LBB474_53
; %bb.2:
	s_clause 0x7
	s_load_b256 s[8:15], s[0:1], 0x8
	s_load_b96 s[28:30], s[0:1], 0x40
	s_load_b96 s[4:6], s[0:1], 0x70
	s_load_b64 s[36:37], s[0:1], 0x0
	s_load_b32 s33, s[0:1], 0x28
	s_load_b128 s[24:27], s[0:1], 0x30
	s_load_b256 s[16:23], s[0:1], 0x50
	s_load_b64 s[38:39], s[0:1], 0x80
	s_wait_xcnt 0x0
	s_bfe_u32 s0, ttmp6, 0x4000c
	v_and_b32_e32 v6, 0x3ff, v0
	s_add_co_i32 s0, s0, 1
	v_bfe_u32 v5, v0, 10, 10
	s_and_b32 s1, ttmp6, 15
	s_mul_i32 s0, ttmp9, s0
	s_delay_alu instid0(SALU_CYCLE_1) | instskip(NEXT) | instid1(VALU_DEP_1)
	s_add_co_i32 s7, s1, s0
	v_lshl_add_u32 v4, v5, 5, v6
	v_lshlrev_b32_e32 v17, 2, v5
	s_wait_kmcnt 0x0
	s_lshl_b64 s[0:1], s[14:15], 1
	s_lshl_b64 s[14:15], s[28:29], 1
	s_lshl_b64 s[4:5], s[4:5], 2
	s_ashr_i32 s3, s6, 31
	s_cmp_eq_u32 s2, 0
	s_mov_b32 s2, s6
	s_cselect_b32 s7, ttmp9, s7
	s_mov_b32 s28, s36
	s_lshl_b32 s42, s7, 7
	s_delay_alu instid0(SALU_CYCLE_1)
	v_dual_mov_b32 v1, 0 :: v_dual_add_nc_u32 v0, s42, v4
	v_add_nc_u32_e32 v16, s42, v6
	s_ashr_i32 s29, s36, 31
	s_add_nc_u64 s[12:13], s[12:13], s[0:1]
	s_ashr_i32 s0, s37, 31
	v_cmp_gt_i64_e32 vcc_lo, s[28:29], v[0:1]
	v_mul_u64_e32 v[2:3], s[2:3], v[0:1]
	v_dual_add_nc_u32 v0, 32, v16 :: v_dual_add_nc_u32 v7, 64, v16
	s_lshr_b32 s0, s0, 26
	v_lshlrev_b32_e32 v9, 2, v6
	s_add_co_i32 s43, s37, s0
	s_add_nc_u64 s[22:23], s[22:23], s[4:5]
	v_cmp_gt_i32_e64 s3, s36, v7
	v_or_b32_e32 v7, s42, v4
	s_and_not1_b32 s43, s43, 63
	v_add_nc_u32_e32 v8, 0x60, v16
	s_sub_co_i32 s5, s37, s43
	v_or_b32_e32 v11, 3, v17
	s_cmp_gt_i32 s5, 0
	v_cmp_gt_u32_e64 s5, 0x80, v4
	v_mul_lo_u32 v4, s6, v7
	v_cmp_gt_i32_e64 s4, s36, v8
	v_mul_lo_u32 v8, s33, v17
	v_or_b32_e32 v10, 2, v17
	v_mul_lo_u32 v12, v5, s33
	v_mul_lo_u32 v13, v5, s30
	v_cmp_gt_i32_e64 s2, s36, v0
	v_lshl_add_u32 v0, v5, 9, v9
	v_lshl_add_u32 v18, v5, 7, v9
	v_mad_u32 v20, s33, v11, v6
	v_mad_u32 v21, s30, v17, s30
	v_mul_lo_u32 v23, s30, v11
	v_ashrrev_i32_e32 v5, 31, v4
	v_mad_u32 v19, s33, v10, v6
	v_mul_lo_u32 v22, s30, v10
	v_cmp_gt_i32_e64 s0, s43, v17
	v_cmp_gt_i32_e64 s1, s36, v16
	;; [unrolled: 1-line block ×3, first 2 shown]
	v_add3_u32 v24, v8, s33, v6
	v_lshl_add_u32 v25, v12, 2, v6
	v_lshlrev_b32_e32 v26, 2, v13
	s_add_nc_u64 s[14:15], s[26:27], s[14:15]
	s_cselect_b32 s36, -1, 0
	s_and_b32 s44, s5, vcc_lo
	s_lshl_b32 s45, s33, 6
	s_lshl_b32 s46, s30, 6
	s_branch .LBB474_5
.LBB474_3:                              ;   in Loop: Header=BB474_5 Depth=1
	s_wait_xcnt 0x0
	s_or_b32 exec_lo, exec_lo, s7
.LBB474_4:                              ;   in Loop: Header=BB474_5 Depth=1
	s_add_co_i32 s34, s34, 0x10000
	s_delay_alu instid0(SALU_CYCLE_1)
	s_cmp_lt_u32 s34, s31
	s_cbranch_scc0 .LBB474_53
.LBB474_5:                              ; =>This Loop Header: Depth=1
                                        ;     Child Loop BB474_21 Depth 2
	s_wait_xcnt 0x1
	s_mul_u64 s[26:27], s[10:11], s[34:35]
	s_wait_xcnt 0x0
	s_mul_u64 s[28:29], s[20:21], s[34:35]
	s_lshl_b64 s[26:27], s[26:27], 2
	s_lshl_b64 s[28:29], s[28:29], 2
	s_add_nc_u64 s[26:27], s[8:9], s[26:27]
	s_add_nc_u64 s[28:29], s[18:19], s[28:29]
	s_clause 0x1
	global_load_b32 v27, v1, s[26:27]
	global_load_b32 v6, v1, s[28:29]
	s_wait_loadcnt 0x1
	v_cmp_eq_f32_e32 vcc_lo, 0, v27
	s_wait_loadcnt 0x0
	v_cmp_eq_f32_e64 s7, 1.0, v6
	v_readfirstlane_b32 s48, v6
	s_and_b32 s7, vcc_lo, s7
	s_delay_alu instid0(SALU_CYCLE_1)
	s_and_b32 vcc_lo, exec_lo, s7
	s_cbranch_vccnz .LBB474_4
; %bb.6:                                ;   in Loop: Header=BB474_5 Depth=1
	v_cmp_neq_f32_e32 vcc_lo, 0, v27
	s_wait_xcnt 0x1
	s_mul_u64 s[26:27], s[38:39], s[34:35]
	s_delay_alu instid0(SALU_CYCLE_1) | instskip(NEXT) | instid1(SALU_CYCLE_1)
	s_lshl_b64 s[26:27], s[26:27], 2
	s_add_nc_u64 s[26:27], s[22:23], s[26:27]
	s_cbranch_vccnz .LBB474_10
; %bb.7:                                ;   in Loop: Header=BB474_5 Depth=1
	s_mov_b32 s7, 0
	s_mov_b32 s47, 0
                                        ; implicit-def: $vgpr8
	s_wait_xcnt 0x0
	s_and_saveexec_b32 s28, s44
	s_cbranch_execz .LBB474_11
; %bb.8:                                ;   in Loop: Header=BB474_5 Depth=1
	s_cmp_eq_f32 s48, 0
	s_cbranch_scc1 .LBB474_13
; %bb.9:                                ;   in Loop: Header=BB474_5 Depth=1
	v_lshl_add_u64 v[6:7], v[2:3], 2, s[26:27]
	global_load_b32 v6, v[6:7], off
	s_wait_loadcnt 0x0
	v_mul_f32_e32 v8, s48, v6
	s_branch .LBB474_14
.LBB474_10:                             ;   in Loop: Header=BB474_5 Depth=1
	s_mov_b32 s47, 0
                                        ; implicit-def: $vgpr8
	s_cbranch_execz .LBB474_12
	s_branch .LBB474_15
.LBB474_11:                             ;   in Loop: Header=BB474_5 Depth=1
	s_or_b32 exec_lo, exec_lo, s28
	s_delay_alu instid0(SALU_CYCLE_1)
	s_and_b32 vcc_lo, exec_lo, s7
	s_cbranch_vccnz .LBB474_15
.LBB474_12:                             ;   in Loop: Header=BB474_5 Depth=1
	v_mov_b64_e32 v[6:7], v[2:3]
	s_wait_xcnt 0x0
	s_and_saveexec_b32 s7, s47
	s_cbranch_execz .LBB474_3
	s_branch .LBB474_52
.LBB474_13:                             ;   in Loop: Header=BB474_5 Depth=1
	v_mov_b32_e32 v8, 0
.LBB474_14:                             ;   in Loop: Header=BB474_5 Depth=1
	s_mov_b32 s47, exec_lo
	s_wait_xcnt 0x0
	s_or_b32 exec_lo, exec_lo, s28
	s_delay_alu instid0(SALU_CYCLE_1)
	s_and_b32 vcc_lo, exec_lo, s7
	s_cbranch_vccz .LBB474_12
.LBB474_15:                             ;   in Loop: Header=BB474_5 Depth=1
	s_wait_xcnt 0x0
	s_mul_u64 s[28:29], s[24:25], s[34:35]
	s_mul_u64 s[40:41], s[16:17], s[34:35]
	v_dual_mov_b32 v28, 0 :: v_dual_mov_b32 v32, v17
	v_dual_mov_b32 v29, 0 :: v_dual_mov_b32 v30, 0
	v_mov_b32_e32 v31, 0
	s_lshl_b64 s[28:29], s[28:29], 1
	s_lshl_b64 s[40:41], s[40:41], 1
	s_add_nc_u64 s[28:29], s[12:13], s[28:29]
	s_add_nc_u64 s[40:41], s[14:15], s[40:41]
	s_and_saveexec_b32 s7, s0
	s_cbranch_execz .LBB474_27
; %bb.16:                               ;   in Loop: Header=BB474_5 Depth=1
	v_dual_mov_b32 v28, 0 :: v_dual_mov_b32 v33, v25
	v_dual_mov_b32 v34, v20 :: v_dual_mov_b32 v35, v19
	;; [unrolled: 1-line block ×4, first 2 shown]
	v_mov_b32_e32 v31, 0
	s_mov_b32 s49, 0
	s_mov_b32 s50, 0
	s_branch .LBB474_21
.LBB474_17:                             ;   in Loop: Header=BB474_21 Depth=2
	s_wait_xcnt 0x0
	s_or_b32 exec_lo, exec_lo, s54
	s_wait_loadcnt 0x3
	v_fma_mix_f32 v6, v47, v51, v30 op_sel_hi:[0,1,0]
	s_wait_loadcnt 0x2
	s_delay_alu instid0(VALU_DEP_1) | instskip(SKIP_1) | instid1(VALU_DEP_1)
	v_fma_mix_f32 v6, v48, v52, v6 op_sel_hi:[0,1,0]
	s_wait_loadcnt 0x1
	v_fma_mix_f32 v6, v49, v53, v6 op_sel_hi:[0,1,0]
	s_wait_loadcnt 0x0
	s_delay_alu instid0(VALU_DEP_1)
	v_fma_mix_f32 v30, v50, v54, v6 op_sel_hi:[0,1,0]
.LBB474_18:                             ;   in Loop: Header=BB474_21 Depth=2
	s_or_b32 exec_lo, exec_lo, s53
	s_wait_loadcnt 0x3
	v_fma_mix_f32 v6, v47, v12, v29 op_sel_hi:[0,1,0]
	s_wait_loadcnt 0x2
	s_delay_alu instid0(VALU_DEP_1) | instskip(SKIP_1) | instid1(VALU_DEP_1)
	v_fma_mix_f32 v6, v48, v13, v6 op_sel_hi:[0,1,0]
	s_wait_loadcnt 0x1
	v_fma_mix_f32 v6, v49, v45, v6 op_sel_hi:[0,1,0]
	s_wait_loadcnt 0x0
	s_delay_alu instid0(VALU_DEP_1)
	v_fma_mix_f32 v29, v50, v46, v6 op_sel_hi:[0,1,0]
.LBB474_19:                             ;   in Loop: Header=BB474_21 Depth=2
	s_or_b32 exec_lo, exec_lo, s52
	s_wait_loadcnt 0x3
	v_fma_mix_f32 v6, v37, v41, v28 op_sel_hi:[1,1,0]
	s_wait_loadcnt 0x2
	s_delay_alu instid0(VALU_DEP_1) | instskip(SKIP_1) | instid1(VALU_DEP_1)
	v_fma_mix_f32 v6, v38, v42, v6 op_sel_hi:[1,1,0]
	s_wait_loadcnt 0x1
	v_fma_mix_f32 v6, v39, v43, v6 op_sel_hi:[1,1,0]
	s_wait_loadcnt 0x0
	s_delay_alu instid0(VALU_DEP_1)
	v_fma_mix_f32 v28, v40, v44, v6 op_sel_hi:[1,1,0]
.LBB474_20:                             ;   in Loop: Header=BB474_21 Depth=2
	s_or_b32 exec_lo, exec_lo, s51
	v_dual_add_nc_u32 v32, 64, v32 :: v_dual_add_nc_u32 v35, s45, v35
	v_dual_add_nc_u32 v36, s45, v36 :: v_dual_add_nc_u32 v34, s45, v34
	v_add_nc_u32_e32 v33, s45, v33
	s_delay_alu instid0(VALU_DEP_3) | instskip(SKIP_2) | instid1(SALU_CYCLE_1)
	v_cmp_le_i32_e32 vcc_lo, s43, v32
	s_add_co_i32 s50, s50, s46
	s_or_b32 s49, vcc_lo, s49
	s_and_not1_b32 exec_lo, exec_lo, s49
	s_cbranch_execz .LBB474_26
.LBB474_21:                             ;   Parent Loop BB474_5 Depth=1
                                        ; =>  This Inner Loop Header: Depth=2
	s_and_saveexec_b32 s51, s1
	s_cbranch_execz .LBB474_20
; %bb.22:                               ;   in Loop: Header=BB474_21 Depth=2
	v_dual_add_nc_u32 v7, s50, v26 :: v_dual_add_nc_u32 v9, s50, v21
	v_dual_add_nc_u32 v11, s50, v22 :: v_dual_add_nc_u32 v13, s50, v23
	;; [unrolled: 1-line block ×4, first 2 shown]
	s_clause 0x3
	global_load_u16 v37, v7, s[40:41] scale_offset
	global_load_u16 v38, v9, s[40:41] scale_offset
	global_load_u16 v39, v11, s[40:41] scale_offset
	global_load_u16 v40, v13, s[40:41] scale_offset
	s_clause 0x3
	global_load_u16 v41, v6, s[28:29] scale_offset
	global_load_u16 v42, v8, s[28:29] scale_offset
	;; [unrolled: 1-line block ×4, first 2 shown]
	s_wait_xcnt 0x0
	s_and_saveexec_b32 s52, s2
	s_cbranch_execz .LBB474_19
; %bb.23:                               ;   in Loop: Header=BB474_21 Depth=2
	v_dual_ashrrev_i32 v7, 31, v6 :: v_dual_ashrrev_i32 v9, 31, v8
	v_dual_ashrrev_i32 v13, 31, v12 :: v_dual_ashrrev_i32 v11, 31, v10
	s_wait_loadcnt 0x7
	v_cvt_f32_f16_e32 v47, v37
	s_delay_alu instid0(VALU_DEP_3)
	v_lshl_add_u64 v[14:15], v[6:7], 1, s[28:29]
	v_lshl_add_u64 v[8:9], v[8:9], 1, s[28:29]
	;; [unrolled: 1-line block ×4, first 2 shown]
	s_wait_loadcnt 0x6
	v_cvt_f32_f16_e32 v48, v38
	s_clause 0x3
	global_load_u16 v12, v[14:15], off offset:64
	global_load_u16 v13, v[8:9], off offset:64
	;; [unrolled: 1-line block ×4, first 2 shown]
	s_wait_loadcnt 0x9
	v_cvt_f32_f16_e32 v49, v39
	s_wait_loadcnt 0x8
	v_cvt_f32_f16_e32 v50, v40
	s_wait_xcnt 0x0
	s_and_saveexec_b32 s53, s3
	s_cbranch_execz .LBB474_18
; %bb.24:                               ;   in Loop: Header=BB474_21 Depth=2
	s_clause 0x3
	global_load_u16 v51, v[14:15], off offset:128
	global_load_u16 v52, v[8:9], off offset:128
	;; [unrolled: 1-line block ×4, first 2 shown]
	s_wait_xcnt 0x0
	s_and_saveexec_b32 s54, s4
	s_cbranch_execz .LBB474_17
; %bb.25:                               ;   in Loop: Header=BB474_21 Depth=2
	s_clause 0x3
	global_load_u16 v14, v[14:15], off offset:192
	global_load_u16 v8, v[8:9], off offset:192
	;; [unrolled: 1-line block ×4, first 2 shown]
	s_wait_loadcnt 0x3
	v_fma_mix_f32 v9, v47, v14, v31 op_sel_hi:[0,1,0]
	s_wait_loadcnt 0x2
	s_delay_alu instid0(VALU_DEP_1) | instskip(SKIP_1) | instid1(VALU_DEP_1)
	v_fma_mix_f32 v8, v48, v8, v9 op_sel_hi:[0,1,0]
	s_wait_loadcnt 0x1
	v_fma_mix_f32 v6, v49, v6, v8 op_sel_hi:[0,1,0]
	s_wait_loadcnt 0x0
	s_delay_alu instid0(VALU_DEP_1)
	v_fma_mix_f32 v31, v50, v7, v6 op_sel_hi:[0,1,0]
	s_branch .LBB474_17
.LBB474_26:                             ;   in Loop: Header=BB474_5 Depth=1
	s_or_b32 exec_lo, exec_lo, s49
.LBB474_27:                             ;   in Loop: Header=BB474_5 Depth=1
	s_delay_alu instid0(SALU_CYCLE_1) | instskip(NEXT) | instid1(SALU_CYCLE_1)
	s_or_b32 exec_lo, exec_lo, s7
	s_and_not1_b32 vcc_lo, exec_lo, s36
	s_cbranch_vccnz .LBB474_45
; %bb.28:                               ;   in Loop: Header=BB474_5 Depth=1
	v_cmp_gt_i32_e32 vcc_lo, s37, v32
	v_dual_mov_b32 v14, 0 :: v_dual_bitop2_b32 v6, 1, v32 bitop3:0x54
	v_dual_mov_b32 v15, 0 :: v_dual_mov_b32 v33, 0
	v_mov_b32_e32 v34, 0
	s_and_saveexec_b32 s49, vcc_lo
	s_cbranch_execz .LBB474_36
; %bb.29:                               ;   in Loop: Header=BB474_5 Depth=1
	v_mul_lo_u32 v7, v32, s30
	v_dual_mov_b32 v33, 0 :: v_dual_mov_b32 v15, 0
	v_mov_b32_e32 v14, 0
	s_mov_b32 s50, exec_lo
	global_load_u16 v7, v7, s[40:41] scale_offset
	s_wait_xcnt 0x0
	v_cmpx_gt_i32_e64 s37, v6
	s_cbranch_execz .LBB474_35
; %bb.30:                               ;   in Loop: Header=BB474_5 Depth=1
	v_mul_lo_u32 v8, v6, s30
	v_dual_mov_b32 v15, 0 :: v_dual_bitop2_b32 v9, 2, v32 bitop3:0x54
	v_mov_b32_e32 v14, 0
	s_mov_b32 s51, exec_lo
	global_load_u16 v8, v8, s[40:41] scale_offset
	s_wait_xcnt 0x0
	v_cmpx_gt_i32_e64 s37, v9
	s_cbranch_execz .LBB474_34
; %bb.31:                               ;   in Loop: Header=BB474_5 Depth=1
	v_mul_lo_u32 v9, v9, s30
	v_dual_mov_b32 v14, 0 :: v_dual_bitop2_b32 v10, 3, v32 bitop3:0x54
	s_mov_b32 s52, exec_lo
	global_load_u16 v9, v9, s[40:41] scale_offset
	s_wait_xcnt 0x0
	v_cmpx_gt_i32_e64 s37, v10
	s_cbranch_execz .LBB474_33
; %bb.32:                               ;   in Loop: Header=BB474_5 Depth=1
	v_mul_lo_u32 v10, v10, s30
	global_load_u16 v10, v10, s[40:41] scale_offset
	s_wait_loadcnt 0x0
	v_cvt_f32_f16_e32 v14, v10
.LBB474_33:                             ;   in Loop: Header=BB474_5 Depth=1
	s_wait_xcnt 0x0
	s_or_b32 exec_lo, exec_lo, s52
	s_wait_loadcnt 0x0
	v_cvt_f32_f16_e32 v15, v9
.LBB474_34:                             ;   in Loop: Header=BB474_5 Depth=1
	s_or_b32 exec_lo, exec_lo, s51
	s_wait_loadcnt 0x0
	v_cvt_f32_f16_e32 v33, v8
.LBB474_35:                             ;   in Loop: Header=BB474_5 Depth=1
	s_or_b32 exec_lo, exec_lo, s50
	s_wait_loadcnt 0x0
	v_cvt_f32_f16_e32 v34, v7
.LBB474_36:                             ;   in Loop: Header=BB474_5 Depth=1
	s_or_b32 exec_lo, exec_lo, s49
	s_and_saveexec_b32 s7, s1
	s_cbranch_execz .LBB474_44
; %bb.37:                               ;   in Loop: Header=BB474_5 Depth=1
	v_mul_lo_u32 v8, v32, s33
	v_mul_lo_u32 v10, v6, s33
	s_delay_alu instid0(VALU_DEP_2) | instskip(SKIP_1) | instid1(VALU_DEP_3)
	v_cndmask_b32_e32 v8, 0, v8, vcc_lo
	v_cmp_gt_i32_e32 vcc_lo, s37, v6
	v_dual_cndmask_b32 v10, 0, v10, vcc_lo :: v_dual_bitop2_b32 v7, 2, v32 bitop3:0x54
	s_delay_alu instid0(VALU_DEP_1) | instskip(SKIP_2) | instid1(VALU_DEP_4)
	v_mul_lo_u32 v11, v7, s33
	v_cmp_gt_i32_e32 vcc_lo, s37, v7
	v_or_b32_e32 v9, 3, v32
	v_dual_add_nc_u32 v6, v8, v16 :: v_dual_add_nc_u32 v8, v10, v16
	s_delay_alu instid0(VALU_DEP_4) | instskip(NEXT) | instid1(VALU_DEP_3)
	v_cndmask_b32_e32 v7, 0, v11, vcc_lo
	v_mul_lo_u32 v12, v9, s33
	v_cmp_gt_i32_e32 vcc_lo, s37, v9
	s_delay_alu instid0(VALU_DEP_2) | instskip(NEXT) | instid1(VALU_DEP_1)
	v_cndmask_b32_e32 v9, 0, v12, vcc_lo
	v_dual_add_nc_u32 v10, v7, v16 :: v_dual_add_nc_u32 v12, v9, v16
	s_clause 0x3
	global_load_u16 v32, v6, s[28:29] scale_offset
	global_load_u16 v35, v8, s[28:29] scale_offset
	;; [unrolled: 1-line block ×4, first 2 shown]
	s_wait_xcnt 0x0
	s_and_saveexec_b32 s40, s2
	s_cbranch_execz .LBB474_43
; %bb.38:                               ;   in Loop: Header=BB474_5 Depth=1
	v_dual_ashrrev_i32 v7, 31, v6 :: v_dual_ashrrev_i32 v9, 31, v8
	v_dual_ashrrev_i32 v11, 31, v10 :: v_dual_ashrrev_i32 v13, 31, v12
	s_delay_alu instid0(VALU_DEP_2) | instskip(NEXT) | instid1(VALU_DEP_3)
	v_lshl_add_u64 v[6:7], v[6:7], 1, s[28:29]
	v_lshl_add_u64 v[8:9], v[8:9], 1, s[28:29]
	s_delay_alu instid0(VALU_DEP_3) | instskip(NEXT) | instid1(VALU_DEP_4)
	v_lshl_add_u64 v[10:11], v[10:11], 1, s[28:29]
	v_lshl_add_u64 v[12:13], v[12:13], 1, s[28:29]
	s_clause 0x3
	global_load_u16 v38, v[6:7], off offset:64
	global_load_u16 v39, v[8:9], off offset:64
	;; [unrolled: 1-line block ×4, first 2 shown]
	s_wait_xcnt 0x0
	s_and_saveexec_b32 s28, s3
	s_cbranch_execz .LBB474_42
; %bb.39:                               ;   in Loop: Header=BB474_5 Depth=1
	s_clause 0x3
	global_load_u16 v42, v[6:7], off offset:128
	global_load_u16 v43, v[8:9], off offset:128
	;; [unrolled: 1-line block ×4, first 2 shown]
	s_wait_xcnt 0x0
	s_and_saveexec_b32 s29, s4
	s_cbranch_execz .LBB474_41
; %bb.40:                               ;   in Loop: Header=BB474_5 Depth=1
	s_clause 0x3
	global_load_u16 v46, v[6:7], off offset:192
	global_load_u16 v47, v[8:9], off offset:192
	;; [unrolled: 1-line block ×4, first 2 shown]
	s_wait_loadcnt 0x3
	s_wait_xcnt 0x3
	v_fma_mix_f32 v6, v34, v46, v31 op_sel_hi:[0,1,0]
	s_wait_loadcnt 0x2
	s_delay_alu instid0(VALU_DEP_1) | instskip(SKIP_1) | instid1(VALU_DEP_1)
	v_fma_mix_f32 v6, v33, v47, v6 op_sel_hi:[0,1,0]
	s_wait_loadcnt 0x1
	v_fma_mix_f32 v6, v15, v48, v6 op_sel_hi:[0,1,0]
	s_wait_loadcnt 0x0
	s_delay_alu instid0(VALU_DEP_1)
	v_fma_mix_f32 v31, v14, v49, v6 op_sel_hi:[0,1,0]
.LBB474_41:                             ;   in Loop: Header=BB474_5 Depth=1
	s_wait_xcnt 0x0
	s_or_b32 exec_lo, exec_lo, s29
	s_wait_loadcnt 0x3
	v_fma_mix_f32 v6, v34, v42, v30 op_sel_hi:[0,1,0]
	s_wait_loadcnt 0x2
	s_delay_alu instid0(VALU_DEP_1) | instskip(SKIP_1) | instid1(VALU_DEP_1)
	v_fma_mix_f32 v6, v33, v43, v6 op_sel_hi:[0,1,0]
	s_wait_loadcnt 0x1
	v_fma_mix_f32 v6, v15, v44, v6 op_sel_hi:[0,1,0]
	s_wait_loadcnt 0x0
	s_delay_alu instid0(VALU_DEP_1)
	v_fma_mix_f32 v30, v14, v45, v6 op_sel_hi:[0,1,0]
.LBB474_42:                             ;   in Loop: Header=BB474_5 Depth=1
	s_or_b32 exec_lo, exec_lo, s28
	s_wait_loadcnt 0x3
	v_fma_mix_f32 v6, v34, v38, v29 op_sel_hi:[0,1,0]
	s_wait_loadcnt 0x2
	s_delay_alu instid0(VALU_DEP_1) | instskip(SKIP_1) | instid1(VALU_DEP_1)
	v_fma_mix_f32 v6, v33, v39, v6 op_sel_hi:[0,1,0]
	s_wait_loadcnt 0x1
	v_fma_mix_f32 v6, v15, v40, v6 op_sel_hi:[0,1,0]
	s_wait_loadcnt 0x0
	s_delay_alu instid0(VALU_DEP_1)
	v_fma_mix_f32 v29, v14, v41, v6 op_sel_hi:[0,1,0]
.LBB474_43:                             ;   in Loop: Header=BB474_5 Depth=1
	s_or_b32 exec_lo, exec_lo, s40
	s_wait_loadcnt 0x3
	v_fma_mix_f32 v6, v34, v32, v28 op_sel_hi:[0,1,0]
	s_wait_loadcnt 0x2
	s_delay_alu instid0(VALU_DEP_1) | instskip(SKIP_1) | instid1(VALU_DEP_1)
	v_fma_mix_f32 v6, v33, v35, v6 op_sel_hi:[0,1,0]
	s_wait_loadcnt 0x1
	v_fma_mix_f32 v6, v15, v36, v6 op_sel_hi:[0,1,0]
	s_wait_loadcnt 0x0
	s_delay_alu instid0(VALU_DEP_1)
	v_fma_mix_f32 v28, v14, v37, v6 op_sel_hi:[0,1,0]
.LBB474_44:                             ;   in Loop: Header=BB474_5 Depth=1
	s_or_b32 exec_lo, exec_lo, s7
.LBB474_45:                             ;   in Loop: Header=BB474_5 Depth=1
	ds_store_2addr_b32 v0, v28, v29 offset1:32
	ds_store_2addr_b32 v0, v30, v31 offset0:64 offset1:96
	s_wait_dscnt 0x0
	s_barrier_signal -1
	s_barrier_wait -1
                                        ; implicit-def: $vgpr8
	s_and_saveexec_b32 s7, s5
	s_cbranch_execz .LBB474_51
; %bb.46:                               ;   in Loop: Header=BB474_5 Depth=1
	ds_load_2addr_stride64_b32 v[6:7], v18 offset1:2
	ds_load_2addr_stride64_b32 v[8:9], v18 offset0:4 offset1:6
	ds_load_2addr_stride64_b32 v[10:11], v18 offset0:8 offset1:10
	s_mov_b32 s29, s47
	s_wait_dscnt 0x2
	v_add_f32_e32 v12, v6, v7
	ds_load_2addr_stride64_b32 v[6:7], v18 offset0:12 offset1:14
	s_wait_dscnt 0x2
	v_add_f32_e32 v8, v8, v12
	s_delay_alu instid0(VALU_DEP_1) | instskip(SKIP_3) | instid1(VALU_DEP_1)
	v_add_f32_e32 v12, v9, v8
	ds_load_2addr_stride64_b32 v[8:9], v18 offset0:16 offset1:18
	s_wait_dscnt 0x2
	v_add_f32_e32 v10, v10, v12
	v_add_f32_e32 v12, v11, v10
	ds_load_2addr_stride64_b32 v[10:11], v18 offset0:20 offset1:22
	s_wait_dscnt 0x2
	v_add_f32_e32 v6, v6, v12
	s_delay_alu instid0(VALU_DEP_1) | instskip(SKIP_1) | instid1(VALU_DEP_1)
	v_add_f32_e32 v6, v7, v6
	s_wait_dscnt 0x1
	v_add_f32_e32 v8, v8, v6
	ds_load_2addr_stride64_b32 v[6:7], v18 offset0:24 offset1:26
	v_add_f32_e32 v8, v9, v8
	s_wait_dscnt 0x1
	s_delay_alu instid0(VALU_DEP_1) | instskip(SKIP_3) | instid1(VALU_DEP_1)
	v_add_f32_e32 v10, v10, v8
	ds_load_2addr_stride64_b32 v[8:9], v18 offset0:28 offset1:30
	v_add_f32_e32 v10, v11, v10
	s_wait_dscnt 0x1
	v_add_f32_e32 v6, v6, v10
	s_delay_alu instid0(VALU_DEP_1) | instskip(SKIP_1) | instid1(VALU_DEP_1)
	v_add_f32_e32 v6, v7, v6
	s_wait_dscnt 0x0
	v_add_f32_e32 v6, v8, v6
                                        ; implicit-def: $vgpr8
	s_delay_alu instid0(VALU_DEP_1)
	v_add_f32_e32 v6, v9, v6
	ds_store_b32 v18, v6
	s_and_saveexec_b32 s28, s6
	s_cbranch_execz .LBB474_50
; %bb.47:                               ;   in Loop: Header=BB474_5 Depth=1
	v_mul_f32_e32 v8, v27, v6
	s_cmp_eq_f32 s48, 0
	s_cbranch_scc1 .LBB474_49
; %bb.48:                               ;   in Loop: Header=BB474_5 Depth=1
	v_lshl_add_u64 v[6:7], v[4:5], 2, s[26:27]
	global_load_b32 v6, v[6:7], off
	s_wait_loadcnt 0x0
	v_fmac_f32_e32 v8, s48, v6
.LBB474_49:                             ;   in Loop: Header=BB474_5 Depth=1
	s_or_b32 s29, s47, exec_lo
.LBB474_50:                             ;   in Loop: Header=BB474_5 Depth=1
	s_wait_xcnt 0x0
	s_or_b32 exec_lo, exec_lo, s28
	s_delay_alu instid0(SALU_CYCLE_1) | instskip(SKIP_1) | instid1(SALU_CYCLE_1)
	s_and_not1_b32 s28, s47, exec_lo
	s_and_b32 s29, s29, exec_lo
	s_or_b32 s47, s28, s29
.LBB474_51:                             ;   in Loop: Header=BB474_5 Depth=1
	s_or_b32 exec_lo, exec_lo, s7
	v_mov_b64_e32 v[6:7], v[4:5]
	s_and_saveexec_b32 s7, s47
	s_cbranch_execz .LBB474_3
.LBB474_52:                             ;   in Loop: Header=BB474_5 Depth=1
	s_delay_alu instid0(VALU_DEP_1)
	v_lshl_add_u64 v[6:7], v[6:7], 2, s[26:27]
	global_store_b32 v[6:7], v8, off
	s_branch .LBB474_3
.LBB474_53:
	s_endpgm
	.section	.rodata,"a",@progbits
	.p2align	6, 0x0
	.amdhsa_kernel _ZL20rocblas_gemvn_kernelILi32ELi16EiDF16_PKffEviiT3_lPKT2_lT1_lS5_lS6_lS2_lPT4_lS6_li
		.amdhsa_group_segment_fixed_size 8192
		.amdhsa_private_segment_fixed_size 0
		.amdhsa_kernarg_size 400
		.amdhsa_user_sgpr_count 2
		.amdhsa_user_sgpr_dispatch_ptr 0
		.amdhsa_user_sgpr_queue_ptr 0
		.amdhsa_user_sgpr_kernarg_segment_ptr 1
		.amdhsa_user_sgpr_dispatch_id 0
		.amdhsa_user_sgpr_kernarg_preload_length 0
		.amdhsa_user_sgpr_kernarg_preload_offset 0
		.amdhsa_user_sgpr_private_segment_size 0
		.amdhsa_wavefront_size32 1
		.amdhsa_uses_dynamic_stack 0
		.amdhsa_enable_private_segment 0
		.amdhsa_system_sgpr_workgroup_id_x 1
		.amdhsa_system_sgpr_workgroup_id_y 0
		.amdhsa_system_sgpr_workgroup_id_z 1
		.amdhsa_system_sgpr_workgroup_info 0
		.amdhsa_system_vgpr_workitem_id 1
		.amdhsa_next_free_vgpr 55
		.amdhsa_next_free_sgpr 55
		.amdhsa_named_barrier_count 0
		.amdhsa_reserve_vcc 1
		.amdhsa_float_round_mode_32 0
		.amdhsa_float_round_mode_16_64 0
		.amdhsa_float_denorm_mode_32 3
		.amdhsa_float_denorm_mode_16_64 3
		.amdhsa_fp16_overflow 0
		.amdhsa_memory_ordered 1
		.amdhsa_forward_progress 1
		.amdhsa_inst_pref_size 24
		.amdhsa_round_robin_scheduling 0
		.amdhsa_exception_fp_ieee_invalid_op 0
		.amdhsa_exception_fp_denorm_src 0
		.amdhsa_exception_fp_ieee_div_zero 0
		.amdhsa_exception_fp_ieee_overflow 0
		.amdhsa_exception_fp_ieee_underflow 0
		.amdhsa_exception_fp_ieee_inexact 0
		.amdhsa_exception_int_div_zero 0
	.end_amdhsa_kernel
	.section	.text._ZL20rocblas_gemvn_kernelILi32ELi16EiDF16_PKffEviiT3_lPKT2_lT1_lS5_lS6_lS2_lPT4_lS6_li,"axG",@progbits,_ZL20rocblas_gemvn_kernelILi32ELi16EiDF16_PKffEviiT3_lPKT2_lT1_lS5_lS6_lS2_lPT4_lS6_li,comdat
.Lfunc_end474:
	.size	_ZL20rocblas_gemvn_kernelILi32ELi16EiDF16_PKffEviiT3_lPKT2_lT1_lS5_lS6_lS2_lPT4_lS6_li, .Lfunc_end474-_ZL20rocblas_gemvn_kernelILi32ELi16EiDF16_PKffEviiT3_lPKT2_lT1_lS5_lS6_lS2_lPT4_lS6_li
                                        ; -- End function
	.set _ZL20rocblas_gemvn_kernelILi32ELi16EiDF16_PKffEviiT3_lPKT2_lT1_lS5_lS6_lS2_lPT4_lS6_li.num_vgpr, 55
	.set _ZL20rocblas_gemvn_kernelILi32ELi16EiDF16_PKffEviiT3_lPKT2_lT1_lS5_lS6_lS2_lPT4_lS6_li.num_agpr, 0
	.set _ZL20rocblas_gemvn_kernelILi32ELi16EiDF16_PKffEviiT3_lPKT2_lT1_lS5_lS6_lS2_lPT4_lS6_li.numbered_sgpr, 55
	.set _ZL20rocblas_gemvn_kernelILi32ELi16EiDF16_PKffEviiT3_lPKT2_lT1_lS5_lS6_lS2_lPT4_lS6_li.num_named_barrier, 0
	.set _ZL20rocblas_gemvn_kernelILi32ELi16EiDF16_PKffEviiT3_lPKT2_lT1_lS5_lS6_lS2_lPT4_lS6_li.private_seg_size, 0
	.set _ZL20rocblas_gemvn_kernelILi32ELi16EiDF16_PKffEviiT3_lPKT2_lT1_lS5_lS6_lS2_lPT4_lS6_li.uses_vcc, 1
	.set _ZL20rocblas_gemvn_kernelILi32ELi16EiDF16_PKffEviiT3_lPKT2_lT1_lS5_lS6_lS2_lPT4_lS6_li.uses_flat_scratch, 0
	.set _ZL20rocblas_gemvn_kernelILi32ELi16EiDF16_PKffEviiT3_lPKT2_lT1_lS5_lS6_lS2_lPT4_lS6_li.has_dyn_sized_stack, 0
	.set _ZL20rocblas_gemvn_kernelILi32ELi16EiDF16_PKffEviiT3_lPKT2_lT1_lS5_lS6_lS2_lPT4_lS6_li.has_recursion, 0
	.set _ZL20rocblas_gemvn_kernelILi32ELi16EiDF16_PKffEviiT3_lPKT2_lT1_lS5_lS6_lS2_lPT4_lS6_li.has_indirect_call, 0
	.section	.AMDGPU.csdata,"",@progbits
; Kernel info:
; codeLenInByte = 3052
; TotalNumSgprs: 57
; NumVgprs: 55
; ScratchSize: 0
; MemoryBound: 0
; FloatMode: 240
; IeeeMode: 1
; LDSByteSize: 8192 bytes/workgroup (compile time only)
; SGPRBlocks: 0
; VGPRBlocks: 3
; NumSGPRsForWavesPerEU: 57
; NumVGPRsForWavesPerEU: 55
; NamedBarCnt: 0
; Occupancy: 16
; WaveLimiterHint : 1
; COMPUTE_PGM_RSRC2:SCRATCH_EN: 0
; COMPUTE_PGM_RSRC2:USER_SGPR: 2
; COMPUTE_PGM_RSRC2:TRAP_HANDLER: 0
; COMPUTE_PGM_RSRC2:TGID_X_EN: 1
; COMPUTE_PGM_RSRC2:TGID_Y_EN: 0
; COMPUTE_PGM_RSRC2:TGID_Z_EN: 1
; COMPUTE_PGM_RSRC2:TIDIG_COMP_CNT: 1
	.section	.text._ZL20rocblas_gemvn_kernelILi32ELi16ElDF16_PKffEviiT3_lPKT2_lT1_lS5_lS6_lS2_lPT4_lS6_li,"axG",@progbits,_ZL20rocblas_gemvn_kernelILi32ELi16ElDF16_PKffEviiT3_lPKT2_lT1_lS5_lS6_lS2_lPT4_lS6_li,comdat
	.globl	_ZL20rocblas_gemvn_kernelILi32ELi16ElDF16_PKffEviiT3_lPKT2_lT1_lS5_lS6_lS2_lPT4_lS6_li ; -- Begin function _ZL20rocblas_gemvn_kernelILi32ELi16ElDF16_PKffEviiT3_lPKT2_lT1_lS5_lS6_lS2_lPT4_lS6_li
	.p2align	8
	.type	_ZL20rocblas_gemvn_kernelILi32ELi16ElDF16_PKffEviiT3_lPKT2_lT1_lS5_lS6_lS2_lPT4_lS6_li,@function
_ZL20rocblas_gemvn_kernelILi32ELi16ElDF16_PKffEviiT3_lPKT2_lT1_lS5_lS6_lS2_lPT4_lS6_li: ; @_ZL20rocblas_gemvn_kernelILi32ELi16ElDF16_PKffEviiT3_lPKT2_lT1_lS5_lS6_lS2_lPT4_lS6_li
; %bb.0:
	s_load_b64 s[2:3], s[0:1], 0x9c
	s_wait_kmcnt 0x0
	s_lshr_b32 s4, s2, 16
	s_and_b32 s2, s2, 0xffff
	s_and_b32 s3, s3, 0xffff
	s_mul_i32 s2, s4, s2
	s_delay_alu instid0(SALU_CYCLE_1) | instskip(NEXT) | instid1(SALU_CYCLE_1)
	s_mul_i32 s2, s2, s3
	s_cmp_lg_u32 s2, 0x200
	s_cbranch_scc1 .LBB475_53
; %bb.1:
	s_load_b32 s33, s[0:1], 0x88
	s_bfe_u32 s2, ttmp6, 0x40014
	s_lshr_b32 s3, ttmp7, 16
	s_add_co_i32 s2, s2, 1
	s_bfe_u32 s5, ttmp6, 0x40008
	s_mul_i32 s4, s3, s2
	s_getreg_b32 s2, hwreg(HW_REG_IB_STS2, 6, 4)
	s_add_co_i32 s5, s5, s4
	s_cmp_eq_u32 s2, 0
	s_mov_b32 s11, 0
	s_cselect_b32 s10, s3, s5
	s_wait_kmcnt 0x0
	s_cmp_ge_u32 s10, s33
	s_cbranch_scc1 .LBB475_53
; %bb.2:
	s_clause 0x2
	s_load_b512 s[12:27], s[0:1], 0x8
	s_load_b512 s[36:51], s[0:1], 0x48
	s_load_b64 s[28:29], s[0:1], 0x0
	s_wait_xcnt 0x0
	s_bfe_u32 s0, ttmp6, 0x4000c
	v_and_b32_e32 v24, 0x3ff, v0
	s_add_co_i32 s0, s0, 1
	v_bfe_u32 v4, v0, 10, 10
	s_and_b32 s1, ttmp6, 15
	s_mul_i32 s0, ttmp9, s0
	v_dual_mov_b32 v1, 0 :: v_dual_lshlrev_b32 v2, 2, v24
	s_add_co_i32 s1, s1, s0
	v_lshl_add_u32 v6, v4, 5, v24
	s_delay_alu instid0(VALU_DEP_2) | instskip(NEXT) | instid1(VALU_DEP_3)
	v_dual_mov_b32 v5, v1 :: v_dual_lshlrev_b32 v48, 2, v4
	v_lshl_add_u32 v49, v4, 9, v2
	v_lshl_add_u32 v50, v4, 7, v2
	s_wait_kmcnt 0x0
	s_lshl_b64 s[4:5], s[18:19], 1
	s_lshl_b64 s[18:19], s[26:27], 1
	;; [unrolled: 1-line block ×3, first 2 shown]
	s_cmp_eq_u32 s2, 0
	s_mov_b32 s2, s28
	s_cselect_b32 s0, ttmp9, s1
	s_ashr_i32 s3, s28, 31
	s_lshl_b32 s1, s0, 7
	v_cmp_gt_u32_e64 s0, 0x80, v6
	v_dual_add_nc_u32 v0, s1, v6 :: v_dual_bitop2_b32 v6, s1, v6 bitop3:0x54
	v_mul_u64_e32 v[10:11], s[36:37], v[4:5]
	v_mul_u64_e32 v[12:13], s[20:21], v[4:5]
	v_mad_nc_u64_u32 v[8:9], s36, v48, s[36:37]
	s_delay_alu instid0(VALU_DEP_4)
	v_cmp_gt_i64_e32 vcc_lo, s[2:3], v[0:1]
	v_mul_u64_e32 v[2:3], s[48:49], v[0:1]
	v_dual_ashrrev_i32 v7, 31, v6 :: v_dual_bitop2_b32 v0, 3, v48 bitop3:0x54
	v_mad_nc_u64_u32 v[22:23], s20, v48, s[20:21]
	s_ashr_i32 s2, s29, 31
	v_add_nc_u32_e32 v24, s1, v24
	s_delay_alu instid0(VALU_DEP_3)
	v_mul_u64_e32 v[14:15], s[20:21], v[0:1]
	v_mul_u64_e32 v[16:17], s[36:37], v[0:1]
	v_or_b32_e32 v0, 2, v48
	v_mul_u64_e32 v[4:5], s[48:49], v[6:7]
	v_mad_u32 v9, s37, v48, v9
	s_lshr_b32 s2, s2, 26
	v_ashrrev_i32_e32 v25, 31, v24
	v_mul_u64_e32 v[18:19], s[20:21], v[0:1]
	v_mul_u64_e32 v[20:21], s[36:37], v[0:1]
	v_mad_u32 v23, s21, v48, v23
	s_add_co_i32 s52, s29, s2
	v_add_nc_u32_e32 v7, 64, v24
	s_and_not1_b32 s52, s52, 63
	v_add_nc_u32_e32 v0, 32, v24
	v_add_nc_u32_e32 v26, 0x60, v24
	s_sub_co_i32 s3, s29, s52
	s_add_nc_u64 s[16:17], s[16:17], s[4:5]
	s_cmp_gt_i32 s3, 0
	v_cmp_gt_i32_e64 s3, s28, v6
	v_cmp_gt_i32_e64 s5, s28, v7
	v_lshlrev_b64_e32 v[6:7], 1, v[24:25]
	s_add_nc_u64 s[30:31], s[44:45], s[6:7]
	v_cmp_gt_i32_e64 s1, s52, v48
	v_cmp_gt_i32_e64 s2, s28, v24
	;; [unrolled: 1-line block ×4, first 2 shown]
	v_lshl_add_u64 v[8:9], v[8:9], 1, s[24:25]
	v_lshl_add_u64 v[10:11], v[10:11], 3, s[24:25]
	;; [unrolled: 1-line block ×4, first 2 shown]
	s_add_nc_u64 s[26:27], s[24:25], s[18:19]
	s_cselect_b32 s53, -1, 0
	v_lshl_add_u64 v[14:15], v[14:15], 1, s[16:17]
	v_lshl_add_u64 v[16:17], v[16:17], 1, s[24:25]
	s_lshl_b64 s[34:35], s[38:39], 1
	s_and_b32 s28, s0, vcc_lo
	s_lshl_b64 s[44:45], s[22:23], 1
	s_lshl_b64 s[46:47], s[20:21], 7
	v_lshl_add_u64 v[18:19], v[18:19], 1, s[16:17]
	v_lshl_add_u64 v[20:21], v[20:21], 1, s[24:25]
	s_lshl_b64 s[24:25], s[36:37], 7
	s_branch .LBB475_5
.LBB475_3:                              ;   in Loop: Header=BB475_5 Depth=1
	s_wait_xcnt 0x0
	s_or_b32 exec_lo, exec_lo, s7
.LBB475_4:                              ;   in Loop: Header=BB475_5 Depth=1
	s_add_co_i32 s10, s10, 0x10000
	s_delay_alu instid0(SALU_CYCLE_1)
	s_cmp_lt_u32 s10, s33
	s_cbranch_scc0 .LBB475_53
.LBB475_5:                              ; =>This Loop Header: Depth=1
                                        ;     Child Loop BB475_21 Depth 2
	s_wait_xcnt 0x1
	s_mul_u64 s[8:9], s[14:15], s[10:11]
	s_wait_xcnt 0x0
	s_mul_u64 s[48:49], s[42:43], s[10:11]
	s_lshl_b64 s[8:9], s[8:9], 2
	s_lshl_b64 s[48:49], s[48:49], 2
	s_add_nc_u64 s[8:9], s[12:13], s[8:9]
	s_add_nc_u64 s[48:49], s[40:41], s[48:49]
	s_clause 0x1
	global_load_b32 v51, v1, s[8:9]
	global_load_b32 v0, v1, s[48:49]
	s_wait_loadcnt 0x1
	v_cmp_eq_f32_e32 vcc_lo, 0, v51
	s_wait_loadcnt 0x0
	v_cmp_eq_f32_e64 s7, 1.0, v0
	v_readfirstlane_b32 s55, v0
	s_and_b32 s7, vcc_lo, s7
	s_delay_alu instid0(SALU_CYCLE_1)
	s_and_b32 vcc_lo, exec_lo, s7
	s_cbranch_vccnz .LBB475_4
; %bb.6:                                ;   in Loop: Header=BB475_5 Depth=1
	v_cmp_neq_f32_e32 vcc_lo, 0, v51
	s_wait_xcnt 0x1
	s_mul_u64 s[8:9], s[50:51], s[10:11]
	s_delay_alu instid0(SALU_CYCLE_1)
	s_lshl_b64 s[8:9], s[8:9], 2
	s_wait_xcnt 0x0
	s_add_nc_u64 s[48:49], s[30:31], s[8:9]
	s_cbranch_vccnz .LBB475_10
; %bb.7:                                ;   in Loop: Header=BB475_5 Depth=1
	s_mov_b32 s7, 0
	s_mov_b32 s54, 0
                                        ; implicit-def: $vgpr0
	s_and_saveexec_b32 s8, s28
	s_cbranch_execz .LBB475_11
; %bb.8:                                ;   in Loop: Header=BB475_5 Depth=1
	s_cmp_eq_f32 s55, 0
	s_cbranch_scc1 .LBB475_13
; %bb.9:                                ;   in Loop: Header=BB475_5 Depth=1
	v_lshl_add_u64 v[24:25], v[2:3], 2, s[48:49]
	global_load_b32 v0, v[24:25], off
	s_wait_loadcnt 0x0
	v_mul_f32_e32 v0, s55, v0
	s_branch .LBB475_14
.LBB475_10:                             ;   in Loop: Header=BB475_5 Depth=1
	s_mov_b32 s54, 0
                                        ; implicit-def: $vgpr0
	s_cbranch_execz .LBB475_12
	s_branch .LBB475_15
.LBB475_11:                             ;   in Loop: Header=BB475_5 Depth=1
	s_or_b32 exec_lo, exec_lo, s8
	s_delay_alu instid0(SALU_CYCLE_1)
	s_and_b32 vcc_lo, exec_lo, s7
	s_cbranch_vccnz .LBB475_15
.LBB475_12:                             ;   in Loop: Header=BB475_5 Depth=1
	v_mov_b64_e32 v[24:25], v[2:3]
	s_and_saveexec_b32 s7, s54
	s_cbranch_execz .LBB475_3
	s_branch .LBB475_52
.LBB475_13:                             ;   in Loop: Header=BB475_5 Depth=1
	v_mov_b32_e32 v0, 0
.LBB475_14:                             ;   in Loop: Header=BB475_5 Depth=1
	s_mov_b32 s54, exec_lo
	s_wait_xcnt 0x0
	s_or_b32 exec_lo, exec_lo, s8
	s_delay_alu instid0(SALU_CYCLE_1)
	s_and_b32 vcc_lo, exec_lo, s7
	s_cbranch_vccz .LBB475_12
.LBB475_15:                             ;   in Loop: Header=BB475_5 Depth=1
	v_dual_mov_b32 v52, 0 :: v_dual_mov_b32 v0, v48
	v_dual_mov_b32 v53, 0 :: v_dual_mov_b32 v54, 0
	v_mov_b32_e32 v55, 0
	s_and_saveexec_b32 s7, s1
	s_cbranch_execz .LBB475_27
; %bb.16:                               ;   in Loop: Header=BB475_5 Depth=1
	s_mul_u64 s[8:9], s[34:35], s[10:11]
	s_mul_u64 s[56:57], s[44:45], s[10:11]
	v_add_nc_u64_e32 v[24:25], s[8:9], v[10:11]
	v_add_nc_u64_e32 v[26:27], s[56:57], v[14:15]
	v_add_nc_u64_e32 v[28:29], s[8:9], v[16:17]
	v_add_nc_u64_e32 v[30:31], s[56:57], v[12:13]
	v_add_nc_u64_e32 v[32:33], s[56:57], v[18:19]
	v_add_nc_u64_e32 v[34:35], s[8:9], v[20:21]
	v_add_nc_u64_e32 v[36:37], s[8:9], v[8:9]
	v_add_nc_u64_e32 v[38:39], s[56:57], v[22:23]
	v_dual_mov_b32 v52, 0 :: v_dual_mov_b32 v0, v48
	v_dual_mov_b32 v53, 0 :: v_dual_mov_b32 v54, 0
	v_mov_b32_e32 v55, 0
	s_mov_b32 s8, 0
	s_branch .LBB475_21
.LBB475_17:                             ;   in Loop: Header=BB475_21 Depth=2
	s_wait_xcnt 0x0
	s_or_b32 exec_lo, exec_lo, s58
	s_wait_loadcnt 0x3
	v_fma_mix_f32 v40, v68, v72, v54 op_sel_hi:[0,1,0]
	s_wait_loadcnt 0x2
	s_delay_alu instid0(VALU_DEP_1) | instskip(SKIP_1) | instid1(VALU_DEP_1)
	v_fma_mix_f32 v40, v69, v73, v40 op_sel_hi:[0,1,0]
	s_wait_loadcnt 0x1
	v_fma_mix_f32 v40, v70, v74, v40 op_sel_hi:[0,1,0]
	s_wait_loadcnt 0x0
	s_delay_alu instid0(VALU_DEP_1)
	v_fma_mix_f32 v54, v71, v75, v40 op_sel_hi:[0,1,0]
.LBB475_18:                             ;   in Loop: Header=BB475_21 Depth=2
	s_or_b32 exec_lo, exec_lo, s57
	s_wait_loadcnt 0x3
	v_fma_mix_f32 v40, v68, v64, v53 op_sel_hi:[0,1,0]
	s_wait_loadcnt 0x2
	s_delay_alu instid0(VALU_DEP_1) | instskip(SKIP_1) | instid1(VALU_DEP_1)
	v_fma_mix_f32 v40, v69, v65, v40 op_sel_hi:[0,1,0]
	s_wait_loadcnt 0x1
	v_fma_mix_f32 v40, v70, v66, v40 op_sel_hi:[0,1,0]
	s_wait_loadcnt 0x0
	s_delay_alu instid0(VALU_DEP_1)
	v_fma_mix_f32 v53, v71, v67, v40 op_sel_hi:[0,1,0]
.LBB475_19:                             ;   in Loop: Header=BB475_21 Depth=2
	s_or_b32 exec_lo, exec_lo, s56
	s_wait_loadcnt 0x3
	v_fma_mix_f32 v40, v56, v60, v52 op_sel_hi:[1,1,0]
	s_wait_loadcnt 0x2
	s_delay_alu instid0(VALU_DEP_1) | instskip(SKIP_1) | instid1(VALU_DEP_1)
	v_fma_mix_f32 v40, v57, v61, v40 op_sel_hi:[1,1,0]
	s_wait_loadcnt 0x1
	v_fma_mix_f32 v40, v58, v62, v40 op_sel_hi:[1,1,0]
	s_wait_loadcnt 0x0
	s_delay_alu instid0(VALU_DEP_1)
	v_fma_mix_f32 v52, v59, v63, v40 op_sel_hi:[1,1,0]
.LBB475_20:                             ;   in Loop: Header=BB475_21 Depth=2
	s_or_b32 exec_lo, exec_lo, s9
	v_add_nc_u32_e32 v0, 64, v0
	v_add_nc_u64_e32 v[24:25], s[24:25], v[24:25]
	v_add_nc_u64_e32 v[26:27], s[46:47], v[26:27]
	;; [unrolled: 1-line block ×7, first 2 shown]
	v_cmp_le_i32_e32 vcc_lo, s52, v0
	v_add_nc_u64_e32 v[38:39], s[46:47], v[38:39]
	s_or_b32 s8, vcc_lo, s8
	s_delay_alu instid0(SALU_CYCLE_1)
	s_and_not1_b32 exec_lo, exec_lo, s8
	s_cbranch_execz .LBB475_26
.LBB475_21:                             ;   Parent Loop BB475_5 Depth=1
                                        ; =>  This Inner Loop Header: Depth=2
	s_and_saveexec_b32 s9, s2
	s_cbranch_execz .LBB475_20
; %bb.22:                               ;   in Loop: Header=BB475_21 Depth=2
	v_add_nc_u64_e32 v[46:47], s[18:19], v[24:25]
	v_add_nc_u64_e32 v[58:59], s[18:19], v[36:37]
	;; [unrolled: 1-line block ×7, first 2 shown]
	global_load_u16 v56, v[46:47], off
	s_wait_xcnt 0x0
	v_add_nc_u64_e32 v[46:47], v[26:27], v[6:7]
	global_load_u16 v57, v[58:59], off
	global_load_u16 v58, v[60:61], off
	;; [unrolled: 1-line block ×7, first 2 shown]
	s_wait_xcnt 0x0
	s_and_saveexec_b32 s56, s4
	s_cbranch_execz .LBB475_19
; %bb.23:                               ;   in Loop: Header=BB475_21 Depth=2
	global_load_u16 v64, v[40:41], off offset:64
	global_load_u16 v65, v[42:43], off offset:64
	;; [unrolled: 1-line block ×4, first 2 shown]
	s_wait_loadcnt 0xb
	v_cvt_f32_f16_e32 v68, v56
	s_wait_loadcnt 0xa
	v_cvt_f32_f16_e32 v69, v57
	;; [unrolled: 2-line block ×4, first 2 shown]
	s_wait_xcnt 0x0
	s_and_saveexec_b32 s57, s5
	s_cbranch_execz .LBB475_18
; %bb.24:                               ;   in Loop: Header=BB475_21 Depth=2
	global_load_u16 v72, v[40:41], off offset:128
	global_load_u16 v73, v[42:43], off offset:128
	;; [unrolled: 1-line block ×4, first 2 shown]
	s_wait_xcnt 0x0
	s_and_saveexec_b32 s58, s6
	s_cbranch_execz .LBB475_17
; %bb.25:                               ;   in Loop: Header=BB475_21 Depth=2
	global_load_u16 v40, v[40:41], off offset:192
	global_load_u16 v41, v[42:43], off offset:192
	global_load_u16 v42, v[44:45], off offset:192
	global_load_u16 v43, v[46:47], off offset:192
	s_wait_loadcnt 0x3
	v_fma_mix_f32 v40, v68, v40, v55 op_sel_hi:[0,1,0]
	s_wait_loadcnt 0x2
	s_delay_alu instid0(VALU_DEP_1) | instskip(SKIP_1) | instid1(VALU_DEP_1)
	v_fma_mix_f32 v40, v69, v41, v40 op_sel_hi:[0,1,0]
	s_wait_loadcnt 0x1
	v_fma_mix_f32 v40, v70, v42, v40 op_sel_hi:[0,1,0]
	s_wait_loadcnt 0x0
	s_delay_alu instid0(VALU_DEP_1)
	v_fma_mix_f32 v55, v71, v43, v40 op_sel_hi:[0,1,0]
	s_branch .LBB475_17
.LBB475_26:                             ;   in Loop: Header=BB475_5 Depth=1
	s_or_b32 exec_lo, exec_lo, s8
.LBB475_27:                             ;   in Loop: Header=BB475_5 Depth=1
	s_delay_alu instid0(SALU_CYCLE_1) | instskip(NEXT) | instid1(SALU_CYCLE_1)
	s_or_b32 exec_lo, exec_lo, s7
	s_and_not1_b32 vcc_lo, exec_lo, s53
	s_cbranch_vccnz .LBB475_45
; %bb.28:                               ;   in Loop: Header=BB475_5 Depth=1
	v_cmp_gt_i32_e32 vcc_lo, s29, v0
	v_dual_mov_b32 v32, 0 :: v_dual_bitop2_b32 v24, 1, v0 bitop3:0x54
	v_dual_mov_b32 v33, 0 :: v_dual_mov_b32 v34, 0
	v_mov_b32_e32 v35, 0
	s_and_saveexec_b32 s56, vcc_lo
	s_cbranch_execz .LBB475_36
; %bb.29:                               ;   in Loop: Header=BB475_5 Depth=1
	v_mul_u64_e32 v[26:27], s[36:37], v[0:1]
	s_mul_u64 s[8:9], s[38:39], s[10:11]
	v_dual_mov_b32 v34, 0 :: v_dual_mov_b32 v33, 0
	s_lshl_b64 s[8:9], s[8:9], 1
	v_mov_b32_e32 v32, 0
	s_add_nc_u64 s[8:9], s[26:27], s[8:9]
	s_mov_b32 s57, exec_lo
	s_delay_alu instid0(VALU_DEP_3)
	v_lshl_add_u64 v[26:27], v[26:27], 1, s[8:9]
	global_load_u16 v28, v[26:27], off
	s_wait_xcnt 0x0
	v_cmpx_gt_i32_e64 s29, v24
	s_cbranch_execz .LBB475_35
; %bb.30:                               ;   in Loop: Header=BB475_5 Depth=1
	v_dual_mov_b32 v25, v1 :: v_dual_mov_b32 v33, 0
	v_mov_b32_e32 v32, 0
	s_mov_b32 s58, exec_lo
	s_delay_alu instid0(VALU_DEP_2) | instskip(NEXT) | instid1(VALU_DEP_1)
	v_mul_u64_e32 v[26:27], s[36:37], v[24:25]
	v_lshl_add_u64 v[26:27], v[26:27], 1, s[8:9]
	global_load_u16 v25, v[26:27], off
	s_wait_xcnt 0x0
	v_or_b32_e32 v26, 2, v0
	s_delay_alu instid0(VALU_DEP_1)
	v_cmpx_gt_i32_e64 s29, v26
	s_cbranch_execz .LBB475_34
; %bb.31:                               ;   in Loop: Header=BB475_5 Depth=1
	v_dual_mov_b32 v27, v1 :: v_dual_mov_b32 v32, 0
	s_mov_b32 s59, exec_lo
	s_delay_alu instid0(VALU_DEP_1) | instskip(NEXT) | instid1(VALU_DEP_1)
	v_mul_u64_e32 v[26:27], s[36:37], v[26:27]
	v_lshl_add_u64 v[26:27], v[26:27], 1, s[8:9]
	global_load_u16 v29, v[26:27], off
	s_wait_xcnt 0x0
	v_or_b32_e32 v26, 3, v0
	s_delay_alu instid0(VALU_DEP_1)
	v_cmpx_gt_i32_e64 s29, v26
	s_cbranch_execz .LBB475_33
; %bb.32:                               ;   in Loop: Header=BB475_5 Depth=1
	v_mov_b32_e32 v27, v1
	s_delay_alu instid0(VALU_DEP_1) | instskip(NEXT) | instid1(VALU_DEP_1)
	v_mul_u64_e32 v[26:27], s[36:37], v[26:27]
	v_lshl_add_u64 v[26:27], v[26:27], 1, s[8:9]
	global_load_u16 v26, v[26:27], off
	s_wait_loadcnt 0x0
	v_cvt_f32_f16_e32 v32, v26
.LBB475_33:                             ;   in Loop: Header=BB475_5 Depth=1
	s_wait_xcnt 0x0
	s_or_b32 exec_lo, exec_lo, s59
	s_wait_loadcnt 0x0
	v_cvt_f32_f16_e32 v33, v29
.LBB475_34:                             ;   in Loop: Header=BB475_5 Depth=1
	s_or_b32 exec_lo, exec_lo, s58
	s_wait_loadcnt 0x0
	v_cvt_f32_f16_e32 v34, v25
.LBB475_35:                             ;   in Loop: Header=BB475_5 Depth=1
	s_or_b32 exec_lo, exec_lo, s57
	s_wait_loadcnt 0x0
	v_cvt_f32_f16_e32 v35, v28
.LBB475_36:                             ;   in Loop: Header=BB475_5 Depth=1
	s_or_b32 exec_lo, exec_lo, s56
	s_and_saveexec_b32 s56, s2
	s_cbranch_execz .LBB475_44
; %bb.37:                               ;   in Loop: Header=BB475_5 Depth=1
	v_dual_mov_b32 v25, v1 :: v_dual_bitop2_b32 v26, 2, v0 bitop3:0x54
	v_mov_b32_e32 v27, v1
	v_mul_u64_e32 v[28:29], s[20:21], v[0:1]
	v_or_b32_e32 v0, 3, v0
	s_delay_alu instid0(VALU_DEP_4)
	v_mul_u64_e32 v[30:31], s[20:21], v[24:25]
	s_mul_u64 s[8:9], s[22:23], s[10:11]
	v_mul_u64_e32 v[36:37], s[20:21], v[26:27]
	v_cmp_gt_i32_e64 s7, s29, v24
	v_mul_u64_e32 v[38:39], s[20:21], v[0:1]
	s_lshl_b64 s[58:59], s[8:9], 1
	v_cmp_gt_i32_e64 s8, s29, v26
	v_cmp_gt_i32_e64 s9, s29, v0
	v_dual_cndmask_b32 v25, 0, v29 :: v_dual_cndmask_b32 v24, 0, v28
	v_dual_cndmask_b32 v27, 0, v31, s7 :: v_dual_cndmask_b32 v26, 0, v30, s7
	s_delay_alu instid0(VALU_DEP_4) | instskip(NEXT) | instid1(VALU_DEP_4)
	v_dual_cndmask_b32 v29, 0, v37, s8 :: v_dual_cndmask_b32 v28, 0, v36, s8
	v_dual_cndmask_b32 v31, 0, v39, s9 :: v_dual_cndmask_b32 v30, 0, v38, s9
	s_add_nc_u64 s[8:9], s[16:17], s[58:59]
	s_delay_alu instid0(SALU_CYCLE_1) | instskip(SKIP_3) | instid1(VALU_DEP_4)
	v_lshl_add_u64 v[24:25], v[24:25], 1, s[8:9]
	v_lshl_add_u64 v[26:27], v[26:27], 1, s[8:9]
	;; [unrolled: 1-line block ×4, first 2 shown]
	v_add_nc_u64_e32 v[30:31], v[24:25], v[6:7]
	s_delay_alu instid0(VALU_DEP_4) | instskip(NEXT) | instid1(VALU_DEP_4)
	v_add_nc_u64_e32 v[28:29], v[26:27], v[6:7]
	v_add_nc_u64_e32 v[26:27], v[36:37], v[6:7]
	s_delay_alu instid0(VALU_DEP_4)
	v_add_nc_u64_e32 v[24:25], v[38:39], v[6:7]
	s_clause 0x3
	global_load_u16 v0, v[30:31], off
	global_load_u16 v36, v[28:29], off
	;; [unrolled: 1-line block ×4, first 2 shown]
	s_wait_xcnt 0x0
	s_and_saveexec_b32 s7, s4
	s_cbranch_execz .LBB475_43
; %bb.38:                               ;   in Loop: Header=BB475_5 Depth=1
	s_clause 0x3
	global_load_u16 v39, v[30:31], off offset:64
	global_load_u16 v40, v[28:29], off offset:64
	global_load_u16 v41, v[26:27], off offset:64
	global_load_u16 v42, v[24:25], off offset:64
	s_wait_xcnt 0x0
	s_and_saveexec_b32 s8, s5
	s_cbranch_execz .LBB475_42
; %bb.39:                               ;   in Loop: Header=BB475_5 Depth=1
	s_clause 0x3
	global_load_u16 v43, v[30:31], off offset:128
	global_load_u16 v44, v[28:29], off offset:128
	global_load_u16 v45, v[26:27], off offset:128
	global_load_u16 v46, v[24:25], off offset:128
	;; [unrolled: 9-line block ×3, first 2 shown]
	s_wait_loadcnt 0x3
	s_wait_xcnt 0x0
	v_fma_mix_f32 v25, v35, v30, v55 op_sel_hi:[0,1,0]
	s_wait_loadcnt 0x2
	s_delay_alu instid0(VALU_DEP_1) | instskip(SKIP_1) | instid1(VALU_DEP_1)
	v_fma_mix_f32 v25, v34, v28, v25 op_sel_hi:[0,1,0]
	s_wait_loadcnt 0x1
	v_fma_mix_f32 v25, v33, v26, v25 op_sel_hi:[0,1,0]
	s_wait_loadcnt 0x0
	s_delay_alu instid0(VALU_DEP_1)
	v_fma_mix_f32 v55, v32, v24, v25 op_sel_hi:[0,1,0]
.LBB475_41:                             ;   in Loop: Header=BB475_5 Depth=1
	s_or_b32 exec_lo, exec_lo, s9
	s_wait_loadcnt 0x3
	v_fma_mix_f32 v24, v35, v43, v54 op_sel_hi:[0,1,0]
	s_wait_loadcnt 0x2
	s_delay_alu instid0(VALU_DEP_1) | instskip(SKIP_1) | instid1(VALU_DEP_1)
	v_fma_mix_f32 v24, v34, v44, v24 op_sel_hi:[0,1,0]
	s_wait_loadcnt 0x1
	v_fma_mix_f32 v24, v33, v45, v24 op_sel_hi:[0,1,0]
	s_wait_loadcnt 0x0
	s_delay_alu instid0(VALU_DEP_1)
	v_fma_mix_f32 v54, v32, v46, v24 op_sel_hi:[0,1,0]
.LBB475_42:                             ;   in Loop: Header=BB475_5 Depth=1
	s_or_b32 exec_lo, exec_lo, s8
	s_wait_loadcnt 0x3
	v_fma_mix_f32 v24, v35, v39, v53 op_sel_hi:[0,1,0]
	s_wait_loadcnt 0x2
	s_delay_alu instid0(VALU_DEP_1) | instskip(SKIP_1) | instid1(VALU_DEP_1)
	v_fma_mix_f32 v24, v34, v40, v24 op_sel_hi:[0,1,0]
	s_wait_loadcnt 0x1
	v_fma_mix_f32 v24, v33, v41, v24 op_sel_hi:[0,1,0]
	s_wait_loadcnt 0x0
	s_delay_alu instid0(VALU_DEP_1)
	v_fma_mix_f32 v53, v32, v42, v24 op_sel_hi:[0,1,0]
.LBB475_43:                             ;   in Loop: Header=BB475_5 Depth=1
	s_or_b32 exec_lo, exec_lo, s7
	s_wait_loadcnt 0x3
	v_fma_mix_f32 v0, v35, v0, v52 op_sel_hi:[0,1,0]
	s_wait_loadcnt 0x2
	s_delay_alu instid0(VALU_DEP_1) | instskip(SKIP_1) | instid1(VALU_DEP_1)
	v_fma_mix_f32 v0, v34, v36, v0 op_sel_hi:[0,1,0]
	s_wait_loadcnt 0x1
	v_fma_mix_f32 v0, v33, v37, v0 op_sel_hi:[0,1,0]
	s_wait_loadcnt 0x0
	s_delay_alu instid0(VALU_DEP_1)
	v_fma_mix_f32 v52, v32, v38, v0 op_sel_hi:[0,1,0]
.LBB475_44:                             ;   in Loop: Header=BB475_5 Depth=1
	s_or_b32 exec_lo, exec_lo, s56
.LBB475_45:                             ;   in Loop: Header=BB475_5 Depth=1
	ds_store_2addr_b32 v49, v52, v53 offset1:32
	ds_store_2addr_b32 v49, v54, v55 offset0:64 offset1:96
	s_wait_dscnt 0x0
	s_barrier_signal -1
	s_barrier_wait -1
                                        ; implicit-def: $vgpr0
	s_and_saveexec_b32 s7, s0
	s_cbranch_execz .LBB475_51
; %bb.46:                               ;   in Loop: Header=BB475_5 Depth=1
	ds_load_2addr_stride64_b32 v[24:25], v50 offset1:2
	ds_load_2addr_stride64_b32 v[26:27], v50 offset0:4 offset1:6
	ds_load_2addr_stride64_b32 v[28:29], v50 offset0:8 offset1:10
	s_mov_b32 s9, s54
	s_wait_dscnt 0x2
	v_add_f32_e32 v0, v24, v25
	ds_load_2addr_stride64_b32 v[24:25], v50 offset0:12 offset1:14
	s_wait_dscnt 0x2
	v_add_f32_e32 v0, v26, v0
	s_delay_alu instid0(VALU_DEP_1) | instskip(SKIP_3) | instid1(VALU_DEP_1)
	v_add_f32_e32 v0, v27, v0
	ds_load_2addr_stride64_b32 v[26:27], v50 offset0:16 offset1:18
	s_wait_dscnt 0x2
	v_add_f32_e32 v0, v28, v0
	v_add_f32_e32 v0, v29, v0
	ds_load_2addr_stride64_b32 v[28:29], v50 offset0:20 offset1:22
	s_wait_dscnt 0x2
	v_add_f32_e32 v0, v24, v0
	s_delay_alu instid0(VALU_DEP_1) | instskip(SKIP_3) | instid1(VALU_DEP_1)
	v_add_f32_e32 v0, v25, v0
	ds_load_2addr_stride64_b32 v[24:25], v50 offset0:24 offset1:26
	s_wait_dscnt 0x2
	v_add_f32_e32 v0, v26, v0
	v_add_f32_e32 v0, v27, v0
	ds_load_2addr_stride64_b32 v[26:27], v50 offset0:28 offset1:30
	s_wait_dscnt 0x2
	v_add_f32_e32 v0, v28, v0
	s_delay_alu instid0(VALU_DEP_1) | instskip(SKIP_1) | instid1(VALU_DEP_1)
	v_add_f32_e32 v0, v29, v0
	s_wait_dscnt 0x1
	v_add_f32_e32 v0, v24, v0
	s_delay_alu instid0(VALU_DEP_1) | instskip(SKIP_1) | instid1(VALU_DEP_1)
	v_add_f32_e32 v0, v25, v0
	s_wait_dscnt 0x0
	v_add_f32_e32 v0, v26, v0
	s_delay_alu instid0(VALU_DEP_1)
	v_add_f32_e32 v24, v27, v0
                                        ; implicit-def: $vgpr0
	ds_store_b32 v50, v24
	s_and_saveexec_b32 s8, s3
	s_cbranch_execz .LBB475_50
; %bb.47:                               ;   in Loop: Header=BB475_5 Depth=1
	v_mul_f32_e32 v0, v51, v24
	s_cmp_eq_f32 s55, 0
	s_cbranch_scc1 .LBB475_49
; %bb.48:                               ;   in Loop: Header=BB475_5 Depth=1
	v_lshl_add_u64 v[24:25], v[4:5], 2, s[48:49]
	global_load_b32 v24, v[24:25], off
	s_wait_loadcnt 0x0
	v_fmac_f32_e32 v0, s55, v24
.LBB475_49:                             ;   in Loop: Header=BB475_5 Depth=1
	s_or_b32 s9, s54, exec_lo
.LBB475_50:                             ;   in Loop: Header=BB475_5 Depth=1
	s_wait_xcnt 0x0
	s_or_b32 exec_lo, exec_lo, s8
	s_delay_alu instid0(SALU_CYCLE_1) | instskip(SKIP_1) | instid1(SALU_CYCLE_1)
	s_and_not1_b32 s8, s54, exec_lo
	s_and_b32 s9, s9, exec_lo
	s_or_b32 s54, s8, s9
.LBB475_51:                             ;   in Loop: Header=BB475_5 Depth=1
	s_or_b32 exec_lo, exec_lo, s7
	v_mov_b64_e32 v[24:25], v[4:5]
	s_and_saveexec_b32 s7, s54
	s_cbranch_execz .LBB475_3
.LBB475_52:                             ;   in Loop: Header=BB475_5 Depth=1
	s_delay_alu instid0(VALU_DEP_1)
	v_lshl_add_u64 v[24:25], v[24:25], 2, s[48:49]
	global_store_b32 v[24:25], v0, off
	s_branch .LBB475_3
.LBB475_53:
	s_sendmsg sendmsg(MSG_DEALLOC_VGPRS)
	s_endpgm
	.section	.rodata,"a",@progbits
	.p2align	6, 0x0
	.amdhsa_kernel _ZL20rocblas_gemvn_kernelILi32ELi16ElDF16_PKffEviiT3_lPKT2_lT1_lS5_lS6_lS2_lPT4_lS6_li
		.amdhsa_group_segment_fixed_size 8192
		.amdhsa_private_segment_fixed_size 0
		.amdhsa_kernarg_size 400
		.amdhsa_user_sgpr_count 2
		.amdhsa_user_sgpr_dispatch_ptr 0
		.amdhsa_user_sgpr_queue_ptr 0
		.amdhsa_user_sgpr_kernarg_segment_ptr 1
		.amdhsa_user_sgpr_dispatch_id 0
		.amdhsa_user_sgpr_kernarg_preload_length 0
		.amdhsa_user_sgpr_kernarg_preload_offset 0
		.amdhsa_user_sgpr_private_segment_size 0
		.amdhsa_wavefront_size32 1
		.amdhsa_uses_dynamic_stack 0
		.amdhsa_enable_private_segment 0
		.amdhsa_system_sgpr_workgroup_id_x 1
		.amdhsa_system_sgpr_workgroup_id_y 0
		.amdhsa_system_sgpr_workgroup_id_z 1
		.amdhsa_system_sgpr_workgroup_info 0
		.amdhsa_system_vgpr_workitem_id 1
		.amdhsa_next_free_vgpr 76
		.amdhsa_next_free_sgpr 60
		.amdhsa_named_barrier_count 0
		.amdhsa_reserve_vcc 1
		.amdhsa_float_round_mode_32 0
		.amdhsa_float_round_mode_16_64 0
		.amdhsa_float_denorm_mode_32 3
		.amdhsa_float_denorm_mode_16_64 3
		.amdhsa_fp16_overflow 0
		.amdhsa_memory_ordered 1
		.amdhsa_forward_progress 1
		.amdhsa_inst_pref_size 24
		.amdhsa_round_robin_scheduling 0
		.amdhsa_exception_fp_ieee_invalid_op 0
		.amdhsa_exception_fp_denorm_src 0
		.amdhsa_exception_fp_ieee_div_zero 0
		.amdhsa_exception_fp_ieee_overflow 0
		.amdhsa_exception_fp_ieee_underflow 0
		.amdhsa_exception_fp_ieee_inexact 0
		.amdhsa_exception_int_div_zero 0
	.end_amdhsa_kernel
	.section	.text._ZL20rocblas_gemvn_kernelILi32ELi16ElDF16_PKffEviiT3_lPKT2_lT1_lS5_lS6_lS2_lPT4_lS6_li,"axG",@progbits,_ZL20rocblas_gemvn_kernelILi32ELi16ElDF16_PKffEviiT3_lPKT2_lT1_lS5_lS6_lS2_lPT4_lS6_li,comdat
.Lfunc_end475:
	.size	_ZL20rocblas_gemvn_kernelILi32ELi16ElDF16_PKffEviiT3_lPKT2_lT1_lS5_lS6_lS2_lPT4_lS6_li, .Lfunc_end475-_ZL20rocblas_gemvn_kernelILi32ELi16ElDF16_PKffEviiT3_lPKT2_lT1_lS5_lS6_lS2_lPT4_lS6_li
                                        ; -- End function
	.set _ZL20rocblas_gemvn_kernelILi32ELi16ElDF16_PKffEviiT3_lPKT2_lT1_lS5_lS6_lS2_lPT4_lS6_li.num_vgpr, 76
	.set _ZL20rocblas_gemvn_kernelILi32ELi16ElDF16_PKffEviiT3_lPKT2_lT1_lS5_lS6_lS2_lPT4_lS6_li.num_agpr, 0
	.set _ZL20rocblas_gemvn_kernelILi32ELi16ElDF16_PKffEviiT3_lPKT2_lT1_lS5_lS6_lS2_lPT4_lS6_li.numbered_sgpr, 60
	.set _ZL20rocblas_gemvn_kernelILi32ELi16ElDF16_PKffEviiT3_lPKT2_lT1_lS5_lS6_lS2_lPT4_lS6_li.num_named_barrier, 0
	.set _ZL20rocblas_gemvn_kernelILi32ELi16ElDF16_PKffEviiT3_lPKT2_lT1_lS5_lS6_lS2_lPT4_lS6_li.private_seg_size, 0
	.set _ZL20rocblas_gemvn_kernelILi32ELi16ElDF16_PKffEviiT3_lPKT2_lT1_lS5_lS6_lS2_lPT4_lS6_li.uses_vcc, 1
	.set _ZL20rocblas_gemvn_kernelILi32ELi16ElDF16_PKffEviiT3_lPKT2_lT1_lS5_lS6_lS2_lPT4_lS6_li.uses_flat_scratch, 0
	.set _ZL20rocblas_gemvn_kernelILi32ELi16ElDF16_PKffEviiT3_lPKT2_lT1_lS5_lS6_lS2_lPT4_lS6_li.has_dyn_sized_stack, 0
	.set _ZL20rocblas_gemvn_kernelILi32ELi16ElDF16_PKffEviiT3_lPKT2_lT1_lS5_lS6_lS2_lPT4_lS6_li.has_recursion, 0
	.set _ZL20rocblas_gemvn_kernelILi32ELi16ElDF16_PKffEviiT3_lPKT2_lT1_lS5_lS6_lS2_lPT4_lS6_li.has_indirect_call, 0
	.section	.AMDGPU.csdata,"",@progbits
; Kernel info:
; codeLenInByte = 3024
; TotalNumSgprs: 62
; NumVgprs: 76
; ScratchSize: 0
; MemoryBound: 0
; FloatMode: 240
; IeeeMode: 1
; LDSByteSize: 8192 bytes/workgroup (compile time only)
; SGPRBlocks: 0
; VGPRBlocks: 4
; NumSGPRsForWavesPerEU: 62
; NumVGPRsForWavesPerEU: 76
; NamedBarCnt: 0
; Occupancy: 12
; WaveLimiterHint : 1
; COMPUTE_PGM_RSRC2:SCRATCH_EN: 0
; COMPUTE_PGM_RSRC2:USER_SGPR: 2
; COMPUTE_PGM_RSRC2:TRAP_HANDLER: 0
; COMPUTE_PGM_RSRC2:TGID_X_EN: 1
; COMPUTE_PGM_RSRC2:TGID_Y_EN: 0
; COMPUTE_PGM_RSRC2:TGID_Z_EN: 1
; COMPUTE_PGM_RSRC2:TIDIG_COMP_CNT: 1
	.section	.text._ZL20rocblas_gemvn_kernelILi32ELi16EiDF16_ffEviiT3_lPKT2_lT1_lS3_lS4_lS0_lPT4_lS4_li,"axG",@progbits,_ZL20rocblas_gemvn_kernelILi32ELi16EiDF16_ffEviiT3_lPKT2_lT1_lS3_lS4_lS0_lPT4_lS4_li,comdat
	.globl	_ZL20rocblas_gemvn_kernelILi32ELi16EiDF16_ffEviiT3_lPKT2_lT1_lS3_lS4_lS0_lPT4_lS4_li ; -- Begin function _ZL20rocblas_gemvn_kernelILi32ELi16EiDF16_ffEviiT3_lPKT2_lT1_lS3_lS4_lS0_lPT4_lS4_li
	.p2align	8
	.type	_ZL20rocblas_gemvn_kernelILi32ELi16EiDF16_ffEviiT3_lPKT2_lT1_lS3_lS4_lS0_lPT4_lS4_li,@function
_ZL20rocblas_gemvn_kernelILi32ELi16EiDF16_ffEviiT3_lPKT2_lT1_lS3_lS4_lS0_lPT4_lS4_li: ; @_ZL20rocblas_gemvn_kernelILi32ELi16EiDF16_ffEviiT3_lPKT2_lT1_lS3_lS4_lS0_lPT4_lS4_li
; %bb.0:
	s_load_b64 s[2:3], s[0:1], 0x9c
	s_wait_kmcnt 0x0
	s_lshr_b32 s4, s2, 16
	s_and_b32 s2, s2, 0xffff
	s_and_b32 s3, s3, 0xffff
	s_mul_i32 s2, s4, s2
	s_delay_alu instid0(SALU_CYCLE_1) | instskip(NEXT) | instid1(SALU_CYCLE_1)
	s_mul_i32 s2, s2, s3
	s_cmp_lg_u32 s2, 0x200
	s_cbranch_scc1 .LBB476_53
; %bb.1:
	s_load_b32 s19, s[0:1], 0x88
	s_bfe_u32 s2, ttmp6, 0x40014
	s_lshr_b32 s3, ttmp7, 16
	s_add_co_i32 s2, s2, 1
	s_bfe_u32 s5, ttmp6, 0x40008
	s_mul_i32 s4, s3, s2
	s_getreg_b32 s2, hwreg(HW_REG_IB_STS2, 6, 4)
	s_add_co_i32 s5, s5, s4
	s_cmp_eq_u32 s2, 0
	s_mov_b32 s29, 0
	s_cselect_b32 s28, s3, s5
	s_wait_kmcnt 0x0
	s_cmp_ge_u32 s28, s19
	s_cbranch_scc1 .LBB476_53
; %bb.2:
	s_clause 0x7
	s_load_b128 s[4:7], s[0:1], 0x18
	s_load_b96 s[16:18], s[0:1], 0x40
	s_load_b128 s[12:15], s[0:1], 0x68
	s_load_b32 s30, s[0:1], 0x78
	s_load_b96 s[20:22], s[0:1], 0x0
	s_load_b96 s[24:26], s[0:1], 0x50
	s_load_b32 s23, s[0:1], 0x28
	s_load_b128 s[8:11], s[0:1], 0x30
	v_and_b32_e32 v4, 0x3ff, v0
	v_bfe_u32 v3, v0, 10, 10
	s_delay_alu instid0(VALU_DEP_1) | instskip(NEXT) | instid1(VALU_DEP_3)
	v_dual_mov_b32 v1, 0 :: v_dual_lshlrev_b32 v14, 2, v3
	v_lshl_add_u32 v5, v3, 5, v4
	s_delay_alu instid0(VALU_DEP_2)
	v_or_b32_e32 v10, 3, v14
	s_wait_kmcnt 0x0
	s_lshl_b64 s[6:7], s[6:7], 1
	s_lshl_b64 s[34:35], s[16:17], 1
	;; [unrolled: 1-line block ×3, first 2 shown]
	s_ashr_i32 s31, s30, 31
	s_cmp_eq_f32 s22, 0
	s_load_b64 s[14:15], s[0:1], 0x80
	s_add_nc_u64 s[16:17], s[4:5], s[6:7]
	s_wait_xcnt 0x0
	s_mov_b32 s0, s20
	s_cselect_b32 s27, -1, 0
	s_cmp_neq_f32 s22, 0
	v_mad_u32 v20, s23, v10, v4
	v_mad_u32 v22, s18, v14, s18
	v_mul_lo_u32 v24, s18, v10
	s_cselect_b32 s1, -1, 0
	s_cmp_neq_f32 s26, 1.0
	s_add_nc_u64 s[10:11], s[10:11], s[34:35]
	s_add_nc_u64 s[12:13], s[12:13], s[36:37]
	s_cselect_b32 s3, -1, 0
	s_bfe_u32 s4, ttmp6, 0x4000c
	s_and_b32 s5, ttmp6, 15
	s_add_co_i32 s4, s4, 1
	s_or_b32 s33, s1, s3
	s_mul_i32 s4, ttmp9, s4
	s_delay_alu instid0(SALU_CYCLE_1) | instskip(SKIP_4) | instid1(SALU_CYCLE_1)
	s_add_co_i32 s5, s5, s4
	s_cmp_eq_u32 s2, 0
	s_cselect_b32 s2, ttmp9, s5
	s_ashr_i32 s1, s20, 31
	s_lshl_b32 s38, s2, 7
	v_dual_lshlrev_b32 v6, 2, v4 :: v_dual_add_nc_u32 v0, s38, v5
	s_cmp_neq_f32 s26, 0
	v_dual_add_nc_u32 v15, s38, v4 :: v_dual_bitop2_b32 v7, s38, v5 bitop3:0x54
	s_delay_alu instid0(VALU_DEP_2) | instskip(NEXT) | instid1(VALU_DEP_3)
	v_lshl_add_u32 v16, v3, 9, v6
	v_cmp_gt_i64_e32 vcc_lo, s[0:1], v[0:1]
	v_mul_u64_e32 v[0:1], s[30:31], v[0:1]
	s_cselect_b32 s39, -1, 0
	s_ashr_i32 s2, s21, 31
	v_dual_add_nc_u32 v2, 32, v15 :: v_dual_add_nc_u32 v8, 64, v15
	s_lshr_b32 s1, s2, 26
	v_add_nc_u32_e32 v9, 0x60, v15
	s_add_co_i32 s40, s21, s1
	s_delay_alu instid0(VALU_DEP_2)
	v_cmp_gt_i32_e64 s1, s20, v2
	s_and_not1_b32 s40, s40, 63
	v_cmp_gt_i32_e64 s2, s20, v8
	s_sub_co_i32 s5, s21, s40
	v_cmp_gt_i32_e64 s4, s20, v9
	v_mul_lo_u32 v2, s30, v7
	v_mul_lo_u32 v8, s23, v14
	s_cmp_gt_i32 s5, 0
	v_mul_lo_u32 v9, v3, s23
	v_cmp_gt_u32_e64 s5, 0x80, v5
	v_lshl_add_u32 v17, v3, 7, v6
	v_or_b32_e32 v5, 2, v14
	v_mul_lo_u32 v6, v3, s18
	v_cmp_gt_i32_e64 s0, s20, v15
	v_cmp_gt_i32_e64 s3, s40, v14
	;; [unrolled: 1-line block ×3, first 2 shown]
	v_mad_u32 v19, s23, v5, v4
	v_mul_lo_u32 v23, s18, v5
	v_ashrrev_i32_e32 v3, 31, v2
	v_add3_u32 v18, v8, s23, v4
	v_lshl_add_u32 v21, v9, 2, v4
	s_cselect_b32 s20, -1, 0
	s_and_b32 s41, s5, vcc_lo
	v_lshlrev_b32_e32 v25, 2, v6
	s_lshl_b32 s42, s23, 6
	s_lshl_b32 s43, s18, 6
	s_branch .LBB476_5
.LBB476_3:                              ;   in Loop: Header=BB476_5 Depth=1
	s_wait_xcnt 0x0
	s_or_b32 exec_lo, exec_lo, s7
.LBB476_4:                              ;   in Loop: Header=BB476_5 Depth=1
	s_add_co_i32 s28, s28, 0x10000
	s_delay_alu instid0(SALU_CYCLE_1)
	s_cmp_lt_u32 s28, s19
	s_cbranch_scc0 .LBB476_53
.LBB476_5:                              ; =>This Loop Header: Depth=1
                                        ;     Child Loop BB476_21 Depth 2
	s_and_not1_b32 vcc_lo, exec_lo, s33
	s_cbranch_vccnz .LBB476_4
; %bb.6:                                ;   in Loop: Header=BB476_5 Depth=1
	s_wait_kmcnt 0x0
	s_mul_u64 s[30:31], s[14:15], s[28:29]
	s_and_not1_b32 vcc_lo, exec_lo, s27
	s_lshl_b64 s[30:31], s[30:31], 2
	s_delay_alu instid0(SALU_CYCLE_1)
	s_add_nc_u64 s[30:31], s[12:13], s[30:31]
	s_cbranch_vccnz .LBB476_10
; %bb.7:                                ;   in Loop: Header=BB476_5 Depth=1
	s_mov_b32 s7, 0
	s_mov_b32 s44, 0
                                        ; implicit-def: $vgpr6
	s_and_saveexec_b32 s34, s41
	s_cbranch_execz .LBB476_11
; %bb.8:                                ;   in Loop: Header=BB476_5 Depth=1
	s_and_not1_b32 vcc_lo, exec_lo, s39
	s_cbranch_vccnz .LBB476_13
; %bb.9:                                ;   in Loop: Header=BB476_5 Depth=1
	v_lshl_add_u64 v[4:5], v[0:1], 2, s[30:31]
	global_load_b32 v4, v[4:5], off
	s_wait_loadcnt 0x0
	v_mul_f32_e32 v6, s26, v4
	s_branch .LBB476_14
.LBB476_10:                             ;   in Loop: Header=BB476_5 Depth=1
	s_mov_b32 s44, 0
                                        ; implicit-def: $vgpr6
	s_cbranch_execz .LBB476_12
	s_branch .LBB476_15
.LBB476_11:                             ;   in Loop: Header=BB476_5 Depth=1
	s_or_b32 exec_lo, exec_lo, s34
	s_delay_alu instid0(SALU_CYCLE_1)
	s_and_b32 vcc_lo, exec_lo, s7
	s_cbranch_vccnz .LBB476_15
.LBB476_12:                             ;   in Loop: Header=BB476_5 Depth=1
	v_mov_b64_e32 v[4:5], v[0:1]
	s_and_saveexec_b32 s7, s44
	s_cbranch_execz .LBB476_3
	s_branch .LBB476_52
.LBB476_13:                             ;   in Loop: Header=BB476_5 Depth=1
	v_mov_b32_e32 v6, 0
.LBB476_14:                             ;   in Loop: Header=BB476_5 Depth=1
	s_mov_b32 s44, exec_lo
	s_wait_xcnt 0x0
	s_or_b32 exec_lo, exec_lo, s34
	s_delay_alu instid0(SALU_CYCLE_1)
	s_and_b32 vcc_lo, exec_lo, s7
	s_cbranch_vccz .LBB476_12
.LBB476_15:                             ;   in Loop: Header=BB476_5 Depth=1
	s_mul_u64 s[34:35], s[8:9], s[28:29]
	s_mul_u64 s[36:37], s[24:25], s[28:29]
	v_dual_mov_b32 v26, 0 :: v_dual_mov_b32 v12, v14
	v_dual_mov_b32 v27, 0 :: v_dual_mov_b32 v28, 0
	v_mov_b32_e32 v29, 0
	s_lshl_b64 s[34:35], s[34:35], 1
	s_lshl_b64 s[36:37], s[36:37], 1
	s_add_nc_u64 s[34:35], s[16:17], s[34:35]
	s_add_nc_u64 s[36:37], s[10:11], s[36:37]
	s_and_saveexec_b32 s7, s3
	s_cbranch_execz .LBB476_27
; %bb.16:                               ;   in Loop: Header=BB476_5 Depth=1
	v_dual_mov_b32 v26, 0 :: v_dual_mov_b32 v13, v21
	v_dual_mov_b32 v30, v20 :: v_dual_mov_b32 v31, v19
	;; [unrolled: 1-line block ×4, first 2 shown]
	v_mov_b32_e32 v29, 0
	s_mov_b32 s45, 0
	s_mov_b32 s46, 0
	s_branch .LBB476_21
.LBB476_17:                             ;   in Loop: Header=BB476_21 Depth=2
	s_wait_xcnt 0x0
	s_or_b32 exec_lo, exec_lo, s50
	s_wait_loadcnt 0x3
	v_fma_mix_f32 v4, v45, v49, v28 op_sel_hi:[0,1,0]
	s_wait_loadcnt 0x2
	s_delay_alu instid0(VALU_DEP_1) | instskip(SKIP_1) | instid1(VALU_DEP_1)
	v_fma_mix_f32 v4, v46, v50, v4 op_sel_hi:[0,1,0]
	s_wait_loadcnt 0x1
	v_fma_mix_f32 v4, v47, v51, v4 op_sel_hi:[0,1,0]
	s_wait_loadcnt 0x0
	s_delay_alu instid0(VALU_DEP_1)
	v_fma_mix_f32 v28, v48, v52, v4 op_sel_hi:[0,1,0]
.LBB476_18:                             ;   in Loop: Header=BB476_21 Depth=2
	s_or_b32 exec_lo, exec_lo, s49
	s_wait_loadcnt 0x3
	v_fma_mix_f32 v4, v45, v41, v27 op_sel_hi:[0,1,0]
	s_wait_loadcnt 0x2
	s_delay_alu instid0(VALU_DEP_1) | instskip(SKIP_1) | instid1(VALU_DEP_1)
	v_fma_mix_f32 v4, v46, v42, v4 op_sel_hi:[0,1,0]
	s_wait_loadcnt 0x1
	v_fma_mix_f32 v4, v47, v43, v4 op_sel_hi:[0,1,0]
	s_wait_loadcnt 0x0
	s_delay_alu instid0(VALU_DEP_1)
	v_fma_mix_f32 v27, v48, v44, v4 op_sel_hi:[0,1,0]
.LBB476_19:                             ;   in Loop: Header=BB476_21 Depth=2
	s_or_b32 exec_lo, exec_lo, s48
	s_wait_loadcnt 0x3
	v_fma_mix_f32 v4, v33, v37, v26 op_sel_hi:[1,1,0]
	s_wait_loadcnt 0x2
	s_delay_alu instid0(VALU_DEP_1) | instskip(SKIP_1) | instid1(VALU_DEP_1)
	v_fma_mix_f32 v4, v34, v38, v4 op_sel_hi:[1,1,0]
	s_wait_loadcnt 0x1
	v_fma_mix_f32 v4, v35, v39, v4 op_sel_hi:[1,1,0]
	s_wait_loadcnt 0x0
	s_delay_alu instid0(VALU_DEP_1)
	v_fma_mix_f32 v26, v36, v40, v4 op_sel_hi:[1,1,0]
.LBB476_20:                             ;   in Loop: Header=BB476_21 Depth=2
	s_or_b32 exec_lo, exec_lo, s47
	v_dual_add_nc_u32 v12, 64, v12 :: v_dual_add_nc_u32 v31, s42, v31
	v_dual_add_nc_u32 v32, s42, v32 :: v_dual_add_nc_u32 v30, s42, v30
	v_add_nc_u32_e32 v13, s42, v13
	s_delay_alu instid0(VALU_DEP_3) | instskip(SKIP_2) | instid1(SALU_CYCLE_1)
	v_cmp_le_i32_e32 vcc_lo, s40, v12
	s_add_co_i32 s46, s46, s43
	s_or_b32 s45, vcc_lo, s45
	s_and_not1_b32 exec_lo, exec_lo, s45
	s_cbranch_execz .LBB476_26
.LBB476_21:                             ;   Parent Loop BB476_5 Depth=1
                                        ; =>  This Inner Loop Header: Depth=2
	s_and_saveexec_b32 s47, s0
	s_cbranch_execz .LBB476_20
; %bb.22:                               ;   in Loop: Header=BB476_21 Depth=2
	v_dual_add_nc_u32 v5, s46, v25 :: v_dual_add_nc_u32 v7, s46, v22
	v_dual_add_nc_u32 v9, s46, v23 :: v_dual_add_nc_u32 v11, s46, v24
	;; [unrolled: 1-line block ×4, first 2 shown]
	s_clause 0x3
	global_load_u16 v33, v5, s[36:37] scale_offset
	global_load_u16 v34, v7, s[36:37] scale_offset
	;; [unrolled: 1-line block ×4, first 2 shown]
	s_clause 0x3
	global_load_u16 v37, v4, s[34:35] scale_offset
	global_load_u16 v38, v6, s[34:35] scale_offset
	;; [unrolled: 1-line block ×4, first 2 shown]
	s_wait_xcnt 0x0
	s_and_saveexec_b32 s48, s1
	s_cbranch_execz .LBB476_19
; %bb.23:                               ;   in Loop: Header=BB476_21 Depth=2
	v_dual_ashrrev_i32 v5, 31, v4 :: v_dual_ashrrev_i32 v7, 31, v6
	v_dual_ashrrev_i32 v11, 31, v10 :: v_dual_ashrrev_i32 v9, 31, v8
	s_wait_loadcnt 0x7
	v_cvt_f32_f16_e32 v45, v33
	s_delay_alu instid0(VALU_DEP_3)
	v_lshl_add_u64 v[4:5], v[4:5], 1, s[34:35]
	v_lshl_add_u64 v[6:7], v[6:7], 1, s[34:35]
	;; [unrolled: 1-line block ×4, first 2 shown]
	s_wait_loadcnt 0x6
	v_cvt_f32_f16_e32 v46, v34
	s_clause 0x3
	global_load_u16 v41, v[4:5], off offset:64
	global_load_u16 v42, v[6:7], off offset:64
	;; [unrolled: 1-line block ×4, first 2 shown]
	s_wait_loadcnt 0x9
	v_cvt_f32_f16_e32 v47, v35
	s_wait_loadcnt 0x8
	v_cvt_f32_f16_e32 v48, v36
	s_wait_xcnt 0x0
	s_and_saveexec_b32 s49, s2
	s_cbranch_execz .LBB476_18
; %bb.24:                               ;   in Loop: Header=BB476_21 Depth=2
	s_clause 0x3
	global_load_u16 v49, v[4:5], off offset:128
	global_load_u16 v50, v[6:7], off offset:128
	;; [unrolled: 1-line block ×4, first 2 shown]
	s_wait_xcnt 0x0
	s_and_saveexec_b32 s50, s4
	s_cbranch_execz .LBB476_17
; %bb.25:                               ;   in Loop: Header=BB476_21 Depth=2
	s_clause 0x3
	global_load_u16 v53, v[4:5], off offset:192
	global_load_u16 v54, v[6:7], off offset:192
	;; [unrolled: 1-line block ×4, first 2 shown]
	s_wait_loadcnt 0x3
	s_wait_xcnt 0x3
	v_fma_mix_f32 v4, v45, v53, v29 op_sel_hi:[0,1,0]
	s_wait_loadcnt 0x2
	s_delay_alu instid0(VALU_DEP_1) | instskip(SKIP_1) | instid1(VALU_DEP_1)
	v_fma_mix_f32 v4, v46, v54, v4 op_sel_hi:[0,1,0]
	s_wait_loadcnt 0x1
	v_fma_mix_f32 v4, v47, v55, v4 op_sel_hi:[0,1,0]
	s_wait_loadcnt 0x0
	s_delay_alu instid0(VALU_DEP_1)
	v_fma_mix_f32 v29, v48, v56, v4 op_sel_hi:[0,1,0]
	s_branch .LBB476_17
.LBB476_26:                             ;   in Loop: Header=BB476_5 Depth=1
	s_or_b32 exec_lo, exec_lo, s45
.LBB476_27:                             ;   in Loop: Header=BB476_5 Depth=1
	s_delay_alu instid0(SALU_CYCLE_1) | instskip(NEXT) | instid1(SALU_CYCLE_1)
	s_or_b32 exec_lo, exec_lo, s7
	s_and_not1_b32 vcc_lo, exec_lo, s20
	s_cbranch_vccnz .LBB476_45
; %bb.28:                               ;   in Loop: Header=BB476_5 Depth=1
	v_cmp_gt_i32_e32 vcc_lo, s21, v12
	v_dual_mov_b32 v30, 0 :: v_dual_bitop2_b32 v4, 1, v12 bitop3:0x54
	v_dual_mov_b32 v31, 0 :: v_dual_mov_b32 v32, 0
	v_mov_b32_e32 v33, 0
	s_and_saveexec_b32 s45, vcc_lo
	s_cbranch_execz .LBB476_36
; %bb.29:                               ;   in Loop: Header=BB476_5 Depth=1
	v_mul_lo_u32 v5, v12, s18
	v_dual_mov_b32 v32, 0 :: v_dual_mov_b32 v31, 0
	v_mov_b32_e32 v30, 0
	s_mov_b32 s46, exec_lo
	global_load_u16 v5, v5, s[36:37] scale_offset
	s_wait_xcnt 0x0
	v_cmpx_gt_i32_e64 s21, v4
	s_cbranch_execz .LBB476_35
; %bb.30:                               ;   in Loop: Header=BB476_5 Depth=1
	v_mul_lo_u32 v6, v4, s18
	v_dual_mov_b32 v31, 0 :: v_dual_bitop2_b32 v7, 2, v12 bitop3:0x54
	v_mov_b32_e32 v30, 0
	s_mov_b32 s47, exec_lo
	global_load_u16 v6, v6, s[36:37] scale_offset
	s_wait_xcnt 0x0
	v_cmpx_gt_i32_e64 s21, v7
	s_cbranch_execz .LBB476_34
; %bb.31:                               ;   in Loop: Header=BB476_5 Depth=1
	v_mul_lo_u32 v7, v7, s18
	v_dual_mov_b32 v30, 0 :: v_dual_bitop2_b32 v8, 3, v12 bitop3:0x54
	s_mov_b32 s48, exec_lo
	global_load_u16 v7, v7, s[36:37] scale_offset
	s_wait_xcnt 0x0
	v_cmpx_gt_i32_e64 s21, v8
	s_cbranch_execz .LBB476_33
; %bb.32:                               ;   in Loop: Header=BB476_5 Depth=1
	v_mul_lo_u32 v8, v8, s18
	global_load_u16 v8, v8, s[36:37] scale_offset
	s_wait_loadcnt 0x0
	v_cvt_f32_f16_e32 v30, v8
.LBB476_33:                             ;   in Loop: Header=BB476_5 Depth=1
	s_wait_xcnt 0x0
	s_or_b32 exec_lo, exec_lo, s48
	s_wait_loadcnt 0x0
	v_cvt_f32_f16_e32 v31, v7
.LBB476_34:                             ;   in Loop: Header=BB476_5 Depth=1
	s_or_b32 exec_lo, exec_lo, s47
	s_wait_loadcnt 0x0
	v_cvt_f32_f16_e32 v32, v6
.LBB476_35:                             ;   in Loop: Header=BB476_5 Depth=1
	s_or_b32 exec_lo, exec_lo, s46
	s_wait_loadcnt 0x0
	v_cvt_f32_f16_e32 v33, v5
.LBB476_36:                             ;   in Loop: Header=BB476_5 Depth=1
	s_or_b32 exec_lo, exec_lo, s45
	s_and_saveexec_b32 s7, s0
	s_cbranch_execz .LBB476_44
; %bb.37:                               ;   in Loop: Header=BB476_5 Depth=1
	v_mul_lo_u32 v6, v12, s23
	v_or_b32_e32 v5, 2, v12
	v_mul_lo_u32 v8, v4, s23
	s_delay_alu instid0(VALU_DEP_3) | instskip(NEXT) | instid1(VALU_DEP_3)
	v_cndmask_b32_e32 v6, 0, v6, vcc_lo
	v_mul_lo_u32 v9, v5, s23
	v_cmp_gt_i32_e32 vcc_lo, s21, v4
	s_delay_alu instid0(VALU_DEP_4) | instskip(SKIP_1) | instid1(VALU_DEP_4)
	v_cndmask_b32_e32 v8, 0, v8, vcc_lo
	v_cmp_gt_i32_e32 vcc_lo, s21, v5
	v_dual_cndmask_b32 v5, 0, v9, vcc_lo :: v_dual_bitop2_b32 v7, 3, v12 bitop3:0x54
	s_delay_alu instid0(VALU_DEP_1) | instskip(SKIP_1) | instid1(VALU_DEP_2)
	v_mul_lo_u32 v10, v7, s23
	v_cmp_gt_i32_e32 vcc_lo, s21, v7
	v_dual_cndmask_b32 v7, 0, v10 :: v_dual_add_nc_u32 v4, v6, v15
	s_delay_alu instid0(VALU_DEP_4) | instskip(NEXT) | instid1(VALU_DEP_2)
	v_dual_add_nc_u32 v8, v8, v15 :: v_dual_add_nc_u32 v12, v5, v15
	v_add_nc_u32_e32 v10, v7, v15
	s_clause 0x3
	global_load_u16 v34, v4, s[34:35] scale_offset
	global_load_u16 v35, v8, s[34:35] scale_offset
	;; [unrolled: 1-line block ×4, first 2 shown]
	s_wait_xcnt 0x0
	s_and_saveexec_b32 s36, s1
	s_cbranch_execz .LBB476_43
; %bb.38:                               ;   in Loop: Header=BB476_5 Depth=1
	v_dual_ashrrev_i32 v5, 31, v4 :: v_dual_ashrrev_i32 v11, 31, v10
	v_ashrrev_i32_e32 v9, 31, v8
	v_ashrrev_i32_e32 v13, 31, v12
	s_delay_alu instid0(VALU_DEP_3) | instskip(NEXT) | instid1(VALU_DEP_4)
	v_lshl_add_u64 v[6:7], v[4:5], 1, s[34:35]
	v_lshl_add_u64 v[10:11], v[10:11], 1, s[34:35]
	s_delay_alu instid0(VALU_DEP_4) | instskip(NEXT) | instid1(VALU_DEP_4)
	v_lshl_add_u64 v[4:5], v[8:9], 1, s[34:35]
	v_lshl_add_u64 v[8:9], v[12:13], 1, s[34:35]
	s_clause 0x3
	global_load_u16 v12, v[6:7], off offset:64
	global_load_u16 v13, v[4:5], off offset:64
	;; [unrolled: 1-line block ×4, first 2 shown]
	s_wait_xcnt 0x0
	s_and_saveexec_b32 s34, s2
	s_cbranch_execz .LBB476_42
; %bb.39:                               ;   in Loop: Header=BB476_5 Depth=1
	s_clause 0x3
	global_load_u16 v40, v[6:7], off offset:128
	global_load_u16 v41, v[4:5], off offset:128
	;; [unrolled: 1-line block ×4, first 2 shown]
	s_wait_xcnt 0x0
	s_and_saveexec_b32 s35, s4
	s_cbranch_execz .LBB476_41
; %bb.40:                               ;   in Loop: Header=BB476_5 Depth=1
	s_clause 0x3
	global_load_u16 v44, v[6:7], off offset:192
	global_load_u16 v45, v[4:5], off offset:192
	;; [unrolled: 1-line block ×4, first 2 shown]
	s_wait_loadcnt 0x3
	s_wait_xcnt 0x2
	v_fma_mix_f32 v4, v33, v44, v29 op_sel_hi:[0,1,0]
	s_wait_loadcnt 0x2
	s_delay_alu instid0(VALU_DEP_1) | instskip(SKIP_1) | instid1(VALU_DEP_1)
	v_fma_mix_f32 v4, v32, v45, v4 op_sel_hi:[0,1,0]
	s_wait_loadcnt 0x1
	v_fma_mix_f32 v4, v31, v46, v4 op_sel_hi:[0,1,0]
	s_wait_loadcnt 0x0
	s_delay_alu instid0(VALU_DEP_1)
	v_fma_mix_f32 v29, v30, v47, v4 op_sel_hi:[0,1,0]
.LBB476_41:                             ;   in Loop: Header=BB476_5 Depth=1
	s_wait_xcnt 0x0
	s_or_b32 exec_lo, exec_lo, s35
	s_wait_loadcnt 0x3
	v_fma_mix_f32 v4, v33, v40, v28 op_sel_hi:[0,1,0]
	s_wait_loadcnt 0x2
	s_delay_alu instid0(VALU_DEP_1) | instskip(SKIP_1) | instid1(VALU_DEP_1)
	v_fma_mix_f32 v4, v32, v41, v4 op_sel_hi:[0,1,0]
	s_wait_loadcnt 0x1
	v_fma_mix_f32 v4, v31, v42, v4 op_sel_hi:[0,1,0]
	s_wait_loadcnt 0x0
	s_delay_alu instid0(VALU_DEP_1)
	v_fma_mix_f32 v28, v30, v43, v4 op_sel_hi:[0,1,0]
.LBB476_42:                             ;   in Loop: Header=BB476_5 Depth=1
	s_or_b32 exec_lo, exec_lo, s34
	s_wait_loadcnt 0x3
	v_fma_mix_f32 v4, v33, v12, v27 op_sel_hi:[0,1,0]
	s_wait_loadcnt 0x2
	s_delay_alu instid0(VALU_DEP_1) | instskip(SKIP_1) | instid1(VALU_DEP_1)
	v_fma_mix_f32 v4, v32, v13, v4 op_sel_hi:[0,1,0]
	s_wait_loadcnt 0x1
	v_fma_mix_f32 v4, v31, v38, v4 op_sel_hi:[0,1,0]
	s_wait_loadcnt 0x0
	s_delay_alu instid0(VALU_DEP_1)
	v_fma_mix_f32 v27, v30, v39, v4 op_sel_hi:[0,1,0]
.LBB476_43:                             ;   in Loop: Header=BB476_5 Depth=1
	s_or_b32 exec_lo, exec_lo, s36
	s_wait_loadcnt 0x3
	v_fma_mix_f32 v4, v33, v34, v26 op_sel_hi:[0,1,0]
	s_wait_loadcnt 0x2
	s_delay_alu instid0(VALU_DEP_1) | instskip(SKIP_1) | instid1(VALU_DEP_1)
	v_fma_mix_f32 v4, v32, v35, v4 op_sel_hi:[0,1,0]
	s_wait_loadcnt 0x1
	v_fma_mix_f32 v4, v31, v36, v4 op_sel_hi:[0,1,0]
	s_wait_loadcnt 0x0
	s_delay_alu instid0(VALU_DEP_1)
	v_fma_mix_f32 v26, v30, v37, v4 op_sel_hi:[0,1,0]
.LBB476_44:                             ;   in Loop: Header=BB476_5 Depth=1
	s_or_b32 exec_lo, exec_lo, s7
.LBB476_45:                             ;   in Loop: Header=BB476_5 Depth=1
	ds_store_2addr_b32 v16, v26, v27 offset1:32
	ds_store_2addr_b32 v16, v28, v29 offset0:64 offset1:96
	s_wait_dscnt 0x0
	s_barrier_signal -1
	s_barrier_wait -1
                                        ; implicit-def: $vgpr6
	s_and_saveexec_b32 s7, s5
	s_cbranch_execz .LBB476_51
; %bb.46:                               ;   in Loop: Header=BB476_5 Depth=1
	ds_load_2addr_stride64_b32 v[4:5], v17 offset1:2
	ds_load_2addr_stride64_b32 v[6:7], v17 offset0:4 offset1:6
	ds_load_2addr_stride64_b32 v[8:9], v17 offset0:8 offset1:10
	s_mov_b32 s35, s44
	s_wait_dscnt 0x2
	v_add_f32_e32 v10, v4, v5
	ds_load_2addr_stride64_b32 v[4:5], v17 offset0:12 offset1:14
	s_wait_dscnt 0x2
	v_add_f32_e32 v6, v6, v10
	s_delay_alu instid0(VALU_DEP_1) | instskip(SKIP_3) | instid1(VALU_DEP_1)
	v_add_f32_e32 v10, v7, v6
	ds_load_2addr_stride64_b32 v[6:7], v17 offset0:16 offset1:18
	s_wait_dscnt 0x2
	v_add_f32_e32 v8, v8, v10
	v_add_f32_e32 v10, v9, v8
	ds_load_2addr_stride64_b32 v[8:9], v17 offset0:20 offset1:22
	s_wait_dscnt 0x2
	v_add_f32_e32 v4, v4, v10
	s_delay_alu instid0(VALU_DEP_1) | instskip(SKIP_1) | instid1(VALU_DEP_1)
	v_add_f32_e32 v4, v5, v4
	s_wait_dscnt 0x1
	v_add_f32_e32 v6, v6, v4
	ds_load_2addr_stride64_b32 v[4:5], v17 offset0:24 offset1:26
	v_add_f32_e32 v6, v7, v6
	s_wait_dscnt 0x1
	s_delay_alu instid0(VALU_DEP_1) | instskip(SKIP_3) | instid1(VALU_DEP_1)
	v_add_f32_e32 v8, v8, v6
	ds_load_2addr_stride64_b32 v[6:7], v17 offset0:28 offset1:30
	v_add_f32_e32 v8, v9, v8
	s_wait_dscnt 0x1
	v_add_f32_e32 v4, v4, v8
	s_delay_alu instid0(VALU_DEP_1) | instskip(SKIP_1) | instid1(VALU_DEP_1)
	v_add_f32_e32 v4, v5, v4
	s_wait_dscnt 0x0
	v_add_f32_e32 v4, v6, v4
                                        ; implicit-def: $vgpr6
	s_delay_alu instid0(VALU_DEP_1)
	v_add_f32_e32 v4, v7, v4
	ds_store_b32 v17, v4
	s_and_saveexec_b32 s34, s6
	s_cbranch_execz .LBB476_50
; %bb.47:                               ;   in Loop: Header=BB476_5 Depth=1
	v_mul_f32_e32 v6, s22, v4
	s_and_not1_b32 vcc_lo, exec_lo, s39
	s_cbranch_vccnz .LBB476_49
; %bb.48:                               ;   in Loop: Header=BB476_5 Depth=1
	v_lshl_add_u64 v[4:5], v[2:3], 2, s[30:31]
	global_load_b32 v4, v[4:5], off
	s_wait_loadcnt 0x0
	v_fmac_f32_e32 v6, s26, v4
.LBB476_49:                             ;   in Loop: Header=BB476_5 Depth=1
	s_or_b32 s35, s44, exec_lo
.LBB476_50:                             ;   in Loop: Header=BB476_5 Depth=1
	s_wait_xcnt 0x0
	s_or_b32 exec_lo, exec_lo, s34
	s_delay_alu instid0(SALU_CYCLE_1) | instskip(SKIP_1) | instid1(SALU_CYCLE_1)
	s_and_not1_b32 s34, s44, exec_lo
	s_and_b32 s35, s35, exec_lo
	s_or_b32 s44, s34, s35
.LBB476_51:                             ;   in Loop: Header=BB476_5 Depth=1
	s_or_b32 exec_lo, exec_lo, s7
	v_mov_b64_e32 v[4:5], v[2:3]
	s_and_saveexec_b32 s7, s44
	s_cbranch_execz .LBB476_3
.LBB476_52:                             ;   in Loop: Header=BB476_5 Depth=1
	s_delay_alu instid0(VALU_DEP_1)
	v_lshl_add_u64 v[4:5], v[4:5], 2, s[30:31]
	global_store_b32 v[4:5], v6, off
	s_branch .LBB476_3
.LBB476_53:
	s_endpgm
	.section	.rodata,"a",@progbits
	.p2align	6, 0x0
	.amdhsa_kernel _ZL20rocblas_gemvn_kernelILi32ELi16EiDF16_ffEviiT3_lPKT2_lT1_lS3_lS4_lS0_lPT4_lS4_li
		.amdhsa_group_segment_fixed_size 8192
		.amdhsa_private_segment_fixed_size 0
		.amdhsa_kernarg_size 400
		.amdhsa_user_sgpr_count 2
		.amdhsa_user_sgpr_dispatch_ptr 0
		.amdhsa_user_sgpr_queue_ptr 0
		.amdhsa_user_sgpr_kernarg_segment_ptr 1
		.amdhsa_user_sgpr_dispatch_id 0
		.amdhsa_user_sgpr_kernarg_preload_length 0
		.amdhsa_user_sgpr_kernarg_preload_offset 0
		.amdhsa_user_sgpr_private_segment_size 0
		.amdhsa_wavefront_size32 1
		.amdhsa_uses_dynamic_stack 0
		.amdhsa_enable_private_segment 0
		.amdhsa_system_sgpr_workgroup_id_x 1
		.amdhsa_system_sgpr_workgroup_id_y 0
		.amdhsa_system_sgpr_workgroup_id_z 1
		.amdhsa_system_sgpr_workgroup_info 0
		.amdhsa_system_vgpr_workitem_id 1
		.amdhsa_next_free_vgpr 57
		.amdhsa_next_free_sgpr 51
		.amdhsa_named_barrier_count 0
		.amdhsa_reserve_vcc 1
		.amdhsa_float_round_mode_32 0
		.amdhsa_float_round_mode_16_64 0
		.amdhsa_float_denorm_mode_32 3
		.amdhsa_float_denorm_mode_16_64 3
		.amdhsa_fp16_overflow 0
		.amdhsa_memory_ordered 1
		.amdhsa_forward_progress 1
		.amdhsa_inst_pref_size 24
		.amdhsa_round_robin_scheduling 0
		.amdhsa_exception_fp_ieee_invalid_op 0
		.amdhsa_exception_fp_denorm_src 0
		.amdhsa_exception_fp_ieee_div_zero 0
		.amdhsa_exception_fp_ieee_overflow 0
		.amdhsa_exception_fp_ieee_underflow 0
		.amdhsa_exception_fp_ieee_inexact 0
		.amdhsa_exception_int_div_zero 0
	.end_amdhsa_kernel
	.section	.text._ZL20rocblas_gemvn_kernelILi32ELi16EiDF16_ffEviiT3_lPKT2_lT1_lS3_lS4_lS0_lPT4_lS4_li,"axG",@progbits,_ZL20rocblas_gemvn_kernelILi32ELi16EiDF16_ffEviiT3_lPKT2_lT1_lS3_lS4_lS0_lPT4_lS4_li,comdat
.Lfunc_end476:
	.size	_ZL20rocblas_gemvn_kernelILi32ELi16EiDF16_ffEviiT3_lPKT2_lT1_lS3_lS4_lS0_lPT4_lS4_li, .Lfunc_end476-_ZL20rocblas_gemvn_kernelILi32ELi16EiDF16_ffEviiT3_lPKT2_lT1_lS3_lS4_lS0_lPT4_lS4_li
                                        ; -- End function
	.set _ZL20rocblas_gemvn_kernelILi32ELi16EiDF16_ffEviiT3_lPKT2_lT1_lS3_lS4_lS0_lPT4_lS4_li.num_vgpr, 57
	.set _ZL20rocblas_gemvn_kernelILi32ELi16EiDF16_ffEviiT3_lPKT2_lT1_lS3_lS4_lS0_lPT4_lS4_li.num_agpr, 0
	.set _ZL20rocblas_gemvn_kernelILi32ELi16EiDF16_ffEviiT3_lPKT2_lT1_lS3_lS4_lS0_lPT4_lS4_li.numbered_sgpr, 51
	.set _ZL20rocblas_gemvn_kernelILi32ELi16EiDF16_ffEviiT3_lPKT2_lT1_lS3_lS4_lS0_lPT4_lS4_li.num_named_barrier, 0
	.set _ZL20rocblas_gemvn_kernelILi32ELi16EiDF16_ffEviiT3_lPKT2_lT1_lS3_lS4_lS0_lPT4_lS4_li.private_seg_size, 0
	.set _ZL20rocblas_gemvn_kernelILi32ELi16EiDF16_ffEviiT3_lPKT2_lT1_lS3_lS4_lS0_lPT4_lS4_li.uses_vcc, 1
	.set _ZL20rocblas_gemvn_kernelILi32ELi16EiDF16_ffEviiT3_lPKT2_lT1_lS3_lS4_lS0_lPT4_lS4_li.uses_flat_scratch, 0
	.set _ZL20rocblas_gemvn_kernelILi32ELi16EiDF16_ffEviiT3_lPKT2_lT1_lS3_lS4_lS0_lPT4_lS4_li.has_dyn_sized_stack, 0
	.set _ZL20rocblas_gemvn_kernelILi32ELi16EiDF16_ffEviiT3_lPKT2_lT1_lS3_lS4_lS0_lPT4_lS4_li.has_recursion, 0
	.set _ZL20rocblas_gemvn_kernelILi32ELi16EiDF16_ffEviiT3_lPKT2_lT1_lS3_lS4_lS0_lPT4_lS4_li.has_indirect_call, 0
	.section	.AMDGPU.csdata,"",@progbits
; Kernel info:
; codeLenInByte = 2996
; TotalNumSgprs: 53
; NumVgprs: 57
; ScratchSize: 0
; MemoryBound: 0
; FloatMode: 240
; IeeeMode: 1
; LDSByteSize: 8192 bytes/workgroup (compile time only)
; SGPRBlocks: 0
; VGPRBlocks: 3
; NumSGPRsForWavesPerEU: 53
; NumVGPRsForWavesPerEU: 57
; NamedBarCnt: 0
; Occupancy: 16
; WaveLimiterHint : 1
; COMPUTE_PGM_RSRC2:SCRATCH_EN: 0
; COMPUTE_PGM_RSRC2:USER_SGPR: 2
; COMPUTE_PGM_RSRC2:TRAP_HANDLER: 0
; COMPUTE_PGM_RSRC2:TGID_X_EN: 1
; COMPUTE_PGM_RSRC2:TGID_Y_EN: 0
; COMPUTE_PGM_RSRC2:TGID_Z_EN: 1
; COMPUTE_PGM_RSRC2:TIDIG_COMP_CNT: 1
	.section	.text._ZL20rocblas_gemvn_kernelILi32ELi16ElDF16_ffEviiT3_lPKT2_lT1_lS3_lS4_lS0_lPT4_lS4_li,"axG",@progbits,_ZL20rocblas_gemvn_kernelILi32ELi16ElDF16_ffEviiT3_lPKT2_lT1_lS3_lS4_lS0_lPT4_lS4_li,comdat
	.globl	_ZL20rocblas_gemvn_kernelILi32ELi16ElDF16_ffEviiT3_lPKT2_lT1_lS3_lS4_lS0_lPT4_lS4_li ; -- Begin function _ZL20rocblas_gemvn_kernelILi32ELi16ElDF16_ffEviiT3_lPKT2_lT1_lS3_lS4_lS0_lPT4_lS4_li
	.p2align	8
	.type	_ZL20rocblas_gemvn_kernelILi32ELi16ElDF16_ffEviiT3_lPKT2_lT1_lS3_lS4_lS0_lPT4_lS4_li,@function
_ZL20rocblas_gemvn_kernelILi32ELi16ElDF16_ffEviiT3_lPKT2_lT1_lS3_lS4_lS0_lPT4_lS4_li: ; @_ZL20rocblas_gemvn_kernelILi32ELi16ElDF16_ffEviiT3_lPKT2_lT1_lS3_lS4_lS0_lPT4_lS4_li
; %bb.0:
	s_load_b64 s[2:3], s[0:1], 0x9c
	s_wait_kmcnt 0x0
	s_lshr_b32 s4, s2, 16
	s_and_b32 s2, s2, 0xffff
	s_and_b32 s3, s3, 0xffff
	s_mul_i32 s2, s4, s2
	s_delay_alu instid0(SALU_CYCLE_1) | instskip(NEXT) | instid1(SALU_CYCLE_1)
	s_mul_i32 s2, s2, s3
	s_cmp_lg_u32 s2, 0x200
	s_cbranch_scc1 .LBB477_53
; %bb.1:
	s_load_b32 s33, s[0:1], 0x88
	s_bfe_u32 s2, ttmp6, 0x40014
	s_lshr_b32 s3, ttmp7, 16
	s_add_co_i32 s2, s2, 1
	s_bfe_u32 s4, ttmp6, 0x40008
	s_mul_i32 s2, s3, s2
	s_getreg_b32 s6, hwreg(HW_REG_IB_STS2, 6, 4)
	s_add_co_i32 s4, s4, s2
	s_cmp_eq_u32 s6, 0
	s_mov_b32 s35, 0
	s_cselect_b32 s34, s3, s4
	s_wait_kmcnt 0x0
	s_cmp_ge_u32 s34, s33
	s_cbranch_scc1 .LBB477_53
; %bb.2:
	s_clause 0x3
	s_load_b512 s[8:23], s[0:1], 0x18
	s_load_b256 s[24:31], s[0:1], 0x68
	s_load_b96 s[36:38], s[0:1], 0x0
	s_load_b32 s39, s[0:1], 0x58
	v_and_b32_e32 v6, 0x3ff, v0
	v_bfe_u32 v2, v0, 10, 10
	s_delay_alu instid0(VALU_DEP_2) | instskip(NEXT) | instid1(VALU_DEP_2)
	v_dual_mov_b32 v1, 0 :: v_dual_lshlrev_b32 v0, 2, v6
	v_lshl_add_u32 v7, v2, 5, v6
	s_delay_alu instid0(VALU_DEP_2) | instskip(NEXT) | instid1(VALU_DEP_3)
	v_dual_mov_b32 v3, v1 :: v_dual_lshlrev_b32 v48, 2, v2
	v_lshl_add_u32 v49, v2, 9, v0
	v_lshl_add_u32 v50, v2, 7, v0
	s_wait_xcnt 0x0
	v_cmp_gt_u32_e64 s0, 0x80, v7
	s_wait_kmcnt 0x0
	s_lshl_b64 s[4:5], s[10:11], 1
	s_lshl_b64 s[10:11], s[18:19], 1
	;; [unrolled: 1-line block ×3, first 2 shown]
	s_cmp_eq_f32 s38, 0
	v_mul_u64_e32 v[10:11], s[20:21], v[2:3]
	v_mul_u64_e32 v[12:13], s[12:13], v[2:3]
	v_mad_nc_u64_u32 v[4:5], s20, v48, s[20:21]
	s_cselect_b32 s46, -1, 0
	s_cmp_neq_f32 s38, 0
	v_mad_nc_u64_u32 v[8:9], s12, v48, s[12:13]
	s_add_nc_u64 s[24:25], s[24:25], s[2:3]
	s_add_nc_u64 s[26:27], s[16:17], s[10:11]
	s_cselect_b32 s1, -1, 0
	s_cmp_neq_f32 s39, 1.0
	s_cselect_b32 s7, -1, 0
	s_bfe_u32 s18, ttmp6, 0x4000c
	s_and_b32 s19, ttmp6, 15
	s_add_co_i32 s18, s18, 1
	s_or_b32 s47, s1, s7
	s_mul_i32 s18, ttmp9, s18
	v_mad_u32 v5, s21, v48, v5
	s_add_co_i32 s19, s19, s18
	s_cmp_eq_u32 s6, 0
	s_mov_b32 s6, s36
	s_cselect_b32 s1, ttmp9, s19
	s_ashr_i32 s7, s36, 31
	s_lshl_b32 s1, s1, 7
	s_cmp_neq_f32 s39, 0
	v_dual_add_nc_u32 v0, s1, v7 :: v_dual_bitop2_b32 v14, s1, v7 bitop3:0x54
	v_mad_u32 v9, s13, v48, v9
	s_cselect_b32 s48, -1, 0
	s_add_nc_u64 s[18:19], s[8:9], s[4:5]
	s_delay_alu instid0(VALU_DEP_2)
	v_cmp_gt_i64_e32 vcc_lo, s[6:7], v[0:1]
	v_mul_u64_e32 v[2:3], s[28:29], v[0:1]
	v_dual_ashrrev_i32 v15, 31, v14 :: v_dual_bitop2_b32 v0, 3, v48 bitop3:0x54
	v_add_nc_u32_e32 v24, s1, v6
	s_ashr_i32 s1, s37, 31
	v_cmp_gt_i32_e64 s2, s36, v14
	s_delay_alu instid0(VALU_DEP_3)
	v_mul_u64_e32 v[16:17], s[12:13], v[0:1]
	v_mul_u64_e32 v[18:19], s[20:21], v[0:1]
	v_or_b32_e32 v0, 2, v48
	v_mul_u64_e32 v[6:7], s[28:29], v[14:15]
	s_lshr_b32 s3, s1, 26
	v_dual_ashrrev_i32 v25, 31, v24 :: v_dual_add_nc_u32 v15, 64, v24
	s_delay_alu instid0(VALU_DEP_3)
	v_mul_u64_e32 v[20:21], s[12:13], v[0:1]
	v_mul_u64_e32 v[22:23], s[20:21], v[0:1]
	s_add_co_i32 s49, s37, s3
	v_add_nc_u32_e32 v0, 32, v24
	v_add_nc_u32_e32 v26, 0x60, v24
	s_and_not1_b32 s49, s49, 63
	v_cmp_gt_i32_e64 s4, s36, v15
	s_sub_co_i32 s6, s37, s49
	v_lshlrev_b64_e32 v[14:15], 1, v[24:25]
	v_lshl_add_u64 v[4:5], v[4:5], 1, s[16:17]
	v_lshl_add_u64 v[8:9], v[8:9], 1, s[18:19]
	v_cmp_gt_i32_e64 s1, s36, v24
	v_lshl_add_u64 v[10:11], v[10:11], 3, s[16:17]
	v_lshl_add_u64 v[12:13], v[12:13], 3, s[18:19]
	v_cmp_gt_i32_e64 s3, s36, v0
	v_cmp_gt_i32_e64 s5, s36, v26
	s_cmp_gt_i32 s6, 0
	v_cmp_gt_i32_e64 s6, s49, v48
	s_cselect_b32 s36, -1, 0
	s_and_b32 s50, s0, vcc_lo
	s_lshl_b64 s[28:29], s[22:23], 1
	s_lshl_b64 s[40:41], s[14:15], 1
	s_lshl_b64 s[42:43], s[12:13], 7
	v_lshl_add_u64 v[16:17], v[16:17], 1, s[18:19]
	v_lshl_add_u64 v[18:19], v[18:19], 1, s[16:17]
	;; [unrolled: 1-line block ×4, first 2 shown]
	s_lshl_b64 s[16:17], s[20:21], 7
	s_branch .LBB477_5
.LBB477_3:                              ;   in Loop: Header=BB477_5 Depth=1
	s_wait_xcnt 0x0
	s_or_b32 exec_lo, exec_lo, s7
.LBB477_4:                              ;   in Loop: Header=BB477_5 Depth=1
	s_add_co_i32 s34, s34, 0x10000
	s_delay_alu instid0(SALU_CYCLE_1)
	s_cmp_lt_u32 s34, s33
	s_cbranch_scc0 .LBB477_53
.LBB477_5:                              ; =>This Loop Header: Depth=1
                                        ;     Child Loop BB477_21 Depth 2
	s_and_not1_b32 vcc_lo, exec_lo, s47
	s_cbranch_vccnz .LBB477_4
; %bb.6:                                ;   in Loop: Header=BB477_5 Depth=1
	s_mul_u64 s[8:9], s[30:31], s[34:35]
	s_and_not1_b32 vcc_lo, exec_lo, s46
	s_lshl_b64 s[8:9], s[8:9], 2
	s_delay_alu instid0(SALU_CYCLE_1)
	s_add_nc_u64 s[44:45], s[24:25], s[8:9]
	s_cbranch_vccnz .LBB477_10
; %bb.7:                                ;   in Loop: Header=BB477_5 Depth=1
	s_mov_b32 s7, 0
	s_mov_b32 s51, 0
                                        ; implicit-def: $vgpr0
	s_and_saveexec_b32 s8, s50
	s_cbranch_execz .LBB477_11
; %bb.8:                                ;   in Loop: Header=BB477_5 Depth=1
	s_and_not1_b32 vcc_lo, exec_lo, s48
	s_cbranch_vccnz .LBB477_13
; %bb.9:                                ;   in Loop: Header=BB477_5 Depth=1
	v_lshl_add_u64 v[24:25], v[2:3], 2, s[44:45]
	global_load_b32 v0, v[24:25], off
	s_wait_loadcnt 0x0
	v_mul_f32_e32 v0, s39, v0
	s_branch .LBB477_14
.LBB477_10:                             ;   in Loop: Header=BB477_5 Depth=1
	s_mov_b32 s51, 0
                                        ; implicit-def: $vgpr0
	s_cbranch_execz .LBB477_12
	s_branch .LBB477_15
.LBB477_11:                             ;   in Loop: Header=BB477_5 Depth=1
	s_or_b32 exec_lo, exec_lo, s8
	s_delay_alu instid0(SALU_CYCLE_1)
	s_and_b32 vcc_lo, exec_lo, s7
	s_cbranch_vccnz .LBB477_15
.LBB477_12:                             ;   in Loop: Header=BB477_5 Depth=1
	v_mov_b64_e32 v[24:25], v[2:3]
	s_and_saveexec_b32 s7, s51
	s_cbranch_execz .LBB477_3
	s_branch .LBB477_52
.LBB477_13:                             ;   in Loop: Header=BB477_5 Depth=1
	v_mov_b32_e32 v0, 0
.LBB477_14:                             ;   in Loop: Header=BB477_5 Depth=1
	s_mov_b32 s51, exec_lo
	s_wait_xcnt 0x0
	s_or_b32 exec_lo, exec_lo, s8
	s_delay_alu instid0(SALU_CYCLE_1)
	s_and_b32 vcc_lo, exec_lo, s7
	s_cbranch_vccz .LBB477_12
.LBB477_15:                             ;   in Loop: Header=BB477_5 Depth=1
	v_dual_mov_b32 v51, 0 :: v_dual_mov_b32 v0, v48
	v_dual_mov_b32 v52, 0 :: v_dual_mov_b32 v53, 0
	v_mov_b32_e32 v54, 0
	s_and_saveexec_b32 s7, s6
	s_cbranch_execz .LBB477_27
; %bb.16:                               ;   in Loop: Header=BB477_5 Depth=1
	s_mul_u64 s[8:9], s[28:29], s[34:35]
	s_mul_u64 s[52:53], s[40:41], s[34:35]
	v_add_nc_u64_e32 v[24:25], s[8:9], v[10:11]
	v_add_nc_u64_e32 v[26:27], s[52:53], v[16:17]
	v_add_nc_u64_e32 v[28:29], s[8:9], v[18:19]
	v_add_nc_u64_e32 v[30:31], s[52:53], v[12:13]
	v_add_nc_u64_e32 v[32:33], s[52:53], v[20:21]
	v_add_nc_u64_e32 v[34:35], s[8:9], v[22:23]
	v_add_nc_u64_e32 v[36:37], s[8:9], v[4:5]
	v_add_nc_u64_e32 v[38:39], s[52:53], v[8:9]
	v_dual_mov_b32 v51, 0 :: v_dual_mov_b32 v0, v48
	v_dual_mov_b32 v52, 0 :: v_dual_mov_b32 v53, 0
	v_mov_b32_e32 v54, 0
	s_mov_b32 s8, 0
	s_branch .LBB477_21
.LBB477_17:                             ;   in Loop: Header=BB477_21 Depth=2
	s_wait_xcnt 0x0
	s_or_b32 exec_lo, exec_lo, s54
	s_wait_loadcnt 0x3
	v_fma_mix_f32 v40, v67, v71, v53 op_sel_hi:[0,1,0]
	s_wait_loadcnt 0x2
	s_delay_alu instid0(VALU_DEP_1) | instskip(SKIP_1) | instid1(VALU_DEP_1)
	v_fma_mix_f32 v40, v68, v72, v40 op_sel_hi:[0,1,0]
	s_wait_loadcnt 0x1
	v_fma_mix_f32 v40, v69, v73, v40 op_sel_hi:[0,1,0]
	s_wait_loadcnt 0x0
	s_delay_alu instid0(VALU_DEP_1)
	v_fma_mix_f32 v53, v70, v74, v40 op_sel_hi:[0,1,0]
.LBB477_18:                             ;   in Loop: Header=BB477_21 Depth=2
	s_or_b32 exec_lo, exec_lo, s53
	s_wait_loadcnt 0x3
	v_fma_mix_f32 v40, v67, v63, v52 op_sel_hi:[0,1,0]
	s_wait_loadcnt 0x2
	s_delay_alu instid0(VALU_DEP_1) | instskip(SKIP_1) | instid1(VALU_DEP_1)
	v_fma_mix_f32 v40, v68, v64, v40 op_sel_hi:[0,1,0]
	s_wait_loadcnt 0x1
	v_fma_mix_f32 v40, v69, v65, v40 op_sel_hi:[0,1,0]
	s_wait_loadcnt 0x0
	s_delay_alu instid0(VALU_DEP_1)
	v_fma_mix_f32 v52, v70, v66, v40 op_sel_hi:[0,1,0]
.LBB477_19:                             ;   in Loop: Header=BB477_21 Depth=2
	s_or_b32 exec_lo, exec_lo, s52
	s_wait_loadcnt 0x3
	v_fma_mix_f32 v40, v55, v59, v51 op_sel_hi:[1,1,0]
	s_wait_loadcnt 0x2
	s_delay_alu instid0(VALU_DEP_1) | instskip(SKIP_1) | instid1(VALU_DEP_1)
	v_fma_mix_f32 v40, v56, v60, v40 op_sel_hi:[1,1,0]
	s_wait_loadcnt 0x1
	v_fma_mix_f32 v40, v57, v61, v40 op_sel_hi:[1,1,0]
	s_wait_loadcnt 0x0
	s_delay_alu instid0(VALU_DEP_1)
	v_fma_mix_f32 v51, v58, v62, v40 op_sel_hi:[1,1,0]
.LBB477_20:                             ;   in Loop: Header=BB477_21 Depth=2
	s_or_b32 exec_lo, exec_lo, s9
	v_add_nc_u32_e32 v0, 64, v0
	v_add_nc_u64_e32 v[24:25], s[16:17], v[24:25]
	v_add_nc_u64_e32 v[26:27], s[42:43], v[26:27]
	;; [unrolled: 1-line block ×7, first 2 shown]
	v_cmp_le_i32_e32 vcc_lo, s49, v0
	v_add_nc_u64_e32 v[38:39], s[42:43], v[38:39]
	s_or_b32 s8, vcc_lo, s8
	s_delay_alu instid0(SALU_CYCLE_1)
	s_and_not1_b32 exec_lo, exec_lo, s8
	s_cbranch_execz .LBB477_26
.LBB477_21:                             ;   Parent Loop BB477_5 Depth=1
                                        ; =>  This Inner Loop Header: Depth=2
	s_and_saveexec_b32 s9, s1
	s_cbranch_execz .LBB477_20
; %bb.22:                               ;   in Loop: Header=BB477_21 Depth=2
	v_add_nc_u64_e32 v[46:47], s[10:11], v[24:25]
	v_add_nc_u64_e32 v[64:65], s[10:11], v[36:37]
	v_add_nc_u64_e32 v[66:67], s[10:11], v[34:35]
	v_add_nc_u64_e32 v[68:69], s[10:11], v[28:29]
	v_add_nc_u64_e32 v[40:41], v[30:31], v[14:15]
	v_add_nc_u64_e32 v[42:43], v[38:39], v[14:15]
	v_add_nc_u64_e32 v[44:45], v[32:33], v[14:15]
	global_load_u16 v55, v[46:47], off
	s_wait_xcnt 0x0
	v_add_nc_u64_e32 v[46:47], v[26:27], v[14:15]
	global_load_u16 v56, v[64:65], off
	global_load_u16 v57, v[66:67], off
	global_load_u16 v58, v[68:69], off
	global_load_u16 v59, v[40:41], off
	global_load_u16 v60, v[42:43], off
	global_load_u16 v61, v[44:45], off
	global_load_u16 v62, v[46:47], off
	s_wait_xcnt 0x0
	s_and_saveexec_b32 s52, s3
	s_cbranch_execz .LBB477_19
; %bb.23:                               ;   in Loop: Header=BB477_21 Depth=2
	global_load_u16 v63, v[40:41], off offset:64
	global_load_u16 v64, v[42:43], off offset:64
	;; [unrolled: 1-line block ×4, first 2 shown]
	s_wait_loadcnt 0xb
	v_cvt_f32_f16_e32 v67, v55
	s_wait_loadcnt 0xa
	v_cvt_f32_f16_e32 v68, v56
	;; [unrolled: 2-line block ×4, first 2 shown]
	s_wait_xcnt 0x0
	s_and_saveexec_b32 s53, s4
	s_cbranch_execz .LBB477_18
; %bb.24:                               ;   in Loop: Header=BB477_21 Depth=2
	global_load_u16 v71, v[40:41], off offset:128
	global_load_u16 v72, v[42:43], off offset:128
	;; [unrolled: 1-line block ×4, first 2 shown]
	s_wait_xcnt 0x0
	s_and_saveexec_b32 s54, s5
	s_cbranch_execz .LBB477_17
; %bb.25:                               ;   in Loop: Header=BB477_21 Depth=2
	global_load_u16 v40, v[40:41], off offset:192
	global_load_u16 v41, v[42:43], off offset:192
	;; [unrolled: 1-line block ×4, first 2 shown]
	s_wait_loadcnt 0x3
	v_fma_mix_f32 v40, v67, v40, v54 op_sel_hi:[0,1,0]
	s_wait_loadcnt 0x2
	s_delay_alu instid0(VALU_DEP_1) | instskip(SKIP_1) | instid1(VALU_DEP_1)
	v_fma_mix_f32 v40, v68, v41, v40 op_sel_hi:[0,1,0]
	s_wait_loadcnt 0x1
	v_fma_mix_f32 v40, v69, v42, v40 op_sel_hi:[0,1,0]
	s_wait_loadcnt 0x0
	s_delay_alu instid0(VALU_DEP_1)
	v_fma_mix_f32 v54, v70, v43, v40 op_sel_hi:[0,1,0]
	s_branch .LBB477_17
.LBB477_26:                             ;   in Loop: Header=BB477_5 Depth=1
	s_or_b32 exec_lo, exec_lo, s8
.LBB477_27:                             ;   in Loop: Header=BB477_5 Depth=1
	s_delay_alu instid0(SALU_CYCLE_1) | instskip(NEXT) | instid1(SALU_CYCLE_1)
	s_or_b32 exec_lo, exec_lo, s7
	s_and_not1_b32 vcc_lo, exec_lo, s36
	s_cbranch_vccnz .LBB477_45
; %bb.28:                               ;   in Loop: Header=BB477_5 Depth=1
	v_cmp_gt_i32_e32 vcc_lo, s37, v0
	v_dual_mov_b32 v32, 0 :: v_dual_bitop2_b32 v24, 1, v0 bitop3:0x54
	v_dual_mov_b32 v33, 0 :: v_dual_mov_b32 v34, 0
	v_mov_b32_e32 v35, 0
	s_and_saveexec_b32 s52, vcc_lo
	s_cbranch_execz .LBB477_36
; %bb.29:                               ;   in Loop: Header=BB477_5 Depth=1
	v_mul_u64_e32 v[26:27], s[20:21], v[0:1]
	s_mul_u64 s[8:9], s[22:23], s[34:35]
	v_dual_mov_b32 v34, 0 :: v_dual_mov_b32 v33, 0
	s_lshl_b64 s[8:9], s[8:9], 1
	v_mov_b32_e32 v32, 0
	s_add_nc_u64 s[8:9], s[26:27], s[8:9]
	s_mov_b32 s53, exec_lo
	s_delay_alu instid0(VALU_DEP_3)
	v_lshl_add_u64 v[26:27], v[26:27], 1, s[8:9]
	global_load_u16 v28, v[26:27], off
	s_wait_xcnt 0x0
	v_cmpx_gt_i32_e64 s37, v24
	s_cbranch_execz .LBB477_35
; %bb.30:                               ;   in Loop: Header=BB477_5 Depth=1
	v_dual_mov_b32 v25, v1 :: v_dual_mov_b32 v33, 0
	v_mov_b32_e32 v32, 0
	s_mov_b32 s54, exec_lo
	s_delay_alu instid0(VALU_DEP_2) | instskip(NEXT) | instid1(VALU_DEP_1)
	v_mul_u64_e32 v[26:27], s[20:21], v[24:25]
	v_lshl_add_u64 v[26:27], v[26:27], 1, s[8:9]
	global_load_u16 v25, v[26:27], off
	s_wait_xcnt 0x0
	v_or_b32_e32 v26, 2, v0
	s_delay_alu instid0(VALU_DEP_1)
	v_cmpx_gt_i32_e64 s37, v26
	s_cbranch_execz .LBB477_34
; %bb.31:                               ;   in Loop: Header=BB477_5 Depth=1
	v_dual_mov_b32 v27, v1 :: v_dual_mov_b32 v32, 0
	s_mov_b32 s55, exec_lo
	s_delay_alu instid0(VALU_DEP_1) | instskip(NEXT) | instid1(VALU_DEP_1)
	v_mul_u64_e32 v[26:27], s[20:21], v[26:27]
	v_lshl_add_u64 v[26:27], v[26:27], 1, s[8:9]
	global_load_u16 v29, v[26:27], off
	s_wait_xcnt 0x0
	v_or_b32_e32 v26, 3, v0
	s_delay_alu instid0(VALU_DEP_1)
	v_cmpx_gt_i32_e64 s37, v26
	s_cbranch_execz .LBB477_33
; %bb.32:                               ;   in Loop: Header=BB477_5 Depth=1
	v_mov_b32_e32 v27, v1
	s_delay_alu instid0(VALU_DEP_1) | instskip(NEXT) | instid1(VALU_DEP_1)
	v_mul_u64_e32 v[26:27], s[20:21], v[26:27]
	v_lshl_add_u64 v[26:27], v[26:27], 1, s[8:9]
	global_load_u16 v26, v[26:27], off
	s_wait_loadcnt 0x0
	v_cvt_f32_f16_e32 v32, v26
.LBB477_33:                             ;   in Loop: Header=BB477_5 Depth=1
	s_wait_xcnt 0x0
	s_or_b32 exec_lo, exec_lo, s55
	s_wait_loadcnt 0x0
	v_cvt_f32_f16_e32 v33, v29
.LBB477_34:                             ;   in Loop: Header=BB477_5 Depth=1
	s_or_b32 exec_lo, exec_lo, s54
	s_wait_loadcnt 0x0
	v_cvt_f32_f16_e32 v34, v25
.LBB477_35:                             ;   in Loop: Header=BB477_5 Depth=1
	s_or_b32 exec_lo, exec_lo, s53
	s_wait_loadcnt 0x0
	v_cvt_f32_f16_e32 v35, v28
.LBB477_36:                             ;   in Loop: Header=BB477_5 Depth=1
	s_or_b32 exec_lo, exec_lo, s52
	s_and_saveexec_b32 s52, s1
	s_cbranch_execz .LBB477_44
; %bb.37:                               ;   in Loop: Header=BB477_5 Depth=1
	v_dual_mov_b32 v25, v1 :: v_dual_bitop2_b32 v26, 2, v0 bitop3:0x54
	v_mov_b32_e32 v27, v1
	v_mul_u64_e32 v[28:29], s[12:13], v[0:1]
	v_or_b32_e32 v0, 3, v0
	s_delay_alu instid0(VALU_DEP_4)
	v_mul_u64_e32 v[30:31], s[12:13], v[24:25]
	s_mul_u64 s[8:9], s[14:15], s[34:35]
	v_mul_u64_e32 v[36:37], s[12:13], v[26:27]
	v_cmp_gt_i32_e64 s7, s37, v24
	v_mul_u64_e32 v[38:39], s[12:13], v[0:1]
	s_lshl_b64 s[54:55], s[8:9], 1
	v_cmp_gt_i32_e64 s8, s37, v26
	v_cmp_gt_i32_e64 s9, s37, v0
	v_dual_cndmask_b32 v25, 0, v29 :: v_dual_cndmask_b32 v24, 0, v28
	v_dual_cndmask_b32 v27, 0, v31, s7 :: v_dual_cndmask_b32 v26, 0, v30, s7
	s_delay_alu instid0(VALU_DEP_4) | instskip(NEXT) | instid1(VALU_DEP_4)
	v_dual_cndmask_b32 v29, 0, v37, s8 :: v_dual_cndmask_b32 v28, 0, v36, s8
	v_dual_cndmask_b32 v31, 0, v39, s9 :: v_dual_cndmask_b32 v30, 0, v38, s9
	s_add_nc_u64 s[8:9], s[18:19], s[54:55]
	s_delay_alu instid0(SALU_CYCLE_1) | instskip(SKIP_3) | instid1(VALU_DEP_4)
	v_lshl_add_u64 v[24:25], v[24:25], 1, s[8:9]
	v_lshl_add_u64 v[26:27], v[26:27], 1, s[8:9]
	;; [unrolled: 1-line block ×4, first 2 shown]
	v_add_nc_u64_e32 v[28:29], v[24:25], v[14:15]
	s_delay_alu instid0(VALU_DEP_4) | instskip(NEXT) | instid1(VALU_DEP_4)
	v_add_nc_u64_e32 v[24:25], v[26:27], v[14:15]
	v_add_nc_u64_e32 v[26:27], v[36:37], v[14:15]
	s_delay_alu instid0(VALU_DEP_4)
	v_add_nc_u64_e32 v[30:31], v[30:31], v[14:15]
	s_clause 0x3
	global_load_u16 v0, v[28:29], off
	global_load_u16 v36, v[24:25], off
	;; [unrolled: 1-line block ×4, first 2 shown]
	s_wait_xcnt 0x0
	s_and_saveexec_b32 s7, s3
	s_cbranch_execz .LBB477_43
; %bb.38:                               ;   in Loop: Header=BB477_5 Depth=1
	s_clause 0x3
	global_load_u16 v39, v[28:29], off offset:64
	global_load_u16 v40, v[24:25], off offset:64
	global_load_u16 v41, v[26:27], off offset:64
	global_load_u16 v42, v[30:31], off offset:64
	s_wait_xcnt 0x0
	s_and_saveexec_b32 s8, s4
	s_cbranch_execz .LBB477_42
; %bb.39:                               ;   in Loop: Header=BB477_5 Depth=1
	s_clause 0x3
	global_load_u16 v43, v[28:29], off offset:128
	global_load_u16 v44, v[24:25], off offset:128
	global_load_u16 v45, v[26:27], off offset:128
	global_load_u16 v46, v[30:31], off offset:128
	;; [unrolled: 9-line block ×3, first 2 shown]
	s_wait_loadcnt 0x3
	s_wait_xcnt 0x2
	v_fma_mix_f32 v24, v35, v47, v54 op_sel_hi:[0,1,0]
	s_wait_loadcnt 0x2
	s_delay_alu instid0(VALU_DEP_1) | instskip(SKIP_1) | instid1(VALU_DEP_1)
	v_fma_mix_f32 v24, v34, v55, v24 op_sel_hi:[0,1,0]
	s_wait_loadcnt 0x1
	v_fma_mix_f32 v24, v33, v56, v24 op_sel_hi:[0,1,0]
	s_wait_loadcnt 0x0
	s_delay_alu instid0(VALU_DEP_1)
	v_fma_mix_f32 v54, v32, v57, v24 op_sel_hi:[0,1,0]
.LBB477_41:                             ;   in Loop: Header=BB477_5 Depth=1
	s_wait_xcnt 0x0
	s_or_b32 exec_lo, exec_lo, s9
	s_wait_loadcnt 0x3
	v_fma_mix_f32 v24, v35, v43, v53 op_sel_hi:[0,1,0]
	s_wait_loadcnt 0x2
	s_delay_alu instid0(VALU_DEP_1) | instskip(SKIP_1) | instid1(VALU_DEP_1)
	v_fma_mix_f32 v24, v34, v44, v24 op_sel_hi:[0,1,0]
	s_wait_loadcnt 0x1
	v_fma_mix_f32 v24, v33, v45, v24 op_sel_hi:[0,1,0]
	s_wait_loadcnt 0x0
	s_delay_alu instid0(VALU_DEP_1)
	v_fma_mix_f32 v53, v32, v46, v24 op_sel_hi:[0,1,0]
.LBB477_42:                             ;   in Loop: Header=BB477_5 Depth=1
	s_or_b32 exec_lo, exec_lo, s8
	s_wait_loadcnt 0x3
	v_fma_mix_f32 v24, v35, v39, v52 op_sel_hi:[0,1,0]
	s_wait_loadcnt 0x2
	s_delay_alu instid0(VALU_DEP_1) | instskip(SKIP_1) | instid1(VALU_DEP_1)
	v_fma_mix_f32 v24, v34, v40, v24 op_sel_hi:[0,1,0]
	s_wait_loadcnt 0x1
	v_fma_mix_f32 v24, v33, v41, v24 op_sel_hi:[0,1,0]
	s_wait_loadcnt 0x0
	s_delay_alu instid0(VALU_DEP_1)
	v_fma_mix_f32 v52, v32, v42, v24 op_sel_hi:[0,1,0]
.LBB477_43:                             ;   in Loop: Header=BB477_5 Depth=1
	s_or_b32 exec_lo, exec_lo, s7
	s_wait_loadcnt 0x3
	v_fma_mix_f32 v0, v35, v0, v51 op_sel_hi:[0,1,0]
	s_wait_loadcnt 0x2
	s_delay_alu instid0(VALU_DEP_1) | instskip(SKIP_1) | instid1(VALU_DEP_1)
	v_fma_mix_f32 v0, v34, v36, v0 op_sel_hi:[0,1,0]
	s_wait_loadcnt 0x1
	v_fma_mix_f32 v0, v33, v37, v0 op_sel_hi:[0,1,0]
	s_wait_loadcnt 0x0
	s_delay_alu instid0(VALU_DEP_1)
	v_fma_mix_f32 v51, v32, v38, v0 op_sel_hi:[0,1,0]
.LBB477_44:                             ;   in Loop: Header=BB477_5 Depth=1
	s_or_b32 exec_lo, exec_lo, s52
.LBB477_45:                             ;   in Loop: Header=BB477_5 Depth=1
	ds_store_2addr_b32 v49, v51, v52 offset1:32
	ds_store_2addr_b32 v49, v53, v54 offset0:64 offset1:96
	s_wait_dscnt 0x0
	s_barrier_signal -1
	s_barrier_wait -1
                                        ; implicit-def: $vgpr0
	s_and_saveexec_b32 s7, s0
	s_cbranch_execz .LBB477_51
; %bb.46:                               ;   in Loop: Header=BB477_5 Depth=1
	ds_load_2addr_stride64_b32 v[24:25], v50 offset1:2
	ds_load_2addr_stride64_b32 v[26:27], v50 offset0:4 offset1:6
	ds_load_2addr_stride64_b32 v[28:29], v50 offset0:8 offset1:10
	s_mov_b32 s9, s51
	s_wait_dscnt 0x2
	v_add_f32_e32 v0, v24, v25
	ds_load_2addr_stride64_b32 v[24:25], v50 offset0:12 offset1:14
	s_wait_dscnt 0x2
	v_add_f32_e32 v0, v26, v0
	s_delay_alu instid0(VALU_DEP_1) | instskip(SKIP_3) | instid1(VALU_DEP_1)
	v_add_f32_e32 v0, v27, v0
	ds_load_2addr_stride64_b32 v[26:27], v50 offset0:16 offset1:18
	s_wait_dscnt 0x2
	v_add_f32_e32 v0, v28, v0
	v_add_f32_e32 v0, v29, v0
	ds_load_2addr_stride64_b32 v[28:29], v50 offset0:20 offset1:22
	s_wait_dscnt 0x2
	v_add_f32_e32 v0, v24, v0
	s_delay_alu instid0(VALU_DEP_1) | instskip(SKIP_3) | instid1(VALU_DEP_1)
	v_add_f32_e32 v0, v25, v0
	ds_load_2addr_stride64_b32 v[24:25], v50 offset0:24 offset1:26
	s_wait_dscnt 0x2
	v_add_f32_e32 v0, v26, v0
	v_add_f32_e32 v0, v27, v0
	ds_load_2addr_stride64_b32 v[26:27], v50 offset0:28 offset1:30
	s_wait_dscnt 0x2
	v_add_f32_e32 v0, v28, v0
	s_delay_alu instid0(VALU_DEP_1) | instskip(SKIP_1) | instid1(VALU_DEP_1)
	v_add_f32_e32 v0, v29, v0
	s_wait_dscnt 0x1
	v_add_f32_e32 v0, v24, v0
	s_delay_alu instid0(VALU_DEP_1) | instskip(SKIP_1) | instid1(VALU_DEP_1)
	v_add_f32_e32 v0, v25, v0
	s_wait_dscnt 0x0
	v_add_f32_e32 v0, v26, v0
	s_delay_alu instid0(VALU_DEP_1)
	v_add_f32_e32 v24, v27, v0
                                        ; implicit-def: $vgpr0
	ds_store_b32 v50, v24
	s_and_saveexec_b32 s8, s2
	s_cbranch_execz .LBB477_50
; %bb.47:                               ;   in Loop: Header=BB477_5 Depth=1
	v_mul_f32_e32 v0, s38, v24
	s_and_not1_b32 vcc_lo, exec_lo, s48
	s_cbranch_vccnz .LBB477_49
; %bb.48:                               ;   in Loop: Header=BB477_5 Depth=1
	v_lshl_add_u64 v[24:25], v[6:7], 2, s[44:45]
	global_load_b32 v24, v[24:25], off
	s_wait_loadcnt 0x0
	v_fmac_f32_e32 v0, s39, v24
.LBB477_49:                             ;   in Loop: Header=BB477_5 Depth=1
	s_or_b32 s9, s51, exec_lo
.LBB477_50:                             ;   in Loop: Header=BB477_5 Depth=1
	s_wait_xcnt 0x0
	s_or_b32 exec_lo, exec_lo, s8
	s_delay_alu instid0(SALU_CYCLE_1) | instskip(SKIP_1) | instid1(SALU_CYCLE_1)
	s_and_not1_b32 s8, s51, exec_lo
	s_and_b32 s9, s9, exec_lo
	s_or_b32 s51, s8, s9
.LBB477_51:                             ;   in Loop: Header=BB477_5 Depth=1
	s_or_b32 exec_lo, exec_lo, s7
	v_mov_b64_e32 v[24:25], v[6:7]
	s_and_saveexec_b32 s7, s51
	s_cbranch_execz .LBB477_3
.LBB477_52:                             ;   in Loop: Header=BB477_5 Depth=1
	s_delay_alu instid0(VALU_DEP_1)
	v_lshl_add_u64 v[24:25], v[24:25], 2, s[44:45]
	global_store_b32 v[24:25], v0, off
	s_branch .LBB477_3
.LBB477_53:
	s_sendmsg sendmsg(MSG_DEALLOC_VGPRS)
	s_endpgm
	.section	.rodata,"a",@progbits
	.p2align	6, 0x0
	.amdhsa_kernel _ZL20rocblas_gemvn_kernelILi32ELi16ElDF16_ffEviiT3_lPKT2_lT1_lS3_lS4_lS0_lPT4_lS4_li
		.amdhsa_group_segment_fixed_size 8192
		.amdhsa_private_segment_fixed_size 0
		.amdhsa_kernarg_size 400
		.amdhsa_user_sgpr_count 2
		.amdhsa_user_sgpr_dispatch_ptr 0
		.amdhsa_user_sgpr_queue_ptr 0
		.amdhsa_user_sgpr_kernarg_segment_ptr 1
		.amdhsa_user_sgpr_dispatch_id 0
		.amdhsa_user_sgpr_kernarg_preload_length 0
		.amdhsa_user_sgpr_kernarg_preload_offset 0
		.amdhsa_user_sgpr_private_segment_size 0
		.amdhsa_wavefront_size32 1
		.amdhsa_uses_dynamic_stack 0
		.amdhsa_enable_private_segment 0
		.amdhsa_system_sgpr_workgroup_id_x 1
		.amdhsa_system_sgpr_workgroup_id_y 0
		.amdhsa_system_sgpr_workgroup_id_z 1
		.amdhsa_system_sgpr_workgroup_info 0
		.amdhsa_system_vgpr_workitem_id 1
		.amdhsa_next_free_vgpr 75
		.amdhsa_next_free_sgpr 56
		.amdhsa_named_barrier_count 0
		.amdhsa_reserve_vcc 1
		.amdhsa_float_round_mode_32 0
		.amdhsa_float_round_mode_16_64 0
		.amdhsa_float_denorm_mode_32 3
		.amdhsa_float_denorm_mode_16_64 3
		.amdhsa_fp16_overflow 0
		.amdhsa_memory_ordered 1
		.amdhsa_forward_progress 1
		.amdhsa_inst_pref_size 24
		.amdhsa_round_robin_scheduling 0
		.amdhsa_exception_fp_ieee_invalid_op 0
		.amdhsa_exception_fp_denorm_src 0
		.amdhsa_exception_fp_ieee_div_zero 0
		.amdhsa_exception_fp_ieee_overflow 0
		.amdhsa_exception_fp_ieee_underflow 0
		.amdhsa_exception_fp_ieee_inexact 0
		.amdhsa_exception_int_div_zero 0
	.end_amdhsa_kernel
	.section	.text._ZL20rocblas_gemvn_kernelILi32ELi16ElDF16_ffEviiT3_lPKT2_lT1_lS3_lS4_lS0_lPT4_lS4_li,"axG",@progbits,_ZL20rocblas_gemvn_kernelILi32ELi16ElDF16_ffEviiT3_lPKT2_lT1_lS3_lS4_lS0_lPT4_lS4_li,comdat
.Lfunc_end477:
	.size	_ZL20rocblas_gemvn_kernelILi32ELi16ElDF16_ffEviiT3_lPKT2_lT1_lS3_lS4_lS0_lPT4_lS4_li, .Lfunc_end477-_ZL20rocblas_gemvn_kernelILi32ELi16ElDF16_ffEviiT3_lPKT2_lT1_lS3_lS4_lS0_lPT4_lS4_li
                                        ; -- End function
	.set _ZL20rocblas_gemvn_kernelILi32ELi16ElDF16_ffEviiT3_lPKT2_lT1_lS3_lS4_lS0_lPT4_lS4_li.num_vgpr, 75
	.set _ZL20rocblas_gemvn_kernelILi32ELi16ElDF16_ffEviiT3_lPKT2_lT1_lS3_lS4_lS0_lPT4_lS4_li.num_agpr, 0
	.set _ZL20rocblas_gemvn_kernelILi32ELi16ElDF16_ffEviiT3_lPKT2_lT1_lS3_lS4_lS0_lPT4_lS4_li.numbered_sgpr, 56
	.set _ZL20rocblas_gemvn_kernelILi32ELi16ElDF16_ffEviiT3_lPKT2_lT1_lS3_lS4_lS0_lPT4_lS4_li.num_named_barrier, 0
	.set _ZL20rocblas_gemvn_kernelILi32ELi16ElDF16_ffEviiT3_lPKT2_lT1_lS3_lS4_lS0_lPT4_lS4_li.private_seg_size, 0
	.set _ZL20rocblas_gemvn_kernelILi32ELi16ElDF16_ffEviiT3_lPKT2_lT1_lS3_lS4_lS0_lPT4_lS4_li.uses_vcc, 1
	.set _ZL20rocblas_gemvn_kernelILi32ELi16ElDF16_ffEviiT3_lPKT2_lT1_lS3_lS4_lS0_lPT4_lS4_li.uses_flat_scratch, 0
	.set _ZL20rocblas_gemvn_kernelILi32ELi16ElDF16_ffEviiT3_lPKT2_lT1_lS3_lS4_lS0_lPT4_lS4_li.has_dyn_sized_stack, 0
	.set _ZL20rocblas_gemvn_kernelILi32ELi16ElDF16_ffEviiT3_lPKT2_lT1_lS3_lS4_lS0_lPT4_lS4_li.has_recursion, 0
	.set _ZL20rocblas_gemvn_kernelILi32ELi16ElDF16_ffEviiT3_lPKT2_lT1_lS3_lS4_lS0_lPT4_lS4_li.has_indirect_call, 0
	.section	.AMDGPU.csdata,"",@progbits
; Kernel info:
; codeLenInByte = 2976
; TotalNumSgprs: 58
; NumVgprs: 75
; ScratchSize: 0
; MemoryBound: 0
; FloatMode: 240
; IeeeMode: 1
; LDSByteSize: 8192 bytes/workgroup (compile time only)
; SGPRBlocks: 0
; VGPRBlocks: 4
; NumSGPRsForWavesPerEU: 58
; NumVGPRsForWavesPerEU: 75
; NamedBarCnt: 0
; Occupancy: 12
; WaveLimiterHint : 1
; COMPUTE_PGM_RSRC2:SCRATCH_EN: 0
; COMPUTE_PGM_RSRC2:USER_SGPR: 2
; COMPUTE_PGM_RSRC2:TRAP_HANDLER: 0
; COMPUTE_PGM_RSRC2:TGID_X_EN: 1
; COMPUTE_PGM_RSRC2:TGID_Y_EN: 0
; COMPUTE_PGM_RSRC2:TGID_Z_EN: 1
; COMPUTE_PGM_RSRC2:TIDIG_COMP_CNT: 1
	.section	.text._ZL20rocblas_gemvn_kernelILi64ELi16EiDF16_PKffEviiT3_lPKT2_lT1_lS5_lS6_lS2_lPT4_lS6_li,"axG",@progbits,_ZL20rocblas_gemvn_kernelILi64ELi16EiDF16_PKffEviiT3_lPKT2_lT1_lS5_lS6_lS2_lPT4_lS6_li,comdat
	.globl	_ZL20rocblas_gemvn_kernelILi64ELi16EiDF16_PKffEviiT3_lPKT2_lT1_lS5_lS6_lS2_lPT4_lS6_li ; -- Begin function _ZL20rocblas_gemvn_kernelILi64ELi16EiDF16_PKffEviiT3_lPKT2_lT1_lS5_lS6_lS2_lPT4_lS6_li
	.p2align	8
	.type	_ZL20rocblas_gemvn_kernelILi64ELi16EiDF16_PKffEviiT3_lPKT2_lT1_lS5_lS6_lS2_lPT4_lS6_li,@function
_ZL20rocblas_gemvn_kernelILi64ELi16EiDF16_PKffEviiT3_lPKT2_lT1_lS5_lS6_lS2_lPT4_lS6_li: ; @_ZL20rocblas_gemvn_kernelILi64ELi16EiDF16_PKffEviiT3_lPKT2_lT1_lS5_lS6_lS2_lPT4_lS6_li
; %bb.0:
	s_load_b64 s[2:3], s[0:1], 0x9c
	s_wait_kmcnt 0x0
	s_lshr_b32 s4, s2, 16
	s_and_b32 s2, s2, 0xffff
	s_and_b32 s3, s3, 0xffff
	s_mul_i32 s2, s4, s2
	s_delay_alu instid0(SALU_CYCLE_1) | instskip(NEXT) | instid1(SALU_CYCLE_1)
	s_mul_i32 s2, s2, s3
	s_cmp_lg_u32 s2, 0x400
	s_cbranch_scc1 .LBB478_53
; %bb.1:
	s_load_b32 s31, s[0:1], 0x88
	s_bfe_u32 s2, ttmp6, 0x40014
	s_lshr_b32 s3, ttmp7, 16
	s_add_co_i32 s2, s2, 1
	s_bfe_u32 s5, ttmp6, 0x40008
	s_mul_i32 s4, s3, s2
	s_getreg_b32 s2, hwreg(HW_REG_IB_STS2, 6, 4)
	s_add_co_i32 s5, s5, s4
	s_cmp_eq_u32 s2, 0
	s_mov_b32 s35, 0
	s_cselect_b32 s34, s3, s5
	s_wait_kmcnt 0x0
	s_cmp_ge_u32 s34, s31
	s_cbranch_scc1 .LBB478_53
; %bb.2:
	s_clause 0x7
	s_load_b256 s[8:15], s[0:1], 0x8
	s_load_b96 s[28:30], s[0:1], 0x40
	s_load_b96 s[4:6], s[0:1], 0x70
	s_load_b64 s[36:37], s[0:1], 0x0
	s_load_b32 s33, s[0:1], 0x28
	s_load_b128 s[24:27], s[0:1], 0x30
	s_load_b256 s[16:23], s[0:1], 0x50
	s_load_b64 s[38:39], s[0:1], 0x80
	s_wait_xcnt 0x0
	s_bfe_u32 s0, ttmp6, 0x4000c
	v_and_b32_e32 v6, 0x3ff, v0
	s_add_co_i32 s0, s0, 1
	v_bfe_u32 v5, v0, 10, 10
	s_and_b32 s1, ttmp6, 15
	s_mul_i32 s0, ttmp9, s0
	v_lshlrev_b32_e32 v9, 2, v6
	s_add_co_i32 s7, s1, s0
	v_lshl_add_u32 v4, v5, 6, v6
	v_lshlrev_b32_e32 v17, 2, v5
	s_delay_alu instid0(VALU_DEP_3)
	v_lshl_add_u32 v18, v5, 8, v9
	s_wait_kmcnt 0x0
	s_lshl_b64 s[0:1], s[14:15], 1
	s_lshl_b64 s[14:15], s[28:29], 1
	;; [unrolled: 1-line block ×3, first 2 shown]
	s_ashr_i32 s3, s6, 31
	s_cmp_eq_u32 s2, 0
	s_mov_b32 s2, s6
	s_cselect_b32 s7, ttmp9, s7
	s_add_nc_u64 s[12:13], s[12:13], s[0:1]
	s_lshl_b32 s42, s7, 8
	s_delay_alu instid0(SALU_CYCLE_1)
	v_dual_mov_b32 v1, 0 :: v_dual_add_nc_u32 v0, s42, v4
	v_add_nc_u32_e32 v16, s42, v6
	s_ashr_i32 s0, s37, 31
	s_add_nc_u64 s[22:23], s[22:23], s[4:5]
	s_lshr_b32 s0, s0, 26
	v_mul_u64_e32 v[2:3], s[2:3], v[0:1]
	v_add_nc_u32_e32 v7, 0x80, v16
	s_add_co_i32 s43, s37, s0
	v_add_nc_u32_e32 v8, 0xc0, v16
	s_and_not1_b32 s43, s43, 63
	s_ashr_i32 s29, s36, 31
	v_cmp_gt_i32_e64 s3, s36, v7
	v_or_b32_e32 v7, s42, v4
	s_sub_co_i32 s5, s37, s43
	v_cmp_gt_i32_e64 s4, s36, v8
	s_cmp_gt_i32 s5, 0
	v_cmp_gt_u32_e64 s5, 0x100, v4
	v_mul_lo_u32 v4, s6, v7
	v_mul_lo_u32 v8, s33, v17
	v_or_b32_e32 v10, 2, v17
	v_or_b32_e32 v11, 3, v17
	v_mul_lo_u32 v12, v5, s33
	v_mul_lo_u32 v13, v5, s30
	s_mov_b32 s28, s36
	v_mad_u32 v19, s33, v10, v6
	v_mad_u32 v20, s33, v11, v6
	;; [unrolled: 1-line block ×3, first 2 shown]
	v_mul_lo_u32 v22, s30, v10
	v_mul_lo_u32 v23, s30, v11
	v_cmp_gt_i64_e32 vcc_lo, s[28:29], v[0:1]
	v_add_nc_u32_e32 v0, 64, v16
	v_cmp_gt_i32_e64 s0, s43, v17
	v_cmp_gt_i32_e64 s1, s36, v16
	v_add3_u32 v24, v8, s33, v6
	v_lshl_add_u32 v25, v12, 2, v6
	v_cmp_gt_i32_e64 s2, s36, v0
	v_lshl_add_u32 v0, v5, 10, v9
	v_ashrrev_i32_e32 v5, 31, v4
	v_cmp_gt_i32_e64 s6, s36, v7
	v_lshlrev_b32_e32 v26, 2, v13
	s_add_nc_u64 s[14:15], s[26:27], s[14:15]
	s_cselect_b32 s36, -1, 0
	s_and_b32 s44, s5, vcc_lo
	s_lshl_b32 s45, s33, 6
	s_lshl_b32 s46, s30, 6
	s_branch .LBB478_5
.LBB478_3:                              ;   in Loop: Header=BB478_5 Depth=1
	s_wait_xcnt 0x0
	s_or_b32 exec_lo, exec_lo, s7
.LBB478_4:                              ;   in Loop: Header=BB478_5 Depth=1
	s_add_co_i32 s34, s34, 0x10000
	s_delay_alu instid0(SALU_CYCLE_1)
	s_cmp_lt_u32 s34, s31
	s_cbranch_scc0 .LBB478_53
.LBB478_5:                              ; =>This Loop Header: Depth=1
                                        ;     Child Loop BB478_21 Depth 2
	s_wait_xcnt 0x1
	s_mul_u64 s[26:27], s[10:11], s[34:35]
	s_wait_xcnt 0x0
	s_mul_u64 s[28:29], s[20:21], s[34:35]
	s_lshl_b64 s[26:27], s[26:27], 2
	s_lshl_b64 s[28:29], s[28:29], 2
	s_add_nc_u64 s[26:27], s[8:9], s[26:27]
	s_add_nc_u64 s[28:29], s[18:19], s[28:29]
	s_clause 0x1
	global_load_b32 v27, v1, s[26:27]
	global_load_b32 v6, v1, s[28:29]
	s_wait_loadcnt 0x1
	v_cmp_eq_f32_e32 vcc_lo, 0, v27
	s_wait_loadcnt 0x0
	v_cmp_eq_f32_e64 s7, 1.0, v6
	v_readfirstlane_b32 s48, v6
	s_and_b32 s7, vcc_lo, s7
	s_delay_alu instid0(SALU_CYCLE_1)
	s_and_b32 vcc_lo, exec_lo, s7
	s_cbranch_vccnz .LBB478_4
; %bb.6:                                ;   in Loop: Header=BB478_5 Depth=1
	v_cmp_neq_f32_e32 vcc_lo, 0, v27
	s_wait_xcnt 0x1
	s_mul_u64 s[26:27], s[38:39], s[34:35]
	s_delay_alu instid0(SALU_CYCLE_1) | instskip(NEXT) | instid1(SALU_CYCLE_1)
	s_lshl_b64 s[26:27], s[26:27], 2
	s_add_nc_u64 s[26:27], s[22:23], s[26:27]
	s_cbranch_vccnz .LBB478_10
; %bb.7:                                ;   in Loop: Header=BB478_5 Depth=1
	s_mov_b32 s7, 0
	s_mov_b32 s47, 0
                                        ; implicit-def: $vgpr8
	s_wait_xcnt 0x0
	s_and_saveexec_b32 s28, s44
	s_cbranch_execz .LBB478_11
; %bb.8:                                ;   in Loop: Header=BB478_5 Depth=1
	s_cmp_eq_f32 s48, 0
	s_cbranch_scc1 .LBB478_13
; %bb.9:                                ;   in Loop: Header=BB478_5 Depth=1
	v_lshl_add_u64 v[6:7], v[2:3], 2, s[26:27]
	global_load_b32 v6, v[6:7], off
	s_wait_loadcnt 0x0
	v_mul_f32_e32 v8, s48, v6
	s_branch .LBB478_14
.LBB478_10:                             ;   in Loop: Header=BB478_5 Depth=1
	s_mov_b32 s47, 0
                                        ; implicit-def: $vgpr8
	s_cbranch_execz .LBB478_12
	s_branch .LBB478_15
.LBB478_11:                             ;   in Loop: Header=BB478_5 Depth=1
	s_or_b32 exec_lo, exec_lo, s28
	s_delay_alu instid0(SALU_CYCLE_1)
	s_and_b32 vcc_lo, exec_lo, s7
	s_cbranch_vccnz .LBB478_15
.LBB478_12:                             ;   in Loop: Header=BB478_5 Depth=1
	v_mov_b64_e32 v[6:7], v[2:3]
	s_wait_xcnt 0x0
	s_and_saveexec_b32 s7, s47
	s_cbranch_execz .LBB478_3
	s_branch .LBB478_52
.LBB478_13:                             ;   in Loop: Header=BB478_5 Depth=1
	v_mov_b32_e32 v8, 0
.LBB478_14:                             ;   in Loop: Header=BB478_5 Depth=1
	s_mov_b32 s47, exec_lo
	s_wait_xcnt 0x0
	s_or_b32 exec_lo, exec_lo, s28
	s_delay_alu instid0(SALU_CYCLE_1)
	s_and_b32 vcc_lo, exec_lo, s7
	s_cbranch_vccz .LBB478_12
.LBB478_15:                             ;   in Loop: Header=BB478_5 Depth=1
	s_wait_xcnt 0x0
	s_mul_u64 s[28:29], s[24:25], s[34:35]
	s_mul_u64 s[40:41], s[16:17], s[34:35]
	v_dual_mov_b32 v28, 0 :: v_dual_mov_b32 v32, v17
	v_dual_mov_b32 v29, 0 :: v_dual_mov_b32 v30, 0
	v_mov_b32_e32 v31, 0
	s_lshl_b64 s[28:29], s[28:29], 1
	s_lshl_b64 s[40:41], s[40:41], 1
	s_add_nc_u64 s[28:29], s[12:13], s[28:29]
	s_add_nc_u64 s[40:41], s[14:15], s[40:41]
	s_and_saveexec_b32 s7, s0
	s_cbranch_execz .LBB478_27
; %bb.16:                               ;   in Loop: Header=BB478_5 Depth=1
	v_dual_mov_b32 v28, 0 :: v_dual_mov_b32 v33, v25
	v_dual_mov_b32 v34, v20 :: v_dual_mov_b32 v35, v19
	;; [unrolled: 1-line block ×4, first 2 shown]
	v_mov_b32_e32 v31, 0
	s_mov_b32 s49, 0
	s_mov_b32 s50, 0
	s_branch .LBB478_21
.LBB478_17:                             ;   in Loop: Header=BB478_21 Depth=2
	s_wait_xcnt 0x0
	s_or_b32 exec_lo, exec_lo, s54
	s_wait_loadcnt 0x3
	v_fma_mix_f32 v6, v47, v51, v30 op_sel_hi:[0,1,0]
	s_wait_loadcnt 0x2
	s_delay_alu instid0(VALU_DEP_1) | instskip(SKIP_1) | instid1(VALU_DEP_1)
	v_fma_mix_f32 v6, v48, v52, v6 op_sel_hi:[0,1,0]
	s_wait_loadcnt 0x1
	v_fma_mix_f32 v6, v49, v53, v6 op_sel_hi:[0,1,0]
	s_wait_loadcnt 0x0
	s_delay_alu instid0(VALU_DEP_1)
	v_fma_mix_f32 v30, v50, v54, v6 op_sel_hi:[0,1,0]
.LBB478_18:                             ;   in Loop: Header=BB478_21 Depth=2
	s_or_b32 exec_lo, exec_lo, s53
	s_wait_loadcnt 0x3
	v_fma_mix_f32 v6, v47, v12, v29 op_sel_hi:[0,1,0]
	s_wait_loadcnt 0x2
	s_delay_alu instid0(VALU_DEP_1) | instskip(SKIP_1) | instid1(VALU_DEP_1)
	v_fma_mix_f32 v6, v48, v13, v6 op_sel_hi:[0,1,0]
	s_wait_loadcnt 0x1
	v_fma_mix_f32 v6, v49, v45, v6 op_sel_hi:[0,1,0]
	s_wait_loadcnt 0x0
	s_delay_alu instid0(VALU_DEP_1)
	v_fma_mix_f32 v29, v50, v46, v6 op_sel_hi:[0,1,0]
.LBB478_19:                             ;   in Loop: Header=BB478_21 Depth=2
	s_or_b32 exec_lo, exec_lo, s52
	s_wait_loadcnt 0x3
	v_fma_mix_f32 v6, v37, v41, v28 op_sel_hi:[1,1,0]
	s_wait_loadcnt 0x2
	s_delay_alu instid0(VALU_DEP_1) | instskip(SKIP_1) | instid1(VALU_DEP_1)
	v_fma_mix_f32 v6, v38, v42, v6 op_sel_hi:[1,1,0]
	s_wait_loadcnt 0x1
	v_fma_mix_f32 v6, v39, v43, v6 op_sel_hi:[1,1,0]
	s_wait_loadcnt 0x0
	s_delay_alu instid0(VALU_DEP_1)
	v_fma_mix_f32 v28, v40, v44, v6 op_sel_hi:[1,1,0]
.LBB478_20:                             ;   in Loop: Header=BB478_21 Depth=2
	s_or_b32 exec_lo, exec_lo, s51
	v_dual_add_nc_u32 v32, 64, v32 :: v_dual_add_nc_u32 v35, s45, v35
	v_dual_add_nc_u32 v36, s45, v36 :: v_dual_add_nc_u32 v34, s45, v34
	v_add_nc_u32_e32 v33, s45, v33
	s_delay_alu instid0(VALU_DEP_3) | instskip(SKIP_2) | instid1(SALU_CYCLE_1)
	v_cmp_le_i32_e32 vcc_lo, s43, v32
	s_add_co_i32 s50, s50, s46
	s_or_b32 s49, vcc_lo, s49
	s_and_not1_b32 exec_lo, exec_lo, s49
	s_cbranch_execz .LBB478_26
.LBB478_21:                             ;   Parent Loop BB478_5 Depth=1
                                        ; =>  This Inner Loop Header: Depth=2
	s_and_saveexec_b32 s51, s1
	s_cbranch_execz .LBB478_20
; %bb.22:                               ;   in Loop: Header=BB478_21 Depth=2
	v_dual_add_nc_u32 v7, s50, v26 :: v_dual_add_nc_u32 v9, s50, v21
	v_dual_add_nc_u32 v11, s50, v22 :: v_dual_add_nc_u32 v13, s50, v23
	;; [unrolled: 1-line block ×4, first 2 shown]
	s_clause 0x3
	global_load_u16 v37, v7, s[40:41] scale_offset
	global_load_u16 v38, v9, s[40:41] scale_offset
	;; [unrolled: 1-line block ×4, first 2 shown]
	s_clause 0x3
	global_load_u16 v41, v6, s[28:29] scale_offset
	global_load_u16 v42, v8, s[28:29] scale_offset
	;; [unrolled: 1-line block ×4, first 2 shown]
	s_wait_xcnt 0x0
	s_and_saveexec_b32 s52, s2
	s_cbranch_execz .LBB478_19
; %bb.23:                               ;   in Loop: Header=BB478_21 Depth=2
	v_dual_ashrrev_i32 v7, 31, v6 :: v_dual_ashrrev_i32 v9, 31, v8
	v_dual_ashrrev_i32 v13, 31, v12 :: v_dual_ashrrev_i32 v11, 31, v10
	s_wait_loadcnt 0x7
	v_cvt_f32_f16_e32 v47, v37
	s_delay_alu instid0(VALU_DEP_3)
	v_lshl_add_u64 v[14:15], v[6:7], 1, s[28:29]
	v_lshl_add_u64 v[8:9], v[8:9], 1, s[28:29]
	;; [unrolled: 1-line block ×4, first 2 shown]
	s_wait_loadcnt 0x6
	v_cvt_f32_f16_e32 v48, v38
	s_clause 0x3
	global_load_u16 v12, v[14:15], off offset:128
	global_load_u16 v13, v[8:9], off offset:128
	;; [unrolled: 1-line block ×4, first 2 shown]
	s_wait_loadcnt 0x9
	v_cvt_f32_f16_e32 v49, v39
	s_wait_loadcnt 0x8
	v_cvt_f32_f16_e32 v50, v40
	s_wait_xcnt 0x0
	s_and_saveexec_b32 s53, s3
	s_cbranch_execz .LBB478_18
; %bb.24:                               ;   in Loop: Header=BB478_21 Depth=2
	s_clause 0x3
	global_load_u16 v51, v[14:15], off offset:256
	global_load_u16 v52, v[8:9], off offset:256
	global_load_u16 v53, v[6:7], off offset:256
	global_load_u16 v54, v[10:11], off offset:256
	s_wait_xcnt 0x0
	s_and_saveexec_b32 s54, s4
	s_cbranch_execz .LBB478_17
; %bb.25:                               ;   in Loop: Header=BB478_21 Depth=2
	s_clause 0x3
	global_load_u16 v14, v[14:15], off offset:384
	global_load_u16 v8, v[8:9], off offset:384
	;; [unrolled: 1-line block ×4, first 2 shown]
	s_wait_loadcnt 0x3
	v_fma_mix_f32 v9, v47, v14, v31 op_sel_hi:[0,1,0]
	s_wait_loadcnt 0x2
	s_delay_alu instid0(VALU_DEP_1) | instskip(SKIP_1) | instid1(VALU_DEP_1)
	v_fma_mix_f32 v8, v48, v8, v9 op_sel_hi:[0,1,0]
	s_wait_loadcnt 0x1
	v_fma_mix_f32 v6, v49, v6, v8 op_sel_hi:[0,1,0]
	s_wait_loadcnt 0x0
	s_delay_alu instid0(VALU_DEP_1)
	v_fma_mix_f32 v31, v50, v7, v6 op_sel_hi:[0,1,0]
	s_branch .LBB478_17
.LBB478_26:                             ;   in Loop: Header=BB478_5 Depth=1
	s_or_b32 exec_lo, exec_lo, s49
.LBB478_27:                             ;   in Loop: Header=BB478_5 Depth=1
	s_delay_alu instid0(SALU_CYCLE_1) | instskip(NEXT) | instid1(SALU_CYCLE_1)
	s_or_b32 exec_lo, exec_lo, s7
	s_and_not1_b32 vcc_lo, exec_lo, s36
	s_cbranch_vccnz .LBB478_45
; %bb.28:                               ;   in Loop: Header=BB478_5 Depth=1
	v_cmp_gt_i32_e32 vcc_lo, s37, v32
	v_dual_mov_b32 v14, 0 :: v_dual_bitop2_b32 v6, 1, v32 bitop3:0x54
	v_dual_mov_b32 v15, 0 :: v_dual_mov_b32 v33, 0
	v_mov_b32_e32 v34, 0
	s_and_saveexec_b32 s49, vcc_lo
	s_cbranch_execz .LBB478_36
; %bb.29:                               ;   in Loop: Header=BB478_5 Depth=1
	v_mul_lo_u32 v7, v32, s30
	v_dual_mov_b32 v33, 0 :: v_dual_mov_b32 v15, 0
	v_mov_b32_e32 v14, 0
	s_mov_b32 s50, exec_lo
	global_load_u16 v7, v7, s[40:41] scale_offset
	s_wait_xcnt 0x0
	v_cmpx_gt_i32_e64 s37, v6
	s_cbranch_execz .LBB478_35
; %bb.30:                               ;   in Loop: Header=BB478_5 Depth=1
	v_mul_lo_u32 v8, v6, s30
	v_dual_mov_b32 v15, 0 :: v_dual_bitop2_b32 v9, 2, v32 bitop3:0x54
	v_mov_b32_e32 v14, 0
	s_mov_b32 s51, exec_lo
	global_load_u16 v8, v8, s[40:41] scale_offset
	s_wait_xcnt 0x0
	v_cmpx_gt_i32_e64 s37, v9
	s_cbranch_execz .LBB478_34
; %bb.31:                               ;   in Loop: Header=BB478_5 Depth=1
	v_mul_lo_u32 v9, v9, s30
	v_dual_mov_b32 v14, 0 :: v_dual_bitop2_b32 v10, 3, v32 bitop3:0x54
	s_mov_b32 s52, exec_lo
	global_load_u16 v9, v9, s[40:41] scale_offset
	s_wait_xcnt 0x0
	v_cmpx_gt_i32_e64 s37, v10
	s_cbranch_execz .LBB478_33
; %bb.32:                               ;   in Loop: Header=BB478_5 Depth=1
	v_mul_lo_u32 v10, v10, s30
	global_load_u16 v10, v10, s[40:41] scale_offset
	s_wait_loadcnt 0x0
	v_cvt_f32_f16_e32 v14, v10
.LBB478_33:                             ;   in Loop: Header=BB478_5 Depth=1
	s_wait_xcnt 0x0
	s_or_b32 exec_lo, exec_lo, s52
	s_wait_loadcnt 0x0
	v_cvt_f32_f16_e32 v15, v9
.LBB478_34:                             ;   in Loop: Header=BB478_5 Depth=1
	s_or_b32 exec_lo, exec_lo, s51
	s_wait_loadcnt 0x0
	v_cvt_f32_f16_e32 v33, v8
.LBB478_35:                             ;   in Loop: Header=BB478_5 Depth=1
	s_or_b32 exec_lo, exec_lo, s50
	s_wait_loadcnt 0x0
	v_cvt_f32_f16_e32 v34, v7
.LBB478_36:                             ;   in Loop: Header=BB478_5 Depth=1
	s_or_b32 exec_lo, exec_lo, s49
	s_and_saveexec_b32 s7, s1
	s_cbranch_execz .LBB478_44
; %bb.37:                               ;   in Loop: Header=BB478_5 Depth=1
	v_mul_lo_u32 v8, v32, s33
	v_mul_lo_u32 v10, v6, s33
	s_delay_alu instid0(VALU_DEP_2) | instskip(SKIP_1) | instid1(VALU_DEP_3)
	v_cndmask_b32_e32 v8, 0, v8, vcc_lo
	v_cmp_gt_i32_e32 vcc_lo, s37, v6
	v_dual_cndmask_b32 v10, 0, v10, vcc_lo :: v_dual_bitop2_b32 v7, 2, v32 bitop3:0x54
	s_delay_alu instid0(VALU_DEP_1) | instskip(SKIP_2) | instid1(VALU_DEP_4)
	v_mul_lo_u32 v11, v7, s33
	v_cmp_gt_i32_e32 vcc_lo, s37, v7
	v_or_b32_e32 v9, 3, v32
	v_dual_add_nc_u32 v6, v8, v16 :: v_dual_add_nc_u32 v8, v10, v16
	s_delay_alu instid0(VALU_DEP_4) | instskip(NEXT) | instid1(VALU_DEP_3)
	v_cndmask_b32_e32 v7, 0, v11, vcc_lo
	v_mul_lo_u32 v12, v9, s33
	v_cmp_gt_i32_e32 vcc_lo, s37, v9
	s_delay_alu instid0(VALU_DEP_2) | instskip(NEXT) | instid1(VALU_DEP_1)
	v_cndmask_b32_e32 v9, 0, v12, vcc_lo
	v_dual_add_nc_u32 v10, v7, v16 :: v_dual_add_nc_u32 v12, v9, v16
	s_clause 0x3
	global_load_u16 v32, v6, s[28:29] scale_offset
	global_load_u16 v35, v8, s[28:29] scale_offset
	;; [unrolled: 1-line block ×4, first 2 shown]
	s_wait_xcnt 0x0
	s_and_saveexec_b32 s40, s2
	s_cbranch_execz .LBB478_43
; %bb.38:                               ;   in Loop: Header=BB478_5 Depth=1
	v_dual_ashrrev_i32 v7, 31, v6 :: v_dual_ashrrev_i32 v9, 31, v8
	v_dual_ashrrev_i32 v11, 31, v10 :: v_dual_ashrrev_i32 v13, 31, v12
	s_delay_alu instid0(VALU_DEP_2) | instskip(NEXT) | instid1(VALU_DEP_3)
	v_lshl_add_u64 v[6:7], v[6:7], 1, s[28:29]
	v_lshl_add_u64 v[8:9], v[8:9], 1, s[28:29]
	s_delay_alu instid0(VALU_DEP_3) | instskip(NEXT) | instid1(VALU_DEP_4)
	v_lshl_add_u64 v[10:11], v[10:11], 1, s[28:29]
	v_lshl_add_u64 v[12:13], v[12:13], 1, s[28:29]
	s_clause 0x3
	global_load_u16 v38, v[6:7], off offset:128
	global_load_u16 v39, v[8:9], off offset:128
	;; [unrolled: 1-line block ×4, first 2 shown]
	s_wait_xcnt 0x0
	s_and_saveexec_b32 s28, s3
	s_cbranch_execz .LBB478_42
; %bb.39:                               ;   in Loop: Header=BB478_5 Depth=1
	s_clause 0x3
	global_load_u16 v42, v[6:7], off offset:256
	global_load_u16 v43, v[8:9], off offset:256
	;; [unrolled: 1-line block ×4, first 2 shown]
	s_wait_xcnt 0x0
	s_and_saveexec_b32 s29, s4
	s_cbranch_execz .LBB478_41
; %bb.40:                               ;   in Loop: Header=BB478_5 Depth=1
	s_clause 0x3
	global_load_u16 v46, v[6:7], off offset:384
	global_load_u16 v47, v[8:9], off offset:384
	;; [unrolled: 1-line block ×4, first 2 shown]
	s_wait_loadcnt 0x3
	s_wait_xcnt 0x3
	v_fma_mix_f32 v6, v34, v46, v31 op_sel_hi:[0,1,0]
	s_wait_loadcnt 0x2
	s_delay_alu instid0(VALU_DEP_1) | instskip(SKIP_1) | instid1(VALU_DEP_1)
	v_fma_mix_f32 v6, v33, v47, v6 op_sel_hi:[0,1,0]
	s_wait_loadcnt 0x1
	v_fma_mix_f32 v6, v15, v48, v6 op_sel_hi:[0,1,0]
	s_wait_loadcnt 0x0
	s_delay_alu instid0(VALU_DEP_1)
	v_fma_mix_f32 v31, v14, v49, v6 op_sel_hi:[0,1,0]
.LBB478_41:                             ;   in Loop: Header=BB478_5 Depth=1
	s_wait_xcnt 0x0
	s_or_b32 exec_lo, exec_lo, s29
	s_wait_loadcnt 0x3
	v_fma_mix_f32 v6, v34, v42, v30 op_sel_hi:[0,1,0]
	s_wait_loadcnt 0x2
	s_delay_alu instid0(VALU_DEP_1) | instskip(SKIP_1) | instid1(VALU_DEP_1)
	v_fma_mix_f32 v6, v33, v43, v6 op_sel_hi:[0,1,0]
	s_wait_loadcnt 0x1
	v_fma_mix_f32 v6, v15, v44, v6 op_sel_hi:[0,1,0]
	s_wait_loadcnt 0x0
	s_delay_alu instid0(VALU_DEP_1)
	v_fma_mix_f32 v30, v14, v45, v6 op_sel_hi:[0,1,0]
.LBB478_42:                             ;   in Loop: Header=BB478_5 Depth=1
	s_or_b32 exec_lo, exec_lo, s28
	s_wait_loadcnt 0x3
	v_fma_mix_f32 v6, v34, v38, v29 op_sel_hi:[0,1,0]
	s_wait_loadcnt 0x2
	s_delay_alu instid0(VALU_DEP_1) | instskip(SKIP_1) | instid1(VALU_DEP_1)
	v_fma_mix_f32 v6, v33, v39, v6 op_sel_hi:[0,1,0]
	s_wait_loadcnt 0x1
	v_fma_mix_f32 v6, v15, v40, v6 op_sel_hi:[0,1,0]
	s_wait_loadcnt 0x0
	s_delay_alu instid0(VALU_DEP_1)
	v_fma_mix_f32 v29, v14, v41, v6 op_sel_hi:[0,1,0]
.LBB478_43:                             ;   in Loop: Header=BB478_5 Depth=1
	s_or_b32 exec_lo, exec_lo, s40
	s_wait_loadcnt 0x3
	v_fma_mix_f32 v6, v34, v32, v28 op_sel_hi:[0,1,0]
	s_wait_loadcnt 0x2
	s_delay_alu instid0(VALU_DEP_1) | instskip(SKIP_1) | instid1(VALU_DEP_1)
	v_fma_mix_f32 v6, v33, v35, v6 op_sel_hi:[0,1,0]
	s_wait_loadcnt 0x1
	v_fma_mix_f32 v6, v15, v36, v6 op_sel_hi:[0,1,0]
	s_wait_loadcnt 0x0
	s_delay_alu instid0(VALU_DEP_1)
	v_fma_mix_f32 v28, v14, v37, v6 op_sel_hi:[0,1,0]
.LBB478_44:                             ;   in Loop: Header=BB478_5 Depth=1
	s_or_b32 exec_lo, exec_lo, s7
.LBB478_45:                             ;   in Loop: Header=BB478_5 Depth=1
	ds_store_2addr_stride64_b32 v0, v28, v29 offset1:1
	ds_store_2addr_stride64_b32 v0, v30, v31 offset0:2 offset1:3
	s_wait_dscnt 0x0
	s_barrier_signal -1
	s_barrier_wait -1
                                        ; implicit-def: $vgpr8
	s_and_saveexec_b32 s7, s5
	s_cbranch_execz .LBB478_51
; %bb.46:                               ;   in Loop: Header=BB478_5 Depth=1
	ds_load_2addr_stride64_b32 v[6:7], v18 offset1:4
	ds_load_2addr_stride64_b32 v[8:9], v18 offset0:8 offset1:12
	ds_load_2addr_stride64_b32 v[10:11], v18 offset0:16 offset1:20
	s_mov_b32 s29, s47
	s_wait_dscnt 0x2
	v_add_f32_e32 v12, v6, v7
	ds_load_2addr_stride64_b32 v[6:7], v18 offset0:24 offset1:28
	s_wait_dscnt 0x2
	v_add_f32_e32 v8, v8, v12
	s_delay_alu instid0(VALU_DEP_1) | instskip(SKIP_3) | instid1(VALU_DEP_1)
	v_add_f32_e32 v12, v9, v8
	ds_load_2addr_stride64_b32 v[8:9], v18 offset0:32 offset1:36
	s_wait_dscnt 0x2
	v_add_f32_e32 v10, v10, v12
	v_add_f32_e32 v12, v11, v10
	ds_load_2addr_stride64_b32 v[10:11], v18 offset0:40 offset1:44
	s_wait_dscnt 0x2
	v_add_f32_e32 v6, v6, v12
	s_delay_alu instid0(VALU_DEP_1) | instskip(SKIP_1) | instid1(VALU_DEP_1)
	v_add_f32_e32 v6, v7, v6
	s_wait_dscnt 0x1
	v_add_f32_e32 v8, v8, v6
	ds_load_2addr_stride64_b32 v[6:7], v18 offset0:48 offset1:52
	v_add_f32_e32 v8, v9, v8
	s_wait_dscnt 0x1
	s_delay_alu instid0(VALU_DEP_1) | instskip(SKIP_3) | instid1(VALU_DEP_1)
	v_add_f32_e32 v10, v10, v8
	ds_load_2addr_stride64_b32 v[8:9], v18 offset0:56 offset1:60
	v_add_f32_e32 v10, v11, v10
	s_wait_dscnt 0x1
	v_add_f32_e32 v6, v6, v10
	s_delay_alu instid0(VALU_DEP_1) | instskip(SKIP_1) | instid1(VALU_DEP_1)
	v_add_f32_e32 v6, v7, v6
	s_wait_dscnt 0x0
	v_add_f32_e32 v6, v8, v6
                                        ; implicit-def: $vgpr8
	s_delay_alu instid0(VALU_DEP_1)
	v_add_f32_e32 v6, v9, v6
	ds_store_b32 v18, v6
	s_and_saveexec_b32 s28, s6
	s_cbranch_execz .LBB478_50
; %bb.47:                               ;   in Loop: Header=BB478_5 Depth=1
	v_mul_f32_e32 v8, v27, v6
	s_cmp_eq_f32 s48, 0
	s_cbranch_scc1 .LBB478_49
; %bb.48:                               ;   in Loop: Header=BB478_5 Depth=1
	v_lshl_add_u64 v[6:7], v[4:5], 2, s[26:27]
	global_load_b32 v6, v[6:7], off
	s_wait_loadcnt 0x0
	v_fmac_f32_e32 v8, s48, v6
.LBB478_49:                             ;   in Loop: Header=BB478_5 Depth=1
	s_or_b32 s29, s47, exec_lo
.LBB478_50:                             ;   in Loop: Header=BB478_5 Depth=1
	s_wait_xcnt 0x0
	s_or_b32 exec_lo, exec_lo, s28
	s_delay_alu instid0(SALU_CYCLE_1) | instskip(SKIP_1) | instid1(SALU_CYCLE_1)
	s_and_not1_b32 s28, s47, exec_lo
	s_and_b32 s29, s29, exec_lo
	s_or_b32 s47, s28, s29
.LBB478_51:                             ;   in Loop: Header=BB478_5 Depth=1
	s_or_b32 exec_lo, exec_lo, s7
	v_mov_b64_e32 v[6:7], v[4:5]
	s_and_saveexec_b32 s7, s47
	s_cbranch_execz .LBB478_3
.LBB478_52:                             ;   in Loop: Header=BB478_5 Depth=1
	s_delay_alu instid0(VALU_DEP_1)
	v_lshl_add_u64 v[6:7], v[6:7], 2, s[26:27]
	global_store_b32 v[6:7], v8, off
	s_branch .LBB478_3
.LBB478_53:
	s_endpgm
	.section	.rodata,"a",@progbits
	.p2align	6, 0x0
	.amdhsa_kernel _ZL20rocblas_gemvn_kernelILi64ELi16EiDF16_PKffEviiT3_lPKT2_lT1_lS5_lS6_lS2_lPT4_lS6_li
		.amdhsa_group_segment_fixed_size 16384
		.amdhsa_private_segment_fixed_size 0
		.amdhsa_kernarg_size 400
		.amdhsa_user_sgpr_count 2
		.amdhsa_user_sgpr_dispatch_ptr 0
		.amdhsa_user_sgpr_queue_ptr 0
		.amdhsa_user_sgpr_kernarg_segment_ptr 1
		.amdhsa_user_sgpr_dispatch_id 0
		.amdhsa_user_sgpr_kernarg_preload_length 0
		.amdhsa_user_sgpr_kernarg_preload_offset 0
		.amdhsa_user_sgpr_private_segment_size 0
		.amdhsa_wavefront_size32 1
		.amdhsa_uses_dynamic_stack 0
		.amdhsa_enable_private_segment 0
		.amdhsa_system_sgpr_workgroup_id_x 1
		.amdhsa_system_sgpr_workgroup_id_y 0
		.amdhsa_system_sgpr_workgroup_id_z 1
		.amdhsa_system_sgpr_workgroup_info 0
		.amdhsa_system_vgpr_workitem_id 1
		.amdhsa_next_free_vgpr 55
		.amdhsa_next_free_sgpr 55
		.amdhsa_named_barrier_count 0
		.amdhsa_reserve_vcc 1
		.amdhsa_float_round_mode_32 0
		.amdhsa_float_round_mode_16_64 0
		.amdhsa_float_denorm_mode_32 3
		.amdhsa_float_denorm_mode_16_64 3
		.amdhsa_fp16_overflow 0
		.amdhsa_memory_ordered 1
		.amdhsa_forward_progress 1
		.amdhsa_inst_pref_size 24
		.amdhsa_round_robin_scheduling 0
		.amdhsa_exception_fp_ieee_invalid_op 0
		.amdhsa_exception_fp_denorm_src 0
		.amdhsa_exception_fp_ieee_div_zero 0
		.amdhsa_exception_fp_ieee_overflow 0
		.amdhsa_exception_fp_ieee_underflow 0
		.amdhsa_exception_fp_ieee_inexact 0
		.amdhsa_exception_int_div_zero 0
	.end_amdhsa_kernel
	.section	.text._ZL20rocblas_gemvn_kernelILi64ELi16EiDF16_PKffEviiT3_lPKT2_lT1_lS5_lS6_lS2_lPT4_lS6_li,"axG",@progbits,_ZL20rocblas_gemvn_kernelILi64ELi16EiDF16_PKffEviiT3_lPKT2_lT1_lS5_lS6_lS2_lPT4_lS6_li,comdat
.Lfunc_end478:
	.size	_ZL20rocblas_gemvn_kernelILi64ELi16EiDF16_PKffEviiT3_lPKT2_lT1_lS5_lS6_lS2_lPT4_lS6_li, .Lfunc_end478-_ZL20rocblas_gemvn_kernelILi64ELi16EiDF16_PKffEviiT3_lPKT2_lT1_lS5_lS6_lS2_lPT4_lS6_li
                                        ; -- End function
	.set _ZL20rocblas_gemvn_kernelILi64ELi16EiDF16_PKffEviiT3_lPKT2_lT1_lS5_lS6_lS2_lPT4_lS6_li.num_vgpr, 55
	.set _ZL20rocblas_gemvn_kernelILi64ELi16EiDF16_PKffEviiT3_lPKT2_lT1_lS5_lS6_lS2_lPT4_lS6_li.num_agpr, 0
	.set _ZL20rocblas_gemvn_kernelILi64ELi16EiDF16_PKffEviiT3_lPKT2_lT1_lS5_lS6_lS2_lPT4_lS6_li.numbered_sgpr, 55
	.set _ZL20rocblas_gemvn_kernelILi64ELi16EiDF16_PKffEviiT3_lPKT2_lT1_lS5_lS6_lS2_lPT4_lS6_li.num_named_barrier, 0
	.set _ZL20rocblas_gemvn_kernelILi64ELi16EiDF16_PKffEviiT3_lPKT2_lT1_lS5_lS6_lS2_lPT4_lS6_li.private_seg_size, 0
	.set _ZL20rocblas_gemvn_kernelILi64ELi16EiDF16_PKffEviiT3_lPKT2_lT1_lS5_lS6_lS2_lPT4_lS6_li.uses_vcc, 1
	.set _ZL20rocblas_gemvn_kernelILi64ELi16EiDF16_PKffEviiT3_lPKT2_lT1_lS5_lS6_lS2_lPT4_lS6_li.uses_flat_scratch, 0
	.set _ZL20rocblas_gemvn_kernelILi64ELi16EiDF16_PKffEviiT3_lPKT2_lT1_lS5_lS6_lS2_lPT4_lS6_li.has_dyn_sized_stack, 0
	.set _ZL20rocblas_gemvn_kernelILi64ELi16EiDF16_PKffEviiT3_lPKT2_lT1_lS5_lS6_lS2_lPT4_lS6_li.has_recursion, 0
	.set _ZL20rocblas_gemvn_kernelILi64ELi16EiDF16_PKffEviiT3_lPKT2_lT1_lS5_lS6_lS2_lPT4_lS6_li.has_indirect_call, 0
	.section	.AMDGPU.csdata,"",@progbits
; Kernel info:
; codeLenInByte = 3052
; TotalNumSgprs: 57
; NumVgprs: 55
; ScratchSize: 0
; MemoryBound: 0
; FloatMode: 240
; IeeeMode: 1
; LDSByteSize: 16384 bytes/workgroup (compile time only)
; SGPRBlocks: 0
; VGPRBlocks: 3
; NumSGPRsForWavesPerEU: 57
; NumVGPRsForWavesPerEU: 55
; NamedBarCnt: 0
; Occupancy: 16
; WaveLimiterHint : 1
; COMPUTE_PGM_RSRC2:SCRATCH_EN: 0
; COMPUTE_PGM_RSRC2:USER_SGPR: 2
; COMPUTE_PGM_RSRC2:TRAP_HANDLER: 0
; COMPUTE_PGM_RSRC2:TGID_X_EN: 1
; COMPUTE_PGM_RSRC2:TGID_Y_EN: 0
; COMPUTE_PGM_RSRC2:TGID_Z_EN: 1
; COMPUTE_PGM_RSRC2:TIDIG_COMP_CNT: 1
	.section	.text._ZL20rocblas_gemvn_kernelILi64ELi16ElDF16_PKffEviiT3_lPKT2_lT1_lS5_lS6_lS2_lPT4_lS6_li,"axG",@progbits,_ZL20rocblas_gemvn_kernelILi64ELi16ElDF16_PKffEviiT3_lPKT2_lT1_lS5_lS6_lS2_lPT4_lS6_li,comdat
	.globl	_ZL20rocblas_gemvn_kernelILi64ELi16ElDF16_PKffEviiT3_lPKT2_lT1_lS5_lS6_lS2_lPT4_lS6_li ; -- Begin function _ZL20rocblas_gemvn_kernelILi64ELi16ElDF16_PKffEviiT3_lPKT2_lT1_lS5_lS6_lS2_lPT4_lS6_li
	.p2align	8
	.type	_ZL20rocblas_gemvn_kernelILi64ELi16ElDF16_PKffEviiT3_lPKT2_lT1_lS5_lS6_lS2_lPT4_lS6_li,@function
_ZL20rocblas_gemvn_kernelILi64ELi16ElDF16_PKffEviiT3_lPKT2_lT1_lS5_lS6_lS2_lPT4_lS6_li: ; @_ZL20rocblas_gemvn_kernelILi64ELi16ElDF16_PKffEviiT3_lPKT2_lT1_lS5_lS6_lS2_lPT4_lS6_li
; %bb.0:
	s_load_b64 s[2:3], s[0:1], 0x9c
	s_wait_kmcnt 0x0
	s_lshr_b32 s4, s2, 16
	s_and_b32 s2, s2, 0xffff
	s_and_b32 s3, s3, 0xffff
	s_mul_i32 s2, s4, s2
	s_delay_alu instid0(SALU_CYCLE_1) | instskip(NEXT) | instid1(SALU_CYCLE_1)
	s_mul_i32 s2, s2, s3
	s_cmp_lg_u32 s2, 0x400
	s_cbranch_scc1 .LBB479_53
; %bb.1:
	s_load_b32 s33, s[0:1], 0x88
	s_bfe_u32 s2, ttmp6, 0x40014
	s_lshr_b32 s3, ttmp7, 16
	s_add_co_i32 s2, s2, 1
	s_bfe_u32 s5, ttmp6, 0x40008
	s_mul_i32 s4, s3, s2
	s_getreg_b32 s2, hwreg(HW_REG_IB_STS2, 6, 4)
	s_add_co_i32 s5, s5, s4
	s_cmp_eq_u32 s2, 0
	s_mov_b32 s11, 0
	s_cselect_b32 s10, s3, s5
	s_wait_kmcnt 0x0
	s_cmp_ge_u32 s10, s33
	s_cbranch_scc1 .LBB479_53
; %bb.2:
	s_clause 0x2
	s_load_b512 s[12:27], s[0:1], 0x8
	s_load_b512 s[36:51], s[0:1], 0x48
	s_load_b64 s[28:29], s[0:1], 0x0
	s_wait_xcnt 0x0
	s_bfe_u32 s0, ttmp6, 0x4000c
	v_and_b32_e32 v24, 0x3ff, v0
	s_add_co_i32 s0, s0, 1
	v_bfe_u32 v4, v0, 10, 10
	s_and_b32 s1, ttmp6, 15
	s_mul_i32 s0, ttmp9, s0
	v_dual_mov_b32 v1, 0 :: v_dual_lshlrev_b32 v2, 2, v24
	s_add_co_i32 s1, s1, s0
	v_lshl_add_u32 v6, v4, 6, v24
	s_delay_alu instid0(VALU_DEP_2) | instskip(NEXT) | instid1(VALU_DEP_3)
	v_dual_mov_b32 v5, v1 :: v_dual_lshlrev_b32 v48, 2, v4
	v_lshl_add_u32 v49, v4, 10, v2
	v_lshl_add_u32 v50, v4, 8, v2
	s_wait_kmcnt 0x0
	s_lshl_b64 s[4:5], s[18:19], 1
	s_lshl_b64 s[18:19], s[26:27], 1
	;; [unrolled: 1-line block ×3, first 2 shown]
	s_cmp_eq_u32 s2, 0
	s_mov_b32 s2, s28
	s_cselect_b32 s0, ttmp9, s1
	s_ashr_i32 s3, s28, 31
	s_lshl_b32 s1, s0, 8
	v_cmp_gt_u32_e64 s0, 0x100, v6
	v_dual_add_nc_u32 v0, s1, v6 :: v_dual_bitop2_b32 v6, s1, v6 bitop3:0x54
	v_mul_u64_e32 v[10:11], s[36:37], v[4:5]
	v_mul_u64_e32 v[12:13], s[20:21], v[4:5]
	v_mad_nc_u64_u32 v[8:9], s36, v48, s[36:37]
	s_delay_alu instid0(VALU_DEP_4)
	v_cmp_gt_i64_e32 vcc_lo, s[2:3], v[0:1]
	v_mul_u64_e32 v[2:3], s[48:49], v[0:1]
	v_dual_ashrrev_i32 v7, 31, v6 :: v_dual_bitop2_b32 v0, 3, v48 bitop3:0x54
	v_mad_nc_u64_u32 v[22:23], s20, v48, s[20:21]
	s_ashr_i32 s2, s29, 31
	v_add_nc_u32_e32 v24, s1, v24
	s_delay_alu instid0(VALU_DEP_3)
	v_mul_u64_e32 v[14:15], s[20:21], v[0:1]
	v_mul_u64_e32 v[16:17], s[36:37], v[0:1]
	v_or_b32_e32 v0, 2, v48
	v_mul_u64_e32 v[4:5], s[48:49], v[6:7]
	v_mad_u32 v9, s37, v48, v9
	s_lshr_b32 s2, s2, 26
	v_ashrrev_i32_e32 v25, 31, v24
	v_mul_u64_e32 v[18:19], s[20:21], v[0:1]
	v_mul_u64_e32 v[20:21], s[36:37], v[0:1]
	v_mad_u32 v23, s21, v48, v23
	s_add_co_i32 s52, s29, s2
	v_add_nc_u32_e32 v7, 0x80, v24
	s_and_not1_b32 s52, s52, 63
	v_add_nc_u32_e32 v0, 64, v24
	v_add_nc_u32_e32 v26, 0xc0, v24
	s_sub_co_i32 s3, s29, s52
	s_add_nc_u64 s[16:17], s[16:17], s[4:5]
	s_cmp_gt_i32 s3, 0
	v_cmp_gt_i32_e64 s3, s28, v6
	v_cmp_gt_i32_e64 s5, s28, v7
	v_lshlrev_b64_e32 v[6:7], 1, v[24:25]
	s_add_nc_u64 s[30:31], s[44:45], s[6:7]
	v_cmp_gt_i32_e64 s1, s52, v48
	v_cmp_gt_i32_e64 s2, s28, v24
	v_cmp_gt_i32_e64 s4, s28, v0
	v_cmp_gt_i32_e64 s6, s28, v26
	v_lshl_add_u64 v[8:9], v[8:9], 1, s[24:25]
	v_lshl_add_u64 v[10:11], v[10:11], 3, s[24:25]
	;; [unrolled: 1-line block ×4, first 2 shown]
	s_add_nc_u64 s[26:27], s[24:25], s[18:19]
	s_cselect_b32 s53, -1, 0
	v_lshl_add_u64 v[14:15], v[14:15], 1, s[16:17]
	v_lshl_add_u64 v[16:17], v[16:17], 1, s[24:25]
	s_lshl_b64 s[34:35], s[38:39], 1
	s_and_b32 s28, s0, vcc_lo
	s_lshl_b64 s[44:45], s[22:23], 1
	s_lshl_b64 s[46:47], s[20:21], 7
	v_lshl_add_u64 v[18:19], v[18:19], 1, s[16:17]
	v_lshl_add_u64 v[20:21], v[20:21], 1, s[24:25]
	s_lshl_b64 s[24:25], s[36:37], 7
	s_branch .LBB479_5
.LBB479_3:                              ;   in Loop: Header=BB479_5 Depth=1
	s_wait_xcnt 0x0
	s_or_b32 exec_lo, exec_lo, s7
.LBB479_4:                              ;   in Loop: Header=BB479_5 Depth=1
	s_add_co_i32 s10, s10, 0x10000
	s_delay_alu instid0(SALU_CYCLE_1)
	s_cmp_lt_u32 s10, s33
	s_cbranch_scc0 .LBB479_53
.LBB479_5:                              ; =>This Loop Header: Depth=1
                                        ;     Child Loop BB479_21 Depth 2
	s_wait_xcnt 0x1
	s_mul_u64 s[8:9], s[14:15], s[10:11]
	s_wait_xcnt 0x0
	s_mul_u64 s[48:49], s[42:43], s[10:11]
	s_lshl_b64 s[8:9], s[8:9], 2
	s_lshl_b64 s[48:49], s[48:49], 2
	s_add_nc_u64 s[8:9], s[12:13], s[8:9]
	s_add_nc_u64 s[48:49], s[40:41], s[48:49]
	s_clause 0x1
	global_load_b32 v51, v1, s[8:9]
	global_load_b32 v0, v1, s[48:49]
	s_wait_loadcnt 0x1
	v_cmp_eq_f32_e32 vcc_lo, 0, v51
	s_wait_loadcnt 0x0
	v_cmp_eq_f32_e64 s7, 1.0, v0
	v_readfirstlane_b32 s55, v0
	s_and_b32 s7, vcc_lo, s7
	s_delay_alu instid0(SALU_CYCLE_1)
	s_and_b32 vcc_lo, exec_lo, s7
	s_cbranch_vccnz .LBB479_4
; %bb.6:                                ;   in Loop: Header=BB479_5 Depth=1
	v_cmp_neq_f32_e32 vcc_lo, 0, v51
	s_wait_xcnt 0x1
	s_mul_u64 s[8:9], s[50:51], s[10:11]
	s_delay_alu instid0(SALU_CYCLE_1)
	s_lshl_b64 s[8:9], s[8:9], 2
	s_wait_xcnt 0x0
	s_add_nc_u64 s[48:49], s[30:31], s[8:9]
	s_cbranch_vccnz .LBB479_10
; %bb.7:                                ;   in Loop: Header=BB479_5 Depth=1
	s_mov_b32 s7, 0
	s_mov_b32 s54, 0
                                        ; implicit-def: $vgpr0
	s_and_saveexec_b32 s8, s28
	s_cbranch_execz .LBB479_11
; %bb.8:                                ;   in Loop: Header=BB479_5 Depth=1
	s_cmp_eq_f32 s55, 0
	s_cbranch_scc1 .LBB479_13
; %bb.9:                                ;   in Loop: Header=BB479_5 Depth=1
	v_lshl_add_u64 v[24:25], v[2:3], 2, s[48:49]
	global_load_b32 v0, v[24:25], off
	s_wait_loadcnt 0x0
	v_mul_f32_e32 v0, s55, v0
	s_branch .LBB479_14
.LBB479_10:                             ;   in Loop: Header=BB479_5 Depth=1
	s_mov_b32 s54, 0
                                        ; implicit-def: $vgpr0
	s_cbranch_execz .LBB479_12
	s_branch .LBB479_15
.LBB479_11:                             ;   in Loop: Header=BB479_5 Depth=1
	s_or_b32 exec_lo, exec_lo, s8
	s_delay_alu instid0(SALU_CYCLE_1)
	s_and_b32 vcc_lo, exec_lo, s7
	s_cbranch_vccnz .LBB479_15
.LBB479_12:                             ;   in Loop: Header=BB479_5 Depth=1
	v_mov_b64_e32 v[24:25], v[2:3]
	s_and_saveexec_b32 s7, s54
	s_cbranch_execz .LBB479_3
	s_branch .LBB479_52
.LBB479_13:                             ;   in Loop: Header=BB479_5 Depth=1
	v_mov_b32_e32 v0, 0
.LBB479_14:                             ;   in Loop: Header=BB479_5 Depth=1
	s_mov_b32 s54, exec_lo
	s_wait_xcnt 0x0
	s_or_b32 exec_lo, exec_lo, s8
	s_delay_alu instid0(SALU_CYCLE_1)
	s_and_b32 vcc_lo, exec_lo, s7
	s_cbranch_vccz .LBB479_12
.LBB479_15:                             ;   in Loop: Header=BB479_5 Depth=1
	v_dual_mov_b32 v52, 0 :: v_dual_mov_b32 v0, v48
	v_dual_mov_b32 v53, 0 :: v_dual_mov_b32 v54, 0
	v_mov_b32_e32 v55, 0
	s_and_saveexec_b32 s7, s1
	s_cbranch_execz .LBB479_27
; %bb.16:                               ;   in Loop: Header=BB479_5 Depth=1
	s_mul_u64 s[8:9], s[34:35], s[10:11]
	s_mul_u64 s[56:57], s[44:45], s[10:11]
	v_add_nc_u64_e32 v[24:25], s[8:9], v[10:11]
	v_add_nc_u64_e32 v[26:27], s[56:57], v[14:15]
	;; [unrolled: 1-line block ×8, first 2 shown]
	v_dual_mov_b32 v52, 0 :: v_dual_mov_b32 v0, v48
	v_dual_mov_b32 v53, 0 :: v_dual_mov_b32 v54, 0
	v_mov_b32_e32 v55, 0
	s_mov_b32 s8, 0
	s_branch .LBB479_21
.LBB479_17:                             ;   in Loop: Header=BB479_21 Depth=2
	s_wait_xcnt 0x0
	s_or_b32 exec_lo, exec_lo, s58
	s_wait_loadcnt 0x3
	v_fma_mix_f32 v40, v68, v72, v54 op_sel_hi:[0,1,0]
	s_wait_loadcnt 0x2
	s_delay_alu instid0(VALU_DEP_1) | instskip(SKIP_1) | instid1(VALU_DEP_1)
	v_fma_mix_f32 v40, v69, v73, v40 op_sel_hi:[0,1,0]
	s_wait_loadcnt 0x1
	v_fma_mix_f32 v40, v70, v74, v40 op_sel_hi:[0,1,0]
	s_wait_loadcnt 0x0
	s_delay_alu instid0(VALU_DEP_1)
	v_fma_mix_f32 v54, v71, v75, v40 op_sel_hi:[0,1,0]
.LBB479_18:                             ;   in Loop: Header=BB479_21 Depth=2
	s_or_b32 exec_lo, exec_lo, s57
	s_wait_loadcnt 0x3
	v_fma_mix_f32 v40, v68, v64, v53 op_sel_hi:[0,1,0]
	s_wait_loadcnt 0x2
	s_delay_alu instid0(VALU_DEP_1) | instskip(SKIP_1) | instid1(VALU_DEP_1)
	v_fma_mix_f32 v40, v69, v65, v40 op_sel_hi:[0,1,0]
	s_wait_loadcnt 0x1
	v_fma_mix_f32 v40, v70, v66, v40 op_sel_hi:[0,1,0]
	s_wait_loadcnt 0x0
	s_delay_alu instid0(VALU_DEP_1)
	v_fma_mix_f32 v53, v71, v67, v40 op_sel_hi:[0,1,0]
.LBB479_19:                             ;   in Loop: Header=BB479_21 Depth=2
	s_or_b32 exec_lo, exec_lo, s56
	s_wait_loadcnt 0x3
	v_fma_mix_f32 v40, v56, v60, v52 op_sel_hi:[1,1,0]
	s_wait_loadcnt 0x2
	s_delay_alu instid0(VALU_DEP_1) | instskip(SKIP_1) | instid1(VALU_DEP_1)
	v_fma_mix_f32 v40, v57, v61, v40 op_sel_hi:[1,1,0]
	s_wait_loadcnt 0x1
	v_fma_mix_f32 v40, v58, v62, v40 op_sel_hi:[1,1,0]
	s_wait_loadcnt 0x0
	s_delay_alu instid0(VALU_DEP_1)
	v_fma_mix_f32 v52, v59, v63, v40 op_sel_hi:[1,1,0]
.LBB479_20:                             ;   in Loop: Header=BB479_21 Depth=2
	s_or_b32 exec_lo, exec_lo, s9
	v_add_nc_u32_e32 v0, 64, v0
	v_add_nc_u64_e32 v[24:25], s[24:25], v[24:25]
	v_add_nc_u64_e32 v[26:27], s[46:47], v[26:27]
	;; [unrolled: 1-line block ×7, first 2 shown]
	v_cmp_le_i32_e32 vcc_lo, s52, v0
	v_add_nc_u64_e32 v[38:39], s[46:47], v[38:39]
	s_or_b32 s8, vcc_lo, s8
	s_delay_alu instid0(SALU_CYCLE_1)
	s_and_not1_b32 exec_lo, exec_lo, s8
	s_cbranch_execz .LBB479_26
.LBB479_21:                             ;   Parent Loop BB479_5 Depth=1
                                        ; =>  This Inner Loop Header: Depth=2
	s_and_saveexec_b32 s9, s2
	s_cbranch_execz .LBB479_20
; %bb.22:                               ;   in Loop: Header=BB479_21 Depth=2
	v_add_nc_u64_e32 v[46:47], s[18:19], v[24:25]
	v_add_nc_u64_e32 v[58:59], s[18:19], v[36:37]
	;; [unrolled: 1-line block ×7, first 2 shown]
	global_load_u16 v56, v[46:47], off
	s_wait_xcnt 0x0
	v_add_nc_u64_e32 v[46:47], v[26:27], v[6:7]
	global_load_u16 v57, v[58:59], off
	global_load_u16 v58, v[60:61], off
	global_load_u16 v59, v[62:63], off
	global_load_u16 v60, v[40:41], off
	global_load_u16 v61, v[42:43], off
	global_load_u16 v62, v[44:45], off
	global_load_u16 v63, v[46:47], off
	s_wait_xcnt 0x0
	s_and_saveexec_b32 s56, s4
	s_cbranch_execz .LBB479_19
; %bb.23:                               ;   in Loop: Header=BB479_21 Depth=2
	global_load_u16 v64, v[40:41], off offset:128
	global_load_u16 v65, v[42:43], off offset:128
	global_load_u16 v66, v[44:45], off offset:128
	global_load_u16 v67, v[46:47], off offset:128
	s_wait_loadcnt 0xb
	v_cvt_f32_f16_e32 v68, v56
	s_wait_loadcnt 0xa
	v_cvt_f32_f16_e32 v69, v57
	;; [unrolled: 2-line block ×4, first 2 shown]
	s_wait_xcnt 0x0
	s_and_saveexec_b32 s57, s5
	s_cbranch_execz .LBB479_18
; %bb.24:                               ;   in Loop: Header=BB479_21 Depth=2
	global_load_u16 v72, v[40:41], off offset:256
	global_load_u16 v73, v[42:43], off offset:256
	;; [unrolled: 1-line block ×4, first 2 shown]
	s_wait_xcnt 0x0
	s_and_saveexec_b32 s58, s6
	s_cbranch_execz .LBB479_17
; %bb.25:                               ;   in Loop: Header=BB479_21 Depth=2
	global_load_u16 v40, v[40:41], off offset:384
	global_load_u16 v41, v[42:43], off offset:384
	;; [unrolled: 1-line block ×4, first 2 shown]
	s_wait_loadcnt 0x3
	v_fma_mix_f32 v40, v68, v40, v55 op_sel_hi:[0,1,0]
	s_wait_loadcnt 0x2
	s_delay_alu instid0(VALU_DEP_1) | instskip(SKIP_1) | instid1(VALU_DEP_1)
	v_fma_mix_f32 v40, v69, v41, v40 op_sel_hi:[0,1,0]
	s_wait_loadcnt 0x1
	v_fma_mix_f32 v40, v70, v42, v40 op_sel_hi:[0,1,0]
	s_wait_loadcnt 0x0
	s_delay_alu instid0(VALU_DEP_1)
	v_fma_mix_f32 v55, v71, v43, v40 op_sel_hi:[0,1,0]
	s_branch .LBB479_17
.LBB479_26:                             ;   in Loop: Header=BB479_5 Depth=1
	s_or_b32 exec_lo, exec_lo, s8
.LBB479_27:                             ;   in Loop: Header=BB479_5 Depth=1
	s_delay_alu instid0(SALU_CYCLE_1) | instskip(NEXT) | instid1(SALU_CYCLE_1)
	s_or_b32 exec_lo, exec_lo, s7
	s_and_not1_b32 vcc_lo, exec_lo, s53
	s_cbranch_vccnz .LBB479_45
; %bb.28:                               ;   in Loop: Header=BB479_5 Depth=1
	v_cmp_gt_i32_e32 vcc_lo, s29, v0
	v_dual_mov_b32 v32, 0 :: v_dual_bitop2_b32 v24, 1, v0 bitop3:0x54
	v_dual_mov_b32 v33, 0 :: v_dual_mov_b32 v34, 0
	v_mov_b32_e32 v35, 0
	s_and_saveexec_b32 s56, vcc_lo
	s_cbranch_execz .LBB479_36
; %bb.29:                               ;   in Loop: Header=BB479_5 Depth=1
	v_mul_u64_e32 v[26:27], s[36:37], v[0:1]
	s_mul_u64 s[8:9], s[38:39], s[10:11]
	v_dual_mov_b32 v34, 0 :: v_dual_mov_b32 v33, 0
	s_lshl_b64 s[8:9], s[8:9], 1
	v_mov_b32_e32 v32, 0
	s_add_nc_u64 s[8:9], s[26:27], s[8:9]
	s_mov_b32 s57, exec_lo
	s_delay_alu instid0(VALU_DEP_3)
	v_lshl_add_u64 v[26:27], v[26:27], 1, s[8:9]
	global_load_u16 v28, v[26:27], off
	s_wait_xcnt 0x0
	v_cmpx_gt_i32_e64 s29, v24
	s_cbranch_execz .LBB479_35
; %bb.30:                               ;   in Loop: Header=BB479_5 Depth=1
	v_dual_mov_b32 v25, v1 :: v_dual_mov_b32 v33, 0
	v_mov_b32_e32 v32, 0
	s_mov_b32 s58, exec_lo
	s_delay_alu instid0(VALU_DEP_2) | instskip(NEXT) | instid1(VALU_DEP_1)
	v_mul_u64_e32 v[26:27], s[36:37], v[24:25]
	v_lshl_add_u64 v[26:27], v[26:27], 1, s[8:9]
	global_load_u16 v25, v[26:27], off
	s_wait_xcnt 0x0
	v_or_b32_e32 v26, 2, v0
	s_delay_alu instid0(VALU_DEP_1)
	v_cmpx_gt_i32_e64 s29, v26
	s_cbranch_execz .LBB479_34
; %bb.31:                               ;   in Loop: Header=BB479_5 Depth=1
	v_dual_mov_b32 v27, v1 :: v_dual_mov_b32 v32, 0
	s_mov_b32 s59, exec_lo
	s_delay_alu instid0(VALU_DEP_1) | instskip(NEXT) | instid1(VALU_DEP_1)
	v_mul_u64_e32 v[26:27], s[36:37], v[26:27]
	v_lshl_add_u64 v[26:27], v[26:27], 1, s[8:9]
	global_load_u16 v29, v[26:27], off
	s_wait_xcnt 0x0
	v_or_b32_e32 v26, 3, v0
	s_delay_alu instid0(VALU_DEP_1)
	v_cmpx_gt_i32_e64 s29, v26
	s_cbranch_execz .LBB479_33
; %bb.32:                               ;   in Loop: Header=BB479_5 Depth=1
	v_mov_b32_e32 v27, v1
	s_delay_alu instid0(VALU_DEP_1) | instskip(NEXT) | instid1(VALU_DEP_1)
	v_mul_u64_e32 v[26:27], s[36:37], v[26:27]
	v_lshl_add_u64 v[26:27], v[26:27], 1, s[8:9]
	global_load_u16 v26, v[26:27], off
	s_wait_loadcnt 0x0
	v_cvt_f32_f16_e32 v32, v26
.LBB479_33:                             ;   in Loop: Header=BB479_5 Depth=1
	s_wait_xcnt 0x0
	s_or_b32 exec_lo, exec_lo, s59
	s_wait_loadcnt 0x0
	v_cvt_f32_f16_e32 v33, v29
.LBB479_34:                             ;   in Loop: Header=BB479_5 Depth=1
	s_or_b32 exec_lo, exec_lo, s58
	s_wait_loadcnt 0x0
	v_cvt_f32_f16_e32 v34, v25
.LBB479_35:                             ;   in Loop: Header=BB479_5 Depth=1
	s_or_b32 exec_lo, exec_lo, s57
	s_wait_loadcnt 0x0
	v_cvt_f32_f16_e32 v35, v28
.LBB479_36:                             ;   in Loop: Header=BB479_5 Depth=1
	s_or_b32 exec_lo, exec_lo, s56
	s_and_saveexec_b32 s56, s2
	s_cbranch_execz .LBB479_44
; %bb.37:                               ;   in Loop: Header=BB479_5 Depth=1
	v_dual_mov_b32 v25, v1 :: v_dual_bitop2_b32 v26, 2, v0 bitop3:0x54
	v_mov_b32_e32 v27, v1
	v_mul_u64_e32 v[28:29], s[20:21], v[0:1]
	v_or_b32_e32 v0, 3, v0
	s_delay_alu instid0(VALU_DEP_4)
	v_mul_u64_e32 v[30:31], s[20:21], v[24:25]
	s_mul_u64 s[8:9], s[22:23], s[10:11]
	v_mul_u64_e32 v[36:37], s[20:21], v[26:27]
	v_cmp_gt_i32_e64 s7, s29, v24
	v_mul_u64_e32 v[38:39], s[20:21], v[0:1]
	s_lshl_b64 s[58:59], s[8:9], 1
	v_cmp_gt_i32_e64 s8, s29, v26
	v_cmp_gt_i32_e64 s9, s29, v0
	v_dual_cndmask_b32 v25, 0, v29 :: v_dual_cndmask_b32 v24, 0, v28
	v_dual_cndmask_b32 v27, 0, v31, s7 :: v_dual_cndmask_b32 v26, 0, v30, s7
	s_delay_alu instid0(VALU_DEP_4) | instskip(NEXT) | instid1(VALU_DEP_4)
	v_dual_cndmask_b32 v29, 0, v37, s8 :: v_dual_cndmask_b32 v28, 0, v36, s8
	v_dual_cndmask_b32 v31, 0, v39, s9 :: v_dual_cndmask_b32 v30, 0, v38, s9
	s_add_nc_u64 s[8:9], s[16:17], s[58:59]
	s_delay_alu instid0(SALU_CYCLE_1) | instskip(SKIP_3) | instid1(VALU_DEP_4)
	v_lshl_add_u64 v[24:25], v[24:25], 1, s[8:9]
	v_lshl_add_u64 v[26:27], v[26:27], 1, s[8:9]
	;; [unrolled: 1-line block ×4, first 2 shown]
	v_add_nc_u64_e32 v[30:31], v[24:25], v[6:7]
	s_delay_alu instid0(VALU_DEP_4) | instskip(NEXT) | instid1(VALU_DEP_4)
	v_add_nc_u64_e32 v[28:29], v[26:27], v[6:7]
	v_add_nc_u64_e32 v[26:27], v[36:37], v[6:7]
	s_delay_alu instid0(VALU_DEP_4)
	v_add_nc_u64_e32 v[24:25], v[38:39], v[6:7]
	s_clause 0x3
	global_load_u16 v0, v[30:31], off
	global_load_u16 v36, v[28:29], off
	;; [unrolled: 1-line block ×4, first 2 shown]
	s_wait_xcnt 0x0
	s_and_saveexec_b32 s7, s4
	s_cbranch_execz .LBB479_43
; %bb.38:                               ;   in Loop: Header=BB479_5 Depth=1
	s_clause 0x3
	global_load_u16 v39, v[30:31], off offset:128
	global_load_u16 v40, v[28:29], off offset:128
	global_load_u16 v41, v[26:27], off offset:128
	global_load_u16 v42, v[24:25], off offset:128
	s_wait_xcnt 0x0
	s_and_saveexec_b32 s8, s5
	s_cbranch_execz .LBB479_42
; %bb.39:                               ;   in Loop: Header=BB479_5 Depth=1
	s_clause 0x3
	global_load_u16 v43, v[30:31], off offset:256
	global_load_u16 v44, v[28:29], off offset:256
	global_load_u16 v45, v[26:27], off offset:256
	global_load_u16 v46, v[24:25], off offset:256
	;; [unrolled: 9-line block ×3, first 2 shown]
	s_wait_loadcnt 0x3
	s_wait_xcnt 0x0
	v_fma_mix_f32 v25, v35, v30, v55 op_sel_hi:[0,1,0]
	s_wait_loadcnt 0x2
	s_delay_alu instid0(VALU_DEP_1) | instskip(SKIP_1) | instid1(VALU_DEP_1)
	v_fma_mix_f32 v25, v34, v28, v25 op_sel_hi:[0,1,0]
	s_wait_loadcnt 0x1
	v_fma_mix_f32 v25, v33, v26, v25 op_sel_hi:[0,1,0]
	s_wait_loadcnt 0x0
	s_delay_alu instid0(VALU_DEP_1)
	v_fma_mix_f32 v55, v32, v24, v25 op_sel_hi:[0,1,0]
.LBB479_41:                             ;   in Loop: Header=BB479_5 Depth=1
	s_or_b32 exec_lo, exec_lo, s9
	s_wait_loadcnt 0x3
	v_fma_mix_f32 v24, v35, v43, v54 op_sel_hi:[0,1,0]
	s_wait_loadcnt 0x2
	s_delay_alu instid0(VALU_DEP_1) | instskip(SKIP_1) | instid1(VALU_DEP_1)
	v_fma_mix_f32 v24, v34, v44, v24 op_sel_hi:[0,1,0]
	s_wait_loadcnt 0x1
	v_fma_mix_f32 v24, v33, v45, v24 op_sel_hi:[0,1,0]
	s_wait_loadcnt 0x0
	s_delay_alu instid0(VALU_DEP_1)
	v_fma_mix_f32 v54, v32, v46, v24 op_sel_hi:[0,1,0]
.LBB479_42:                             ;   in Loop: Header=BB479_5 Depth=1
	s_or_b32 exec_lo, exec_lo, s8
	s_wait_loadcnt 0x3
	v_fma_mix_f32 v24, v35, v39, v53 op_sel_hi:[0,1,0]
	s_wait_loadcnt 0x2
	s_delay_alu instid0(VALU_DEP_1) | instskip(SKIP_1) | instid1(VALU_DEP_1)
	v_fma_mix_f32 v24, v34, v40, v24 op_sel_hi:[0,1,0]
	s_wait_loadcnt 0x1
	v_fma_mix_f32 v24, v33, v41, v24 op_sel_hi:[0,1,0]
	s_wait_loadcnt 0x0
	s_delay_alu instid0(VALU_DEP_1)
	v_fma_mix_f32 v53, v32, v42, v24 op_sel_hi:[0,1,0]
.LBB479_43:                             ;   in Loop: Header=BB479_5 Depth=1
	s_or_b32 exec_lo, exec_lo, s7
	s_wait_loadcnt 0x3
	v_fma_mix_f32 v0, v35, v0, v52 op_sel_hi:[0,1,0]
	s_wait_loadcnt 0x2
	s_delay_alu instid0(VALU_DEP_1) | instskip(SKIP_1) | instid1(VALU_DEP_1)
	v_fma_mix_f32 v0, v34, v36, v0 op_sel_hi:[0,1,0]
	s_wait_loadcnt 0x1
	v_fma_mix_f32 v0, v33, v37, v0 op_sel_hi:[0,1,0]
	s_wait_loadcnt 0x0
	s_delay_alu instid0(VALU_DEP_1)
	v_fma_mix_f32 v52, v32, v38, v0 op_sel_hi:[0,1,0]
.LBB479_44:                             ;   in Loop: Header=BB479_5 Depth=1
	s_or_b32 exec_lo, exec_lo, s56
.LBB479_45:                             ;   in Loop: Header=BB479_5 Depth=1
	ds_store_2addr_stride64_b32 v49, v52, v53 offset1:1
	ds_store_2addr_stride64_b32 v49, v54, v55 offset0:2 offset1:3
	s_wait_dscnt 0x0
	s_barrier_signal -1
	s_barrier_wait -1
                                        ; implicit-def: $vgpr0
	s_and_saveexec_b32 s7, s0
	s_cbranch_execz .LBB479_51
; %bb.46:                               ;   in Loop: Header=BB479_5 Depth=1
	ds_load_2addr_stride64_b32 v[24:25], v50 offset1:4
	ds_load_2addr_stride64_b32 v[26:27], v50 offset0:8 offset1:12
	ds_load_2addr_stride64_b32 v[28:29], v50 offset0:16 offset1:20
	s_mov_b32 s9, s54
	s_wait_dscnt 0x2
	v_add_f32_e32 v0, v24, v25
	ds_load_2addr_stride64_b32 v[24:25], v50 offset0:24 offset1:28
	s_wait_dscnt 0x2
	v_add_f32_e32 v0, v26, v0
	s_delay_alu instid0(VALU_DEP_1) | instskip(SKIP_3) | instid1(VALU_DEP_1)
	v_add_f32_e32 v0, v27, v0
	ds_load_2addr_stride64_b32 v[26:27], v50 offset0:32 offset1:36
	s_wait_dscnt 0x2
	v_add_f32_e32 v0, v28, v0
	v_add_f32_e32 v0, v29, v0
	ds_load_2addr_stride64_b32 v[28:29], v50 offset0:40 offset1:44
	s_wait_dscnt 0x2
	v_add_f32_e32 v0, v24, v0
	s_delay_alu instid0(VALU_DEP_1) | instskip(SKIP_3) | instid1(VALU_DEP_1)
	v_add_f32_e32 v0, v25, v0
	ds_load_2addr_stride64_b32 v[24:25], v50 offset0:48 offset1:52
	s_wait_dscnt 0x2
	v_add_f32_e32 v0, v26, v0
	v_add_f32_e32 v0, v27, v0
	ds_load_2addr_stride64_b32 v[26:27], v50 offset0:56 offset1:60
	s_wait_dscnt 0x2
	v_add_f32_e32 v0, v28, v0
	s_delay_alu instid0(VALU_DEP_1) | instskip(SKIP_1) | instid1(VALU_DEP_1)
	v_add_f32_e32 v0, v29, v0
	s_wait_dscnt 0x1
	v_add_f32_e32 v0, v24, v0
	s_delay_alu instid0(VALU_DEP_1) | instskip(SKIP_1) | instid1(VALU_DEP_1)
	v_add_f32_e32 v0, v25, v0
	s_wait_dscnt 0x0
	v_add_f32_e32 v0, v26, v0
	s_delay_alu instid0(VALU_DEP_1)
	v_add_f32_e32 v24, v27, v0
                                        ; implicit-def: $vgpr0
	ds_store_b32 v50, v24
	s_and_saveexec_b32 s8, s3
	s_cbranch_execz .LBB479_50
; %bb.47:                               ;   in Loop: Header=BB479_5 Depth=1
	v_mul_f32_e32 v0, v51, v24
	s_cmp_eq_f32 s55, 0
	s_cbranch_scc1 .LBB479_49
; %bb.48:                               ;   in Loop: Header=BB479_5 Depth=1
	v_lshl_add_u64 v[24:25], v[4:5], 2, s[48:49]
	global_load_b32 v24, v[24:25], off
	s_wait_loadcnt 0x0
	v_fmac_f32_e32 v0, s55, v24
.LBB479_49:                             ;   in Loop: Header=BB479_5 Depth=1
	s_or_b32 s9, s54, exec_lo
.LBB479_50:                             ;   in Loop: Header=BB479_5 Depth=1
	s_wait_xcnt 0x0
	s_or_b32 exec_lo, exec_lo, s8
	s_delay_alu instid0(SALU_CYCLE_1) | instskip(SKIP_1) | instid1(SALU_CYCLE_1)
	s_and_not1_b32 s8, s54, exec_lo
	s_and_b32 s9, s9, exec_lo
	s_or_b32 s54, s8, s9
.LBB479_51:                             ;   in Loop: Header=BB479_5 Depth=1
	s_or_b32 exec_lo, exec_lo, s7
	v_mov_b64_e32 v[24:25], v[4:5]
	s_and_saveexec_b32 s7, s54
	s_cbranch_execz .LBB479_3
.LBB479_52:                             ;   in Loop: Header=BB479_5 Depth=1
	s_delay_alu instid0(VALU_DEP_1)
	v_lshl_add_u64 v[24:25], v[24:25], 2, s[48:49]
	global_store_b32 v[24:25], v0, off
	s_branch .LBB479_3
.LBB479_53:
	s_sendmsg sendmsg(MSG_DEALLOC_VGPRS)
	s_endpgm
	.section	.rodata,"a",@progbits
	.p2align	6, 0x0
	.amdhsa_kernel _ZL20rocblas_gemvn_kernelILi64ELi16ElDF16_PKffEviiT3_lPKT2_lT1_lS5_lS6_lS2_lPT4_lS6_li
		.amdhsa_group_segment_fixed_size 16384
		.amdhsa_private_segment_fixed_size 0
		.amdhsa_kernarg_size 400
		.amdhsa_user_sgpr_count 2
		.amdhsa_user_sgpr_dispatch_ptr 0
		.amdhsa_user_sgpr_queue_ptr 0
		.amdhsa_user_sgpr_kernarg_segment_ptr 1
		.amdhsa_user_sgpr_dispatch_id 0
		.amdhsa_user_sgpr_kernarg_preload_length 0
		.amdhsa_user_sgpr_kernarg_preload_offset 0
		.amdhsa_user_sgpr_private_segment_size 0
		.amdhsa_wavefront_size32 1
		.amdhsa_uses_dynamic_stack 0
		.amdhsa_enable_private_segment 0
		.amdhsa_system_sgpr_workgroup_id_x 1
		.amdhsa_system_sgpr_workgroup_id_y 0
		.amdhsa_system_sgpr_workgroup_id_z 1
		.amdhsa_system_sgpr_workgroup_info 0
		.amdhsa_system_vgpr_workitem_id 1
		.amdhsa_next_free_vgpr 76
		.amdhsa_next_free_sgpr 60
		.amdhsa_named_barrier_count 0
		.amdhsa_reserve_vcc 1
		.amdhsa_float_round_mode_32 0
		.amdhsa_float_round_mode_16_64 0
		.amdhsa_float_denorm_mode_32 3
		.amdhsa_float_denorm_mode_16_64 3
		.amdhsa_fp16_overflow 0
		.amdhsa_memory_ordered 1
		.amdhsa_forward_progress 1
		.amdhsa_inst_pref_size 24
		.amdhsa_round_robin_scheduling 0
		.amdhsa_exception_fp_ieee_invalid_op 0
		.amdhsa_exception_fp_denorm_src 0
		.amdhsa_exception_fp_ieee_div_zero 0
		.amdhsa_exception_fp_ieee_overflow 0
		.amdhsa_exception_fp_ieee_underflow 0
		.amdhsa_exception_fp_ieee_inexact 0
		.amdhsa_exception_int_div_zero 0
	.end_amdhsa_kernel
	.section	.text._ZL20rocblas_gemvn_kernelILi64ELi16ElDF16_PKffEviiT3_lPKT2_lT1_lS5_lS6_lS2_lPT4_lS6_li,"axG",@progbits,_ZL20rocblas_gemvn_kernelILi64ELi16ElDF16_PKffEviiT3_lPKT2_lT1_lS5_lS6_lS2_lPT4_lS6_li,comdat
.Lfunc_end479:
	.size	_ZL20rocblas_gemvn_kernelILi64ELi16ElDF16_PKffEviiT3_lPKT2_lT1_lS5_lS6_lS2_lPT4_lS6_li, .Lfunc_end479-_ZL20rocblas_gemvn_kernelILi64ELi16ElDF16_PKffEviiT3_lPKT2_lT1_lS5_lS6_lS2_lPT4_lS6_li
                                        ; -- End function
	.set _ZL20rocblas_gemvn_kernelILi64ELi16ElDF16_PKffEviiT3_lPKT2_lT1_lS5_lS6_lS2_lPT4_lS6_li.num_vgpr, 76
	.set _ZL20rocblas_gemvn_kernelILi64ELi16ElDF16_PKffEviiT3_lPKT2_lT1_lS5_lS6_lS2_lPT4_lS6_li.num_agpr, 0
	.set _ZL20rocblas_gemvn_kernelILi64ELi16ElDF16_PKffEviiT3_lPKT2_lT1_lS5_lS6_lS2_lPT4_lS6_li.numbered_sgpr, 60
	.set _ZL20rocblas_gemvn_kernelILi64ELi16ElDF16_PKffEviiT3_lPKT2_lT1_lS5_lS6_lS2_lPT4_lS6_li.num_named_barrier, 0
	.set _ZL20rocblas_gemvn_kernelILi64ELi16ElDF16_PKffEviiT3_lPKT2_lT1_lS5_lS6_lS2_lPT4_lS6_li.private_seg_size, 0
	.set _ZL20rocblas_gemvn_kernelILi64ELi16ElDF16_PKffEviiT3_lPKT2_lT1_lS5_lS6_lS2_lPT4_lS6_li.uses_vcc, 1
	.set _ZL20rocblas_gemvn_kernelILi64ELi16ElDF16_PKffEviiT3_lPKT2_lT1_lS5_lS6_lS2_lPT4_lS6_li.uses_flat_scratch, 0
	.set _ZL20rocblas_gemvn_kernelILi64ELi16ElDF16_PKffEviiT3_lPKT2_lT1_lS5_lS6_lS2_lPT4_lS6_li.has_dyn_sized_stack, 0
	.set _ZL20rocblas_gemvn_kernelILi64ELi16ElDF16_PKffEviiT3_lPKT2_lT1_lS5_lS6_lS2_lPT4_lS6_li.has_recursion, 0
	.set _ZL20rocblas_gemvn_kernelILi64ELi16ElDF16_PKffEviiT3_lPKT2_lT1_lS5_lS6_lS2_lPT4_lS6_li.has_indirect_call, 0
	.section	.AMDGPU.csdata,"",@progbits
; Kernel info:
; codeLenInByte = 3028
; TotalNumSgprs: 62
; NumVgprs: 76
; ScratchSize: 0
; MemoryBound: 0
; FloatMode: 240
; IeeeMode: 1
; LDSByteSize: 16384 bytes/workgroup (compile time only)
; SGPRBlocks: 0
; VGPRBlocks: 4
; NumSGPRsForWavesPerEU: 62
; NumVGPRsForWavesPerEU: 76
; NamedBarCnt: 0
; Occupancy: 12
; WaveLimiterHint : 1
; COMPUTE_PGM_RSRC2:SCRATCH_EN: 0
; COMPUTE_PGM_RSRC2:USER_SGPR: 2
; COMPUTE_PGM_RSRC2:TRAP_HANDLER: 0
; COMPUTE_PGM_RSRC2:TGID_X_EN: 1
; COMPUTE_PGM_RSRC2:TGID_Y_EN: 0
; COMPUTE_PGM_RSRC2:TGID_Z_EN: 1
; COMPUTE_PGM_RSRC2:TIDIG_COMP_CNT: 1
	.section	.text._ZL20rocblas_gemvn_kernelILi64ELi16EiDF16_ffEviiT3_lPKT2_lT1_lS3_lS4_lS0_lPT4_lS4_li,"axG",@progbits,_ZL20rocblas_gemvn_kernelILi64ELi16EiDF16_ffEviiT3_lPKT2_lT1_lS3_lS4_lS0_lPT4_lS4_li,comdat
	.globl	_ZL20rocblas_gemvn_kernelILi64ELi16EiDF16_ffEviiT3_lPKT2_lT1_lS3_lS4_lS0_lPT4_lS4_li ; -- Begin function _ZL20rocblas_gemvn_kernelILi64ELi16EiDF16_ffEviiT3_lPKT2_lT1_lS3_lS4_lS0_lPT4_lS4_li
	.p2align	8
	.type	_ZL20rocblas_gemvn_kernelILi64ELi16EiDF16_ffEviiT3_lPKT2_lT1_lS3_lS4_lS0_lPT4_lS4_li,@function
_ZL20rocblas_gemvn_kernelILi64ELi16EiDF16_ffEviiT3_lPKT2_lT1_lS3_lS4_lS0_lPT4_lS4_li: ; @_ZL20rocblas_gemvn_kernelILi64ELi16EiDF16_ffEviiT3_lPKT2_lT1_lS3_lS4_lS0_lPT4_lS4_li
; %bb.0:
	s_load_b64 s[2:3], s[0:1], 0x9c
	s_wait_kmcnt 0x0
	s_lshr_b32 s4, s2, 16
	s_and_b32 s2, s2, 0xffff
	s_and_b32 s3, s3, 0xffff
	s_mul_i32 s2, s4, s2
	s_delay_alu instid0(SALU_CYCLE_1) | instskip(NEXT) | instid1(SALU_CYCLE_1)
	s_mul_i32 s2, s2, s3
	s_cmp_lg_u32 s2, 0x400
	s_cbranch_scc1 .LBB480_53
; %bb.1:
	s_load_b32 s19, s[0:1], 0x88
	s_bfe_u32 s2, ttmp6, 0x40014
	s_lshr_b32 s3, ttmp7, 16
	s_add_co_i32 s2, s2, 1
	s_bfe_u32 s5, ttmp6, 0x40008
	s_mul_i32 s4, s3, s2
	s_getreg_b32 s2, hwreg(HW_REG_IB_STS2, 6, 4)
	s_add_co_i32 s5, s5, s4
	s_cmp_eq_u32 s2, 0
	s_mov_b32 s29, 0
	s_cselect_b32 s28, s3, s5
	s_wait_kmcnt 0x0
	s_cmp_ge_u32 s28, s19
	s_cbranch_scc1 .LBB480_53
; %bb.2:
	s_clause 0x7
	s_load_b128 s[4:7], s[0:1], 0x18
	s_load_b96 s[16:18], s[0:1], 0x40
	s_load_b128 s[12:15], s[0:1], 0x68
	s_load_b32 s30, s[0:1], 0x78
	s_load_b96 s[20:22], s[0:1], 0x0
	s_load_b96 s[24:26], s[0:1], 0x50
	s_load_b32 s23, s[0:1], 0x28
	s_load_b128 s[8:11], s[0:1], 0x30
	v_and_b32_e32 v4, 0x3ff, v0
	v_bfe_u32 v3, v0, 10, 10
	s_delay_alu instid0(VALU_DEP_1) | instskip(NEXT) | instid1(VALU_DEP_3)
	v_dual_mov_b32 v1, 0 :: v_dual_lshlrev_b32 v14, 2, v3
	v_lshl_add_u32 v5, v3, 6, v4
	s_delay_alu instid0(VALU_DEP_2)
	v_or_b32_e32 v10, 3, v14
	s_wait_kmcnt 0x0
	s_lshl_b64 s[6:7], s[6:7], 1
	s_lshl_b64 s[34:35], s[16:17], 1
	;; [unrolled: 1-line block ×3, first 2 shown]
	s_ashr_i32 s31, s30, 31
	s_cmp_eq_f32 s22, 0
	s_load_b64 s[14:15], s[0:1], 0x80
	s_add_nc_u64 s[16:17], s[4:5], s[6:7]
	s_wait_xcnt 0x0
	s_mov_b32 s0, s20
	s_cselect_b32 s27, -1, 0
	s_cmp_neq_f32 s22, 0
	v_mad_u32 v20, s23, v10, v4
	v_mad_u32 v22, s18, v14, s18
	v_mul_lo_u32 v24, s18, v10
	s_cselect_b32 s1, -1, 0
	s_cmp_neq_f32 s26, 1.0
	s_add_nc_u64 s[10:11], s[10:11], s[34:35]
	s_add_nc_u64 s[12:13], s[12:13], s[36:37]
	s_cselect_b32 s3, -1, 0
	s_bfe_u32 s4, ttmp6, 0x4000c
	s_and_b32 s5, ttmp6, 15
	s_add_co_i32 s4, s4, 1
	s_or_b32 s33, s1, s3
	s_mul_i32 s4, ttmp9, s4
	s_delay_alu instid0(SALU_CYCLE_1) | instskip(SKIP_4) | instid1(SALU_CYCLE_1)
	s_add_co_i32 s5, s5, s4
	s_cmp_eq_u32 s2, 0
	s_cselect_b32 s2, ttmp9, s5
	s_ashr_i32 s1, s20, 31
	s_lshl_b32 s38, s2, 8
	v_dual_lshlrev_b32 v6, 2, v4 :: v_dual_add_nc_u32 v0, s38, v5
	s_cmp_neq_f32 s26, 0
	v_dual_add_nc_u32 v15, s38, v4 :: v_dual_bitop2_b32 v7, s38, v5 bitop3:0x54
	s_delay_alu instid0(VALU_DEP_2) | instskip(NEXT) | instid1(VALU_DEP_3)
	v_lshl_add_u32 v16, v3, 10, v6
	v_cmp_gt_i64_e32 vcc_lo, s[0:1], v[0:1]
	v_mul_u64_e32 v[0:1], s[30:31], v[0:1]
	s_cselect_b32 s39, -1, 0
	s_ashr_i32 s2, s21, 31
	v_add_nc_u32_e32 v2, 64, v15
	s_lshr_b32 s1, s2, 26
	v_add_nc_u32_e32 v8, 0x80, v15
	s_add_co_i32 s40, s21, s1
	v_add_nc_u32_e32 v9, 0xc0, v15
	s_and_not1_b32 s40, s40, 63
	v_lshl_add_u32 v17, v3, 8, v6
	s_sub_co_i32 s5, s21, s40
	v_cmp_gt_i32_e64 s2, s20, v8
	v_cmp_gt_i32_e64 s4, s20, v9
	v_mul_lo_u32 v8, s23, v14
	s_cmp_gt_i32 s5, 0
	v_mul_lo_u32 v9, v3, s23
	v_cmp_gt_u32_e64 s5, 0x100, v5
	v_or_b32_e32 v5, 2, v14
	v_cmp_gt_i32_e64 s1, s20, v2
	v_mul_lo_u32 v2, s30, v7
	v_mul_lo_u32 v6, v3, s18
	v_cmp_gt_i32_e64 s0, s20, v15
	v_mad_u32 v19, s23, v5, v4
	v_mul_lo_u32 v23, s18, v5
	v_cmp_gt_i32_e64 s3, s40, v14
	v_cmp_gt_i32_e64 s6, s20, v7
	v_add3_u32 v18, v8, s23, v4
	v_lshl_add_u32 v21, v9, 2, v4
	s_cselect_b32 s20, -1, 0
	s_and_b32 s41, s5, vcc_lo
	v_ashrrev_i32_e32 v3, 31, v2
	v_lshlrev_b32_e32 v25, 2, v6
	s_lshl_b32 s42, s23, 6
	s_lshl_b32 s43, s18, 6
	s_branch .LBB480_5
.LBB480_3:                              ;   in Loop: Header=BB480_5 Depth=1
	s_wait_xcnt 0x0
	s_or_b32 exec_lo, exec_lo, s7
.LBB480_4:                              ;   in Loop: Header=BB480_5 Depth=1
	s_add_co_i32 s28, s28, 0x10000
	s_delay_alu instid0(SALU_CYCLE_1)
	s_cmp_lt_u32 s28, s19
	s_cbranch_scc0 .LBB480_53
.LBB480_5:                              ; =>This Loop Header: Depth=1
                                        ;     Child Loop BB480_21 Depth 2
	s_and_not1_b32 vcc_lo, exec_lo, s33
	s_cbranch_vccnz .LBB480_4
; %bb.6:                                ;   in Loop: Header=BB480_5 Depth=1
	s_wait_kmcnt 0x0
	s_mul_u64 s[30:31], s[14:15], s[28:29]
	s_and_not1_b32 vcc_lo, exec_lo, s27
	s_lshl_b64 s[30:31], s[30:31], 2
	s_delay_alu instid0(SALU_CYCLE_1)
	s_add_nc_u64 s[30:31], s[12:13], s[30:31]
	s_cbranch_vccnz .LBB480_10
; %bb.7:                                ;   in Loop: Header=BB480_5 Depth=1
	s_mov_b32 s7, 0
	s_mov_b32 s44, 0
                                        ; implicit-def: $vgpr6
	s_and_saveexec_b32 s34, s41
	s_cbranch_execz .LBB480_11
; %bb.8:                                ;   in Loop: Header=BB480_5 Depth=1
	s_and_not1_b32 vcc_lo, exec_lo, s39
	s_cbranch_vccnz .LBB480_13
; %bb.9:                                ;   in Loop: Header=BB480_5 Depth=1
	v_lshl_add_u64 v[4:5], v[0:1], 2, s[30:31]
	global_load_b32 v4, v[4:5], off
	s_wait_loadcnt 0x0
	v_mul_f32_e32 v6, s26, v4
	s_branch .LBB480_14
.LBB480_10:                             ;   in Loop: Header=BB480_5 Depth=1
	s_mov_b32 s44, 0
                                        ; implicit-def: $vgpr6
	s_cbranch_execz .LBB480_12
	s_branch .LBB480_15
.LBB480_11:                             ;   in Loop: Header=BB480_5 Depth=1
	s_or_b32 exec_lo, exec_lo, s34
	s_delay_alu instid0(SALU_CYCLE_1)
	s_and_b32 vcc_lo, exec_lo, s7
	s_cbranch_vccnz .LBB480_15
.LBB480_12:                             ;   in Loop: Header=BB480_5 Depth=1
	v_mov_b64_e32 v[4:5], v[0:1]
	s_and_saveexec_b32 s7, s44
	s_cbranch_execz .LBB480_3
	s_branch .LBB480_52
.LBB480_13:                             ;   in Loop: Header=BB480_5 Depth=1
	v_mov_b32_e32 v6, 0
.LBB480_14:                             ;   in Loop: Header=BB480_5 Depth=1
	s_mov_b32 s44, exec_lo
	s_wait_xcnt 0x0
	s_or_b32 exec_lo, exec_lo, s34
	s_delay_alu instid0(SALU_CYCLE_1)
	s_and_b32 vcc_lo, exec_lo, s7
	s_cbranch_vccz .LBB480_12
.LBB480_15:                             ;   in Loop: Header=BB480_5 Depth=1
	s_mul_u64 s[34:35], s[8:9], s[28:29]
	s_mul_u64 s[36:37], s[24:25], s[28:29]
	v_dual_mov_b32 v26, 0 :: v_dual_mov_b32 v12, v14
	v_dual_mov_b32 v27, 0 :: v_dual_mov_b32 v28, 0
	v_mov_b32_e32 v29, 0
	s_lshl_b64 s[34:35], s[34:35], 1
	s_lshl_b64 s[36:37], s[36:37], 1
	s_add_nc_u64 s[34:35], s[16:17], s[34:35]
	s_add_nc_u64 s[36:37], s[10:11], s[36:37]
	s_and_saveexec_b32 s7, s3
	s_cbranch_execz .LBB480_27
; %bb.16:                               ;   in Loop: Header=BB480_5 Depth=1
	v_dual_mov_b32 v26, 0 :: v_dual_mov_b32 v13, v21
	v_dual_mov_b32 v30, v20 :: v_dual_mov_b32 v31, v19
	;; [unrolled: 1-line block ×4, first 2 shown]
	v_mov_b32_e32 v29, 0
	s_mov_b32 s45, 0
	s_mov_b32 s46, 0
	s_branch .LBB480_21
.LBB480_17:                             ;   in Loop: Header=BB480_21 Depth=2
	s_wait_xcnt 0x0
	s_or_b32 exec_lo, exec_lo, s50
	s_wait_loadcnt 0x3
	v_fma_mix_f32 v4, v45, v49, v28 op_sel_hi:[0,1,0]
	s_wait_loadcnt 0x2
	s_delay_alu instid0(VALU_DEP_1) | instskip(SKIP_1) | instid1(VALU_DEP_1)
	v_fma_mix_f32 v4, v46, v50, v4 op_sel_hi:[0,1,0]
	s_wait_loadcnt 0x1
	v_fma_mix_f32 v4, v47, v51, v4 op_sel_hi:[0,1,0]
	s_wait_loadcnt 0x0
	s_delay_alu instid0(VALU_DEP_1)
	v_fma_mix_f32 v28, v48, v52, v4 op_sel_hi:[0,1,0]
.LBB480_18:                             ;   in Loop: Header=BB480_21 Depth=2
	s_or_b32 exec_lo, exec_lo, s49
	s_wait_loadcnt 0x3
	v_fma_mix_f32 v4, v45, v41, v27 op_sel_hi:[0,1,0]
	s_wait_loadcnt 0x2
	s_delay_alu instid0(VALU_DEP_1) | instskip(SKIP_1) | instid1(VALU_DEP_1)
	v_fma_mix_f32 v4, v46, v42, v4 op_sel_hi:[0,1,0]
	s_wait_loadcnt 0x1
	v_fma_mix_f32 v4, v47, v43, v4 op_sel_hi:[0,1,0]
	s_wait_loadcnt 0x0
	s_delay_alu instid0(VALU_DEP_1)
	v_fma_mix_f32 v27, v48, v44, v4 op_sel_hi:[0,1,0]
.LBB480_19:                             ;   in Loop: Header=BB480_21 Depth=2
	s_or_b32 exec_lo, exec_lo, s48
	s_wait_loadcnt 0x3
	v_fma_mix_f32 v4, v33, v37, v26 op_sel_hi:[1,1,0]
	s_wait_loadcnt 0x2
	s_delay_alu instid0(VALU_DEP_1) | instskip(SKIP_1) | instid1(VALU_DEP_1)
	v_fma_mix_f32 v4, v34, v38, v4 op_sel_hi:[1,1,0]
	s_wait_loadcnt 0x1
	v_fma_mix_f32 v4, v35, v39, v4 op_sel_hi:[1,1,0]
	s_wait_loadcnt 0x0
	s_delay_alu instid0(VALU_DEP_1)
	v_fma_mix_f32 v26, v36, v40, v4 op_sel_hi:[1,1,0]
.LBB480_20:                             ;   in Loop: Header=BB480_21 Depth=2
	s_or_b32 exec_lo, exec_lo, s47
	v_dual_add_nc_u32 v12, 64, v12 :: v_dual_add_nc_u32 v31, s42, v31
	v_dual_add_nc_u32 v32, s42, v32 :: v_dual_add_nc_u32 v30, s42, v30
	v_add_nc_u32_e32 v13, s42, v13
	s_delay_alu instid0(VALU_DEP_3) | instskip(SKIP_2) | instid1(SALU_CYCLE_1)
	v_cmp_le_i32_e32 vcc_lo, s40, v12
	s_add_co_i32 s46, s46, s43
	s_or_b32 s45, vcc_lo, s45
	s_and_not1_b32 exec_lo, exec_lo, s45
	s_cbranch_execz .LBB480_26
.LBB480_21:                             ;   Parent Loop BB480_5 Depth=1
                                        ; =>  This Inner Loop Header: Depth=2
	s_and_saveexec_b32 s47, s0
	s_cbranch_execz .LBB480_20
; %bb.22:                               ;   in Loop: Header=BB480_21 Depth=2
	v_dual_add_nc_u32 v5, s46, v25 :: v_dual_add_nc_u32 v7, s46, v22
	v_dual_add_nc_u32 v9, s46, v23 :: v_dual_add_nc_u32 v11, s46, v24
	;; [unrolled: 1-line block ×4, first 2 shown]
	s_clause 0x3
	global_load_u16 v33, v5, s[36:37] scale_offset
	global_load_u16 v34, v7, s[36:37] scale_offset
	;; [unrolled: 1-line block ×4, first 2 shown]
	s_clause 0x3
	global_load_u16 v37, v4, s[34:35] scale_offset
	global_load_u16 v38, v6, s[34:35] scale_offset
	;; [unrolled: 1-line block ×4, first 2 shown]
	s_wait_xcnt 0x0
	s_and_saveexec_b32 s48, s1
	s_cbranch_execz .LBB480_19
; %bb.23:                               ;   in Loop: Header=BB480_21 Depth=2
	v_dual_ashrrev_i32 v5, 31, v4 :: v_dual_ashrrev_i32 v7, 31, v6
	v_dual_ashrrev_i32 v11, 31, v10 :: v_dual_ashrrev_i32 v9, 31, v8
	s_wait_loadcnt 0x7
	v_cvt_f32_f16_e32 v45, v33
	s_delay_alu instid0(VALU_DEP_3)
	v_lshl_add_u64 v[4:5], v[4:5], 1, s[34:35]
	v_lshl_add_u64 v[6:7], v[6:7], 1, s[34:35]
	;; [unrolled: 1-line block ×4, first 2 shown]
	s_wait_loadcnt 0x6
	v_cvt_f32_f16_e32 v46, v34
	s_clause 0x3
	global_load_u16 v41, v[4:5], off offset:128
	global_load_u16 v42, v[6:7], off offset:128
	;; [unrolled: 1-line block ×4, first 2 shown]
	s_wait_loadcnt 0x9
	v_cvt_f32_f16_e32 v47, v35
	s_wait_loadcnt 0x8
	v_cvt_f32_f16_e32 v48, v36
	s_wait_xcnt 0x0
	s_and_saveexec_b32 s49, s2
	s_cbranch_execz .LBB480_18
; %bb.24:                               ;   in Loop: Header=BB480_21 Depth=2
	s_clause 0x3
	global_load_u16 v49, v[4:5], off offset:256
	global_load_u16 v50, v[6:7], off offset:256
	;; [unrolled: 1-line block ×4, first 2 shown]
	s_wait_xcnt 0x0
	s_and_saveexec_b32 s50, s4
	s_cbranch_execz .LBB480_17
; %bb.25:                               ;   in Loop: Header=BB480_21 Depth=2
	s_clause 0x3
	global_load_u16 v53, v[4:5], off offset:384
	global_load_u16 v54, v[6:7], off offset:384
	;; [unrolled: 1-line block ×4, first 2 shown]
	s_wait_loadcnt 0x3
	s_wait_xcnt 0x3
	v_fma_mix_f32 v4, v45, v53, v29 op_sel_hi:[0,1,0]
	s_wait_loadcnt 0x2
	s_delay_alu instid0(VALU_DEP_1) | instskip(SKIP_1) | instid1(VALU_DEP_1)
	v_fma_mix_f32 v4, v46, v54, v4 op_sel_hi:[0,1,0]
	s_wait_loadcnt 0x1
	v_fma_mix_f32 v4, v47, v55, v4 op_sel_hi:[0,1,0]
	s_wait_loadcnt 0x0
	s_delay_alu instid0(VALU_DEP_1)
	v_fma_mix_f32 v29, v48, v56, v4 op_sel_hi:[0,1,0]
	s_branch .LBB480_17
.LBB480_26:                             ;   in Loop: Header=BB480_5 Depth=1
	s_or_b32 exec_lo, exec_lo, s45
.LBB480_27:                             ;   in Loop: Header=BB480_5 Depth=1
	s_delay_alu instid0(SALU_CYCLE_1) | instskip(NEXT) | instid1(SALU_CYCLE_1)
	s_or_b32 exec_lo, exec_lo, s7
	s_and_not1_b32 vcc_lo, exec_lo, s20
	s_cbranch_vccnz .LBB480_45
; %bb.28:                               ;   in Loop: Header=BB480_5 Depth=1
	v_cmp_gt_i32_e32 vcc_lo, s21, v12
	v_dual_mov_b32 v30, 0 :: v_dual_bitop2_b32 v4, 1, v12 bitop3:0x54
	v_dual_mov_b32 v31, 0 :: v_dual_mov_b32 v32, 0
	v_mov_b32_e32 v33, 0
	s_and_saveexec_b32 s45, vcc_lo
	s_cbranch_execz .LBB480_36
; %bb.29:                               ;   in Loop: Header=BB480_5 Depth=1
	v_mul_lo_u32 v5, v12, s18
	v_dual_mov_b32 v32, 0 :: v_dual_mov_b32 v31, 0
	v_mov_b32_e32 v30, 0
	s_mov_b32 s46, exec_lo
	global_load_u16 v5, v5, s[36:37] scale_offset
	s_wait_xcnt 0x0
	v_cmpx_gt_i32_e64 s21, v4
	s_cbranch_execz .LBB480_35
; %bb.30:                               ;   in Loop: Header=BB480_5 Depth=1
	v_mul_lo_u32 v6, v4, s18
	v_dual_mov_b32 v31, 0 :: v_dual_bitop2_b32 v7, 2, v12 bitop3:0x54
	v_mov_b32_e32 v30, 0
	s_mov_b32 s47, exec_lo
	global_load_u16 v6, v6, s[36:37] scale_offset
	s_wait_xcnt 0x0
	v_cmpx_gt_i32_e64 s21, v7
	s_cbranch_execz .LBB480_34
; %bb.31:                               ;   in Loop: Header=BB480_5 Depth=1
	v_mul_lo_u32 v7, v7, s18
	v_dual_mov_b32 v30, 0 :: v_dual_bitop2_b32 v8, 3, v12 bitop3:0x54
	s_mov_b32 s48, exec_lo
	global_load_u16 v7, v7, s[36:37] scale_offset
	s_wait_xcnt 0x0
	v_cmpx_gt_i32_e64 s21, v8
	s_cbranch_execz .LBB480_33
; %bb.32:                               ;   in Loop: Header=BB480_5 Depth=1
	v_mul_lo_u32 v8, v8, s18
	global_load_u16 v8, v8, s[36:37] scale_offset
	s_wait_loadcnt 0x0
	v_cvt_f32_f16_e32 v30, v8
.LBB480_33:                             ;   in Loop: Header=BB480_5 Depth=1
	s_wait_xcnt 0x0
	s_or_b32 exec_lo, exec_lo, s48
	s_wait_loadcnt 0x0
	v_cvt_f32_f16_e32 v31, v7
.LBB480_34:                             ;   in Loop: Header=BB480_5 Depth=1
	s_or_b32 exec_lo, exec_lo, s47
	s_wait_loadcnt 0x0
	v_cvt_f32_f16_e32 v32, v6
.LBB480_35:                             ;   in Loop: Header=BB480_5 Depth=1
	s_or_b32 exec_lo, exec_lo, s46
	s_wait_loadcnt 0x0
	v_cvt_f32_f16_e32 v33, v5
.LBB480_36:                             ;   in Loop: Header=BB480_5 Depth=1
	s_or_b32 exec_lo, exec_lo, s45
	s_and_saveexec_b32 s7, s0
	s_cbranch_execz .LBB480_44
; %bb.37:                               ;   in Loop: Header=BB480_5 Depth=1
	v_mul_lo_u32 v6, v12, s23
	v_or_b32_e32 v5, 2, v12
	v_mul_lo_u32 v8, v4, s23
	s_delay_alu instid0(VALU_DEP_3) | instskip(NEXT) | instid1(VALU_DEP_3)
	v_cndmask_b32_e32 v6, 0, v6, vcc_lo
	v_mul_lo_u32 v9, v5, s23
	v_cmp_gt_i32_e32 vcc_lo, s21, v4
	s_delay_alu instid0(VALU_DEP_4) | instskip(SKIP_1) | instid1(VALU_DEP_4)
	v_cndmask_b32_e32 v8, 0, v8, vcc_lo
	v_cmp_gt_i32_e32 vcc_lo, s21, v5
	v_dual_cndmask_b32 v5, 0, v9, vcc_lo :: v_dual_bitop2_b32 v7, 3, v12 bitop3:0x54
	s_delay_alu instid0(VALU_DEP_1) | instskip(SKIP_1) | instid1(VALU_DEP_2)
	v_mul_lo_u32 v10, v7, s23
	v_cmp_gt_i32_e32 vcc_lo, s21, v7
	v_dual_cndmask_b32 v7, 0, v10 :: v_dual_add_nc_u32 v4, v6, v15
	s_delay_alu instid0(VALU_DEP_4) | instskip(NEXT) | instid1(VALU_DEP_2)
	v_dual_add_nc_u32 v8, v8, v15 :: v_dual_add_nc_u32 v12, v5, v15
	v_add_nc_u32_e32 v10, v7, v15
	s_clause 0x3
	global_load_u16 v34, v4, s[34:35] scale_offset
	global_load_u16 v35, v8, s[34:35] scale_offset
	;; [unrolled: 1-line block ×4, first 2 shown]
	s_wait_xcnt 0x0
	s_and_saveexec_b32 s36, s1
	s_cbranch_execz .LBB480_43
; %bb.38:                               ;   in Loop: Header=BB480_5 Depth=1
	v_dual_ashrrev_i32 v5, 31, v4 :: v_dual_ashrrev_i32 v11, 31, v10
	v_ashrrev_i32_e32 v9, 31, v8
	v_ashrrev_i32_e32 v13, 31, v12
	s_delay_alu instid0(VALU_DEP_3) | instskip(NEXT) | instid1(VALU_DEP_4)
	v_lshl_add_u64 v[6:7], v[4:5], 1, s[34:35]
	v_lshl_add_u64 v[10:11], v[10:11], 1, s[34:35]
	s_delay_alu instid0(VALU_DEP_4) | instskip(NEXT) | instid1(VALU_DEP_4)
	v_lshl_add_u64 v[4:5], v[8:9], 1, s[34:35]
	v_lshl_add_u64 v[8:9], v[12:13], 1, s[34:35]
	s_clause 0x3
	global_load_u16 v12, v[6:7], off offset:128
	global_load_u16 v13, v[4:5], off offset:128
	;; [unrolled: 1-line block ×4, first 2 shown]
	s_wait_xcnt 0x0
	s_and_saveexec_b32 s34, s2
	s_cbranch_execz .LBB480_42
; %bb.39:                               ;   in Loop: Header=BB480_5 Depth=1
	s_clause 0x3
	global_load_u16 v40, v[6:7], off offset:256
	global_load_u16 v41, v[4:5], off offset:256
	;; [unrolled: 1-line block ×4, first 2 shown]
	s_wait_xcnt 0x0
	s_and_saveexec_b32 s35, s4
	s_cbranch_execz .LBB480_41
; %bb.40:                               ;   in Loop: Header=BB480_5 Depth=1
	s_clause 0x3
	global_load_u16 v44, v[6:7], off offset:384
	global_load_u16 v45, v[4:5], off offset:384
	;; [unrolled: 1-line block ×4, first 2 shown]
	s_wait_loadcnt 0x3
	s_wait_xcnt 0x2
	v_fma_mix_f32 v4, v33, v44, v29 op_sel_hi:[0,1,0]
	s_wait_loadcnt 0x2
	s_delay_alu instid0(VALU_DEP_1) | instskip(SKIP_1) | instid1(VALU_DEP_1)
	v_fma_mix_f32 v4, v32, v45, v4 op_sel_hi:[0,1,0]
	s_wait_loadcnt 0x1
	v_fma_mix_f32 v4, v31, v46, v4 op_sel_hi:[0,1,0]
	s_wait_loadcnt 0x0
	s_delay_alu instid0(VALU_DEP_1)
	v_fma_mix_f32 v29, v30, v47, v4 op_sel_hi:[0,1,0]
.LBB480_41:                             ;   in Loop: Header=BB480_5 Depth=1
	s_wait_xcnt 0x0
	s_or_b32 exec_lo, exec_lo, s35
	s_wait_loadcnt 0x3
	v_fma_mix_f32 v4, v33, v40, v28 op_sel_hi:[0,1,0]
	s_wait_loadcnt 0x2
	s_delay_alu instid0(VALU_DEP_1) | instskip(SKIP_1) | instid1(VALU_DEP_1)
	v_fma_mix_f32 v4, v32, v41, v4 op_sel_hi:[0,1,0]
	s_wait_loadcnt 0x1
	v_fma_mix_f32 v4, v31, v42, v4 op_sel_hi:[0,1,0]
	s_wait_loadcnt 0x0
	s_delay_alu instid0(VALU_DEP_1)
	v_fma_mix_f32 v28, v30, v43, v4 op_sel_hi:[0,1,0]
.LBB480_42:                             ;   in Loop: Header=BB480_5 Depth=1
	s_or_b32 exec_lo, exec_lo, s34
	s_wait_loadcnt 0x3
	v_fma_mix_f32 v4, v33, v12, v27 op_sel_hi:[0,1,0]
	s_wait_loadcnt 0x2
	s_delay_alu instid0(VALU_DEP_1) | instskip(SKIP_1) | instid1(VALU_DEP_1)
	v_fma_mix_f32 v4, v32, v13, v4 op_sel_hi:[0,1,0]
	s_wait_loadcnt 0x1
	v_fma_mix_f32 v4, v31, v38, v4 op_sel_hi:[0,1,0]
	s_wait_loadcnt 0x0
	s_delay_alu instid0(VALU_DEP_1)
	v_fma_mix_f32 v27, v30, v39, v4 op_sel_hi:[0,1,0]
.LBB480_43:                             ;   in Loop: Header=BB480_5 Depth=1
	s_or_b32 exec_lo, exec_lo, s36
	s_wait_loadcnt 0x3
	v_fma_mix_f32 v4, v33, v34, v26 op_sel_hi:[0,1,0]
	s_wait_loadcnt 0x2
	s_delay_alu instid0(VALU_DEP_1) | instskip(SKIP_1) | instid1(VALU_DEP_1)
	v_fma_mix_f32 v4, v32, v35, v4 op_sel_hi:[0,1,0]
	s_wait_loadcnt 0x1
	v_fma_mix_f32 v4, v31, v36, v4 op_sel_hi:[0,1,0]
	s_wait_loadcnt 0x0
	s_delay_alu instid0(VALU_DEP_1)
	v_fma_mix_f32 v26, v30, v37, v4 op_sel_hi:[0,1,0]
.LBB480_44:                             ;   in Loop: Header=BB480_5 Depth=1
	s_or_b32 exec_lo, exec_lo, s7
.LBB480_45:                             ;   in Loop: Header=BB480_5 Depth=1
	ds_store_2addr_stride64_b32 v16, v26, v27 offset1:1
	ds_store_2addr_stride64_b32 v16, v28, v29 offset0:2 offset1:3
	s_wait_dscnt 0x0
	s_barrier_signal -1
	s_barrier_wait -1
                                        ; implicit-def: $vgpr6
	s_and_saveexec_b32 s7, s5
	s_cbranch_execz .LBB480_51
; %bb.46:                               ;   in Loop: Header=BB480_5 Depth=1
	ds_load_2addr_stride64_b32 v[4:5], v17 offset1:4
	ds_load_2addr_stride64_b32 v[6:7], v17 offset0:8 offset1:12
	ds_load_2addr_stride64_b32 v[8:9], v17 offset0:16 offset1:20
	s_mov_b32 s35, s44
	s_wait_dscnt 0x2
	v_add_f32_e32 v10, v4, v5
	ds_load_2addr_stride64_b32 v[4:5], v17 offset0:24 offset1:28
	s_wait_dscnt 0x2
	v_add_f32_e32 v6, v6, v10
	s_delay_alu instid0(VALU_DEP_1) | instskip(SKIP_3) | instid1(VALU_DEP_1)
	v_add_f32_e32 v10, v7, v6
	ds_load_2addr_stride64_b32 v[6:7], v17 offset0:32 offset1:36
	s_wait_dscnt 0x2
	v_add_f32_e32 v8, v8, v10
	v_add_f32_e32 v10, v9, v8
	ds_load_2addr_stride64_b32 v[8:9], v17 offset0:40 offset1:44
	s_wait_dscnt 0x2
	v_add_f32_e32 v4, v4, v10
	s_delay_alu instid0(VALU_DEP_1) | instskip(SKIP_1) | instid1(VALU_DEP_1)
	v_add_f32_e32 v4, v5, v4
	s_wait_dscnt 0x1
	v_add_f32_e32 v6, v6, v4
	ds_load_2addr_stride64_b32 v[4:5], v17 offset0:48 offset1:52
	v_add_f32_e32 v6, v7, v6
	s_wait_dscnt 0x1
	s_delay_alu instid0(VALU_DEP_1) | instskip(SKIP_3) | instid1(VALU_DEP_1)
	v_add_f32_e32 v8, v8, v6
	ds_load_2addr_stride64_b32 v[6:7], v17 offset0:56 offset1:60
	v_add_f32_e32 v8, v9, v8
	s_wait_dscnt 0x1
	v_add_f32_e32 v4, v4, v8
	s_delay_alu instid0(VALU_DEP_1) | instskip(SKIP_1) | instid1(VALU_DEP_1)
	v_add_f32_e32 v4, v5, v4
	s_wait_dscnt 0x0
	v_add_f32_e32 v4, v6, v4
                                        ; implicit-def: $vgpr6
	s_delay_alu instid0(VALU_DEP_1)
	v_add_f32_e32 v4, v7, v4
	ds_store_b32 v17, v4
	s_and_saveexec_b32 s34, s6
	s_cbranch_execz .LBB480_50
; %bb.47:                               ;   in Loop: Header=BB480_5 Depth=1
	v_mul_f32_e32 v6, s22, v4
	s_and_not1_b32 vcc_lo, exec_lo, s39
	s_cbranch_vccnz .LBB480_49
; %bb.48:                               ;   in Loop: Header=BB480_5 Depth=1
	v_lshl_add_u64 v[4:5], v[2:3], 2, s[30:31]
	global_load_b32 v4, v[4:5], off
	s_wait_loadcnt 0x0
	v_fmac_f32_e32 v6, s26, v4
.LBB480_49:                             ;   in Loop: Header=BB480_5 Depth=1
	s_or_b32 s35, s44, exec_lo
.LBB480_50:                             ;   in Loop: Header=BB480_5 Depth=1
	s_wait_xcnt 0x0
	s_or_b32 exec_lo, exec_lo, s34
	s_delay_alu instid0(SALU_CYCLE_1) | instskip(SKIP_1) | instid1(SALU_CYCLE_1)
	s_and_not1_b32 s34, s44, exec_lo
	s_and_b32 s35, s35, exec_lo
	s_or_b32 s44, s34, s35
.LBB480_51:                             ;   in Loop: Header=BB480_5 Depth=1
	s_or_b32 exec_lo, exec_lo, s7
	v_mov_b64_e32 v[4:5], v[2:3]
	s_and_saveexec_b32 s7, s44
	s_cbranch_execz .LBB480_3
.LBB480_52:                             ;   in Loop: Header=BB480_5 Depth=1
	s_delay_alu instid0(VALU_DEP_1)
	v_lshl_add_u64 v[4:5], v[4:5], 2, s[30:31]
	global_store_b32 v[4:5], v6, off
	s_branch .LBB480_3
.LBB480_53:
	s_endpgm
	.section	.rodata,"a",@progbits
	.p2align	6, 0x0
	.amdhsa_kernel _ZL20rocblas_gemvn_kernelILi64ELi16EiDF16_ffEviiT3_lPKT2_lT1_lS3_lS4_lS0_lPT4_lS4_li
		.amdhsa_group_segment_fixed_size 16384
		.amdhsa_private_segment_fixed_size 0
		.amdhsa_kernarg_size 400
		.amdhsa_user_sgpr_count 2
		.amdhsa_user_sgpr_dispatch_ptr 0
		.amdhsa_user_sgpr_queue_ptr 0
		.amdhsa_user_sgpr_kernarg_segment_ptr 1
		.amdhsa_user_sgpr_dispatch_id 0
		.amdhsa_user_sgpr_kernarg_preload_length 0
		.amdhsa_user_sgpr_kernarg_preload_offset 0
		.amdhsa_user_sgpr_private_segment_size 0
		.amdhsa_wavefront_size32 1
		.amdhsa_uses_dynamic_stack 0
		.amdhsa_enable_private_segment 0
		.amdhsa_system_sgpr_workgroup_id_x 1
		.amdhsa_system_sgpr_workgroup_id_y 0
		.amdhsa_system_sgpr_workgroup_id_z 1
		.amdhsa_system_sgpr_workgroup_info 0
		.amdhsa_system_vgpr_workitem_id 1
		.amdhsa_next_free_vgpr 57
		.amdhsa_next_free_sgpr 51
		.amdhsa_named_barrier_count 0
		.amdhsa_reserve_vcc 1
		.amdhsa_float_round_mode_32 0
		.amdhsa_float_round_mode_16_64 0
		.amdhsa_float_denorm_mode_32 3
		.amdhsa_float_denorm_mode_16_64 3
		.amdhsa_fp16_overflow 0
		.amdhsa_memory_ordered 1
		.amdhsa_forward_progress 1
		.amdhsa_inst_pref_size 24
		.amdhsa_round_robin_scheduling 0
		.amdhsa_exception_fp_ieee_invalid_op 0
		.amdhsa_exception_fp_denorm_src 0
		.amdhsa_exception_fp_ieee_div_zero 0
		.amdhsa_exception_fp_ieee_overflow 0
		.amdhsa_exception_fp_ieee_underflow 0
		.amdhsa_exception_fp_ieee_inexact 0
		.amdhsa_exception_int_div_zero 0
	.end_amdhsa_kernel
	.section	.text._ZL20rocblas_gemvn_kernelILi64ELi16EiDF16_ffEviiT3_lPKT2_lT1_lS3_lS4_lS0_lPT4_lS4_li,"axG",@progbits,_ZL20rocblas_gemvn_kernelILi64ELi16EiDF16_ffEviiT3_lPKT2_lT1_lS3_lS4_lS0_lPT4_lS4_li,comdat
.Lfunc_end480:
	.size	_ZL20rocblas_gemvn_kernelILi64ELi16EiDF16_ffEviiT3_lPKT2_lT1_lS3_lS4_lS0_lPT4_lS4_li, .Lfunc_end480-_ZL20rocblas_gemvn_kernelILi64ELi16EiDF16_ffEviiT3_lPKT2_lT1_lS3_lS4_lS0_lPT4_lS4_li
                                        ; -- End function
	.set _ZL20rocblas_gemvn_kernelILi64ELi16EiDF16_ffEviiT3_lPKT2_lT1_lS3_lS4_lS0_lPT4_lS4_li.num_vgpr, 57
	.set _ZL20rocblas_gemvn_kernelILi64ELi16EiDF16_ffEviiT3_lPKT2_lT1_lS3_lS4_lS0_lPT4_lS4_li.num_agpr, 0
	.set _ZL20rocblas_gemvn_kernelILi64ELi16EiDF16_ffEviiT3_lPKT2_lT1_lS3_lS4_lS0_lPT4_lS4_li.numbered_sgpr, 51
	.set _ZL20rocblas_gemvn_kernelILi64ELi16EiDF16_ffEviiT3_lPKT2_lT1_lS3_lS4_lS0_lPT4_lS4_li.num_named_barrier, 0
	.set _ZL20rocblas_gemvn_kernelILi64ELi16EiDF16_ffEviiT3_lPKT2_lT1_lS3_lS4_lS0_lPT4_lS4_li.private_seg_size, 0
	.set _ZL20rocblas_gemvn_kernelILi64ELi16EiDF16_ffEviiT3_lPKT2_lT1_lS3_lS4_lS0_lPT4_lS4_li.uses_vcc, 1
	.set _ZL20rocblas_gemvn_kernelILi64ELi16EiDF16_ffEviiT3_lPKT2_lT1_lS3_lS4_lS0_lPT4_lS4_li.uses_flat_scratch, 0
	.set _ZL20rocblas_gemvn_kernelILi64ELi16EiDF16_ffEviiT3_lPKT2_lT1_lS3_lS4_lS0_lPT4_lS4_li.has_dyn_sized_stack, 0
	.set _ZL20rocblas_gemvn_kernelILi64ELi16EiDF16_ffEviiT3_lPKT2_lT1_lS3_lS4_lS0_lPT4_lS4_li.has_recursion, 0
	.set _ZL20rocblas_gemvn_kernelILi64ELi16EiDF16_ffEviiT3_lPKT2_lT1_lS3_lS4_lS0_lPT4_lS4_li.has_indirect_call, 0
	.section	.AMDGPU.csdata,"",@progbits
; Kernel info:
; codeLenInByte = 2992
; TotalNumSgprs: 53
; NumVgprs: 57
; ScratchSize: 0
; MemoryBound: 0
; FloatMode: 240
; IeeeMode: 1
; LDSByteSize: 16384 bytes/workgroup (compile time only)
; SGPRBlocks: 0
; VGPRBlocks: 3
; NumSGPRsForWavesPerEU: 53
; NumVGPRsForWavesPerEU: 57
; NamedBarCnt: 0
; Occupancy: 16
; WaveLimiterHint : 1
; COMPUTE_PGM_RSRC2:SCRATCH_EN: 0
; COMPUTE_PGM_RSRC2:USER_SGPR: 2
; COMPUTE_PGM_RSRC2:TRAP_HANDLER: 0
; COMPUTE_PGM_RSRC2:TGID_X_EN: 1
; COMPUTE_PGM_RSRC2:TGID_Y_EN: 0
; COMPUTE_PGM_RSRC2:TGID_Z_EN: 1
; COMPUTE_PGM_RSRC2:TIDIG_COMP_CNT: 1
	.section	.text._ZL20rocblas_gemvn_kernelILi64ELi16ElDF16_ffEviiT3_lPKT2_lT1_lS3_lS4_lS0_lPT4_lS4_li,"axG",@progbits,_ZL20rocblas_gemvn_kernelILi64ELi16ElDF16_ffEviiT3_lPKT2_lT1_lS3_lS4_lS0_lPT4_lS4_li,comdat
	.globl	_ZL20rocblas_gemvn_kernelILi64ELi16ElDF16_ffEviiT3_lPKT2_lT1_lS3_lS4_lS0_lPT4_lS4_li ; -- Begin function _ZL20rocblas_gemvn_kernelILi64ELi16ElDF16_ffEviiT3_lPKT2_lT1_lS3_lS4_lS0_lPT4_lS4_li
	.p2align	8
	.type	_ZL20rocblas_gemvn_kernelILi64ELi16ElDF16_ffEviiT3_lPKT2_lT1_lS3_lS4_lS0_lPT4_lS4_li,@function
_ZL20rocblas_gemvn_kernelILi64ELi16ElDF16_ffEviiT3_lPKT2_lT1_lS3_lS4_lS0_lPT4_lS4_li: ; @_ZL20rocblas_gemvn_kernelILi64ELi16ElDF16_ffEviiT3_lPKT2_lT1_lS3_lS4_lS0_lPT4_lS4_li
; %bb.0:
	s_load_b64 s[2:3], s[0:1], 0x9c
	s_wait_kmcnt 0x0
	s_lshr_b32 s4, s2, 16
	s_and_b32 s2, s2, 0xffff
	s_and_b32 s3, s3, 0xffff
	s_mul_i32 s2, s4, s2
	s_delay_alu instid0(SALU_CYCLE_1) | instskip(NEXT) | instid1(SALU_CYCLE_1)
	s_mul_i32 s2, s2, s3
	s_cmp_lg_u32 s2, 0x400
	s_cbranch_scc1 .LBB481_53
; %bb.1:
	s_load_b32 s33, s[0:1], 0x88
	s_bfe_u32 s2, ttmp6, 0x40014
	s_lshr_b32 s3, ttmp7, 16
	s_add_co_i32 s2, s2, 1
	s_bfe_u32 s4, ttmp6, 0x40008
	s_mul_i32 s2, s3, s2
	s_getreg_b32 s6, hwreg(HW_REG_IB_STS2, 6, 4)
	s_add_co_i32 s4, s4, s2
	s_cmp_eq_u32 s6, 0
	s_mov_b32 s35, 0
	s_cselect_b32 s34, s3, s4
	s_wait_kmcnt 0x0
	s_cmp_ge_u32 s34, s33
	s_cbranch_scc1 .LBB481_53
; %bb.2:
	s_clause 0x3
	s_load_b512 s[8:23], s[0:1], 0x18
	s_load_b256 s[24:31], s[0:1], 0x68
	s_load_b96 s[36:38], s[0:1], 0x0
	s_load_b32 s39, s[0:1], 0x58
	v_and_b32_e32 v6, 0x3ff, v0
	v_bfe_u32 v2, v0, 10, 10
	s_delay_alu instid0(VALU_DEP_2) | instskip(NEXT) | instid1(VALU_DEP_2)
	v_dual_mov_b32 v1, 0 :: v_dual_lshlrev_b32 v0, 2, v6
	v_lshl_add_u32 v7, v2, 6, v6
	s_delay_alu instid0(VALU_DEP_2) | instskip(NEXT) | instid1(VALU_DEP_3)
	v_dual_mov_b32 v3, v1 :: v_dual_lshlrev_b32 v48, 2, v2
	v_lshl_add_u32 v49, v2, 10, v0
	v_lshl_add_u32 v50, v2, 8, v0
	s_wait_xcnt 0x0
	v_cmp_gt_u32_e64 s0, 0x100, v7
	s_wait_kmcnt 0x0
	s_lshl_b64 s[4:5], s[10:11], 1
	s_lshl_b64 s[10:11], s[18:19], 1
	;; [unrolled: 1-line block ×3, first 2 shown]
	s_cmp_eq_f32 s38, 0
	v_mul_u64_e32 v[10:11], s[20:21], v[2:3]
	v_mul_u64_e32 v[12:13], s[12:13], v[2:3]
	v_mad_nc_u64_u32 v[4:5], s20, v48, s[20:21]
	s_cselect_b32 s46, -1, 0
	s_cmp_neq_f32 s38, 0
	v_mad_nc_u64_u32 v[8:9], s12, v48, s[12:13]
	s_add_nc_u64 s[24:25], s[24:25], s[2:3]
	s_add_nc_u64 s[26:27], s[16:17], s[10:11]
	s_cselect_b32 s1, -1, 0
	s_cmp_neq_f32 s39, 1.0
	s_cselect_b32 s7, -1, 0
	s_bfe_u32 s18, ttmp6, 0x4000c
	s_and_b32 s19, ttmp6, 15
	s_add_co_i32 s18, s18, 1
	s_or_b32 s47, s1, s7
	s_mul_i32 s18, ttmp9, s18
	v_mad_u32 v5, s21, v48, v5
	s_add_co_i32 s19, s19, s18
	s_cmp_eq_u32 s6, 0
	s_mov_b32 s6, s36
	s_cselect_b32 s1, ttmp9, s19
	s_ashr_i32 s7, s36, 31
	s_lshl_b32 s1, s1, 8
	s_cmp_neq_f32 s39, 0
	v_dual_add_nc_u32 v0, s1, v7 :: v_dual_bitop2_b32 v14, s1, v7 bitop3:0x54
	v_mad_u32 v9, s13, v48, v9
	s_cselect_b32 s48, -1, 0
	s_add_nc_u64 s[18:19], s[8:9], s[4:5]
	s_delay_alu instid0(VALU_DEP_2)
	v_cmp_gt_i64_e32 vcc_lo, s[6:7], v[0:1]
	v_mul_u64_e32 v[2:3], s[28:29], v[0:1]
	v_dual_ashrrev_i32 v15, 31, v14 :: v_dual_bitop2_b32 v0, 3, v48 bitop3:0x54
	v_add_nc_u32_e32 v24, s1, v6
	s_ashr_i32 s1, s37, 31
	v_cmp_gt_i32_e64 s2, s36, v14
	s_delay_alu instid0(VALU_DEP_3)
	v_mul_u64_e32 v[16:17], s[12:13], v[0:1]
	v_mul_u64_e32 v[18:19], s[20:21], v[0:1]
	v_or_b32_e32 v0, 2, v48
	v_mul_u64_e32 v[6:7], s[28:29], v[14:15]
	s_lshr_b32 s3, s1, 26
	v_ashrrev_i32_e32 v25, 31, v24
	v_add_nc_u32_e32 v15, 0x80, v24
	v_mul_u64_e32 v[20:21], s[12:13], v[0:1]
	v_mul_u64_e32 v[22:23], s[20:21], v[0:1]
	s_add_co_i32 s49, s37, s3
	v_add_nc_u32_e32 v0, 64, v24
	v_add_nc_u32_e32 v26, 0xc0, v24
	s_and_not1_b32 s49, s49, 63
	v_cmp_gt_i32_e64 s4, s36, v15
	s_sub_co_i32 s6, s37, s49
	v_lshlrev_b64_e32 v[14:15], 1, v[24:25]
	v_lshl_add_u64 v[4:5], v[4:5], 1, s[16:17]
	v_lshl_add_u64 v[8:9], v[8:9], 1, s[18:19]
	v_cmp_gt_i32_e64 s1, s36, v24
	v_lshl_add_u64 v[10:11], v[10:11], 3, s[16:17]
	v_lshl_add_u64 v[12:13], v[12:13], 3, s[18:19]
	v_cmp_gt_i32_e64 s3, s36, v0
	v_cmp_gt_i32_e64 s5, s36, v26
	s_cmp_gt_i32 s6, 0
	v_cmp_gt_i32_e64 s6, s49, v48
	s_cselect_b32 s36, -1, 0
	s_and_b32 s50, s0, vcc_lo
	s_lshl_b64 s[28:29], s[22:23], 1
	s_lshl_b64 s[40:41], s[14:15], 1
	;; [unrolled: 1-line block ×3, first 2 shown]
	v_lshl_add_u64 v[16:17], v[16:17], 1, s[18:19]
	v_lshl_add_u64 v[18:19], v[18:19], 1, s[16:17]
	;; [unrolled: 1-line block ×4, first 2 shown]
	s_lshl_b64 s[16:17], s[20:21], 7
	s_branch .LBB481_5
.LBB481_3:                              ;   in Loop: Header=BB481_5 Depth=1
	s_wait_xcnt 0x0
	s_or_b32 exec_lo, exec_lo, s7
.LBB481_4:                              ;   in Loop: Header=BB481_5 Depth=1
	s_add_co_i32 s34, s34, 0x10000
	s_delay_alu instid0(SALU_CYCLE_1)
	s_cmp_lt_u32 s34, s33
	s_cbranch_scc0 .LBB481_53
.LBB481_5:                              ; =>This Loop Header: Depth=1
                                        ;     Child Loop BB481_21 Depth 2
	s_and_not1_b32 vcc_lo, exec_lo, s47
	s_cbranch_vccnz .LBB481_4
; %bb.6:                                ;   in Loop: Header=BB481_5 Depth=1
	s_mul_u64 s[8:9], s[30:31], s[34:35]
	s_and_not1_b32 vcc_lo, exec_lo, s46
	s_lshl_b64 s[8:9], s[8:9], 2
	s_delay_alu instid0(SALU_CYCLE_1)
	s_add_nc_u64 s[44:45], s[24:25], s[8:9]
	s_cbranch_vccnz .LBB481_10
; %bb.7:                                ;   in Loop: Header=BB481_5 Depth=1
	s_mov_b32 s7, 0
	s_mov_b32 s51, 0
                                        ; implicit-def: $vgpr0
	s_and_saveexec_b32 s8, s50
	s_cbranch_execz .LBB481_11
; %bb.8:                                ;   in Loop: Header=BB481_5 Depth=1
	s_and_not1_b32 vcc_lo, exec_lo, s48
	s_cbranch_vccnz .LBB481_13
; %bb.9:                                ;   in Loop: Header=BB481_5 Depth=1
	v_lshl_add_u64 v[24:25], v[2:3], 2, s[44:45]
	global_load_b32 v0, v[24:25], off
	s_wait_loadcnt 0x0
	v_mul_f32_e32 v0, s39, v0
	s_branch .LBB481_14
.LBB481_10:                             ;   in Loop: Header=BB481_5 Depth=1
	s_mov_b32 s51, 0
                                        ; implicit-def: $vgpr0
	s_cbranch_execz .LBB481_12
	s_branch .LBB481_15
.LBB481_11:                             ;   in Loop: Header=BB481_5 Depth=1
	s_or_b32 exec_lo, exec_lo, s8
	s_delay_alu instid0(SALU_CYCLE_1)
	s_and_b32 vcc_lo, exec_lo, s7
	s_cbranch_vccnz .LBB481_15
.LBB481_12:                             ;   in Loop: Header=BB481_5 Depth=1
	v_mov_b64_e32 v[24:25], v[2:3]
	s_and_saveexec_b32 s7, s51
	s_cbranch_execz .LBB481_3
	s_branch .LBB481_52
.LBB481_13:                             ;   in Loop: Header=BB481_5 Depth=1
	v_mov_b32_e32 v0, 0
.LBB481_14:                             ;   in Loop: Header=BB481_5 Depth=1
	s_mov_b32 s51, exec_lo
	s_wait_xcnt 0x0
	s_or_b32 exec_lo, exec_lo, s8
	s_delay_alu instid0(SALU_CYCLE_1)
	s_and_b32 vcc_lo, exec_lo, s7
	s_cbranch_vccz .LBB481_12
.LBB481_15:                             ;   in Loop: Header=BB481_5 Depth=1
	v_dual_mov_b32 v51, 0 :: v_dual_mov_b32 v0, v48
	v_dual_mov_b32 v52, 0 :: v_dual_mov_b32 v53, 0
	v_mov_b32_e32 v54, 0
	s_and_saveexec_b32 s7, s6
	s_cbranch_execz .LBB481_27
; %bb.16:                               ;   in Loop: Header=BB481_5 Depth=1
	s_mul_u64 s[8:9], s[28:29], s[34:35]
	s_mul_u64 s[52:53], s[40:41], s[34:35]
	v_add_nc_u64_e32 v[24:25], s[8:9], v[10:11]
	v_add_nc_u64_e32 v[26:27], s[52:53], v[16:17]
	;; [unrolled: 1-line block ×8, first 2 shown]
	v_dual_mov_b32 v51, 0 :: v_dual_mov_b32 v0, v48
	v_dual_mov_b32 v52, 0 :: v_dual_mov_b32 v53, 0
	v_mov_b32_e32 v54, 0
	s_mov_b32 s8, 0
	s_branch .LBB481_21
.LBB481_17:                             ;   in Loop: Header=BB481_21 Depth=2
	s_wait_xcnt 0x0
	s_or_b32 exec_lo, exec_lo, s54
	s_wait_loadcnt 0x3
	v_fma_mix_f32 v40, v67, v71, v53 op_sel_hi:[0,1,0]
	s_wait_loadcnt 0x2
	s_delay_alu instid0(VALU_DEP_1) | instskip(SKIP_1) | instid1(VALU_DEP_1)
	v_fma_mix_f32 v40, v68, v72, v40 op_sel_hi:[0,1,0]
	s_wait_loadcnt 0x1
	v_fma_mix_f32 v40, v69, v73, v40 op_sel_hi:[0,1,0]
	s_wait_loadcnt 0x0
	s_delay_alu instid0(VALU_DEP_1)
	v_fma_mix_f32 v53, v70, v74, v40 op_sel_hi:[0,1,0]
.LBB481_18:                             ;   in Loop: Header=BB481_21 Depth=2
	s_or_b32 exec_lo, exec_lo, s53
	s_wait_loadcnt 0x3
	v_fma_mix_f32 v40, v67, v63, v52 op_sel_hi:[0,1,0]
	s_wait_loadcnt 0x2
	s_delay_alu instid0(VALU_DEP_1) | instskip(SKIP_1) | instid1(VALU_DEP_1)
	v_fma_mix_f32 v40, v68, v64, v40 op_sel_hi:[0,1,0]
	s_wait_loadcnt 0x1
	v_fma_mix_f32 v40, v69, v65, v40 op_sel_hi:[0,1,0]
	s_wait_loadcnt 0x0
	s_delay_alu instid0(VALU_DEP_1)
	v_fma_mix_f32 v52, v70, v66, v40 op_sel_hi:[0,1,0]
.LBB481_19:                             ;   in Loop: Header=BB481_21 Depth=2
	s_or_b32 exec_lo, exec_lo, s52
	s_wait_loadcnt 0x3
	v_fma_mix_f32 v40, v55, v59, v51 op_sel_hi:[1,1,0]
	s_wait_loadcnt 0x2
	s_delay_alu instid0(VALU_DEP_1) | instskip(SKIP_1) | instid1(VALU_DEP_1)
	v_fma_mix_f32 v40, v56, v60, v40 op_sel_hi:[1,1,0]
	s_wait_loadcnt 0x1
	v_fma_mix_f32 v40, v57, v61, v40 op_sel_hi:[1,1,0]
	s_wait_loadcnt 0x0
	s_delay_alu instid0(VALU_DEP_1)
	v_fma_mix_f32 v51, v58, v62, v40 op_sel_hi:[1,1,0]
.LBB481_20:                             ;   in Loop: Header=BB481_21 Depth=2
	s_or_b32 exec_lo, exec_lo, s9
	v_add_nc_u32_e32 v0, 64, v0
	v_add_nc_u64_e32 v[24:25], s[16:17], v[24:25]
	v_add_nc_u64_e32 v[26:27], s[42:43], v[26:27]
	;; [unrolled: 1-line block ×7, first 2 shown]
	v_cmp_le_i32_e32 vcc_lo, s49, v0
	v_add_nc_u64_e32 v[38:39], s[42:43], v[38:39]
	s_or_b32 s8, vcc_lo, s8
	s_delay_alu instid0(SALU_CYCLE_1)
	s_and_not1_b32 exec_lo, exec_lo, s8
	s_cbranch_execz .LBB481_26
.LBB481_21:                             ;   Parent Loop BB481_5 Depth=1
                                        ; =>  This Inner Loop Header: Depth=2
	s_and_saveexec_b32 s9, s1
	s_cbranch_execz .LBB481_20
; %bb.22:                               ;   in Loop: Header=BB481_21 Depth=2
	v_add_nc_u64_e32 v[46:47], s[10:11], v[24:25]
	v_add_nc_u64_e32 v[58:59], s[10:11], v[36:37]
	v_add_nc_u64_e32 v[60:61], s[10:11], v[34:35]
	v_add_nc_u64_e32 v[62:63], s[10:11], v[28:29]
	v_add_nc_u64_e32 v[40:41], v[30:31], v[14:15]
	v_add_nc_u64_e32 v[42:43], v[38:39], v[14:15]
	v_add_nc_u64_e32 v[44:45], v[32:33], v[14:15]
	global_load_u16 v55, v[46:47], off
	s_wait_xcnt 0x0
	v_add_nc_u64_e32 v[46:47], v[26:27], v[14:15]
	global_load_u16 v56, v[58:59], off
	global_load_u16 v57, v[60:61], off
                                        ; kill: killed $vgpr60_vgpr61
                                        ; kill: killed $vgpr58_vgpr59
	global_load_u16 v58, v[62:63], off
	global_load_u16 v59, v[40:41], off
	;; [unrolled: 1-line block ×4, first 2 shown]
                                        ; kill: killed $vgpr62_vgpr63
	global_load_u16 v62, v[46:47], off
	s_wait_xcnt 0x0
	s_and_saveexec_b32 s52, s3
	s_cbranch_execz .LBB481_19
; %bb.23:                               ;   in Loop: Header=BB481_21 Depth=2
	global_load_u16 v63, v[40:41], off offset:128
	global_load_u16 v64, v[42:43], off offset:128
	;; [unrolled: 1-line block ×4, first 2 shown]
	s_wait_loadcnt 0xb
	v_cvt_f32_f16_e32 v67, v55
	s_wait_loadcnt 0xa
	v_cvt_f32_f16_e32 v68, v56
	;; [unrolled: 2-line block ×4, first 2 shown]
	s_wait_xcnt 0x0
	s_and_saveexec_b32 s53, s4
	s_cbranch_execz .LBB481_18
; %bb.24:                               ;   in Loop: Header=BB481_21 Depth=2
	global_load_u16 v71, v[40:41], off offset:256
	global_load_u16 v72, v[42:43], off offset:256
	;; [unrolled: 1-line block ×4, first 2 shown]
	s_wait_xcnt 0x0
	s_and_saveexec_b32 s54, s5
	s_cbranch_execz .LBB481_17
; %bb.25:                               ;   in Loop: Header=BB481_21 Depth=2
	global_load_u16 v40, v[40:41], off offset:384
	global_load_u16 v41, v[42:43], off offset:384
	;; [unrolled: 1-line block ×4, first 2 shown]
	s_wait_loadcnt 0x3
	v_fma_mix_f32 v40, v67, v40, v54 op_sel_hi:[0,1,0]
	s_wait_loadcnt 0x2
	s_delay_alu instid0(VALU_DEP_1) | instskip(SKIP_1) | instid1(VALU_DEP_1)
	v_fma_mix_f32 v40, v68, v41, v40 op_sel_hi:[0,1,0]
	s_wait_loadcnt 0x1
	v_fma_mix_f32 v40, v69, v42, v40 op_sel_hi:[0,1,0]
	s_wait_loadcnt 0x0
	s_delay_alu instid0(VALU_DEP_1)
	v_fma_mix_f32 v54, v70, v43, v40 op_sel_hi:[0,1,0]
	s_branch .LBB481_17
.LBB481_26:                             ;   in Loop: Header=BB481_5 Depth=1
	s_or_b32 exec_lo, exec_lo, s8
.LBB481_27:                             ;   in Loop: Header=BB481_5 Depth=1
	s_delay_alu instid0(SALU_CYCLE_1) | instskip(NEXT) | instid1(SALU_CYCLE_1)
	s_or_b32 exec_lo, exec_lo, s7
	s_and_not1_b32 vcc_lo, exec_lo, s36
	s_cbranch_vccnz .LBB481_45
; %bb.28:                               ;   in Loop: Header=BB481_5 Depth=1
	v_cmp_gt_i32_e32 vcc_lo, s37, v0
	v_dual_mov_b32 v32, 0 :: v_dual_bitop2_b32 v24, 1, v0 bitop3:0x54
	v_dual_mov_b32 v33, 0 :: v_dual_mov_b32 v34, 0
	v_mov_b32_e32 v35, 0
	s_and_saveexec_b32 s52, vcc_lo
	s_cbranch_execz .LBB481_36
; %bb.29:                               ;   in Loop: Header=BB481_5 Depth=1
	v_mul_u64_e32 v[26:27], s[20:21], v[0:1]
	s_mul_u64 s[8:9], s[22:23], s[34:35]
	v_dual_mov_b32 v34, 0 :: v_dual_mov_b32 v33, 0
	s_lshl_b64 s[8:9], s[8:9], 1
	v_mov_b32_e32 v32, 0
	s_add_nc_u64 s[8:9], s[26:27], s[8:9]
	s_mov_b32 s53, exec_lo
	s_delay_alu instid0(VALU_DEP_3)
	v_lshl_add_u64 v[26:27], v[26:27], 1, s[8:9]
	global_load_u16 v28, v[26:27], off
	s_wait_xcnt 0x0
	v_cmpx_gt_i32_e64 s37, v24
	s_cbranch_execz .LBB481_35
; %bb.30:                               ;   in Loop: Header=BB481_5 Depth=1
	v_dual_mov_b32 v25, v1 :: v_dual_mov_b32 v33, 0
	v_mov_b32_e32 v32, 0
	s_mov_b32 s54, exec_lo
	s_delay_alu instid0(VALU_DEP_2) | instskip(NEXT) | instid1(VALU_DEP_1)
	v_mul_u64_e32 v[26:27], s[20:21], v[24:25]
	v_lshl_add_u64 v[26:27], v[26:27], 1, s[8:9]
	global_load_u16 v25, v[26:27], off
	s_wait_xcnt 0x0
	v_or_b32_e32 v26, 2, v0
	s_delay_alu instid0(VALU_DEP_1)
	v_cmpx_gt_i32_e64 s37, v26
	s_cbranch_execz .LBB481_34
; %bb.31:                               ;   in Loop: Header=BB481_5 Depth=1
	v_dual_mov_b32 v27, v1 :: v_dual_mov_b32 v32, 0
	s_mov_b32 s55, exec_lo
	s_delay_alu instid0(VALU_DEP_1) | instskip(NEXT) | instid1(VALU_DEP_1)
	v_mul_u64_e32 v[26:27], s[20:21], v[26:27]
	v_lshl_add_u64 v[26:27], v[26:27], 1, s[8:9]
	global_load_u16 v29, v[26:27], off
	s_wait_xcnt 0x0
	v_or_b32_e32 v26, 3, v0
	s_delay_alu instid0(VALU_DEP_1)
	v_cmpx_gt_i32_e64 s37, v26
	s_cbranch_execz .LBB481_33
; %bb.32:                               ;   in Loop: Header=BB481_5 Depth=1
	v_mov_b32_e32 v27, v1
	s_delay_alu instid0(VALU_DEP_1) | instskip(NEXT) | instid1(VALU_DEP_1)
	v_mul_u64_e32 v[26:27], s[20:21], v[26:27]
	v_lshl_add_u64 v[26:27], v[26:27], 1, s[8:9]
	global_load_u16 v26, v[26:27], off
	s_wait_loadcnt 0x0
	v_cvt_f32_f16_e32 v32, v26
.LBB481_33:                             ;   in Loop: Header=BB481_5 Depth=1
	s_wait_xcnt 0x0
	s_or_b32 exec_lo, exec_lo, s55
	s_wait_loadcnt 0x0
	v_cvt_f32_f16_e32 v33, v29
.LBB481_34:                             ;   in Loop: Header=BB481_5 Depth=1
	s_or_b32 exec_lo, exec_lo, s54
	s_wait_loadcnt 0x0
	v_cvt_f32_f16_e32 v34, v25
.LBB481_35:                             ;   in Loop: Header=BB481_5 Depth=1
	s_or_b32 exec_lo, exec_lo, s53
	s_wait_loadcnt 0x0
	v_cvt_f32_f16_e32 v35, v28
.LBB481_36:                             ;   in Loop: Header=BB481_5 Depth=1
	s_or_b32 exec_lo, exec_lo, s52
	s_and_saveexec_b32 s52, s1
	s_cbranch_execz .LBB481_44
; %bb.37:                               ;   in Loop: Header=BB481_5 Depth=1
	v_dual_mov_b32 v25, v1 :: v_dual_bitop2_b32 v26, 2, v0 bitop3:0x54
	v_mov_b32_e32 v27, v1
	v_mul_u64_e32 v[28:29], s[12:13], v[0:1]
	v_or_b32_e32 v0, 3, v0
	s_delay_alu instid0(VALU_DEP_4)
	v_mul_u64_e32 v[30:31], s[12:13], v[24:25]
	s_mul_u64 s[8:9], s[14:15], s[34:35]
	v_mul_u64_e32 v[36:37], s[12:13], v[26:27]
	v_cmp_gt_i32_e64 s7, s37, v24
	v_mul_u64_e32 v[38:39], s[12:13], v[0:1]
	s_lshl_b64 s[54:55], s[8:9], 1
	v_cmp_gt_i32_e64 s8, s37, v26
	v_cmp_gt_i32_e64 s9, s37, v0
	v_dual_cndmask_b32 v25, 0, v29 :: v_dual_cndmask_b32 v24, 0, v28
	v_dual_cndmask_b32 v27, 0, v31, s7 :: v_dual_cndmask_b32 v26, 0, v30, s7
	s_delay_alu instid0(VALU_DEP_4) | instskip(NEXT) | instid1(VALU_DEP_4)
	v_dual_cndmask_b32 v29, 0, v37, s8 :: v_dual_cndmask_b32 v28, 0, v36, s8
	v_dual_cndmask_b32 v31, 0, v39, s9 :: v_dual_cndmask_b32 v30, 0, v38, s9
	s_add_nc_u64 s[8:9], s[18:19], s[54:55]
	s_delay_alu instid0(SALU_CYCLE_1) | instskip(SKIP_3) | instid1(VALU_DEP_4)
	v_lshl_add_u64 v[24:25], v[24:25], 1, s[8:9]
	v_lshl_add_u64 v[26:27], v[26:27], 1, s[8:9]
	;; [unrolled: 1-line block ×4, first 2 shown]
	v_add_nc_u64_e32 v[28:29], v[24:25], v[14:15]
	s_delay_alu instid0(VALU_DEP_4) | instskip(NEXT) | instid1(VALU_DEP_4)
	v_add_nc_u64_e32 v[24:25], v[26:27], v[14:15]
	v_add_nc_u64_e32 v[26:27], v[36:37], v[14:15]
	s_delay_alu instid0(VALU_DEP_4)
	v_add_nc_u64_e32 v[30:31], v[30:31], v[14:15]
	s_clause 0x3
	global_load_u16 v0, v[28:29], off
	global_load_u16 v36, v[24:25], off
	;; [unrolled: 1-line block ×4, first 2 shown]
	s_wait_xcnt 0x0
	s_and_saveexec_b32 s7, s3
	s_cbranch_execz .LBB481_43
; %bb.38:                               ;   in Loop: Header=BB481_5 Depth=1
	s_clause 0x3
	global_load_u16 v39, v[28:29], off offset:128
	global_load_u16 v40, v[24:25], off offset:128
	global_load_u16 v41, v[26:27], off offset:128
	global_load_u16 v42, v[30:31], off offset:128
	s_wait_xcnt 0x0
	s_and_saveexec_b32 s8, s4
	s_cbranch_execz .LBB481_42
; %bb.39:                               ;   in Loop: Header=BB481_5 Depth=1
	s_clause 0x3
	global_load_u16 v43, v[28:29], off offset:256
	global_load_u16 v44, v[24:25], off offset:256
	global_load_u16 v45, v[26:27], off offset:256
	global_load_u16 v46, v[30:31], off offset:256
	;; [unrolled: 9-line block ×3, first 2 shown]
	s_wait_loadcnt 0x3
	s_wait_xcnt 0x2
	v_fma_mix_f32 v24, v35, v47, v54 op_sel_hi:[0,1,0]
	s_wait_loadcnt 0x2
	s_delay_alu instid0(VALU_DEP_1) | instskip(SKIP_1) | instid1(VALU_DEP_1)
	v_fma_mix_f32 v24, v34, v55, v24 op_sel_hi:[0,1,0]
	s_wait_loadcnt 0x1
	v_fma_mix_f32 v24, v33, v56, v24 op_sel_hi:[0,1,0]
	s_wait_loadcnt 0x0
	s_delay_alu instid0(VALU_DEP_1)
	v_fma_mix_f32 v54, v32, v57, v24 op_sel_hi:[0,1,0]
.LBB481_41:                             ;   in Loop: Header=BB481_5 Depth=1
	s_wait_xcnt 0x0
	s_or_b32 exec_lo, exec_lo, s9
	s_wait_loadcnt 0x3
	v_fma_mix_f32 v24, v35, v43, v53 op_sel_hi:[0,1,0]
	s_wait_loadcnt 0x2
	s_delay_alu instid0(VALU_DEP_1) | instskip(SKIP_1) | instid1(VALU_DEP_1)
	v_fma_mix_f32 v24, v34, v44, v24 op_sel_hi:[0,1,0]
	s_wait_loadcnt 0x1
	v_fma_mix_f32 v24, v33, v45, v24 op_sel_hi:[0,1,0]
	s_wait_loadcnt 0x0
	s_delay_alu instid0(VALU_DEP_1)
	v_fma_mix_f32 v53, v32, v46, v24 op_sel_hi:[0,1,0]
.LBB481_42:                             ;   in Loop: Header=BB481_5 Depth=1
	s_or_b32 exec_lo, exec_lo, s8
	s_wait_loadcnt 0x3
	v_fma_mix_f32 v24, v35, v39, v52 op_sel_hi:[0,1,0]
	s_wait_loadcnt 0x2
	s_delay_alu instid0(VALU_DEP_1) | instskip(SKIP_1) | instid1(VALU_DEP_1)
	v_fma_mix_f32 v24, v34, v40, v24 op_sel_hi:[0,1,0]
	s_wait_loadcnt 0x1
	v_fma_mix_f32 v24, v33, v41, v24 op_sel_hi:[0,1,0]
	s_wait_loadcnt 0x0
	s_delay_alu instid0(VALU_DEP_1)
	v_fma_mix_f32 v52, v32, v42, v24 op_sel_hi:[0,1,0]
.LBB481_43:                             ;   in Loop: Header=BB481_5 Depth=1
	s_or_b32 exec_lo, exec_lo, s7
	s_wait_loadcnt 0x3
	v_fma_mix_f32 v0, v35, v0, v51 op_sel_hi:[0,1,0]
	s_wait_loadcnt 0x2
	s_delay_alu instid0(VALU_DEP_1) | instskip(SKIP_1) | instid1(VALU_DEP_1)
	v_fma_mix_f32 v0, v34, v36, v0 op_sel_hi:[0,1,0]
	s_wait_loadcnt 0x1
	v_fma_mix_f32 v0, v33, v37, v0 op_sel_hi:[0,1,0]
	s_wait_loadcnt 0x0
	s_delay_alu instid0(VALU_DEP_1)
	v_fma_mix_f32 v51, v32, v38, v0 op_sel_hi:[0,1,0]
.LBB481_44:                             ;   in Loop: Header=BB481_5 Depth=1
	s_or_b32 exec_lo, exec_lo, s52
.LBB481_45:                             ;   in Loop: Header=BB481_5 Depth=1
	ds_store_2addr_stride64_b32 v49, v51, v52 offset1:1
	ds_store_2addr_stride64_b32 v49, v53, v54 offset0:2 offset1:3
	s_wait_dscnt 0x0
	s_barrier_signal -1
	s_barrier_wait -1
                                        ; implicit-def: $vgpr0
	s_and_saveexec_b32 s7, s0
	s_cbranch_execz .LBB481_51
; %bb.46:                               ;   in Loop: Header=BB481_5 Depth=1
	ds_load_2addr_stride64_b32 v[24:25], v50 offset1:4
	ds_load_2addr_stride64_b32 v[26:27], v50 offset0:8 offset1:12
	ds_load_2addr_stride64_b32 v[28:29], v50 offset0:16 offset1:20
	s_mov_b32 s9, s51
	s_wait_dscnt 0x2
	v_add_f32_e32 v0, v24, v25
	ds_load_2addr_stride64_b32 v[24:25], v50 offset0:24 offset1:28
	s_wait_dscnt 0x2
	v_add_f32_e32 v0, v26, v0
	s_delay_alu instid0(VALU_DEP_1) | instskip(SKIP_3) | instid1(VALU_DEP_1)
	v_add_f32_e32 v0, v27, v0
	ds_load_2addr_stride64_b32 v[26:27], v50 offset0:32 offset1:36
	s_wait_dscnt 0x2
	v_add_f32_e32 v0, v28, v0
	v_add_f32_e32 v0, v29, v0
	ds_load_2addr_stride64_b32 v[28:29], v50 offset0:40 offset1:44
	s_wait_dscnt 0x2
	v_add_f32_e32 v0, v24, v0
	s_delay_alu instid0(VALU_DEP_1) | instskip(SKIP_3) | instid1(VALU_DEP_1)
	v_add_f32_e32 v0, v25, v0
	ds_load_2addr_stride64_b32 v[24:25], v50 offset0:48 offset1:52
	s_wait_dscnt 0x2
	v_add_f32_e32 v0, v26, v0
	v_add_f32_e32 v0, v27, v0
	ds_load_2addr_stride64_b32 v[26:27], v50 offset0:56 offset1:60
	s_wait_dscnt 0x2
	v_add_f32_e32 v0, v28, v0
	s_delay_alu instid0(VALU_DEP_1) | instskip(SKIP_1) | instid1(VALU_DEP_1)
	v_add_f32_e32 v0, v29, v0
	s_wait_dscnt 0x1
	v_add_f32_e32 v0, v24, v0
	s_delay_alu instid0(VALU_DEP_1) | instskip(SKIP_1) | instid1(VALU_DEP_1)
	v_add_f32_e32 v0, v25, v0
	s_wait_dscnt 0x0
	v_add_f32_e32 v0, v26, v0
	s_delay_alu instid0(VALU_DEP_1)
	v_add_f32_e32 v24, v27, v0
                                        ; implicit-def: $vgpr0
	ds_store_b32 v50, v24
	s_and_saveexec_b32 s8, s2
	s_cbranch_execz .LBB481_50
; %bb.47:                               ;   in Loop: Header=BB481_5 Depth=1
	v_mul_f32_e32 v0, s38, v24
	s_and_not1_b32 vcc_lo, exec_lo, s48
	s_cbranch_vccnz .LBB481_49
; %bb.48:                               ;   in Loop: Header=BB481_5 Depth=1
	v_lshl_add_u64 v[24:25], v[6:7], 2, s[44:45]
	global_load_b32 v24, v[24:25], off
	s_wait_loadcnt 0x0
	v_fmac_f32_e32 v0, s39, v24
.LBB481_49:                             ;   in Loop: Header=BB481_5 Depth=1
	s_or_b32 s9, s51, exec_lo
.LBB481_50:                             ;   in Loop: Header=BB481_5 Depth=1
	s_wait_xcnt 0x0
	s_or_b32 exec_lo, exec_lo, s8
	s_delay_alu instid0(SALU_CYCLE_1) | instskip(SKIP_1) | instid1(SALU_CYCLE_1)
	s_and_not1_b32 s8, s51, exec_lo
	s_and_b32 s9, s9, exec_lo
	s_or_b32 s51, s8, s9
.LBB481_51:                             ;   in Loop: Header=BB481_5 Depth=1
	s_or_b32 exec_lo, exec_lo, s7
	v_mov_b64_e32 v[24:25], v[6:7]
	s_and_saveexec_b32 s7, s51
	s_cbranch_execz .LBB481_3
.LBB481_52:                             ;   in Loop: Header=BB481_5 Depth=1
	s_delay_alu instid0(VALU_DEP_1)
	v_lshl_add_u64 v[24:25], v[24:25], 2, s[44:45]
	global_store_b32 v[24:25], v0, off
	s_branch .LBB481_3
.LBB481_53:
	s_sendmsg sendmsg(MSG_DEALLOC_VGPRS)
	s_endpgm
	.section	.rodata,"a",@progbits
	.p2align	6, 0x0
	.amdhsa_kernel _ZL20rocblas_gemvn_kernelILi64ELi16ElDF16_ffEviiT3_lPKT2_lT1_lS3_lS4_lS0_lPT4_lS4_li
		.amdhsa_group_segment_fixed_size 16384
		.amdhsa_private_segment_fixed_size 0
		.amdhsa_kernarg_size 400
		.amdhsa_user_sgpr_count 2
		.amdhsa_user_sgpr_dispatch_ptr 0
		.amdhsa_user_sgpr_queue_ptr 0
		.amdhsa_user_sgpr_kernarg_segment_ptr 1
		.amdhsa_user_sgpr_dispatch_id 0
		.amdhsa_user_sgpr_kernarg_preload_length 0
		.amdhsa_user_sgpr_kernarg_preload_offset 0
		.amdhsa_user_sgpr_private_segment_size 0
		.amdhsa_wavefront_size32 1
		.amdhsa_uses_dynamic_stack 0
		.amdhsa_enable_private_segment 0
		.amdhsa_system_sgpr_workgroup_id_x 1
		.amdhsa_system_sgpr_workgroup_id_y 0
		.amdhsa_system_sgpr_workgroup_id_z 1
		.amdhsa_system_sgpr_workgroup_info 0
		.amdhsa_system_vgpr_workitem_id 1
		.amdhsa_next_free_vgpr 75
		.amdhsa_next_free_sgpr 56
		.amdhsa_named_barrier_count 0
		.amdhsa_reserve_vcc 1
		.amdhsa_float_round_mode_32 0
		.amdhsa_float_round_mode_16_64 0
		.amdhsa_float_denorm_mode_32 3
		.amdhsa_float_denorm_mode_16_64 3
		.amdhsa_fp16_overflow 0
		.amdhsa_memory_ordered 1
		.amdhsa_forward_progress 1
		.amdhsa_inst_pref_size 24
		.amdhsa_round_robin_scheduling 0
		.amdhsa_exception_fp_ieee_invalid_op 0
		.amdhsa_exception_fp_denorm_src 0
		.amdhsa_exception_fp_ieee_div_zero 0
		.amdhsa_exception_fp_ieee_overflow 0
		.amdhsa_exception_fp_ieee_underflow 0
		.amdhsa_exception_fp_ieee_inexact 0
		.amdhsa_exception_int_div_zero 0
	.end_amdhsa_kernel
	.section	.text._ZL20rocblas_gemvn_kernelILi64ELi16ElDF16_ffEviiT3_lPKT2_lT1_lS3_lS4_lS0_lPT4_lS4_li,"axG",@progbits,_ZL20rocblas_gemvn_kernelILi64ELi16ElDF16_ffEviiT3_lPKT2_lT1_lS3_lS4_lS0_lPT4_lS4_li,comdat
.Lfunc_end481:
	.size	_ZL20rocblas_gemvn_kernelILi64ELi16ElDF16_ffEviiT3_lPKT2_lT1_lS3_lS4_lS0_lPT4_lS4_li, .Lfunc_end481-_ZL20rocblas_gemvn_kernelILi64ELi16ElDF16_ffEviiT3_lPKT2_lT1_lS3_lS4_lS0_lPT4_lS4_li
                                        ; -- End function
	.set _ZL20rocblas_gemvn_kernelILi64ELi16ElDF16_ffEviiT3_lPKT2_lT1_lS3_lS4_lS0_lPT4_lS4_li.num_vgpr, 75
	.set _ZL20rocblas_gemvn_kernelILi64ELi16ElDF16_ffEviiT3_lPKT2_lT1_lS3_lS4_lS0_lPT4_lS4_li.num_agpr, 0
	.set _ZL20rocblas_gemvn_kernelILi64ELi16ElDF16_ffEviiT3_lPKT2_lT1_lS3_lS4_lS0_lPT4_lS4_li.numbered_sgpr, 56
	.set _ZL20rocblas_gemvn_kernelILi64ELi16ElDF16_ffEviiT3_lPKT2_lT1_lS3_lS4_lS0_lPT4_lS4_li.num_named_barrier, 0
	.set _ZL20rocblas_gemvn_kernelILi64ELi16ElDF16_ffEviiT3_lPKT2_lT1_lS3_lS4_lS0_lPT4_lS4_li.private_seg_size, 0
	.set _ZL20rocblas_gemvn_kernelILi64ELi16ElDF16_ffEviiT3_lPKT2_lT1_lS3_lS4_lS0_lPT4_lS4_li.uses_vcc, 1
	.set _ZL20rocblas_gemvn_kernelILi64ELi16ElDF16_ffEviiT3_lPKT2_lT1_lS3_lS4_lS0_lPT4_lS4_li.uses_flat_scratch, 0
	.set _ZL20rocblas_gemvn_kernelILi64ELi16ElDF16_ffEviiT3_lPKT2_lT1_lS3_lS4_lS0_lPT4_lS4_li.has_dyn_sized_stack, 0
	.set _ZL20rocblas_gemvn_kernelILi64ELi16ElDF16_ffEviiT3_lPKT2_lT1_lS3_lS4_lS0_lPT4_lS4_li.has_recursion, 0
	.set _ZL20rocblas_gemvn_kernelILi64ELi16ElDF16_ffEviiT3_lPKT2_lT1_lS3_lS4_lS0_lPT4_lS4_li.has_indirect_call, 0
	.section	.AMDGPU.csdata,"",@progbits
; Kernel info:
; codeLenInByte = 2972
; TotalNumSgprs: 58
; NumVgprs: 75
; ScratchSize: 0
; MemoryBound: 0
; FloatMode: 240
; IeeeMode: 1
; LDSByteSize: 16384 bytes/workgroup (compile time only)
; SGPRBlocks: 0
; VGPRBlocks: 4
; NumSGPRsForWavesPerEU: 58
; NumVGPRsForWavesPerEU: 75
; NamedBarCnt: 0
; Occupancy: 12
; WaveLimiterHint : 1
; COMPUTE_PGM_RSRC2:SCRATCH_EN: 0
; COMPUTE_PGM_RSRC2:USER_SGPR: 2
; COMPUTE_PGM_RSRC2:TRAP_HANDLER: 0
; COMPUTE_PGM_RSRC2:TGID_X_EN: 1
; COMPUTE_PGM_RSRC2:TGID_Y_EN: 0
; COMPUTE_PGM_RSRC2:TGID_Z_EN: 1
; COMPUTE_PGM_RSRC2:TIDIG_COMP_CNT: 1
	.section	.text._ZL22rocblas_gemvtsm_kernelILb0ELi256EDF16_PKffEviiT2_lPKT1_lilS5_lilS2_lPT3_lil,"axG",@progbits,_ZL22rocblas_gemvtsm_kernelILb0ELi256EDF16_PKffEviiT2_lPKT1_lilS5_lilS2_lPT3_lil,comdat
	.globl	_ZL22rocblas_gemvtsm_kernelILb0ELi256EDF16_PKffEviiT2_lPKT1_lilS5_lilS2_lPT3_lil ; -- Begin function _ZL22rocblas_gemvtsm_kernelILb0ELi256EDF16_PKffEviiT2_lPKT1_lilS5_lilS2_lPT3_lil
	.p2align	8
	.type	_ZL22rocblas_gemvtsm_kernelILb0ELi256EDF16_PKffEviiT2_lPKT1_lilS5_lilS2_lPT3_lil,@function
_ZL22rocblas_gemvtsm_kernelILb0ELi256EDF16_PKffEviiT2_lPKT1_lilS5_lilS2_lPT3_lil: ; @_ZL22rocblas_gemvtsm_kernelILb0ELi256EDF16_PKffEviiT2_lPKT1_lilS5_lilS2_lPT3_lil
; %bb.0:
	s_clause 0x1
	s_load_b256 s[4:11], s[0:1], 0x8
	s_load_b256 s[12:19], s[0:1], 0x50
	s_bfe_u32 s2, ttmp6, 0x4000c
	s_and_b32 s3, ttmp6, 15
	s_add_co_i32 s2, s2, 1
	s_getreg_b32 s20, hwreg(HW_REG_IB_STS2, 6, 4)
	s_mul_i32 s2, ttmp9, s2
	s_mov_b32 s25, 0
	s_add_co_i32 s3, s3, s2
	s_cmp_eq_u32 s20, 0
	s_cselect_b32 s24, ttmp9, s3
	s_wait_kmcnt 0x0
	s_mul_u64 s[2:3], s[6:7], s[24:25]
	s_delay_alu instid0(SALU_CYCLE_1) | instskip(NEXT) | instid1(SALU_CYCLE_1)
	s_lshl_b64 s[2:3], s[2:3], 2
	s_add_nc_u64 s[2:3], s[4:5], s[2:3]
	s_mul_u64 s[4:5], s[16:17], s[24:25]
	s_load_b32 s26, s[2:3], 0x0
	s_wait_xcnt 0x0
	s_lshl_b64 s[2:3], s[4:5], 2
	s_delay_alu instid0(SALU_CYCLE_1)
	s_add_nc_u64 s[2:3], s[14:15], s[2:3]
	s_load_b32 s23, s[2:3], 0x0
	s_wait_kmcnt 0x0
	s_cmp_eq_f32 s26, 0
	s_cselect_b32 s2, -1, 0
	s_cmp_eq_f32 s23, 1.0
	s_cselect_b32 s3, -1, 0
	s_delay_alu instid0(SALU_CYCLE_1) | instskip(NEXT) | instid1(SALU_CYCLE_1)
	s_and_b32 s2, s2, s3
	s_and_b32 vcc_lo, exec_lo, s2
	s_cbranch_vccnz .LBB482_34
; %bb.1:
	s_clause 0x2
	s_load_b64 s[4:5], s[0:1], 0x80
	s_load_b96 s[20:22], s[0:1], 0x70
	s_load_b64 s[2:3], s[0:1], 0x0
	s_cmp_neq_f32 s26, 0
	s_wait_kmcnt 0x0
	s_mul_u64 s[14:15], s[4:5], s[24:25]
	s_cbranch_scc1 .LBB482_9
; %bb.2:
	s_cmp_gt_i32 s3, 0
	s_cselect_b32 s6, -1, 0
	s_cmp_neq_f32 s23, 0
	v_cndmask_b32_e64 v1, 0, 1, s6
	s_delay_alu instid0(VALU_DEP_1)
	v_cmp_ne_u32_e32 vcc_lo, 1, v1
	s_cbranch_scc1 .LBB482_10
; %bb.3:
	s_and_b32 vcc_lo, exec_lo, vcc_lo
	s_cbranch_vccnz .LBB482_8
; %bb.4:
	v_mov_b32_e32 v1, 0
	s_ashr_i32 s5, s22, 31
	s_mov_b32 s4, s22
	s_lshl_b64 s[16:17], s[20:21], 2
	s_lshl_b64 s[28:29], s[14:15], 2
	v_mul_u64_e32 v[2:3], s[4:5], v[0:1]
	s_add_nc_u64 s[16:17], s[18:19], s[16:17]
	s_lshl_b64 s[4:5], s[4:5], 10
	s_add_nc_u64 s[16:17], s[16:17], s[28:29]
	s_mov_b32 s7, 0
	s_delay_alu instid0(VALU_DEP_1)
	v_lshl_add_u64 v[2:3], v[2:3], 2, s[16:17]
	s_branch .LBB482_6
.LBB482_5:                              ;   in Loop: Header=BB482_6 Depth=1
	s_wait_xcnt 0x0
	s_or_b32 exec_lo, exec_lo, s16
	v_add_nc_u64_e32 v[2:3], s[4:5], v[2:3]
	s_addk_co_i32 s7, 0x100
	s_delay_alu instid0(SALU_CYCLE_1)
	s_cmp_ge_i32 s7, s3
	s_cbranch_scc1 .LBB482_8
.LBB482_6:                              ; =>This Inner Loop Header: Depth=1
	v_add_nc_u32_e32 v4, s7, v0
	s_mov_b32 s16, exec_lo
	s_delay_alu instid0(VALU_DEP_1)
	v_cmpx_gt_i32_e64 s3, v4
	s_cbranch_execz .LBB482_5
; %bb.7:                                ;   in Loop: Header=BB482_6 Depth=1
	global_store_b32 v[2:3], v1, off
	s_branch .LBB482_5
.LBB482_8:
	s_cbranch_execz .LBB482_11
	s_branch .LBB482_16
.LBB482_9:
	s_branch .LBB482_17
.LBB482_10:
.LBB482_11:
	s_and_not1_b32 vcc_lo, exec_lo, s6
	s_cbranch_vccnz .LBB482_16
; %bb.12:
	v_mov_b32_e32 v1, 0
	s_ashr_i32 s5, s22, 31
	s_mov_b32 s4, s22
	s_lshl_b64 s[6:7], s[20:21], 2
	s_lshl_b64 s[16:17], s[14:15], 2
	v_mul_u64_e32 v[2:3], s[4:5], v[0:1]
	s_add_nc_u64 s[6:7], s[18:19], s[6:7]
	s_lshl_b64 s[4:5], s[4:5], 10
	s_add_nc_u64 s[6:7], s[6:7], s[16:17]
	s_delay_alu instid0(VALU_DEP_1) | instid1(SALU_CYCLE_1)
	v_lshl_add_u64 v[2:3], v[2:3], 2, s[6:7]
	s_mov_b32 s6, 0
	s_branch .LBB482_14
.LBB482_13:                             ;   in Loop: Header=BB482_14 Depth=1
	s_wait_xcnt 0x0
	s_or_b32 exec_lo, exec_lo, s7
	v_add_nc_u64_e32 v[2:3], s[4:5], v[2:3]
	s_addk_co_i32 s6, 0x100
	s_delay_alu instid0(SALU_CYCLE_1)
	s_cmp_ge_i32 s6, s3
	s_cbranch_scc1 .LBB482_16
.LBB482_14:                             ; =>This Inner Loop Header: Depth=1
	v_add_nc_u32_e32 v1, s6, v0
	s_mov_b32 s7, exec_lo
	s_delay_alu instid0(VALU_DEP_1)
	v_cmpx_gt_i32_e64 s3, v1
	s_cbranch_execz .LBB482_13
; %bb.15:                               ;   in Loop: Header=BB482_14 Depth=1
	global_load_b32 v1, v[2:3], off
	s_wait_loadcnt 0x0
	v_mul_f32_e32 v1, s23, v1
	global_store_b32 v[2:3], v1, off
	s_branch .LBB482_13
.LBB482_16:
	s_cbranch_execnz .LBB482_34
.LBB482_17:
	s_clause 0x1
	s_load_b128 s[4:7], s[0:1], 0x30
	s_load_b64 s[16:17], s[0:1], 0x40
	s_mov_b32 s27, exec_lo
	v_cmpx_gt_i32_e64 s2, v0
	s_cbranch_execz .LBB482_19
; %bb.18:
	s_load_b32 s28, s[0:1], 0x48
	v_mov_b32_e32 v1, 0
	s_mul_u64 s[12:13], s[12:13], s[24:25]
	s_wait_kmcnt 0x0
	s_lshl_b64 s[16:17], s[16:17], 1
	s_lshl_b64 s[12:13], s[12:13], 1
	s_delay_alu instid0(SALU_CYCLE_1) | instskip(NEXT) | instid1(SALU_CYCLE_1)
	s_add_nc_u64 s[6:7], s[6:7], s[12:13]
	s_add_nc_u64 s[6:7], s[6:7], s[16:17]
	s_ashr_i32 s29, s28, 31
	s_delay_alu instid0(SALU_CYCLE_1) | instskip(NEXT) | instid1(VALU_DEP_1)
	v_mul_u64_e32 v[2:3], s[28:29], v[0:1]
	v_lshl_add_u64 v[2:3], v[2:3], 1, s[6:7]
	global_load_u16 v1, v[2:3], off
	s_wait_xcnt 0x0
	v_lshlrev_b32_e32 v2, 2, v0
	s_wait_loadcnt 0x0
	v_cvt_f32_f16_e32 v1, v1
	s_delay_alu instid0(VALU_DEP_1)
	v_mul_f32_e32 v1, s26, v1
	ds_store_b32 v2, v1
.LBB482_19:
	s_or_b32 exec_lo, exec_lo, s27
	s_cmp_lt_i32 s3, 1
	s_wait_storecnt_dscnt 0x0
	s_barrier_signal -1
	s_barrier_wait -1
	s_cbranch_scc1 .LBB482_34
; %bb.20:
	s_load_b32 s26, s[0:1], 0x28
	v_mov_b32_e32 v3, 0
	s_wait_kmcnt 0x0
	s_lshl_b64 s[6:7], s[14:15], 2
	s_lshl_b64 s[20:21], s[20:21], 2
	s_ashr_i32 s1, s22, 31
	s_mul_u64 s[4:5], s[4:5], s[24:25]
	v_mov_b32_e32 v1, v3
	s_mov_b32 s0, s22
	s_ashr_i32 s27, s26, 31
	s_cmp_neq_f32 s23, 0
	s_delay_alu instid0(VALU_DEP_1)
	v_mul_u64_e32 v[4:5], s[26:27], v[0:1]
	s_cselect_b32 s12, -1, 0
	s_cmp_gt_i32 s2, 0
	s_cselect_b32 s13, -1, 0
	s_and_b32 s14, s2, 7
	s_cmp_gt_u32 s2, 7
	s_cselect_b32 s15, -1, 0
	s_and_b32 s2, s2, 0x7ffffff8
	s_cmp_lg_u32 s14, 0
	s_cselect_b32 s16, -1, 0
	s_lshl_b64 s[10:11], s[10:11], 1
	s_lshl_b64 s[4:5], s[4:5], 1
	s_add_nc_u64 s[8:9], s[8:9], s[10:11]
	s_mov_b32 s10, 0
	s_add_nc_u64 s[4:5], s[8:9], s[4:5]
	s_lshl_b64 s[8:9], s[26:27], 9
	s_delay_alu instid0(VALU_DEP_1) | instskip(SKIP_3) | instid1(VALU_DEP_1)
	v_lshl_add_u64 v[4:5], v[4:5], 1, s[4:5]
	s_add_nc_u64 s[4:5], s[18:19], s[6:7]
	s_mov_b32 s7, 0
	s_add_nc_u64 s[4:5], s[4:5], s[20:21]
	v_add_nc_u64_e32 v[6:7], 14, v[4:5]
	s_branch .LBB482_23
.LBB482_21:                             ;   in Loop: Header=BB482_23 Depth=1
	global_store_b32 v[8:9], v1, off
.LBB482_22:                             ;   in Loop: Header=BB482_23 Depth=1
	s_wait_xcnt 0x0
	s_or_b32 exec_lo, exec_lo, s11
	v_add_nc_u64_e32 v[6:7], s[8:9], v[6:7]
	v_add_nc_u64_e32 v[4:5], s[8:9], v[4:5]
	s_addk_co_i32 s10, 0x100
	s_delay_alu instid0(SALU_CYCLE_1)
	s_cmp_ge_i32 s10, s3
	s_cbranch_scc1 .LBB482_34
.LBB482_23:                             ; =>This Loop Header: Depth=1
                                        ;     Child Loop BB482_29 Depth 2
                                        ;     Child Loop BB482_33 Depth 2
	v_add_nc_u32_e32 v2, s10, v0
	s_mov_b32 s11, exec_lo
	s_delay_alu instid0(VALU_DEP_1)
	v_cmpx_gt_i32_e64 s3, v2
	s_cbranch_execz .LBB482_22
; %bb.24:                               ;   in Loop: Header=BB482_23 Depth=1
	v_mul_u64_e32 v[8:9], s[0:1], v[2:3]
	s_and_not1_b32 vcc_lo, exec_lo, s12
	s_delay_alu instid0(VALU_DEP_1)
	v_lshl_add_u64 v[8:9], v[8:9], 2, s[4:5]
	s_cbranch_vccnz .LBB482_26
; %bb.25:                               ;   in Loop: Header=BB482_23 Depth=1
	global_load_b32 v1, v[8:9], off
	s_wait_loadcnt 0x0
	v_mul_f32_e32 v1, s23, v1
	s_and_not1_b32 vcc_lo, exec_lo, s13
	s_cbranch_vccz .LBB482_27
	s_branch .LBB482_21
.LBB482_26:                             ;   in Loop: Header=BB482_23 Depth=1
	v_mov_b32_e32 v1, 0
	s_and_not1_b32 vcc_lo, exec_lo, s13
	s_cbranch_vccnz .LBB482_21
.LBB482_27:                             ;   in Loop: Header=BB482_23 Depth=1
	s_and_not1_b32 vcc_lo, exec_lo, s15
	s_mov_b32 s17, 0
	s_cbranch_vccnz .LBB482_31
; %bb.28:                               ;   in Loop: Header=BB482_23 Depth=1
	v_mov_b64_e32 v[10:11], v[6:7]
	s_mov_b32 s6, 0
.LBB482_29:                             ;   Parent Loop BB482_23 Depth=1
                                        ; =>  This Inner Loop Header: Depth=2
	global_load_b128 v[12:15], v[10:11], off offset:-14
	v_mov_b32_e32 v2, s6
	s_wait_xcnt 0x0
	v_add_nc_u64_e32 v[10:11], 16, v[10:11]
	s_add_co_i32 s17, s17, 8
	s_add_co_i32 s6, s6, 32
	ds_load_b128 v[16:19], v2
	ds_load_b128 v[20:23], v2 offset:16
	s_cmp_eq_u32 s2, s17
	s_wait_loadcnt_dscnt 0x1
	v_fma_mix_f32 v1, v16, v12, v1 op_sel_hi:[0,1,0]
	s_delay_alu instid0(VALU_DEP_1) | instskip(NEXT) | instid1(VALU_DEP_1)
	v_fma_mix_f32 v1, v17, v12, v1 op_sel:[0,1,0] op_sel_hi:[0,1,0]
	v_fma_mix_f32 v1, v18, v13, v1 op_sel_hi:[0,1,0]
	s_delay_alu instid0(VALU_DEP_1) | instskip(SKIP_1) | instid1(VALU_DEP_1)
	v_fma_mix_f32 v1, v19, v13, v1 op_sel:[0,1,0] op_sel_hi:[0,1,0]
	s_wait_dscnt 0x0
	v_fma_mix_f32 v1, v20, v14, v1 op_sel_hi:[0,1,0]
	s_delay_alu instid0(VALU_DEP_1) | instskip(NEXT) | instid1(VALU_DEP_1)
	v_fma_mix_f32 v1, v21, v14, v1 op_sel:[0,1,0] op_sel_hi:[0,1,0]
	v_fma_mix_f32 v1, v22, v15, v1 op_sel_hi:[0,1,0]
	s_delay_alu instid0(VALU_DEP_1)
	v_fma_mix_f32 v1, v23, v15, v1 op_sel:[0,1,0] op_sel_hi:[0,1,0]
	s_cbranch_scc0 .LBB482_29
; %bb.30:                               ;   in Loop: Header=BB482_23 Depth=1
	s_mov_b32 s17, s2
.LBB482_31:                             ;   in Loop: Header=BB482_23 Depth=1
	s_and_not1_b32 vcc_lo, exec_lo, s16
	s_cbranch_vccnz .LBB482_21
; %bb.32:                               ;   in Loop: Header=BB482_23 Depth=1
	s_lshl_b32 s6, s17, 1
	s_delay_alu instid0(SALU_CYCLE_1)
	v_add_nc_u64_e32 v[10:11], s[6:7], v[4:5]
	s_lshl_b32 s6, s17, 2
	s_mov_b32 s17, s14
.LBB482_33:                             ;   Parent Loop BB482_23 Depth=1
                                        ; =>  This Inner Loop Header: Depth=2
	global_load_u16 v2, v[10:11], off
	v_mov_b32_e32 v12, s6
	s_wait_xcnt 0x0
	v_add_nc_u64_e32 v[10:11], 2, v[10:11]
	s_add_co_i32 s17, s17, -1
	s_add_co_i32 s6, s6, 4
	s_cmp_lg_u32 s17, 0
	ds_load_b32 v12, v12
	s_wait_loadcnt_dscnt 0x0
	v_fma_mix_f32 v1, v12, v2, v1 op_sel_hi:[0,1,0]
	s_cbranch_scc1 .LBB482_33
	s_branch .LBB482_21
.LBB482_34:
	s_endpgm
	.section	.rodata,"a",@progbits
	.p2align	6, 0x0
	.amdhsa_kernel _ZL22rocblas_gemvtsm_kernelILb0ELi256EDF16_PKffEviiT2_lPKT1_lilS5_lilS2_lPT3_lil
		.amdhsa_group_segment_fixed_size 256
		.amdhsa_private_segment_fixed_size 0
		.amdhsa_kernarg_size 136
		.amdhsa_user_sgpr_count 2
		.amdhsa_user_sgpr_dispatch_ptr 0
		.amdhsa_user_sgpr_queue_ptr 0
		.amdhsa_user_sgpr_kernarg_segment_ptr 1
		.amdhsa_user_sgpr_dispatch_id 0
		.amdhsa_user_sgpr_kernarg_preload_length 0
		.amdhsa_user_sgpr_kernarg_preload_offset 0
		.amdhsa_user_sgpr_private_segment_size 0
		.amdhsa_wavefront_size32 1
		.amdhsa_uses_dynamic_stack 0
		.amdhsa_enable_private_segment 0
		.amdhsa_system_sgpr_workgroup_id_x 1
		.amdhsa_system_sgpr_workgroup_id_y 0
		.amdhsa_system_sgpr_workgroup_id_z 0
		.amdhsa_system_sgpr_workgroup_info 0
		.amdhsa_system_vgpr_workitem_id 0
		.amdhsa_next_free_vgpr 24
		.amdhsa_next_free_sgpr 30
		.amdhsa_named_barrier_count 0
		.amdhsa_reserve_vcc 1
		.amdhsa_float_round_mode_32 0
		.amdhsa_float_round_mode_16_64 0
		.amdhsa_float_denorm_mode_32 3
		.amdhsa_float_denorm_mode_16_64 3
		.amdhsa_fp16_overflow 0
		.amdhsa_memory_ordered 1
		.amdhsa_forward_progress 1
		.amdhsa_inst_pref_size 10
		.amdhsa_round_robin_scheduling 0
		.amdhsa_exception_fp_ieee_invalid_op 0
		.amdhsa_exception_fp_denorm_src 0
		.amdhsa_exception_fp_ieee_div_zero 0
		.amdhsa_exception_fp_ieee_overflow 0
		.amdhsa_exception_fp_ieee_underflow 0
		.amdhsa_exception_fp_ieee_inexact 0
		.amdhsa_exception_int_div_zero 0
	.end_amdhsa_kernel
	.section	.text._ZL22rocblas_gemvtsm_kernelILb0ELi256EDF16_PKffEviiT2_lPKT1_lilS5_lilS2_lPT3_lil,"axG",@progbits,_ZL22rocblas_gemvtsm_kernelILb0ELi256EDF16_PKffEviiT2_lPKT1_lilS5_lilS2_lPT3_lil,comdat
.Lfunc_end482:
	.size	_ZL22rocblas_gemvtsm_kernelILb0ELi256EDF16_PKffEviiT2_lPKT1_lilS5_lilS2_lPT3_lil, .Lfunc_end482-_ZL22rocblas_gemvtsm_kernelILb0ELi256EDF16_PKffEviiT2_lPKT1_lilS5_lilS2_lPT3_lil
                                        ; -- End function
	.set _ZL22rocblas_gemvtsm_kernelILb0ELi256EDF16_PKffEviiT2_lPKT1_lilS5_lilS2_lPT3_lil.num_vgpr, 24
	.set _ZL22rocblas_gemvtsm_kernelILb0ELi256EDF16_PKffEviiT2_lPKT1_lilS5_lilS2_lPT3_lil.num_agpr, 0
	.set _ZL22rocblas_gemvtsm_kernelILb0ELi256EDF16_PKffEviiT2_lPKT1_lilS5_lilS2_lPT3_lil.numbered_sgpr, 30
	.set _ZL22rocblas_gemvtsm_kernelILb0ELi256EDF16_PKffEviiT2_lPKT1_lilS5_lilS2_lPT3_lil.num_named_barrier, 0
	.set _ZL22rocblas_gemvtsm_kernelILb0ELi256EDF16_PKffEviiT2_lPKT1_lilS5_lilS2_lPT3_lil.private_seg_size, 0
	.set _ZL22rocblas_gemvtsm_kernelILb0ELi256EDF16_PKffEviiT2_lPKT1_lilS5_lilS2_lPT3_lil.uses_vcc, 1
	.set _ZL22rocblas_gemvtsm_kernelILb0ELi256EDF16_PKffEviiT2_lPKT1_lilS5_lilS2_lPT3_lil.uses_flat_scratch, 0
	.set _ZL22rocblas_gemvtsm_kernelILb0ELi256EDF16_PKffEviiT2_lPKT1_lilS5_lilS2_lPT3_lil.has_dyn_sized_stack, 0
	.set _ZL22rocblas_gemvtsm_kernelILb0ELi256EDF16_PKffEviiT2_lPKT1_lilS5_lilS2_lPT3_lil.has_recursion, 0
	.set _ZL22rocblas_gemvtsm_kernelILb0ELi256EDF16_PKffEviiT2_lPKT1_lilS5_lilS2_lPT3_lil.has_indirect_call, 0
	.section	.AMDGPU.csdata,"",@progbits
; Kernel info:
; codeLenInByte = 1244
; TotalNumSgprs: 32
; NumVgprs: 24
; ScratchSize: 0
; MemoryBound: 0
; FloatMode: 240
; IeeeMode: 1
; LDSByteSize: 256 bytes/workgroup (compile time only)
; SGPRBlocks: 0
; VGPRBlocks: 1
; NumSGPRsForWavesPerEU: 32
; NumVGPRsForWavesPerEU: 24
; NamedBarCnt: 0
; Occupancy: 16
; WaveLimiterHint : 1
; COMPUTE_PGM_RSRC2:SCRATCH_EN: 0
; COMPUTE_PGM_RSRC2:USER_SGPR: 2
; COMPUTE_PGM_RSRC2:TRAP_HANDLER: 0
; COMPUTE_PGM_RSRC2:TGID_X_EN: 1
; COMPUTE_PGM_RSRC2:TGID_Y_EN: 0
; COMPUTE_PGM_RSRC2:TGID_Z_EN: 0
; COMPUTE_PGM_RSRC2:TIDIG_COMP_CNT: 0
	.section	.text._ZL22rocblas_gemvtsm_kernelILb0ELi256EDF16_ffEviiT2_lPKT1_lilS3_lilS0_lPT3_lil,"axG",@progbits,_ZL22rocblas_gemvtsm_kernelILb0ELi256EDF16_ffEviiT2_lPKT1_lilS3_lilS0_lPT3_lil,comdat
	.globl	_ZL22rocblas_gemvtsm_kernelILb0ELi256EDF16_ffEviiT2_lPKT1_lilS3_lilS0_lPT3_lil ; -- Begin function _ZL22rocblas_gemvtsm_kernelILb0ELi256EDF16_ffEviiT2_lPKT1_lilS3_lilS0_lPT3_lil
	.p2align	8
	.type	_ZL22rocblas_gemvtsm_kernelILb0ELi256EDF16_ffEviiT2_lPKT1_lilS3_lilS0_lPT3_lil,@function
_ZL22rocblas_gemvtsm_kernelILb0ELi256EDF16_ffEviiT2_lPKT1_lilS3_lilS0_lPT3_lil: ; @_ZL22rocblas_gemvtsm_kernelILb0ELi256EDF16_ffEviiT2_lPKT1_lilS3_lilS0_lPT3_lil
; %bb.0:
	s_clause 0x1
	s_load_b96 s[12:14], s[0:1], 0x0
	s_load_b32 s15, s[0:1], 0x58
	s_mov_b32 s17, 0
	s_wait_kmcnt 0x0
	s_cmp_eq_f32 s14, 0
	s_cselect_b32 s2, -1, 0
	s_cmp_eq_f32 s15, 1.0
	s_cselect_b32 s3, -1, 0
	s_delay_alu instid0(SALU_CYCLE_1) | instskip(NEXT) | instid1(SALU_CYCLE_1)
	s_and_b32 s2, s2, s3
	s_and_b32 vcc_lo, exec_lo, s2
	s_cbranch_vccnz .LBB483_34
; %bb.1:
	s_clause 0x2
	s_load_b64 s[8:9], s[0:1], 0x80
	s_load_b128 s[4:7], s[0:1], 0x68
	s_load_b32 s2, s[0:1], 0x78
	s_bfe_u32 s3, ttmp6, 0x4000c
	s_and_b32 s10, ttmp6, 15
	s_add_co_i32 s3, s3, 1
	s_getreg_b32 s11, hwreg(HW_REG_IB_STS2, 6, 4)
	s_mul_i32 s3, ttmp9, s3
	s_delay_alu instid0(SALU_CYCLE_1)
	s_add_co_i32 s10, s10, s3
	s_cmp_eq_u32 s11, 0
	s_cselect_b32 s16, ttmp9, s10
	s_cmp_neq_f32 s14, 0
	s_wait_kmcnt 0x0
	s_mul_u64 s[18:19], s[8:9], s[16:17]
	s_cbranch_scc1 .LBB483_9
; %bb.2:
	s_cmp_gt_i32 s13, 0
	s_cselect_b32 s10, -1, 0
	s_cmp_neq_f32 s15, 0
	v_cndmask_b32_e64 v1, 0, 1, s10
	s_delay_alu instid0(VALU_DEP_1)
	v_cmp_ne_u32_e32 vcc_lo, 1, v1
	s_cbranch_scc1 .LBB483_10
; %bb.3:
	s_and_b32 vcc_lo, exec_lo, vcc_lo
	s_cbranch_vccnz .LBB483_8
; %bb.4:
	v_mov_b32_e32 v1, 0
	s_ashr_i32 s3, s2, 31
	s_lshl_b64 s[8:9], s[6:7], 2
	s_lshl_b64 s[20:21], s[18:19], 2
	s_add_nc_u64 s[8:9], s[4:5], s[8:9]
	v_mul_u64_e32 v[2:3], s[2:3], v[0:1]
	s_add_nc_u64 s[8:9], s[8:9], s[20:21]
	s_delay_alu instid0(VALU_DEP_1) | instid1(SALU_CYCLE_1)
	v_lshl_add_u64 v[2:3], v[2:3], 2, s[8:9]
	s_lshl_b64 s[8:9], s[2:3], 10
	s_mov_b32 s3, 0
	s_branch .LBB483_6
.LBB483_5:                              ;   in Loop: Header=BB483_6 Depth=1
	s_wait_xcnt 0x0
	s_or_b32 exec_lo, exec_lo, s11
	v_add_nc_u64_e32 v[2:3], s[8:9], v[2:3]
	s_addk_co_i32 s3, 0x100
	s_delay_alu instid0(SALU_CYCLE_1)
	s_cmp_ge_i32 s3, s13
	s_cbranch_scc1 .LBB483_8
.LBB483_6:                              ; =>This Inner Loop Header: Depth=1
	v_add_nc_u32_e32 v4, s3, v0
	s_mov_b32 s11, exec_lo
	s_delay_alu instid0(VALU_DEP_1)
	v_cmpx_gt_i32_e64 s13, v4
	s_cbranch_execz .LBB483_5
; %bb.7:                                ;   in Loop: Header=BB483_6 Depth=1
	global_store_b32 v[2:3], v1, off
	s_branch .LBB483_5
.LBB483_8:
	s_cbranch_execz .LBB483_11
	s_branch .LBB483_16
.LBB483_9:
	s_branch .LBB483_17
.LBB483_10:
.LBB483_11:
	s_and_not1_b32 vcc_lo, exec_lo, s10
	s_cbranch_vccnz .LBB483_16
; %bb.12:
	v_mov_b32_e32 v1, 0
	s_ashr_i32 s3, s2, 31
	s_lshl_b64 s[8:9], s[6:7], 2
	s_lshl_b64 s[10:11], s[18:19], 2
	s_add_nc_u64 s[8:9], s[4:5], s[8:9]
	v_mul_u64_e32 v[2:3], s[2:3], v[0:1]
	s_add_nc_u64 s[8:9], s[8:9], s[10:11]
	s_delay_alu instid0(VALU_DEP_1) | instid1(SALU_CYCLE_1)
	v_lshl_add_u64 v[2:3], v[2:3], 2, s[8:9]
	s_lshl_b64 s[8:9], s[2:3], 10
	s_mov_b32 s3, 0
	s_branch .LBB483_14
.LBB483_13:                             ;   in Loop: Header=BB483_14 Depth=1
	s_wait_xcnt 0x0
	s_or_b32 exec_lo, exec_lo, s10
	v_add_nc_u64_e32 v[2:3], s[8:9], v[2:3]
	s_addk_co_i32 s3, 0x100
	s_delay_alu instid0(SALU_CYCLE_1)
	s_cmp_ge_i32 s3, s13
	s_cbranch_scc1 .LBB483_16
.LBB483_14:                             ; =>This Inner Loop Header: Depth=1
	v_add_nc_u32_e32 v1, s3, v0
	s_mov_b32 s10, exec_lo
	s_delay_alu instid0(VALU_DEP_1)
	v_cmpx_gt_i32_e64 s13, v1
	s_cbranch_execz .LBB483_13
; %bb.15:                               ;   in Loop: Header=BB483_14 Depth=1
	global_load_b32 v1, v[2:3], off
	s_wait_loadcnt 0x0
	v_mul_f32_e32 v1, s15, v1
	global_store_b32 v[2:3], v1, off
	s_branch .LBB483_13
.LBB483_16:
	s_cbranch_execnz .LBB483_34
.LBB483_17:
	s_clause 0x1
	s_load_b128 s[8:11], s[0:1], 0x30
	s_load_b64 s[20:21], s[0:1], 0x40
	s_mov_b32 s3, exec_lo
	v_cmpx_gt_i32_e64 s12, v0
	s_cbranch_execz .LBB483_19
; %bb.18:
	s_clause 0x1
	s_load_b32 s22, s[0:1], 0x48
	s_load_b64 s[24:25], s[0:1], 0x50
	v_mov_b32_e32 v1, 0
	s_wait_kmcnt 0x0
	s_lshl_b64 s[20:21], s[20:21], 1
	s_ashr_i32 s23, s22, 31
	s_delay_alu instid0(VALU_DEP_1) | instid1(SALU_CYCLE_1)
	v_mul_u64_e32 v[2:3], s[22:23], v[0:1]
	s_mul_u64 s[22:23], s[24:25], s[16:17]
	s_delay_alu instid0(SALU_CYCLE_1) | instskip(NEXT) | instid1(SALU_CYCLE_1)
	s_lshl_b64 s[22:23], s[22:23], 1
	s_add_nc_u64 s[10:11], s[10:11], s[22:23]
	s_delay_alu instid0(SALU_CYCLE_1)
	s_add_nc_u64 s[10:11], s[10:11], s[20:21]
	s_delay_alu instid0(VALU_DEP_1) | instid1(SALU_CYCLE_1)
	v_lshl_add_u64 v[2:3], v[2:3], 1, s[10:11]
	global_load_u16 v1, v[2:3], off
	s_wait_xcnt 0x0
	v_lshlrev_b32_e32 v2, 2, v0
	s_wait_loadcnt 0x0
	v_cvt_f32_f16_e32 v1, v1
	s_delay_alu instid0(VALU_DEP_1)
	v_mul_f32_e32 v1, s14, v1
	ds_store_b32 v2, v1
.LBB483_19:
	s_or_b32 exec_lo, exec_lo, s3
	s_cmp_lt_i32 s13, 1
	s_wait_storecnt_dscnt 0x0
	s_barrier_signal -1
	s_barrier_wait -1
	s_cbranch_scc1 .LBB483_34
; %bb.20:
	s_load_b32 s24, s[0:1], 0x28
	s_wait_kmcnt 0x0
	s_load_b128 s[20:23], s[0:1], 0x18
	v_mov_b32_e32 v3, 0
	s_wait_xcnt 0x0
	s_lshl_b64 s[0:1], s[18:19], 2
	s_lshl_b64 s[6:7], s[6:7], 2
	s_ashr_i32 s3, s2, 31
	s_mul_u64 s[16:17], s[8:9], s[16:17]
	v_mov_b32_e32 v1, v3
	s_add_nc_u64 s[0:1], s[4:5], s[0:1]
	s_mov_b32 s5, 0
	s_add_nc_u64 s[0:1], s[0:1], s[6:7]
	s_mov_b32 s9, 0
	s_ashr_i32 s25, s24, 31
	s_cmp_neq_f32 s15, 0
	v_mul_u64_e32 v[4:5], s[24:25], v[0:1]
	s_cselect_b32 s10, -1, 0
	s_cmp_gt_i32 s12, 0
	s_cselect_b32 s11, -1, 0
	s_and_b32 s14, s12, 7
	s_cmp_gt_u32 s12, 7
	s_cselect_b32 s18, -1, 0
	s_and_b32 s12, s12, 0x7ffffff8
	s_cmp_lg_u32 s14, 0
	s_cselect_b32 s8, -1, 0
	s_wait_kmcnt 0x0
	s_lshl_b64 s[22:23], s[22:23], 1
	s_lshl_b64 s[16:17], s[16:17], 1
	s_add_nc_u64 s[20:21], s[20:21], s[22:23]
	s_lshl_b64 s[6:7], s[24:25], 9
	s_add_nc_u64 s[16:17], s[20:21], s[16:17]
	s_delay_alu instid0(VALU_DEP_1) | instid1(SALU_CYCLE_1)
	v_lshl_add_u64 v[4:5], v[4:5], 1, s[16:17]
	s_delay_alu instid0(VALU_DEP_1)
	v_add_nc_u64_e32 v[6:7], 14, v[4:5]
	s_branch .LBB483_23
.LBB483_21:                             ;   in Loop: Header=BB483_23 Depth=1
	global_store_b32 v[8:9], v1, off
.LBB483_22:                             ;   in Loop: Header=BB483_23 Depth=1
	s_wait_xcnt 0x0
	s_or_b32 exec_lo, exec_lo, s16
	v_add_nc_u64_e32 v[6:7], s[6:7], v[6:7]
	v_add_nc_u64_e32 v[4:5], s[6:7], v[4:5]
	s_addk_co_i32 s9, 0x100
	s_delay_alu instid0(SALU_CYCLE_1)
	s_cmp_ge_i32 s9, s13
	s_cbranch_scc1 .LBB483_34
.LBB483_23:                             ; =>This Loop Header: Depth=1
                                        ;     Child Loop BB483_29 Depth 2
                                        ;     Child Loop BB483_33 Depth 2
	v_add_nc_u32_e32 v2, s9, v0
	s_mov_b32 s16, exec_lo
	s_delay_alu instid0(VALU_DEP_1)
	v_cmpx_gt_i32_e64 s13, v2
	s_cbranch_execz .LBB483_22
; %bb.24:                               ;   in Loop: Header=BB483_23 Depth=1
	v_mul_u64_e32 v[8:9], s[2:3], v[2:3]
	s_and_not1_b32 vcc_lo, exec_lo, s10
	s_delay_alu instid0(VALU_DEP_1)
	v_lshl_add_u64 v[8:9], v[8:9], 2, s[0:1]
	s_cbranch_vccnz .LBB483_26
; %bb.25:                               ;   in Loop: Header=BB483_23 Depth=1
	global_load_b32 v1, v[8:9], off
	s_wait_loadcnt 0x0
	v_mul_f32_e32 v1, s15, v1
	s_and_not1_b32 vcc_lo, exec_lo, s11
	s_cbranch_vccz .LBB483_27
	s_branch .LBB483_21
.LBB483_26:                             ;   in Loop: Header=BB483_23 Depth=1
	v_mov_b32_e32 v1, 0
	s_and_not1_b32 vcc_lo, exec_lo, s11
	s_cbranch_vccnz .LBB483_21
.LBB483_27:                             ;   in Loop: Header=BB483_23 Depth=1
	s_and_not1_b32 vcc_lo, exec_lo, s18
	s_mov_b32 s17, 0
	s_cbranch_vccnz .LBB483_31
; %bb.28:                               ;   in Loop: Header=BB483_23 Depth=1
	v_mov_b64_e32 v[10:11], v[6:7]
	s_mov_b32 s4, 0
.LBB483_29:                             ;   Parent Loop BB483_23 Depth=1
                                        ; =>  This Inner Loop Header: Depth=2
	global_load_b128 v[12:15], v[10:11], off offset:-14
	v_mov_b32_e32 v2, s4
	s_wait_xcnt 0x0
	v_add_nc_u64_e32 v[10:11], 16, v[10:11]
	s_add_co_i32 s17, s17, 8
	s_add_co_i32 s4, s4, 32
	ds_load_b128 v[16:19], v2
	ds_load_b128 v[20:23], v2 offset:16
	s_cmp_eq_u32 s12, s17
	s_wait_loadcnt_dscnt 0x1
	v_fma_mix_f32 v1, v16, v12, v1 op_sel_hi:[0,1,0]
	s_delay_alu instid0(VALU_DEP_1) | instskip(NEXT) | instid1(VALU_DEP_1)
	v_fma_mix_f32 v1, v17, v12, v1 op_sel:[0,1,0] op_sel_hi:[0,1,0]
	v_fma_mix_f32 v1, v18, v13, v1 op_sel_hi:[0,1,0]
	s_delay_alu instid0(VALU_DEP_1) | instskip(SKIP_1) | instid1(VALU_DEP_1)
	v_fma_mix_f32 v1, v19, v13, v1 op_sel:[0,1,0] op_sel_hi:[0,1,0]
	s_wait_dscnt 0x0
	v_fma_mix_f32 v1, v20, v14, v1 op_sel_hi:[0,1,0]
	s_delay_alu instid0(VALU_DEP_1) | instskip(NEXT) | instid1(VALU_DEP_1)
	v_fma_mix_f32 v1, v21, v14, v1 op_sel:[0,1,0] op_sel_hi:[0,1,0]
	v_fma_mix_f32 v1, v22, v15, v1 op_sel_hi:[0,1,0]
	s_delay_alu instid0(VALU_DEP_1)
	v_fma_mix_f32 v1, v23, v15, v1 op_sel:[0,1,0] op_sel_hi:[0,1,0]
	s_cbranch_scc0 .LBB483_29
; %bb.30:                               ;   in Loop: Header=BB483_23 Depth=1
	s_mov_b32 s17, s12
.LBB483_31:                             ;   in Loop: Header=BB483_23 Depth=1
	s_and_not1_b32 vcc_lo, exec_lo, s8
	s_cbranch_vccnz .LBB483_21
; %bb.32:                               ;   in Loop: Header=BB483_23 Depth=1
	s_lshl_b32 s4, s17, 1
	s_delay_alu instid0(SALU_CYCLE_1)
	v_add_nc_u64_e32 v[10:11], s[4:5], v[4:5]
	s_lshl_b32 s4, s17, 2
	s_mov_b32 s17, s14
.LBB483_33:                             ;   Parent Loop BB483_23 Depth=1
                                        ; =>  This Inner Loop Header: Depth=2
	global_load_u16 v2, v[10:11], off
	v_mov_b32_e32 v12, s4
	s_wait_xcnt 0x0
	v_add_nc_u64_e32 v[10:11], 2, v[10:11]
	s_add_co_i32 s17, s17, -1
	s_add_co_i32 s4, s4, 4
	s_cmp_lg_u32 s17, 0
	ds_load_b32 v12, v12
	s_wait_loadcnt_dscnt 0x0
	v_fma_mix_f32 v1, v12, v2, v1 op_sel_hi:[0,1,0]
	s_cbranch_scc1 .LBB483_33
	s_branch .LBB483_21
.LBB483_34:
	s_endpgm
	.section	.rodata,"a",@progbits
	.p2align	6, 0x0
	.amdhsa_kernel _ZL22rocblas_gemvtsm_kernelILb0ELi256EDF16_ffEviiT2_lPKT1_lilS3_lilS0_lPT3_lil
		.amdhsa_group_segment_fixed_size 256
		.amdhsa_private_segment_fixed_size 0
		.amdhsa_kernarg_size 136
		.amdhsa_user_sgpr_count 2
		.amdhsa_user_sgpr_dispatch_ptr 0
		.amdhsa_user_sgpr_queue_ptr 0
		.amdhsa_user_sgpr_kernarg_segment_ptr 1
		.amdhsa_user_sgpr_dispatch_id 0
		.amdhsa_user_sgpr_kernarg_preload_length 0
		.amdhsa_user_sgpr_kernarg_preload_offset 0
		.amdhsa_user_sgpr_private_segment_size 0
		.amdhsa_wavefront_size32 1
		.amdhsa_uses_dynamic_stack 0
		.amdhsa_enable_private_segment 0
		.amdhsa_system_sgpr_workgroup_id_x 1
		.amdhsa_system_sgpr_workgroup_id_y 0
		.amdhsa_system_sgpr_workgroup_id_z 0
		.amdhsa_system_sgpr_workgroup_info 0
		.amdhsa_system_vgpr_workitem_id 0
		.amdhsa_next_free_vgpr 24
		.amdhsa_next_free_sgpr 26
		.amdhsa_named_barrier_count 0
		.amdhsa_reserve_vcc 1
		.amdhsa_float_round_mode_32 0
		.amdhsa_float_round_mode_16_64 0
		.amdhsa_float_denorm_mode_32 3
		.amdhsa_float_denorm_mode_16_64 3
		.amdhsa_fp16_overflow 0
		.amdhsa_memory_ordered 1
		.amdhsa_forward_progress 1
		.amdhsa_inst_pref_size 10
		.amdhsa_round_robin_scheduling 0
		.amdhsa_exception_fp_ieee_invalid_op 0
		.amdhsa_exception_fp_denorm_src 0
		.amdhsa_exception_fp_ieee_div_zero 0
		.amdhsa_exception_fp_ieee_overflow 0
		.amdhsa_exception_fp_ieee_underflow 0
		.amdhsa_exception_fp_ieee_inexact 0
		.amdhsa_exception_int_div_zero 0
	.end_amdhsa_kernel
	.section	.text._ZL22rocblas_gemvtsm_kernelILb0ELi256EDF16_ffEviiT2_lPKT1_lilS3_lilS0_lPT3_lil,"axG",@progbits,_ZL22rocblas_gemvtsm_kernelILb0ELi256EDF16_ffEviiT2_lPKT1_lilS3_lilS0_lPT3_lil,comdat
.Lfunc_end483:
	.size	_ZL22rocblas_gemvtsm_kernelILb0ELi256EDF16_ffEviiT2_lPKT1_lilS3_lilS0_lPT3_lil, .Lfunc_end483-_ZL22rocblas_gemvtsm_kernelILb0ELi256EDF16_ffEviiT2_lPKT1_lilS3_lilS0_lPT3_lil
                                        ; -- End function
	.set _ZL22rocblas_gemvtsm_kernelILb0ELi256EDF16_ffEviiT2_lPKT1_lilS3_lilS0_lPT3_lil.num_vgpr, 24
	.set _ZL22rocblas_gemvtsm_kernelILb0ELi256EDF16_ffEviiT2_lPKT1_lilS3_lilS0_lPT3_lil.num_agpr, 0
	.set _ZL22rocblas_gemvtsm_kernelILb0ELi256EDF16_ffEviiT2_lPKT1_lilS3_lilS0_lPT3_lil.numbered_sgpr, 26
	.set _ZL22rocblas_gemvtsm_kernelILb0ELi256EDF16_ffEviiT2_lPKT1_lilS3_lilS0_lPT3_lil.num_named_barrier, 0
	.set _ZL22rocblas_gemvtsm_kernelILb0ELi256EDF16_ffEviiT2_lPKT1_lilS3_lilS0_lPT3_lil.private_seg_size, 0
	.set _ZL22rocblas_gemvtsm_kernelILb0ELi256EDF16_ffEviiT2_lPKT1_lilS3_lilS0_lPT3_lil.uses_vcc, 1
	.set _ZL22rocblas_gemvtsm_kernelILb0ELi256EDF16_ffEviiT2_lPKT1_lilS3_lilS0_lPT3_lil.uses_flat_scratch, 0
	.set _ZL22rocblas_gemvtsm_kernelILb0ELi256EDF16_ffEviiT2_lPKT1_lilS3_lilS0_lPT3_lil.has_dyn_sized_stack, 0
	.set _ZL22rocblas_gemvtsm_kernelILb0ELi256EDF16_ffEviiT2_lPKT1_lilS3_lilS0_lPT3_lil.has_recursion, 0
	.set _ZL22rocblas_gemvtsm_kernelILb0ELi256EDF16_ffEviiT2_lPKT1_lilS3_lilS0_lPT3_lil.has_indirect_call, 0
	.section	.AMDGPU.csdata,"",@progbits
; Kernel info:
; codeLenInByte = 1216
; TotalNumSgprs: 28
; NumVgprs: 24
; ScratchSize: 0
; MemoryBound: 0
; FloatMode: 240
; IeeeMode: 1
; LDSByteSize: 256 bytes/workgroup (compile time only)
; SGPRBlocks: 0
; VGPRBlocks: 1
; NumSGPRsForWavesPerEU: 28
; NumVGPRsForWavesPerEU: 24
; NamedBarCnt: 0
; Occupancy: 16
; WaveLimiterHint : 1
; COMPUTE_PGM_RSRC2:SCRATCH_EN: 0
; COMPUTE_PGM_RSRC2:USER_SGPR: 2
; COMPUTE_PGM_RSRC2:TRAP_HANDLER: 0
; COMPUTE_PGM_RSRC2:TGID_X_EN: 1
; COMPUTE_PGM_RSRC2:TGID_Y_EN: 0
; COMPUTE_PGM_RSRC2:TGID_Z_EN: 0
; COMPUTE_PGM_RSRC2:TIDIG_COMP_CNT: 0
	.section	.text._ZL23rocblas_gemvt_sn_reduceILi256ELi8EfPKffEviT2_lPT3_lilPT1_i,"axG",@progbits,_ZL23rocblas_gemvt_sn_reduceILi256ELi8EfPKffEviT2_lPT3_lilPT1_i,comdat
	.globl	_ZL23rocblas_gemvt_sn_reduceILi256ELi8EfPKffEviT2_lPT3_lilPT1_i ; -- Begin function _ZL23rocblas_gemvt_sn_reduceILi256ELi8EfPKffEviT2_lPT3_lilPT1_i
	.p2align	8
	.type	_ZL23rocblas_gemvt_sn_reduceILi256ELi8EfPKffEviT2_lPT3_lilPT1_i,@function
_ZL23rocblas_gemvt_sn_reduceILi256ELi8EfPKffEviT2_lPT3_lilPT1_i: ; @_ZL23rocblas_gemvt_sn_reduceILi256ELi8EfPKffEviT2_lPT3_lilPT1_i
; %bb.0:
	s_load_b32 s30, s[0:1], 0x40
	s_bfe_u32 s2, ttmp6, 0x40014
	s_lshr_b32 s3, ttmp7, 16
	s_add_co_i32 s2, s2, 1
	s_bfe_u32 s5, ttmp6, 0x40008
	s_mul_i32 s4, s3, s2
	s_getreg_b32 s2, hwreg(HW_REG_IB_STS2, 6, 4)
	s_add_co_i32 s5, s5, s4
	s_cmp_eq_u32 s2, 0
	s_mov_b32 s7, 0
	s_cselect_b32 s6, s3, s5
	s_wait_kmcnt 0x0
	s_cmp_ge_u32 s6, s30
	s_cbranch_scc1 .LBB484_21
; %bb.1:
	s_clause 0x5
	s_load_b32 s20, s[0:1], 0x0
	s_load_b32 s31, s[0:1], 0x4c
	s_load_b32 s3, s[0:1], 0x54
	s_load_b32 s22, s[0:1], 0x28
	s_load_b256 s[8:15], s[0:1], 0x8
	s_load_b128 s[16:19], s[0:1], 0x30
	v_mbcnt_lo_u32_b32 v1, -1, 0
	s_wait_xcnt 0x0
	s_bfe_u32 s0, ttmp6, 0x40010
	v_dual_lshlrev_b32 v6, 3, v0 :: v_dual_bitop2_b32 v13, 31, v0 bitop3:0x40
	v_mov_b32_e32 v3, 0
	v_cmp_gt_u32_e32 vcc_lo, 24, v1
	s_and_b32 s4, ttmp7, 0xffff
	s_add_co_i32 s0, s0, 1
	s_bfe_u32 s1, ttmp6, 0x40004
	s_mul_i32 s0, s4, s0
	v_cndmask_b32_e64 v4, 0, 8, vcc_lo
	v_cmp_gt_u32_e32 vcc_lo, 28, v1
	v_lshlrev_b32_e32 v7, 2, v13
	s_add_co_i32 s5, s1, s0
	v_mov_b32_e32 v5, v3
	v_add_lshl_u32 v9, v4, v1, 2
	v_cndmask_b32_e64 v10, 0, 4, vcc_lo
	v_cmp_gt_u32_e32 vcc_lo, 30, v1
	v_lshlrev_b32_e32 v4, 5, v0
	s_wait_kmcnt 0x0
	s_ashr_i32 s21, s20, 31
	s_ashr_i32 s23, s22, 31
	s_lshl_b64 s[0:1], s[14:15], 2
	s_cmp_eq_u32 s2, 0
	v_cndmask_b32_e64 v11, 0, 2, vcc_lo
	s_cselect_b32 s14, s4, s5
	s_lshr_b32 s2, s21, 29
	v_cmp_ne_u32_e32 vcc_lo, 31, v1
	v_add_nc_u64_e32 v[4:5], s[18:19], v[4:5]
	s_add_nc_u64 s[12:13], s[12:13], s[0:1]
	s_add_co_i32 s0, s20, s2
	v_lshrrev_b32_e32 v14, 3, v0
	s_and_b32 s33, s0, -8
	v_add_co_ci_u32_e64 v12, null, 0, v1, vcc_lo
	s_sub_co_i32 s1, s20, s33
	v_xad_u32 v2, v0, -1, s20
	v_cmp_gt_u32_e64 s1, s1, v0
	v_cmp_gt_u32_e64 s2, 32, v0
	v_lshl_or_b32 v8, v1, 2, 64
	v_add_lshl_u32 v10, v10, v1, 2
	v_add_lshl_u32 v11, v11, v1, 2
	v_cmp_gt_u32_e64 s4, 8, v0
	v_cmp_eq_u32_e64 s5, 0, v0
	v_add_nc_u64_e32 v[0:1], 28, v[4:5]
	s_mov_b32 s15, s7
	s_and_b32 s24, s3, 0xffff
	v_cmp_gt_i32_e64 s0, s33, v6
	v_lshlrev_b32_e32 v12, 2, v12
	v_cmp_eq_u32_e64 s3, 0, v13
	v_and_b32_e32 v13, 28, v14
	s_mul_u64 s[26:27], s[22:23], s[14:15]
	s_mul_i32 s15, s6, s31
	s_lshl_b32 s34, s24, 3
	s_lshl_b64 s[22:23], s[20:21], 2
	s_add_co_i32 s15, s14, s15
	s_lshl_b32 s35, s31, 16
	s_lshl_b32 s24, s24, 5
	s_mov_b32 s25, s7
	s_lshl_b64 s[26:27], s[26:27], 2
	s_branch .LBB484_4
.LBB484_2:                              ;   in Loop: Header=BB484_4 Depth=1
	s_wait_dscnt 0x0
	global_store_b32 v3, v4, s[28:29]
.LBB484_3:                              ;   in Loop: Header=BB484_4 Depth=1
	s_wait_xcnt 0x0
	s_or_b32 exec_lo, exec_lo, s36
	s_add_co_i32 s6, s6, 0x10000
	s_add_co_i32 s15, s15, s35
	s_cmp_lt_u32 s6, s30
	s_cbranch_scc0 .LBB484_21
.LBB484_4:                              ; =>This Loop Header: Depth=1
                                        ;     Child Loop BB484_14 Depth 2
	s_mul_u64 s[28:29], s[10:11], s[6:7]
	v_mov_b32_e32 v15, 0
	s_lshl_b64 s[28:29], s[28:29], 2
	s_delay_alu instid0(SALU_CYCLE_1)
	s_add_nc_u64 s[28:29], s[8:9], s[28:29]
	global_load_b32 v14, v3, s[28:29]
	s_wait_xcnt 0x0
	s_and_saveexec_b32 s28, s0
	s_cbranch_execnz .LBB484_13
; %bb.5:                                ;   in Loop: Header=BB484_4 Depth=1
	s_or_b32 exec_lo, exec_lo, s28
	s_and_saveexec_b32 s28, s1
	s_cbranch_execnz .LBB484_16
.LBB484_6:                              ;   in Loop: Header=BB484_4 Depth=1
	s_or_b32 exec_lo, exec_lo, s28
	s_and_saveexec_b32 s28, s2
.LBB484_7:                              ;   in Loop: Header=BB484_4 Depth=1
	ds_store_b32 v7, v3
.LBB484_8:                              ;   in Loop: Header=BB484_4 Depth=1
	s_or_b32 exec_lo, exec_lo, s28
	s_wait_dscnt 0x0
	ds_bpermute_b32 v4, v8, v15
	s_wait_loadcnt_dscnt 0x0
	s_barrier_signal -1
	s_barrier_wait -1
	v_add_f32_e32 v4, v15, v4
	ds_bpermute_b32 v5, v9, v4
	s_wait_dscnt 0x0
	v_add_f32_e32 v4, v4, v5
	ds_bpermute_b32 v5, v10, v4
	s_wait_dscnt 0x0
	;; [unrolled: 3-line block ×3, first 2 shown]
	v_add_f32_e32 v4, v4, v5
	ds_bpermute_b32 v5, v12, v4
	s_and_saveexec_b32 s28, s3
	s_cbranch_execz .LBB484_10
; %bb.9:                                ;   in Loop: Header=BB484_4 Depth=1
	s_wait_dscnt 0x0
	v_add_f32_e32 v4, v4, v5
	ds_store_b32 v13, v4
.LBB484_10:                             ;   in Loop: Header=BB484_4 Depth=1
	s_or_b32 exec_lo, exec_lo, s28
	v_mov_b32_e32 v4, 0
	s_wait_dscnt 0x0
	s_barrier_signal -1
	s_barrier_wait -1
	s_and_saveexec_b32 s28, s4
	s_cbranch_execnz .LBB484_17
; %bb.11:                               ;   in Loop: Header=BB484_4 Depth=1
	s_or_b32 exec_lo, exec_lo, s28
	s_and_saveexec_b32 s28, s2
	s_cbranch_execnz .LBB484_18
.LBB484_12:                             ;   in Loop: Header=BB484_4 Depth=1
	s_or_b32 exec_lo, exec_lo, s28
	s_and_saveexec_b32 s36, s5
	s_cbranch_execz .LBB484_3
	s_branch .LBB484_19
.LBB484_13:                             ;   in Loop: Header=BB484_4 Depth=1
	s_wait_dscnt 0x0
	v_mad_nc_u64_u32 v[4:5], s22, s15, v[0:1]
	v_dual_mov_b32 v15, 0 :: v_dual_mov_b32 v16, v6
	s_mov_b32 s29, 0
	s_delay_alu instid0(VALU_DEP_2)
	v_mad_u32 v5, s23, s15, v5
.LBB484_14:                             ;   Parent Loop BB484_4 Depth=1
                                        ; =>  This Inner Loop Header: Depth=2
	s_clause 0x1
	global_load_b128 v[18:21], v[4:5], off offset:-28
	global_load_b128 v[22:25], v[4:5], off offset:-12
	s_wait_xcnt 0x0
	v_add_nc_u64_e32 v[4:5], s[24:25], v[4:5]
	v_add_nc_u32_e32 v16, s34, v16
	s_delay_alu instid0(VALU_DEP_1) | instskip(SKIP_3) | instid1(VALU_DEP_1)
	v_cmp_le_i32_e32 vcc_lo, s33, v16
	s_or_b32 s29, vcc_lo, s29
	s_wait_loadcnt 0x1
	v_add_f32_e32 v15, v15, v18
	v_add_f32_e32 v15, v15, v19
	s_delay_alu instid0(VALU_DEP_1) | instskip(NEXT) | instid1(VALU_DEP_1)
	v_add_f32_e32 v15, v15, v20
	v_add_f32_e32 v15, v15, v21
	s_wait_loadcnt 0x0
	s_delay_alu instid0(VALU_DEP_1) | instskip(NEXT) | instid1(VALU_DEP_1)
	v_add_f32_e32 v15, v15, v22
	v_add_f32_e32 v15, v15, v23
	s_delay_alu instid0(VALU_DEP_1) | instskip(NEXT) | instid1(VALU_DEP_1)
	v_add_f32_e32 v15, v15, v24
	v_add_f32_e32 v15, v15, v25
	s_and_not1_b32 exec_lo, exec_lo, s29
	s_cbranch_execnz .LBB484_14
; %bb.15:                               ;   in Loop: Header=BB484_4 Depth=1
	s_or_b32 exec_lo, exec_lo, s29
	s_delay_alu instid0(SALU_CYCLE_1)
	s_or_b32 exec_lo, exec_lo, s28
	s_and_saveexec_b32 s28, s1
	s_cbranch_execz .LBB484_6
.LBB484_16:                             ;   in Loop: Header=BB484_4 Depth=1
	s_mul_i32 s29, s31, s6
	s_mov_b32 s37, s7
	s_add_co_i32 s36, s29, s14
	s_delay_alu instid0(SALU_CYCLE_1) | instskip(NEXT) | instid1(SALU_CYCLE_1)
	s_mul_u64 s[36:37], s[36:37], s[20:21]
	s_lshl_b64 s[36:37], s[36:37], 2
	s_delay_alu instid0(SALU_CYCLE_1)
	s_add_nc_u64 s[36:37], s[18:19], s[36:37]
	s_wait_dscnt 0x0
	v_lshl_add_u64 v[4:5], v[2:3], 2, s[36:37]
	global_load_b32 v4, v[4:5], off
	s_wait_loadcnt 0x0
	v_add_f32_e32 v15, v15, v4
	s_wait_xcnt 0x0
	s_or_b32 exec_lo, exec_lo, s28
	s_and_saveexec_b32 s28, s2
	s_cbranch_execnz .LBB484_7
	s_branch .LBB484_8
.LBB484_17:                             ;   in Loop: Header=BB484_4 Depth=1
	ds_load_b32 v4, v7
	s_or_b32 exec_lo, exec_lo, s28
	s_and_saveexec_b32 s28, s2
	s_cbranch_execz .LBB484_12
.LBB484_18:                             ;   in Loop: Header=BB484_4 Depth=1
	s_wait_dscnt 0x0
	ds_bpermute_b32 v5, v10, v4
	s_wait_dscnt 0x0
	v_add_f32_e32 v4, v4, v5
	ds_bpermute_b32 v5, v11, v4
	s_wait_dscnt 0x0
	v_add_f32_e32 v4, v4, v5
	;; [unrolled: 3-line block ×3, first 2 shown]
	s_or_b32 exec_lo, exec_lo, s28
	s_and_saveexec_b32 s36, s5
	s_cbranch_execz .LBB484_3
.LBB484_19:                             ;   in Loop: Header=BB484_4 Depth=1
	s_mul_u64 s[28:29], s[16:17], s[6:7]
	v_cmp_eq_f32_e32 vcc_lo, 0, v14
	s_lshl_b64 s[28:29], s[28:29], 2
	s_delay_alu instid0(SALU_CYCLE_1) | instskip(NEXT) | instid1(SALU_CYCLE_1)
	s_add_nc_u64 s[28:29], s[12:13], s[28:29]
	s_add_nc_u64 s[28:29], s[28:29], s[26:27]
	s_cbranch_vccnz .LBB484_2
; %bb.20:                               ;   in Loop: Header=BB484_4 Depth=1
	global_load_b32 v5, v3, s[28:29]
	s_wait_loadcnt_dscnt 0x0
	v_fmac_f32_e32 v4, v14, v5
	s_branch .LBB484_2
.LBB484_21:
	s_endpgm
	.section	.rodata,"a",@progbits
	.p2align	6, 0x0
	.amdhsa_kernel _ZL23rocblas_gemvt_sn_reduceILi256ELi8EfPKffEviT2_lPT3_lilPT1_i
		.amdhsa_group_segment_fixed_size 128
		.amdhsa_private_segment_fixed_size 0
		.amdhsa_kernarg_size 328
		.amdhsa_user_sgpr_count 2
		.amdhsa_user_sgpr_dispatch_ptr 0
		.amdhsa_user_sgpr_queue_ptr 0
		.amdhsa_user_sgpr_kernarg_segment_ptr 1
		.amdhsa_user_sgpr_dispatch_id 0
		.amdhsa_user_sgpr_kernarg_preload_length 0
		.amdhsa_user_sgpr_kernarg_preload_offset 0
		.amdhsa_user_sgpr_private_segment_size 0
		.amdhsa_wavefront_size32 1
		.amdhsa_uses_dynamic_stack 0
		.amdhsa_enable_private_segment 0
		.amdhsa_system_sgpr_workgroup_id_x 1
		.amdhsa_system_sgpr_workgroup_id_y 1
		.amdhsa_system_sgpr_workgroup_id_z 1
		.amdhsa_system_sgpr_workgroup_info 0
		.amdhsa_system_vgpr_workitem_id 0
		.amdhsa_next_free_vgpr 26
		.amdhsa_next_free_sgpr 38
		.amdhsa_named_barrier_count 0
		.amdhsa_reserve_vcc 1
		.amdhsa_float_round_mode_32 0
		.amdhsa_float_round_mode_16_64 0
		.amdhsa_float_denorm_mode_32 3
		.amdhsa_float_denorm_mode_16_64 3
		.amdhsa_fp16_overflow 0
		.amdhsa_memory_ordered 1
		.amdhsa_forward_progress 1
		.amdhsa_inst_pref_size 9
		.amdhsa_round_robin_scheduling 0
		.amdhsa_exception_fp_ieee_invalid_op 0
		.amdhsa_exception_fp_denorm_src 0
		.amdhsa_exception_fp_ieee_div_zero 0
		.amdhsa_exception_fp_ieee_overflow 0
		.amdhsa_exception_fp_ieee_underflow 0
		.amdhsa_exception_fp_ieee_inexact 0
		.amdhsa_exception_int_div_zero 0
	.end_amdhsa_kernel
	.section	.text._ZL23rocblas_gemvt_sn_reduceILi256ELi8EfPKffEviT2_lPT3_lilPT1_i,"axG",@progbits,_ZL23rocblas_gemvt_sn_reduceILi256ELi8EfPKffEviT2_lPT3_lilPT1_i,comdat
.Lfunc_end484:
	.size	_ZL23rocblas_gemvt_sn_reduceILi256ELi8EfPKffEviT2_lPT3_lilPT1_i, .Lfunc_end484-_ZL23rocblas_gemvt_sn_reduceILi256ELi8EfPKffEviT2_lPT3_lilPT1_i
                                        ; -- End function
	.set _ZL23rocblas_gemvt_sn_reduceILi256ELi8EfPKffEviT2_lPT3_lilPT1_i.num_vgpr, 26
	.set _ZL23rocblas_gemvt_sn_reduceILi256ELi8EfPKffEviT2_lPT3_lilPT1_i.num_agpr, 0
	.set _ZL23rocblas_gemvt_sn_reduceILi256ELi8EfPKffEviT2_lPT3_lilPT1_i.numbered_sgpr, 38
	.set _ZL23rocblas_gemvt_sn_reduceILi256ELi8EfPKffEviT2_lPT3_lilPT1_i.num_named_barrier, 0
	.set _ZL23rocblas_gemvt_sn_reduceILi256ELi8EfPKffEviT2_lPT3_lilPT1_i.private_seg_size, 0
	.set _ZL23rocblas_gemvt_sn_reduceILi256ELi8EfPKffEviT2_lPT3_lilPT1_i.uses_vcc, 1
	.set _ZL23rocblas_gemvt_sn_reduceILi256ELi8EfPKffEviT2_lPT3_lilPT1_i.uses_flat_scratch, 0
	.set _ZL23rocblas_gemvt_sn_reduceILi256ELi8EfPKffEviT2_lPT3_lilPT1_i.has_dyn_sized_stack, 0
	.set _ZL23rocblas_gemvt_sn_reduceILi256ELi8EfPKffEviT2_lPT3_lilPT1_i.has_recursion, 0
	.set _ZL23rocblas_gemvt_sn_reduceILi256ELi8EfPKffEviT2_lPT3_lilPT1_i.has_indirect_call, 0
	.section	.AMDGPU.csdata,"",@progbits
; Kernel info:
; codeLenInByte = 1124
; TotalNumSgprs: 40
; NumVgprs: 26
; ScratchSize: 0
; MemoryBound: 0
; FloatMode: 240
; IeeeMode: 1
; LDSByteSize: 128 bytes/workgroup (compile time only)
; SGPRBlocks: 0
; VGPRBlocks: 1
; NumSGPRsForWavesPerEU: 40
; NumVGPRsForWavesPerEU: 26
; NamedBarCnt: 0
; Occupancy: 16
; WaveLimiterHint : 0
; COMPUTE_PGM_RSRC2:SCRATCH_EN: 0
; COMPUTE_PGM_RSRC2:USER_SGPR: 2
; COMPUTE_PGM_RSRC2:TRAP_HANDLER: 0
; COMPUTE_PGM_RSRC2:TGID_X_EN: 1
; COMPUTE_PGM_RSRC2:TGID_Y_EN: 1
; COMPUTE_PGM_RSRC2:TGID_Z_EN: 1
; COMPUTE_PGM_RSRC2:TIDIG_COMP_CNT: 0
	.section	.text._ZL23rocblas_gemvt_sn_reduceILi256ELi8EfffEviT2_lPT3_lilPT1_i,"axG",@progbits,_ZL23rocblas_gemvt_sn_reduceILi256ELi8EfffEviT2_lPT3_lilPT1_i,comdat
	.globl	_ZL23rocblas_gemvt_sn_reduceILi256ELi8EfffEviT2_lPT3_lilPT1_i ; -- Begin function _ZL23rocblas_gemvt_sn_reduceILi256ELi8EfffEviT2_lPT3_lilPT1_i
	.p2align	8
	.type	_ZL23rocblas_gemvt_sn_reduceILi256ELi8EfffEviT2_lPT3_lilPT1_i,@function
_ZL23rocblas_gemvt_sn_reduceILi256ELi8EfffEviT2_lPT3_lilPT1_i: ; @_ZL23rocblas_gemvt_sn_reduceILi256ELi8EfffEviT2_lPT3_lilPT1_i
; %bb.0:
	s_load_b32 s28, s[0:1], 0x38
	s_bfe_u32 s2, ttmp6, 0x40014
	s_lshr_b32 s3, ttmp7, 16
	s_add_co_i32 s2, s2, 1
	s_bfe_u32 s5, ttmp6, 0x40008
	s_mul_i32 s4, s3, s2
	s_getreg_b32 s2, hwreg(HW_REG_IB_STS2, 6, 4)
	s_add_co_i32 s5, s5, s4
	s_cmp_eq_u32 s2, 0
	s_mov_b32 s7, 0
	s_cselect_b32 s6, s3, s5
	s_wait_kmcnt 0x0
	s_cmp_ge_u32 s6, s28
	s_cbranch_scc1 .LBB485_21
; %bb.1:
	v_mbcnt_lo_u32_b32 v11, -1, 0
	s_clause 0x5
	s_load_b32 s29, s[0:1], 0x44
	s_load_b32 s3, s[0:1], 0x4c
	;; [unrolled: 1-line block ×3, first 2 shown]
	s_load_b128 s[20:23], s[0:1], 0x10
	s_load_b64 s[12:13], s[0:1], 0x0
	s_load_b128 s[8:11], s[0:1], 0x28
	s_wait_xcnt 0x0
	s_bfe_u32 s0, ttmp6, 0x40010
	v_dual_mov_b32 v3, 0 :: v_dual_lshlrev_b32 v6, 3, v0
	v_cmp_gt_u32_e32 vcc_lo, 24, v11
	v_dual_lshrrev_b32 v14, 3, v0 :: v_dual_bitop2_b32 v1, 31, v0 bitop3:0x40
	s_and_b32 s4, ttmp7, 0xffff
	s_add_co_i32 s0, s0, 1
	v_cndmask_b32_e64 v4, 0, 8, vcc_lo
	v_cmp_gt_u32_e32 vcc_lo, 28, v11
	s_bfe_u32 s1, ttmp6, 0x40004
	s_mul_i32 s0, s4, s0
	v_lshlrev_b32_e32 v7, 2, v1
	v_add_lshl_u32 v9, v4, v11, 2
	v_cndmask_b32_e64 v5, 0, 4, vcc_lo
	v_cmp_gt_u32_e32 vcc_lo, 30, v11
	v_lshlrev_b32_e32 v4, 5, v0
	s_add_co_i32 s5, s1, s0
	s_wait_kmcnt 0x0
	s_ashr_i32 s25, s24, 31
	v_add_lshl_u32 v10, v5, v11, 2
	v_cndmask_b32_e64 v12, 0, 2, vcc_lo
	v_cmp_ne_u32_e32 vcc_lo, 31, v11
	s_lshl_b64 s[0:1], s[22:23], 2
	s_ashr_i32 s15, s12, 31
	s_cmp_eq_u32 s2, 0
	v_lshl_or_b32 v8, v11, 2, 64
	v_add_co_ci_u32_e64 v13, null, 0, v11, vcc_lo
	v_mov_b32_e32 v5, v3
	s_cselect_b32 s16, s4, s5
	s_lshr_b32 s2, s15, 29
	v_add_lshl_u32 v11, v12, v11, 2
	v_lshlrev_b32_e32 v12, 2, v13
	v_add_nc_u64_e32 v[4:5], s[10:11], v[4:5]
	s_add_nc_u64 s[18:19], s[20:21], s[0:1]
	s_add_co_i32 s0, s12, s2
	s_and_b32 s22, s3, 0xffff
	s_and_b32 s30, s0, -8
	v_xad_u32 v2, v0, -1, s12
	s_sub_co_i32 s1, s12, s30
	s_lshl_b32 s31, s22, 3
	v_cmp_gt_u32_e64 s1, s1, v0
	v_cmp_gt_u32_e64 s2, 32, v0
	v_cmp_eq_u32_e64 s3, 0, v1
	v_cmp_gt_u32_e64 s4, 8, v0
	v_cmp_eq_u32_e64 s5, 0, v0
	v_add_nc_u64_e32 v[0:1], 28, v[4:5]
	s_cmp_neq_f32 s13, 0
	s_mov_b32 s17, s7
	v_cmp_gt_i32_e64 s0, s30, v6
	v_and_b32_e32 v13, 28, v14
	s_mov_b32 s14, s12
	s_mul_u64 s[24:25], s[24:25], s[16:17]
	s_mul_i32 s17, s6, s29
	s_cselect_b32 s12, -1, 0
	s_lshl_b64 s[20:21], s[14:15], 2
	s_add_co_i32 s17, s16, s17
	s_lshl_b32 s33, s29, 16
	s_lshl_b32 s22, s22, 5
	s_mov_b32 s23, s7
	s_lshl_b64 s[24:25], s[24:25], 2
	s_branch .LBB485_4
.LBB485_2:                              ;   in Loop: Header=BB485_4 Depth=1
	s_wait_dscnt 0x0
	global_store_b32 v3, v4, s[26:27]
.LBB485_3:                              ;   in Loop: Header=BB485_4 Depth=1
	s_wait_xcnt 0x0
	s_or_b32 exec_lo, exec_lo, s34
	s_add_co_i32 s6, s6, 0x10000
	s_add_co_i32 s17, s17, s33
	s_cmp_lt_u32 s6, s28
	s_cbranch_scc0 .LBB485_21
.LBB485_4:                              ; =>This Loop Header: Depth=1
                                        ;     Child Loop BB485_14 Depth 2
	v_mov_b32_e32 v14, 0
	s_and_saveexec_b32 s26, s0
	s_cbranch_execnz .LBB485_13
; %bb.5:                                ;   in Loop: Header=BB485_4 Depth=1
	s_or_b32 exec_lo, exec_lo, s26
	s_and_saveexec_b32 s26, s1
	s_cbranch_execnz .LBB485_16
.LBB485_6:                              ;   in Loop: Header=BB485_4 Depth=1
	s_or_b32 exec_lo, exec_lo, s26
	s_and_saveexec_b32 s26, s2
.LBB485_7:                              ;   in Loop: Header=BB485_4 Depth=1
	ds_store_b32 v7, v3
.LBB485_8:                              ;   in Loop: Header=BB485_4 Depth=1
	s_or_b32 exec_lo, exec_lo, s26
	s_wait_dscnt 0x0
	ds_bpermute_b32 v4, v8, v14
	s_wait_dscnt 0x0
	s_barrier_signal -1
	s_barrier_wait -1
	v_add_f32_e32 v4, v14, v4
	ds_bpermute_b32 v5, v9, v4
	s_wait_dscnt 0x0
	v_add_f32_e32 v4, v4, v5
	ds_bpermute_b32 v5, v10, v4
	s_wait_dscnt 0x0
	;; [unrolled: 3-line block ×3, first 2 shown]
	v_add_f32_e32 v4, v4, v5
	ds_bpermute_b32 v5, v12, v4
	s_and_saveexec_b32 s26, s3
	s_cbranch_execz .LBB485_10
; %bb.9:                                ;   in Loop: Header=BB485_4 Depth=1
	s_wait_dscnt 0x0
	v_add_f32_e32 v4, v4, v5
	ds_store_b32 v13, v4
.LBB485_10:                             ;   in Loop: Header=BB485_4 Depth=1
	s_or_b32 exec_lo, exec_lo, s26
	v_mov_b32_e32 v4, 0
	s_wait_dscnt 0x0
	s_barrier_signal -1
	s_barrier_wait -1
	s_and_saveexec_b32 s26, s4
	s_cbranch_execnz .LBB485_17
; %bb.11:                               ;   in Loop: Header=BB485_4 Depth=1
	s_or_b32 exec_lo, exec_lo, s26
	s_and_saveexec_b32 s26, s2
	s_cbranch_execnz .LBB485_18
.LBB485_12:                             ;   in Loop: Header=BB485_4 Depth=1
	s_or_b32 exec_lo, exec_lo, s26
	s_and_saveexec_b32 s34, s5
	s_cbranch_execz .LBB485_3
	s_branch .LBB485_19
.LBB485_13:                             ;   in Loop: Header=BB485_4 Depth=1
	s_wait_dscnt 0x0
	v_mad_nc_u64_u32 v[4:5], s20, s17, v[0:1]
	v_dual_mov_b32 v14, 0 :: v_dual_mov_b32 v15, v6
	s_mov_b32 s27, 0
	s_delay_alu instid0(VALU_DEP_2)
	v_mad_u32 v5, s21, s17, v5
.LBB485_14:                             ;   Parent Loop BB485_4 Depth=1
                                        ; =>  This Inner Loop Header: Depth=2
	s_clause 0x1
	global_load_b128 v[16:19], v[4:5], off offset:-28
	global_load_b128 v[20:23], v[4:5], off offset:-12
	s_wait_xcnt 0x0
	v_add_nc_u64_e32 v[4:5], s[22:23], v[4:5]
	v_add_nc_u32_e32 v15, s31, v15
	s_delay_alu instid0(VALU_DEP_1) | instskip(SKIP_3) | instid1(VALU_DEP_1)
	v_cmp_le_i32_e32 vcc_lo, s30, v15
	s_or_b32 s27, vcc_lo, s27
	s_wait_loadcnt 0x1
	v_add_f32_e32 v14, v14, v16
	v_add_f32_e32 v14, v14, v17
	s_delay_alu instid0(VALU_DEP_1) | instskip(NEXT) | instid1(VALU_DEP_1)
	v_add_f32_e32 v14, v14, v18
	v_add_f32_e32 v14, v14, v19
	s_wait_loadcnt 0x0
	s_delay_alu instid0(VALU_DEP_1) | instskip(NEXT) | instid1(VALU_DEP_1)
	v_add_f32_e32 v14, v14, v20
	v_add_f32_e32 v14, v14, v21
	s_delay_alu instid0(VALU_DEP_1) | instskip(NEXT) | instid1(VALU_DEP_1)
	v_add_f32_e32 v14, v14, v22
	v_add_f32_e32 v14, v14, v23
	s_and_not1_b32 exec_lo, exec_lo, s27
	s_cbranch_execnz .LBB485_14
; %bb.15:                               ;   in Loop: Header=BB485_4 Depth=1
	s_or_b32 exec_lo, exec_lo, s27
	s_delay_alu instid0(SALU_CYCLE_1)
	s_or_b32 exec_lo, exec_lo, s26
	s_and_saveexec_b32 s26, s1
	s_cbranch_execz .LBB485_6
.LBB485_16:                             ;   in Loop: Header=BB485_4 Depth=1
	s_mul_i32 s27, s29, s6
	s_mov_b32 s35, s7
	s_add_co_i32 s34, s27, s16
	s_delay_alu instid0(SALU_CYCLE_1) | instskip(NEXT) | instid1(SALU_CYCLE_1)
	s_mul_u64 s[34:35], s[34:35], s[14:15]
	s_lshl_b64 s[34:35], s[34:35], 2
	s_delay_alu instid0(SALU_CYCLE_1)
	s_add_nc_u64 s[34:35], s[10:11], s[34:35]
	s_wait_dscnt 0x0
	v_lshl_add_u64 v[4:5], v[2:3], 2, s[34:35]
	global_load_b32 v4, v[4:5], off
	s_wait_loadcnt 0x0
	v_add_f32_e32 v14, v14, v4
	s_wait_xcnt 0x0
	s_or_b32 exec_lo, exec_lo, s26
	s_and_saveexec_b32 s26, s2
	s_cbranch_execnz .LBB485_7
	s_branch .LBB485_8
.LBB485_17:                             ;   in Loop: Header=BB485_4 Depth=1
	ds_load_b32 v4, v7
	s_or_b32 exec_lo, exec_lo, s26
	s_and_saveexec_b32 s26, s2
	s_cbranch_execz .LBB485_12
.LBB485_18:                             ;   in Loop: Header=BB485_4 Depth=1
	s_wait_dscnt 0x0
	ds_bpermute_b32 v5, v10, v4
	s_wait_dscnt 0x0
	v_add_f32_e32 v4, v4, v5
	ds_bpermute_b32 v5, v11, v4
	s_wait_dscnt 0x0
	v_add_f32_e32 v4, v4, v5
	;; [unrolled: 3-line block ×3, first 2 shown]
	s_or_b32 exec_lo, exec_lo, s26
	s_and_saveexec_b32 s34, s5
	s_cbranch_execz .LBB485_3
.LBB485_19:                             ;   in Loop: Header=BB485_4 Depth=1
	s_mul_u64 s[26:27], s[8:9], s[6:7]
	s_and_not1_b32 vcc_lo, exec_lo, s12
	s_lshl_b64 s[26:27], s[26:27], 2
	s_delay_alu instid0(SALU_CYCLE_1) | instskip(NEXT) | instid1(SALU_CYCLE_1)
	s_add_nc_u64 s[26:27], s[18:19], s[26:27]
	s_add_nc_u64 s[26:27], s[26:27], s[24:25]
	s_cbranch_vccnz .LBB485_2
; %bb.20:                               ;   in Loop: Header=BB485_4 Depth=1
	global_load_b32 v5, v3, s[26:27]
	s_wait_loadcnt_dscnt 0x0
	v_fmac_f32_e32 v4, s13, v5
	s_branch .LBB485_2
.LBB485_21:
	s_endpgm
	.section	.rodata,"a",@progbits
	.p2align	6, 0x0
	.amdhsa_kernel _ZL23rocblas_gemvt_sn_reduceILi256ELi8EfffEviT2_lPT3_lilPT1_i
		.amdhsa_group_segment_fixed_size 128
		.amdhsa_private_segment_fixed_size 0
		.amdhsa_kernarg_size 320
		.amdhsa_user_sgpr_count 2
		.amdhsa_user_sgpr_dispatch_ptr 0
		.amdhsa_user_sgpr_queue_ptr 0
		.amdhsa_user_sgpr_kernarg_segment_ptr 1
		.amdhsa_user_sgpr_dispatch_id 0
		.amdhsa_user_sgpr_kernarg_preload_length 0
		.amdhsa_user_sgpr_kernarg_preload_offset 0
		.amdhsa_user_sgpr_private_segment_size 0
		.amdhsa_wavefront_size32 1
		.amdhsa_uses_dynamic_stack 0
		.amdhsa_enable_private_segment 0
		.amdhsa_system_sgpr_workgroup_id_x 1
		.amdhsa_system_sgpr_workgroup_id_y 1
		.amdhsa_system_sgpr_workgroup_id_z 1
		.amdhsa_system_sgpr_workgroup_info 0
		.amdhsa_system_vgpr_workitem_id 0
		.amdhsa_next_free_vgpr 24
		.amdhsa_next_free_sgpr 36
		.amdhsa_named_barrier_count 0
		.amdhsa_reserve_vcc 1
		.amdhsa_float_round_mode_32 0
		.amdhsa_float_round_mode_16_64 0
		.amdhsa_float_denorm_mode_32 3
		.amdhsa_float_denorm_mode_16_64 3
		.amdhsa_fp16_overflow 0
		.amdhsa_memory_ordered 1
		.amdhsa_forward_progress 1
		.amdhsa_inst_pref_size 9
		.amdhsa_round_robin_scheduling 0
		.amdhsa_exception_fp_ieee_invalid_op 0
		.amdhsa_exception_fp_denorm_src 0
		.amdhsa_exception_fp_ieee_div_zero 0
		.amdhsa_exception_fp_ieee_overflow 0
		.amdhsa_exception_fp_ieee_underflow 0
		.amdhsa_exception_fp_ieee_inexact 0
		.amdhsa_exception_int_div_zero 0
	.end_amdhsa_kernel
	.section	.text._ZL23rocblas_gemvt_sn_reduceILi256ELi8EfffEviT2_lPT3_lilPT1_i,"axG",@progbits,_ZL23rocblas_gemvt_sn_reduceILi256ELi8EfffEviT2_lPT3_lilPT1_i,comdat
.Lfunc_end485:
	.size	_ZL23rocblas_gemvt_sn_reduceILi256ELi8EfffEviT2_lPT3_lilPT1_i, .Lfunc_end485-_ZL23rocblas_gemvt_sn_reduceILi256ELi8EfffEviT2_lPT3_lilPT1_i
                                        ; -- End function
	.set _ZL23rocblas_gemvt_sn_reduceILi256ELi8EfffEviT2_lPT3_lilPT1_i.num_vgpr, 24
	.set _ZL23rocblas_gemvt_sn_reduceILi256ELi8EfffEviT2_lPT3_lilPT1_i.num_agpr, 0
	.set _ZL23rocblas_gemvt_sn_reduceILi256ELi8EfffEviT2_lPT3_lilPT1_i.numbered_sgpr, 36
	.set _ZL23rocblas_gemvt_sn_reduceILi256ELi8EfffEviT2_lPT3_lilPT1_i.num_named_barrier, 0
	.set _ZL23rocblas_gemvt_sn_reduceILi256ELi8EfffEviT2_lPT3_lilPT1_i.private_seg_size, 0
	.set _ZL23rocblas_gemvt_sn_reduceILi256ELi8EfffEviT2_lPT3_lilPT1_i.uses_vcc, 1
	.set _ZL23rocblas_gemvt_sn_reduceILi256ELi8EfffEviT2_lPT3_lilPT1_i.uses_flat_scratch, 0
	.set _ZL23rocblas_gemvt_sn_reduceILi256ELi8EfffEviT2_lPT3_lilPT1_i.has_dyn_sized_stack, 0
	.set _ZL23rocblas_gemvt_sn_reduceILi256ELi8EfffEviT2_lPT3_lilPT1_i.has_recursion, 0
	.set _ZL23rocblas_gemvt_sn_reduceILi256ELi8EfffEviT2_lPT3_lilPT1_i.has_indirect_call, 0
	.section	.AMDGPU.csdata,"",@progbits
; Kernel info:
; codeLenInByte = 1104
; TotalNumSgprs: 38
; NumVgprs: 24
; ScratchSize: 0
; MemoryBound: 0
; FloatMode: 240
; IeeeMode: 1
; LDSByteSize: 128 bytes/workgroup (compile time only)
; SGPRBlocks: 0
; VGPRBlocks: 1
; NumSGPRsForWavesPerEU: 38
; NumVGPRsForWavesPerEU: 24
; NamedBarCnt: 0
; Occupancy: 16
; WaveLimiterHint : 0
; COMPUTE_PGM_RSRC2:SCRATCH_EN: 0
; COMPUTE_PGM_RSRC2:USER_SGPR: 2
; COMPUTE_PGM_RSRC2:TRAP_HANDLER: 0
; COMPUTE_PGM_RSRC2:TGID_X_EN: 1
; COMPUTE_PGM_RSRC2:TGID_Y_EN: 1
; COMPUTE_PGM_RSRC2:TGID_Z_EN: 1
; COMPUTE_PGM_RSRC2:TIDIG_COMP_CNT: 0
	.section	.text._ZL32rocblas_gemvt_warp_reduce_kernelILb0ELi256EiDF16_PKffEviiT3_lPKT2_lT1_lS5_lS6_lS2_lPT4_lS6_li,"axG",@progbits,_ZL32rocblas_gemvt_warp_reduce_kernelILb0ELi256EiDF16_PKffEviiT3_lPKT2_lT1_lS5_lS6_lS2_lPT4_lS6_li,comdat
	.globl	_ZL32rocblas_gemvt_warp_reduce_kernelILb0ELi256EiDF16_PKffEviiT3_lPKT2_lT1_lS5_lS6_lS2_lPT4_lS6_li ; -- Begin function _ZL32rocblas_gemvt_warp_reduce_kernelILb0ELi256EiDF16_PKffEviiT3_lPKT2_lT1_lS5_lS6_lS2_lPT4_lS6_li
	.p2align	8
	.type	_ZL32rocblas_gemvt_warp_reduce_kernelILb0ELi256EiDF16_PKffEviiT3_lPKT2_lT1_lS5_lS6_lS2_lPT4_lS6_li,@function
_ZL32rocblas_gemvt_warp_reduce_kernelILb0ELi256EiDF16_PKffEviiT3_lPKT2_lT1_lS5_lS6_lS2_lPT4_lS6_li: ; @_ZL32rocblas_gemvt_warp_reduce_kernelILb0ELi256EiDF16_PKffEviiT3_lPKT2_lT1_lS5_lS6_lS2_lPT4_lS6_li
; %bb.0:
	s_load_b32 s33, s[0:1], 0x88
	s_bfe_u32 s2, ttmp6, 0x40014
	s_lshr_b32 s3, ttmp7, 16
	s_add_co_i32 s2, s2, 1
	s_bfe_u32 s5, ttmp6, 0x40008
	s_mul_i32 s4, s3, s2
	s_getreg_b32 s2, hwreg(HW_REG_IB_STS2, 6, 4)
	s_add_co_i32 s5, s5, s4
	s_cmp_eq_u32 s2, 0
	s_mov_b32 s35, 0
	s_cselect_b32 s34, s3, s5
	s_wait_kmcnt 0x0
	s_cmp_ge_u32 s34, s33
	s_cbranch_scc1 .LBB486_34
; %bb.1:
	s_clause 0x7
	s_load_b96 s[4:6], s[0:1], 0x40
	s_load_b96 s[28:30], s[0:1], 0x70
	s_load_b256 s[8:15], s[0:1], 0x8
	s_load_b32 s7, s[0:1], 0x0
	s_load_b32 s3, s[0:1], 0x28
	s_load_b128 s[24:27], s[0:1], 0x30
	s_load_b256 s[16:23], s[0:1], 0x50
	s_load_b64 s[36:37], s[0:1], 0x80
	s_wait_xcnt 0x0
	s_bfe_u32 s1, ttmp6, 0x4000c
	s_and_b32 s31, ttmp6, 15
	s_add_co_i32 s1, s1, 1
	v_dual_mov_b32 v3, 0 :: v_dual_bitop2_b32 v2, 31, v0 bitop3:0x40
	s_mul_i32 s1, ttmp9, s1
	v_lshrrev_b32_e32 v8, 3, v0
	s_add_co_i32 s31, s31, s1
	v_mbcnt_lo_u32_b32 v13, -1, 0
	v_lshlrev_b32_e32 v1, 2, v2
	v_cmp_eq_u32_e64 s0, 0, v0
	v_and_b32_e32 v14, 28, v8
	s_wait_kmcnt 0x0
	s_lshl_b64 s[4:5], s[4:5], 1
	s_lshl_b64 s[28:29], s[28:29], 2
	;; [unrolled: 1-line block ×3, first 2 shown]
	s_cmp_eq_u32 s2, 0
	v_cmp_gt_i32_e32 vcc_lo, s7, v0
	s_cselect_b32 s15, ttmp9, s31
	s_ashr_i32 s2, s7, 31
	s_add_nc_u64 s[26:27], s[26:27], s[4:5]
	s_lshr_b32 s2, s2, 24
	s_add_nc_u64 s[4:5], s[12:13], s[38:39]
	s_add_co_i32 s2, s7, s2
	s_add_nc_u64 s[22:23], s[22:23], s[28:29]
	s_and_b32 s14, s2, 0xffffff00
	s_delay_alu instid0(SALU_CYCLE_1)
	v_dual_cndmask_b32 v4, 0, v0, vcc_lo :: v_dual_bitop2_b32 v5, s14, v0 bitop3:0x54
	v_cmp_eq_u32_e64 s2, 0, v2
	s_mul_i32 s28, s30, s15
	s_mul_i32 s30, s3, s15
	v_lshlrev_b32_e32 v2, 1, v4
	v_mul_lo_u32 v4, s6, v5
	s_ashr_i32 s31, s30, 31
	v_mul_lo_u32 v12, v0, s6
	s_lshl_b64 s[30:31], s[30:31], 1
	v_add_nc_u64_e32 v[6:7], s[4:5], v[2:3]
	v_cmp_gt_i32_e64 s4, s7, v5
	v_cmp_gt_u32_e64 s1, 32, v0
	v_cmp_gt_i32_e64 s3, s14, v0
	v_cmp_gt_u32_e64 s5, 8, v0
	s_ashr_i32 s29, s28, 31
	s_ashr_i32 s15, s14, 31
	v_add_nc_u64_e32 v[6:7], s[30:31], v[6:7]
	s_add_nc_u64 s[30:31], s[38:39], s[30:31]
	v_ashrrev_i32_e32 v5, 31, v4
	s_add_nc_u64 s[12:13], s[12:13], s[30:31]
	s_lshl_b32 s38, s6, 8
	v_add_nc_u64_e32 v[8:9], s[12:13], v[2:3]
	v_lshl_or_b32 v2, v13, 2, 64
	s_lshl_b64 s[12:13], s[24:25], 1
	s_lshl_b64 s[28:29], s[28:29], 2
	s_branch .LBB486_4
.LBB486_2:                              ;   in Loop: Header=BB486_4 Depth=1
	s_wait_xcnt 0x0
	s_or_b32 exec_lo, exec_lo, s30
.LBB486_3:                              ;   in Loop: Header=BB486_4 Depth=1
	s_add_co_i32 s34, s34, 0x10000
	s_delay_alu instid0(SALU_CYCLE_1)
	s_cmp_lt_u32 s34, s33
	s_cbranch_scc0 .LBB486_34
.LBB486_4:                              ; =>This Loop Header: Depth=1
                                        ;     Child Loop BB486_23 Depth 2
	s_mul_u64 s[6:7], s[10:11], s[34:35]
	s_wait_xcnt 0x0
	s_mul_u64 s[30:31], s[20:21], s[34:35]
	s_lshl_b64 s[6:7], s[6:7], 2
	s_lshl_b64 s[30:31], s[30:31], 2
	s_add_nc_u64 s[6:7], s[8:9], s[6:7]
	s_add_nc_u64 s[30:31], s[18:19], s[30:31]
	s_clause 0x1
	global_load_b32 v15, v3, s[6:7]
	global_load_b32 v10, v3, s[30:31]
	s_wait_loadcnt 0x1
	v_cmp_eq_f32_e32 vcc_lo, 0, v15
	s_wait_loadcnt 0x0
	s_wait_xcnt 0x1
	v_cmp_eq_f32_e64 s6, 1.0, v10
	v_readfirstlane_b32 s39, v10
	s_and_b32 s6, vcc_lo, s6
	s_delay_alu instid0(SALU_CYCLE_1)
	s_and_b32 vcc_lo, exec_lo, s6
	s_cbranch_vccnz .LBB486_3
; %bb.5:                                ;   in Loop: Header=BB486_4 Depth=1
	v_cmp_neq_f32_e32 vcc_lo, 0, v15
	s_mul_u64 s[6:7], s[36:37], s[34:35]
	s_delay_alu instid0(SALU_CYCLE_1) | instskip(NEXT) | instid1(SALU_CYCLE_1)
	s_lshl_b64 s[6:7], s[6:7], 2
	s_add_nc_u64 s[6:7], s[22:23], s[6:7]
	s_cbranch_vccnz .LBB486_9
; %bb.6:                                ;   in Loop: Header=BB486_4 Depth=1
	s_wait_xcnt 0x0
	s_mov_b32 s30, 0
	s_mov_b32 s40, 0
                                        ; implicit-def: $vgpr10
	s_and_saveexec_b32 s31, s0
	s_cbranch_execz .LBB486_10
; %bb.7:                                ;   in Loop: Header=BB486_4 Depth=1
	s_cmp_eq_f32 s39, 0
	s_cbranch_scc1 .LBB486_11
; %bb.8:                                ;   in Loop: Header=BB486_4 Depth=1
	s_add_nc_u64 s[40:41], s[6:7], s[28:29]
	global_load_b32 v10, v3, s[40:41]
	s_wait_loadcnt 0x0
	v_mul_f32_e32 v10, s39, v10
	s_branch .LBB486_12
.LBB486_9:                              ;   in Loop: Header=BB486_4 Depth=1
	s_wait_xcnt 0x0
	s_mov_b32 s40, 0
                                        ; implicit-def: $vgpr10
	s_cbranch_execnz .LBB486_13
	s_branch .LBB486_32
.LBB486_10:                             ;   in Loop: Header=BB486_4 Depth=1
	s_or_b32 exec_lo, exec_lo, s31
	s_delay_alu instid0(SALU_CYCLE_1)
	s_and_b32 vcc_lo, exec_lo, s30
	s_cbranch_vccnz .LBB486_13
	s_branch .LBB486_32
.LBB486_11:                             ;   in Loop: Header=BB486_4 Depth=1
	v_mov_b32_e32 v10, 0
.LBB486_12:                             ;   in Loop: Header=BB486_4 Depth=1
	s_wait_xcnt 0x0
	s_mov_b32 s40, exec_lo
	s_or_b32 exec_lo, exec_lo, s31
	s_delay_alu instid0(SALU_CYCLE_1)
	s_and_b32 vcc_lo, exec_lo, s30
	s_cbranch_vccz .LBB486_32
.LBB486_13:                             ;   in Loop: Header=BB486_4 Depth=1
	s_mul_u64 s[30:31], s[16:17], s[34:35]
	v_mov_b32_e32 v16, 0
	s_lshl_b64 s[30:31], s[30:31], 1
	s_delay_alu instid0(SALU_CYCLE_1)
	s_add_nc_u64 s[30:31], s[26:27], s[30:31]
	s_and_saveexec_b32 s41, s3
	s_cbranch_execnz .LBB486_22
; %bb.14:                               ;   in Loop: Header=BB486_4 Depth=1
	s_or_b32 exec_lo, exec_lo, s41
	s_and_saveexec_b32 s41, s4
	s_cbranch_execnz .LBB486_25
.LBB486_15:                             ;   in Loop: Header=BB486_4 Depth=1
	s_or_b32 exec_lo, exec_lo, s41
	s_and_saveexec_b32 s30, s1
.LBB486_16:                             ;   in Loop: Header=BB486_4 Depth=1
	ds_store_b32 v1, v3
.LBB486_17:                             ;   in Loop: Header=BB486_4 Depth=1
	s_or_b32 exec_lo, exec_lo, s30
	ds_bpermute_b32 v10, v2, v16
	v_cmp_gt_u32_e32 vcc_lo, 24, v13
	s_wait_dscnt 0x0
	s_barrier_signal -1
	s_barrier_wait -1
	v_cndmask_b32_e64 v11, 0, 8, vcc_lo
	v_cmp_gt_u32_e32 vcc_lo, 28, v13
	s_delay_alu instid0(VALU_DEP_2)
	v_add_lshl_u32 v11, v11, v13, 2
	v_add_f32_e32 v16, v16, v10
	v_cndmask_b32_e64 v10, 0, 4, vcc_lo
	v_cmp_gt_u32_e32 vcc_lo, 30, v13
	ds_bpermute_b32 v11, v11, v16
	v_add_lshl_u32 v10, v10, v13, 2
	s_wait_dscnt 0x0
	v_add_f32_e32 v16, v16, v11
	v_cndmask_b32_e64 v11, 0, 2, vcc_lo
	v_cmp_ne_u32_e32 vcc_lo, 31, v13
	ds_bpermute_b32 v17, v10, v16
	v_add_lshl_u32 v11, v11, v13, 2
	v_add_co_ci_u32_e64 v18, null, 0, v13, vcc_lo
	s_wait_dscnt 0x0
	v_add_f32_e32 v16, v16, v17
	ds_bpermute_b32 v17, v11, v16
	s_wait_dscnt 0x0
	v_dual_add_f32 v17, v16, v17 :: v_dual_lshlrev_b32 v16, 2, v18
	ds_bpermute_b32 v18, v16, v17
	s_and_saveexec_b32 s30, s2
	s_cbranch_execz .LBB486_19
; %bb.18:                               ;   in Loop: Header=BB486_4 Depth=1
	s_wait_dscnt 0x0
	v_add_f32_e32 v17, v17, v18
	ds_store_b32 v14, v17
.LBB486_19:                             ;   in Loop: Header=BB486_4 Depth=1
	s_or_b32 exec_lo, exec_lo, s30
	v_mov_b32_e32 v17, 0
	s_wait_dscnt 0x0
	s_barrier_signal -1
	s_barrier_wait -1
	s_and_saveexec_b32 s30, s5
	s_cbranch_execnz .LBB486_26
; %bb.20:                               ;   in Loop: Header=BB486_4 Depth=1
	s_or_b32 exec_lo, exec_lo, s30
	s_and_saveexec_b32 s30, s1
	s_cbranch_execnz .LBB486_27
.LBB486_21:                             ;   in Loop: Header=BB486_4 Depth=1
	s_or_b32 exec_lo, exec_lo, s30
                                        ; implicit-def: $vgpr10
	s_and_saveexec_b32 s30, s0
	s_cbranch_execnz .LBB486_28
	s_branch .LBB486_31
.LBB486_22:                             ;   in Loop: Header=BB486_4 Depth=1
	v_mad_nc_u64_u32 v[10:11], s12, s34, v[8:9]
	s_wait_dscnt 0x0
	v_dual_mov_b32 v16, 0 :: v_dual_mov_b32 v17, v12
	v_mov_b32_e32 v18, v0
	s_mov_b32 s42, 0
	s_delay_alu instid0(VALU_DEP_3)
	v_mad_u32 v11, s13, s34, v11
.LBB486_23:                             ;   Parent Loop BB486_4 Depth=1
                                        ; =>  This Inner Loop Header: Depth=2
	global_load_u16 v19, v[10:11], off
	global_load_u16 v20, v17, s[30:31] scale_offset
	v_add_nc_u32_e32 v18, 0x100, v18
	s_wait_xcnt 0x1
	v_add_nc_u64_e32 v[10:11], 0x200, v[10:11]
	s_delay_alu instid0(VALU_DEP_2) | instskip(SKIP_3) | instid1(VALU_DEP_1)
	v_cmp_le_i32_e32 vcc_lo, s14, v18
	s_or_b32 s42, vcc_lo, s42
	s_wait_loadcnt 0x0
	v_mul_f16_e32 v19, v19, v20
	v_cvt_f32_f16_e32 v19, v19
	s_wait_xcnt 0x0
	s_delay_alu instid0(VALU_DEP_1)
	v_dual_add_f32 v16, v16, v19 :: v_dual_add_nc_u32 v17, s38, v17
	s_and_not1_b32 exec_lo, exec_lo, s42
	s_cbranch_execnz .LBB486_23
; %bb.24:                               ;   in Loop: Header=BB486_4 Depth=1
	s_or_b32 exec_lo, exec_lo, s42
	s_delay_alu instid0(SALU_CYCLE_1)
	s_or_b32 exec_lo, exec_lo, s41
	s_and_saveexec_b32 s41, s4
	s_cbranch_execz .LBB486_15
.LBB486_25:                             ;   in Loop: Header=BB486_4 Depth=1
	s_mul_u64 s[42:43], s[24:25], s[34:35]
	v_lshl_add_u64 v[18:19], v[4:5], 1, s[30:31]
	v_lshl_add_u64 v[10:11], s[42:43], 1, v[6:7]
	s_delay_alu instid0(VALU_DEP_1)
	v_lshl_add_u64 v[10:11], s[14:15], 1, v[10:11]
	s_wait_dscnt 0x0
	global_load_u16 v17, v[10:11], off
	global_load_u16 v20, v[18:19], off
	s_wait_loadcnt 0x0
	s_wait_xcnt 0x1
	v_mul_f16_e32 v10, v17, v20
	s_delay_alu instid0(VALU_DEP_1) | instskip(NEXT) | instid1(VALU_DEP_1)
	v_cvt_f32_f16_e32 v10, v10
	v_add_f32_e32 v16, v16, v10
	s_wait_xcnt 0x0
	s_or_b32 exec_lo, exec_lo, s41
	s_and_saveexec_b32 s30, s1
	s_cbranch_execnz .LBB486_16
	s_branch .LBB486_17
.LBB486_26:                             ;   in Loop: Header=BB486_4 Depth=1
	ds_load_b32 v17, v1
	s_or_b32 exec_lo, exec_lo, s30
	s_and_saveexec_b32 s30, s1
	s_cbranch_execz .LBB486_21
.LBB486_27:                             ;   in Loop: Header=BB486_4 Depth=1
	s_wait_dscnt 0x0
	ds_bpermute_b32 v10, v10, v17
	s_wait_dscnt 0x0
	v_add_f32_e32 v10, v17, v10
	ds_bpermute_b32 v11, v11, v10
	s_wait_dscnt 0x0
	v_add_f32_e32 v10, v10, v11
	;; [unrolled: 3-line block ×3, first 2 shown]
	s_or_b32 exec_lo, exec_lo, s30
                                        ; implicit-def: $vgpr10
	s_and_saveexec_b32 s30, s0
	s_cbranch_execz .LBB486_31
.LBB486_28:                             ;   in Loop: Header=BB486_4 Depth=1
	s_wait_dscnt 0x0
	v_mul_f32_e32 v10, v15, v17
	s_cmp_eq_f32 s39, 0
	s_cbranch_scc1 .LBB486_30
; %bb.29:                               ;   in Loop: Header=BB486_4 Depth=1
	s_add_nc_u64 s[42:43], s[6:7], s[28:29]
	global_load_b32 v11, v3, s[42:43]
	s_wait_loadcnt 0x0
	v_fmac_f32_e32 v10, s39, v11
.LBB486_30:                             ;   in Loop: Header=BB486_4 Depth=1
	s_or_b32 s40, s40, exec_lo
.LBB486_31:                             ;   in Loop: Header=BB486_4 Depth=1
	s_wait_xcnt 0x0
	s_or_b32 exec_lo, exec_lo, s30
.LBB486_32:                             ;   in Loop: Header=BB486_4 Depth=1
	s_and_saveexec_b32 s30, s40
	s_cbranch_execz .LBB486_2
; %bb.33:                               ;   in Loop: Header=BB486_4 Depth=1
	s_add_nc_u64 s[6:7], s[6:7], s[28:29]
	global_store_b32 v3, v10, s[6:7]
	s_branch .LBB486_2
.LBB486_34:
	s_endpgm
	.section	.rodata,"a",@progbits
	.p2align	6, 0x0
	.amdhsa_kernel _ZL32rocblas_gemvt_warp_reduce_kernelILb0ELi256EiDF16_PKffEviiT3_lPKT2_lT1_lS5_lS6_lS2_lPT4_lS6_li
		.amdhsa_group_segment_fixed_size 128
		.amdhsa_private_segment_fixed_size 0
		.amdhsa_kernarg_size 140
		.amdhsa_user_sgpr_count 2
		.amdhsa_user_sgpr_dispatch_ptr 0
		.amdhsa_user_sgpr_queue_ptr 0
		.amdhsa_user_sgpr_kernarg_segment_ptr 1
		.amdhsa_user_sgpr_dispatch_id 0
		.amdhsa_user_sgpr_kernarg_preload_length 0
		.amdhsa_user_sgpr_kernarg_preload_offset 0
		.amdhsa_user_sgpr_private_segment_size 0
		.amdhsa_wavefront_size32 1
		.amdhsa_uses_dynamic_stack 0
		.amdhsa_enable_private_segment 0
		.amdhsa_system_sgpr_workgroup_id_x 1
		.amdhsa_system_sgpr_workgroup_id_y 0
		.amdhsa_system_sgpr_workgroup_id_z 1
		.amdhsa_system_sgpr_workgroup_info 0
		.amdhsa_system_vgpr_workitem_id 0
		.amdhsa_next_free_vgpr 21
		.amdhsa_next_free_sgpr 44
		.amdhsa_named_barrier_count 0
		.amdhsa_reserve_vcc 1
		.amdhsa_float_round_mode_32 0
		.amdhsa_float_round_mode_16_64 0
		.amdhsa_float_denorm_mode_32 3
		.amdhsa_float_denorm_mode_16_64 3
		.amdhsa_fp16_overflow 0
		.amdhsa_memory_ordered 1
		.amdhsa_forward_progress 1
		.amdhsa_inst_pref_size 11
		.amdhsa_round_robin_scheduling 0
		.amdhsa_exception_fp_ieee_invalid_op 0
		.amdhsa_exception_fp_denorm_src 0
		.amdhsa_exception_fp_ieee_div_zero 0
		.amdhsa_exception_fp_ieee_overflow 0
		.amdhsa_exception_fp_ieee_underflow 0
		.amdhsa_exception_fp_ieee_inexact 0
		.amdhsa_exception_int_div_zero 0
	.end_amdhsa_kernel
	.section	.text._ZL32rocblas_gemvt_warp_reduce_kernelILb0ELi256EiDF16_PKffEviiT3_lPKT2_lT1_lS5_lS6_lS2_lPT4_lS6_li,"axG",@progbits,_ZL32rocblas_gemvt_warp_reduce_kernelILb0ELi256EiDF16_PKffEviiT3_lPKT2_lT1_lS5_lS6_lS2_lPT4_lS6_li,comdat
.Lfunc_end486:
	.size	_ZL32rocblas_gemvt_warp_reduce_kernelILb0ELi256EiDF16_PKffEviiT3_lPKT2_lT1_lS5_lS6_lS2_lPT4_lS6_li, .Lfunc_end486-_ZL32rocblas_gemvt_warp_reduce_kernelILb0ELi256EiDF16_PKffEviiT3_lPKT2_lT1_lS5_lS6_lS2_lPT4_lS6_li
                                        ; -- End function
	.set _ZL32rocblas_gemvt_warp_reduce_kernelILb0ELi256EiDF16_PKffEviiT3_lPKT2_lT1_lS5_lS6_lS2_lPT4_lS6_li.num_vgpr, 21
	.set _ZL32rocblas_gemvt_warp_reduce_kernelILb0ELi256EiDF16_PKffEviiT3_lPKT2_lT1_lS5_lS6_lS2_lPT4_lS6_li.num_agpr, 0
	.set _ZL32rocblas_gemvt_warp_reduce_kernelILb0ELi256EiDF16_PKffEviiT3_lPKT2_lT1_lS5_lS6_lS2_lPT4_lS6_li.numbered_sgpr, 44
	.set _ZL32rocblas_gemvt_warp_reduce_kernelILb0ELi256EiDF16_PKffEviiT3_lPKT2_lT1_lS5_lS6_lS2_lPT4_lS6_li.num_named_barrier, 0
	.set _ZL32rocblas_gemvt_warp_reduce_kernelILb0ELi256EiDF16_PKffEviiT3_lPKT2_lT1_lS5_lS6_lS2_lPT4_lS6_li.private_seg_size, 0
	.set _ZL32rocblas_gemvt_warp_reduce_kernelILb0ELi256EiDF16_PKffEviiT3_lPKT2_lT1_lS5_lS6_lS2_lPT4_lS6_li.uses_vcc, 1
	.set _ZL32rocblas_gemvt_warp_reduce_kernelILb0ELi256EiDF16_PKffEviiT3_lPKT2_lT1_lS5_lS6_lS2_lPT4_lS6_li.uses_flat_scratch, 0
	.set _ZL32rocblas_gemvt_warp_reduce_kernelILb0ELi256EiDF16_PKffEviiT3_lPKT2_lT1_lS5_lS6_lS2_lPT4_lS6_li.has_dyn_sized_stack, 0
	.set _ZL32rocblas_gemvt_warp_reduce_kernelILb0ELi256EiDF16_PKffEviiT3_lPKT2_lT1_lS5_lS6_lS2_lPT4_lS6_li.has_recursion, 0
	.set _ZL32rocblas_gemvt_warp_reduce_kernelILb0ELi256EiDF16_PKffEviiT3_lPKT2_lT1_lS5_lS6_lS2_lPT4_lS6_li.has_indirect_call, 0
	.section	.AMDGPU.csdata,"",@progbits
; Kernel info:
; codeLenInByte = 1408
; TotalNumSgprs: 46
; NumVgprs: 21
; ScratchSize: 0
; MemoryBound: 0
; FloatMode: 240
; IeeeMode: 1
; LDSByteSize: 128 bytes/workgroup (compile time only)
; SGPRBlocks: 0
; VGPRBlocks: 1
; NumSGPRsForWavesPerEU: 46
; NumVGPRsForWavesPerEU: 21
; NamedBarCnt: 0
; Occupancy: 16
; WaveLimiterHint : 0
; COMPUTE_PGM_RSRC2:SCRATCH_EN: 0
; COMPUTE_PGM_RSRC2:USER_SGPR: 2
; COMPUTE_PGM_RSRC2:TRAP_HANDLER: 0
; COMPUTE_PGM_RSRC2:TGID_X_EN: 1
; COMPUTE_PGM_RSRC2:TGID_Y_EN: 0
; COMPUTE_PGM_RSRC2:TGID_Z_EN: 1
; COMPUTE_PGM_RSRC2:TIDIG_COMP_CNT: 0
	.section	.text._ZL32rocblas_gemvt_warp_reduce_kernelILb0ELi256ElDF16_PKffEviiT3_lPKT2_lT1_lS5_lS6_lS2_lPT4_lS6_li,"axG",@progbits,_ZL32rocblas_gemvt_warp_reduce_kernelILb0ELi256ElDF16_PKffEviiT3_lPKT2_lT1_lS5_lS6_lS2_lPT4_lS6_li,comdat
	.globl	_ZL32rocblas_gemvt_warp_reduce_kernelILb0ELi256ElDF16_PKffEviiT3_lPKT2_lT1_lS5_lS6_lS2_lPT4_lS6_li ; -- Begin function _ZL32rocblas_gemvt_warp_reduce_kernelILb0ELi256ElDF16_PKffEviiT3_lPKT2_lT1_lS5_lS6_lS2_lPT4_lS6_li
	.p2align	8
	.type	_ZL32rocblas_gemvt_warp_reduce_kernelILb0ELi256ElDF16_PKffEviiT3_lPKT2_lT1_lS5_lS6_lS2_lPT4_lS6_li,@function
_ZL32rocblas_gemvt_warp_reduce_kernelILb0ELi256ElDF16_PKffEviiT3_lPKT2_lT1_lS5_lS6_lS2_lPT4_lS6_li: ; @_ZL32rocblas_gemvt_warp_reduce_kernelILb0ELi256ElDF16_PKffEviiT3_lPKT2_lT1_lS5_lS6_lS2_lPT4_lS6_li
; %bb.0:
	s_load_b32 s30, s[0:1], 0x88
	s_bfe_u32 s2, ttmp6, 0x40014
	s_lshr_b32 s3, ttmp7, 16
	s_add_co_i32 s2, s2, 1
	s_bfe_u32 s5, ttmp6, 0x40008
	s_mul_i32 s4, s3, s2
	s_getreg_b32 s2, hwreg(HW_REG_IB_STS2, 6, 4)
	s_add_co_i32 s5, s5, s4
	s_cmp_eq_u32 s2, 0
	s_mov_b32 s25, 0
	s_cselect_b32 s24, s3, s5
	s_wait_kmcnt 0x0
	s_cmp_ge_u32 s24, s30
	s_cbranch_scc1 .LBB487_34
; %bb.1:
	s_clause 0x2
	s_load_b512 s[8:23], s[0:1], 0x8
	s_load_b512 s[36:51], s[0:1], 0x48
	s_load_b32 s26, s[0:1], 0x0
	s_wait_xcnt 0x0
	s_bfe_u32 s0, ttmp6, 0x4000c
	s_and_b32 s1, ttmp6, 15
	s_add_co_i32 s0, s0, 1
	v_mbcnt_lo_u32_b32 v17, -1, 0
	s_mul_i32 s0, ttmp9, s0
	s_delay_alu instid0(SALU_CYCLE_1)
	s_add_co_i32 s3, s1, s0
	s_wait_kmcnt 0x0
	s_lshl_b64 s[0:1], s[22:23], 1
	s_lshl_b64 s[4:5], s[46:47], 2
	;; [unrolled: 1-line block ×3, first 2 shown]
	s_cmp_eq_u32 s2, 0
	v_cmp_gt_i32_e32 vcc_lo, s26, v0
	s_cselect_b32 s2, ttmp9, s3
	s_ashr_i32 s3, s26, 31
	s_add_nc_u64 s[22:23], s[12:13], s[6:7]
	s_lshr_b32 s3, s3, 24
	s_add_nc_u64 s[20:21], s[20:21], s[0:1]
	s_add_co_i32 s3, s26, s3
	v_cmp_eq_u32_e64 s0, 0, v0
	s_and_b32 s14, s3, 0xffffff00
	s_delay_alu instid0(SALU_CYCLE_1) | instskip(SKIP_3) | instid1(VALU_DEP_3)
	v_dual_mov_b32 v3, 0 :: v_dual_bitop2_b32 v8, s14, v0 bitop3:0x54
	v_cndmask_b32_e32 v2, 0, v0, vcc_lo
	s_ashr_i32 s3, s2, 31
	v_cmp_gt_i32_e64 s1, s14, v0
	v_dual_mov_b32 v1, v3 :: v_dual_ashrrev_i32 v9, 31, v8
	s_delay_alu instid0(VALU_DEP_3) | instskip(SKIP_2) | instid1(VALU_DEP_2)
	v_lshlrev_b32_e32 v2, 1, v2
	s_mul_u64 s[28:29], s[48:49], s[2:3]
	s_ashr_i32 s15, s14, 31
	v_mul_u64_e32 v[10:11], s[36:37], v[0:1]
	v_mul_u64_e32 v[4:5], s[36:37], v[8:9]
	v_add_nc_u64_e32 v[6:7], s[22:23], v[2:3]
	s_add_nc_u64 s[22:23], s[44:45], s[4:5]
	s_mul_u64 s[4:5], s[16:17], s[2:3]
	v_and_b32_e32 v9, 31, v0
	s_lshl_b64 s[16:17], s[4:5], 1
	v_cmp_gt_i32_e64 s2, s26, v8
	v_lshrrev_b32_e32 v8, 3, v0
	s_add_nc_u64 s[6:7], s[16:17], s[6:7]
	v_add_nc_u64_e32 v[6:7], s[16:17], v[6:7]
	s_add_nc_u64 s[6:7], s[12:13], s[6:7]
	s_delay_alu instid0(VALU_DEP_2)
	v_dual_lshlrev_b32 v1, 2, v9 :: v_dual_bitop2_b32 v16, 28, v8 bitop3:0x40
	v_cmp_eq_u32_e64 s4, 0, v9
	v_add_nc_u64_e32 v[8:9], s[6:7], v[2:3]
	v_cmp_gt_u32_e64 s3, 32, v0
	v_cmp_gt_u32_e64 s5, 8, v0
	v_lshl_or_b32 v2, v17, 2, 64
	s_lshl_b64 s[12:13], s[18:19], 1
	s_lshl_b64 s[16:17], s[38:39], 1
	s_lshl_b64 s[26:27], s[36:37], 9
	s_lshl_b64 s[28:29], s[28:29], 2
	v_lshl_add_u64 v[10:11], v[10:11], 1, s[20:21]
	s_branch .LBB487_4
.LBB487_2:                              ;   in Loop: Header=BB487_4 Depth=1
	s_wait_xcnt 0x0
	s_or_b32 exec_lo, exec_lo, s31
.LBB487_3:                              ;   in Loop: Header=BB487_4 Depth=1
	s_add_co_i32 s24, s24, 0x10000
	s_delay_alu instid0(SALU_CYCLE_1)
	s_cmp_lt_u32 s24, s30
	s_cbranch_scc0 .LBB487_34
.LBB487_4:                              ; =>This Loop Header: Depth=1
                                        ;     Child Loop BB487_23 Depth 2
	s_mul_u64 s[6:7], s[10:11], s[24:25]
	s_wait_xcnt 0x0
	s_mul_u64 s[34:35], s[42:43], s[24:25]
	s_lshl_b64 s[6:7], s[6:7], 2
	s_lshl_b64 s[34:35], s[34:35], 2
	s_add_nc_u64 s[6:7], s[8:9], s[6:7]
	s_add_nc_u64 s[34:35], s[40:41], s[34:35]
	s_clause 0x1
	global_load_b32 v18, v3, s[6:7]
	global_load_b32 v12, v3, s[34:35]
	s_wait_loadcnt 0x1
	v_cmp_eq_f32_e32 vcc_lo, 0, v18
	s_wait_loadcnt 0x0
	s_wait_xcnt 0x1
	v_cmp_eq_f32_e64 s6, 1.0, v12
	v_readfirstlane_b32 s31, v12
	s_and_b32 s6, vcc_lo, s6
	s_delay_alu instid0(SALU_CYCLE_1)
	s_and_b32 vcc_lo, exec_lo, s6
	s_cbranch_vccnz .LBB487_3
; %bb.5:                                ;   in Loop: Header=BB487_4 Depth=1
	v_cmp_neq_f32_e32 vcc_lo, 0, v18
	s_mul_u64 s[6:7], s[50:51], s[24:25]
	s_delay_alu instid0(SALU_CYCLE_1) | instskip(NEXT) | instid1(SALU_CYCLE_1)
	s_lshl_b64 s[6:7], s[6:7], 2
	s_add_nc_u64 s[6:7], s[22:23], s[6:7]
	s_cbranch_vccnz .LBB487_9
; %bb.6:                                ;   in Loop: Header=BB487_4 Depth=1
	s_wait_xcnt 0x0
	s_mov_b32 s34, 0
	s_mov_b32 s33, 0
                                        ; implicit-def: $vgpr12
	s_and_saveexec_b32 s35, s0
	s_cbranch_execz .LBB487_10
; %bb.7:                                ;   in Loop: Header=BB487_4 Depth=1
	s_cmp_eq_f32 s31, 0
	s_cbranch_scc1 .LBB487_11
; %bb.8:                                ;   in Loop: Header=BB487_4 Depth=1
	s_add_nc_u64 s[36:37], s[6:7], s[28:29]
	global_load_b32 v12, v3, s[36:37]
	s_wait_loadcnt 0x0
	v_mul_f32_e32 v12, s31, v12
	s_branch .LBB487_12
.LBB487_9:                              ;   in Loop: Header=BB487_4 Depth=1
	s_wait_xcnt 0x0
	s_mov_b32 s33, 0
                                        ; implicit-def: $vgpr12
	s_cbranch_execnz .LBB487_13
	s_branch .LBB487_32
.LBB487_10:                             ;   in Loop: Header=BB487_4 Depth=1
	s_or_b32 exec_lo, exec_lo, s35
	s_delay_alu instid0(SALU_CYCLE_1)
	s_and_b32 vcc_lo, exec_lo, s34
	s_cbranch_vccnz .LBB487_13
	s_branch .LBB487_32
.LBB487_11:                             ;   in Loop: Header=BB487_4 Depth=1
	v_mov_b32_e32 v12, 0
.LBB487_12:                             ;   in Loop: Header=BB487_4 Depth=1
	s_mov_b32 s33, exec_lo
	s_wait_xcnt 0x0
	s_or_b32 exec_lo, exec_lo, s35
	s_delay_alu instid0(SALU_CYCLE_1)
	s_and_b32 vcc_lo, exec_lo, s34
	s_cbranch_vccz .LBB487_32
.LBB487_13:                             ;   in Loop: Header=BB487_4 Depth=1
	v_mov_b32_e32 v19, 0
	s_and_saveexec_b32 s34, s1
	s_cbranch_execnz .LBB487_22
; %bb.14:                               ;   in Loop: Header=BB487_4 Depth=1
	s_or_b32 exec_lo, exec_lo, s34
	s_and_saveexec_b32 s34, s2
	s_cbranch_execnz .LBB487_25
.LBB487_15:                             ;   in Loop: Header=BB487_4 Depth=1
	s_or_b32 exec_lo, exec_lo, s34
	s_and_saveexec_b32 s34, s3
.LBB487_16:                             ;   in Loop: Header=BB487_4 Depth=1
	ds_store_b32 v1, v3
.LBB487_17:                             ;   in Loop: Header=BB487_4 Depth=1
	s_or_b32 exec_lo, exec_lo, s34
	ds_bpermute_b32 v12, v2, v19
	v_cmp_gt_u32_e32 vcc_lo, 24, v17
	s_wait_dscnt 0x0
	s_barrier_signal -1
	s_barrier_wait -1
	v_cndmask_b32_e64 v13, 0, 8, vcc_lo
	v_cmp_gt_u32_e32 vcc_lo, 28, v17
	s_delay_alu instid0(VALU_DEP_2)
	v_add_lshl_u32 v13, v13, v17, 2
	v_add_f32_e32 v14, v19, v12
	v_cndmask_b32_e64 v12, 0, 4, vcc_lo
	v_cmp_gt_u32_e32 vcc_lo, 30, v17
	ds_bpermute_b32 v13, v13, v14
	v_add_lshl_u32 v12, v12, v17, 2
	s_wait_dscnt 0x0
	v_add_f32_e32 v14, v14, v13
	v_cndmask_b32_e64 v13, 0, 2, vcc_lo
	v_cmp_ne_u32_e32 vcc_lo, 31, v17
	ds_bpermute_b32 v15, v12, v14
	v_add_lshl_u32 v13, v13, v17, 2
	v_add_co_ci_u32_e64 v19, null, 0, v17, vcc_lo
	s_wait_dscnt 0x0
	v_add_f32_e32 v14, v14, v15
	ds_bpermute_b32 v15, v13, v14
	s_wait_dscnt 0x0
	v_add_f32_e32 v15, v14, v15
	v_lshlrev_b32_e32 v14, 2, v19
	ds_bpermute_b32 v19, v14, v15
	s_and_saveexec_b32 s34, s4
	s_cbranch_execz .LBB487_19
; %bb.18:                               ;   in Loop: Header=BB487_4 Depth=1
	s_wait_dscnt 0x0
	v_add_f32_e32 v15, v15, v19
	ds_store_b32 v16, v15
.LBB487_19:                             ;   in Loop: Header=BB487_4 Depth=1
	s_or_b32 exec_lo, exec_lo, s34
	v_mov_b32_e32 v15, 0
	s_wait_dscnt 0x0
	s_barrier_signal -1
	s_barrier_wait -1
	s_and_saveexec_b32 s34, s5
	s_cbranch_execnz .LBB487_26
; %bb.20:                               ;   in Loop: Header=BB487_4 Depth=1
	s_or_b32 exec_lo, exec_lo, s34
	s_and_saveexec_b32 s34, s3
	s_cbranch_execnz .LBB487_27
.LBB487_21:                             ;   in Loop: Header=BB487_4 Depth=1
	s_or_b32 exec_lo, exec_lo, s34
                                        ; implicit-def: $vgpr12
	s_and_saveexec_b32 s34, s0
	s_cbranch_execnz .LBB487_28
	s_branch .LBB487_31
.LBB487_22:                             ;   in Loop: Header=BB487_4 Depth=1
	v_mad_nc_u64_u32 v[12:13], s12, s24, v[8:9]
	s_wait_dscnt 0x0
	v_mad_nc_u64_u32 v[14:15], s16, s24, v[10:11]
	v_dual_mov_b32 v19, 0 :: v_dual_mov_b32 v20, v0
	s_mov_b32 s35, 0
	s_delay_alu instid0(VALU_DEP_3) | instskip(NEXT) | instid1(VALU_DEP_3)
	v_mad_u32 v13, s13, s24, v13
	v_mad_u32 v15, s17, s24, v15
.LBB487_23:                             ;   Parent Loop BB487_4 Depth=1
                                        ; =>  This Inner Loop Header: Depth=2
	global_load_u16 v21, v[12:13], off
	global_load_u16 v22, v[14:15], off
	s_wait_xcnt 0x1
	v_add_nc_u64_e32 v[12:13], 0x200, v[12:13]
	s_wait_xcnt 0x0
	v_add_nc_u64_e32 v[14:15], s[26:27], v[14:15]
	s_wait_loadcnt 0x0
	v_mul_f16_e32 v21, v21, v22
	s_delay_alu instid0(VALU_DEP_1) | instskip(NEXT) | instid1(VALU_DEP_1)
	v_cvt_f32_f16_e32 v21, v21
	v_dual_add_f32 v19, v19, v21 :: v_dual_add_nc_u32 v20, 0x100, v20
	s_delay_alu instid0(VALU_DEP_1) | instskip(SKIP_1) | instid1(SALU_CYCLE_1)
	v_cmp_le_i32_e32 vcc_lo, s14, v20
	s_or_b32 s35, vcc_lo, s35
	s_and_not1_b32 exec_lo, exec_lo, s35
	s_cbranch_execnz .LBB487_23
; %bb.24:                               ;   in Loop: Header=BB487_4 Depth=1
	s_or_b32 exec_lo, exec_lo, s35
	s_delay_alu instid0(SALU_CYCLE_1)
	s_or_b32 exec_lo, exec_lo, s34
	s_and_saveexec_b32 s34, s2
	s_cbranch_execz .LBB487_15
.LBB487_25:                             ;   in Loop: Header=BB487_4 Depth=1
	s_mul_u64 s[36:37], s[18:19], s[24:25]
	s_mul_u64 s[44:45], s[38:39], s[24:25]
	v_lshl_add_u64 v[12:13], s[36:37], 1, v[6:7]
	s_lshl_b64 s[36:37], s[44:45], 1
	s_delay_alu instid0(SALU_CYCLE_1)
	s_add_nc_u64 s[36:37], s[20:21], s[36:37]
	s_wait_dscnt 0x0
	v_lshl_add_u64 v[14:15], v[4:5], 1, s[36:37]
	v_lshl_add_u64 v[12:13], s[14:15], 1, v[12:13]
	global_load_u16 v20, v[12:13], off
	global_load_u16 v21, v[14:15], off
	s_wait_loadcnt 0x0
	s_wait_xcnt 0x1
	v_mul_f16_e32 v12, v20, v21
	s_delay_alu instid0(VALU_DEP_1) | instskip(NEXT) | instid1(VALU_DEP_1)
	v_cvt_f32_f16_e32 v12, v12
	v_add_f32_e32 v19, v19, v12
	s_wait_xcnt 0x0
	s_or_b32 exec_lo, exec_lo, s34
	s_and_saveexec_b32 s34, s3
	s_cbranch_execnz .LBB487_16
	s_branch .LBB487_17
.LBB487_26:                             ;   in Loop: Header=BB487_4 Depth=1
	ds_load_b32 v15, v1
	s_or_b32 exec_lo, exec_lo, s34
	s_and_saveexec_b32 s34, s3
	s_cbranch_execz .LBB487_21
.LBB487_27:                             ;   in Loop: Header=BB487_4 Depth=1
	s_wait_dscnt 0x0
	ds_bpermute_b32 v12, v12, v15
	s_wait_dscnt 0x0
	v_add_f32_e32 v12, v15, v12
	ds_bpermute_b32 v13, v13, v12
	s_wait_dscnt 0x0
	v_add_f32_e32 v12, v12, v13
	;; [unrolled: 3-line block ×3, first 2 shown]
	s_or_b32 exec_lo, exec_lo, s34
                                        ; implicit-def: $vgpr12
	s_and_saveexec_b32 s34, s0
	s_cbranch_execz .LBB487_31
.LBB487_28:                             ;   in Loop: Header=BB487_4 Depth=1
	s_wait_dscnt 0x0
	v_mul_f32_e32 v12, v18, v15
	s_cmp_eq_f32 s31, 0
	s_cbranch_scc1 .LBB487_30
; %bb.29:                               ;   in Loop: Header=BB487_4 Depth=1
	s_add_nc_u64 s[36:37], s[6:7], s[28:29]
	global_load_b32 v13, v3, s[36:37]
	s_wait_loadcnt 0x0
	v_fmac_f32_e32 v12, s31, v13
.LBB487_30:                             ;   in Loop: Header=BB487_4 Depth=1
	s_or_b32 s33, s33, exec_lo
.LBB487_31:                             ;   in Loop: Header=BB487_4 Depth=1
	s_wait_xcnt 0x0
	s_or_b32 exec_lo, exec_lo, s34
.LBB487_32:                             ;   in Loop: Header=BB487_4 Depth=1
	s_and_saveexec_b32 s31, s33
	s_cbranch_execz .LBB487_2
; %bb.33:                               ;   in Loop: Header=BB487_4 Depth=1
	s_add_nc_u64 s[6:7], s[6:7], s[28:29]
	global_store_b32 v3, v12, s[6:7]
	s_branch .LBB487_2
.LBB487_34:
	s_endpgm
	.section	.rodata,"a",@progbits
	.p2align	6, 0x0
	.amdhsa_kernel _ZL32rocblas_gemvt_warp_reduce_kernelILb0ELi256ElDF16_PKffEviiT3_lPKT2_lT1_lS5_lS6_lS2_lPT4_lS6_li
		.amdhsa_group_segment_fixed_size 128
		.amdhsa_private_segment_fixed_size 0
		.amdhsa_kernarg_size 140
		.amdhsa_user_sgpr_count 2
		.amdhsa_user_sgpr_dispatch_ptr 0
		.amdhsa_user_sgpr_queue_ptr 0
		.amdhsa_user_sgpr_kernarg_segment_ptr 1
		.amdhsa_user_sgpr_dispatch_id 0
		.amdhsa_user_sgpr_kernarg_preload_length 0
		.amdhsa_user_sgpr_kernarg_preload_offset 0
		.amdhsa_user_sgpr_private_segment_size 0
		.amdhsa_wavefront_size32 1
		.amdhsa_uses_dynamic_stack 0
		.amdhsa_enable_private_segment 0
		.amdhsa_system_sgpr_workgroup_id_x 1
		.amdhsa_system_sgpr_workgroup_id_y 0
		.amdhsa_system_sgpr_workgroup_id_z 1
		.amdhsa_system_sgpr_workgroup_info 0
		.amdhsa_system_vgpr_workitem_id 0
		.amdhsa_next_free_vgpr 23
		.amdhsa_next_free_sgpr 52
		.amdhsa_named_barrier_count 0
		.amdhsa_reserve_vcc 1
		.amdhsa_float_round_mode_32 0
		.amdhsa_float_round_mode_16_64 0
		.amdhsa_float_denorm_mode_32 3
		.amdhsa_float_denorm_mode_16_64 3
		.amdhsa_fp16_overflow 0
		.amdhsa_memory_ordered 1
		.amdhsa_forward_progress 1
		.amdhsa_inst_pref_size 11
		.amdhsa_round_robin_scheduling 0
		.amdhsa_exception_fp_ieee_invalid_op 0
		.amdhsa_exception_fp_denorm_src 0
		.amdhsa_exception_fp_ieee_div_zero 0
		.amdhsa_exception_fp_ieee_overflow 0
		.amdhsa_exception_fp_ieee_underflow 0
		.amdhsa_exception_fp_ieee_inexact 0
		.amdhsa_exception_int_div_zero 0
	.end_amdhsa_kernel
	.section	.text._ZL32rocblas_gemvt_warp_reduce_kernelILb0ELi256ElDF16_PKffEviiT3_lPKT2_lT1_lS5_lS6_lS2_lPT4_lS6_li,"axG",@progbits,_ZL32rocblas_gemvt_warp_reduce_kernelILb0ELi256ElDF16_PKffEviiT3_lPKT2_lT1_lS5_lS6_lS2_lPT4_lS6_li,comdat
.Lfunc_end487:
	.size	_ZL32rocblas_gemvt_warp_reduce_kernelILb0ELi256ElDF16_PKffEviiT3_lPKT2_lT1_lS5_lS6_lS2_lPT4_lS6_li, .Lfunc_end487-_ZL32rocblas_gemvt_warp_reduce_kernelILb0ELi256ElDF16_PKffEviiT3_lPKT2_lT1_lS5_lS6_lS2_lPT4_lS6_li
                                        ; -- End function
	.set _ZL32rocblas_gemvt_warp_reduce_kernelILb0ELi256ElDF16_PKffEviiT3_lPKT2_lT1_lS5_lS6_lS2_lPT4_lS6_li.num_vgpr, 23
	.set _ZL32rocblas_gemvt_warp_reduce_kernelILb0ELi256ElDF16_PKffEviiT3_lPKT2_lT1_lS5_lS6_lS2_lPT4_lS6_li.num_agpr, 0
	.set _ZL32rocblas_gemvt_warp_reduce_kernelILb0ELi256ElDF16_PKffEviiT3_lPKT2_lT1_lS5_lS6_lS2_lPT4_lS6_li.numbered_sgpr, 52
	.set _ZL32rocblas_gemvt_warp_reduce_kernelILb0ELi256ElDF16_PKffEviiT3_lPKT2_lT1_lS5_lS6_lS2_lPT4_lS6_li.num_named_barrier, 0
	.set _ZL32rocblas_gemvt_warp_reduce_kernelILb0ELi256ElDF16_PKffEviiT3_lPKT2_lT1_lS5_lS6_lS2_lPT4_lS6_li.private_seg_size, 0
	.set _ZL32rocblas_gemvt_warp_reduce_kernelILb0ELi256ElDF16_PKffEviiT3_lPKT2_lT1_lS5_lS6_lS2_lPT4_lS6_li.uses_vcc, 1
	.set _ZL32rocblas_gemvt_warp_reduce_kernelILb0ELi256ElDF16_PKffEviiT3_lPKT2_lT1_lS5_lS6_lS2_lPT4_lS6_li.uses_flat_scratch, 0
	.set _ZL32rocblas_gemvt_warp_reduce_kernelILb0ELi256ElDF16_PKffEviiT3_lPKT2_lT1_lS5_lS6_lS2_lPT4_lS6_li.has_dyn_sized_stack, 0
	.set _ZL32rocblas_gemvt_warp_reduce_kernelILb0ELi256ElDF16_PKffEviiT3_lPKT2_lT1_lS5_lS6_lS2_lPT4_lS6_li.has_recursion, 0
	.set _ZL32rocblas_gemvt_warp_reduce_kernelILb0ELi256ElDF16_PKffEviiT3_lPKT2_lT1_lS5_lS6_lS2_lPT4_lS6_li.has_indirect_call, 0
	.section	.AMDGPU.csdata,"",@progbits
; Kernel info:
; codeLenInByte = 1396
; TotalNumSgprs: 54
; NumVgprs: 23
; ScratchSize: 0
; MemoryBound: 0
; FloatMode: 240
; IeeeMode: 1
; LDSByteSize: 128 bytes/workgroup (compile time only)
; SGPRBlocks: 0
; VGPRBlocks: 1
; NumSGPRsForWavesPerEU: 54
; NumVGPRsForWavesPerEU: 23
; NamedBarCnt: 0
; Occupancy: 16
; WaveLimiterHint : 0
; COMPUTE_PGM_RSRC2:SCRATCH_EN: 0
; COMPUTE_PGM_RSRC2:USER_SGPR: 2
; COMPUTE_PGM_RSRC2:TRAP_HANDLER: 0
; COMPUTE_PGM_RSRC2:TGID_X_EN: 1
; COMPUTE_PGM_RSRC2:TGID_Y_EN: 0
; COMPUTE_PGM_RSRC2:TGID_Z_EN: 1
; COMPUTE_PGM_RSRC2:TIDIG_COMP_CNT: 0
	.section	.text._ZL32rocblas_gemvt_warp_reduce_kernelILb0ELi256EiDF16_ffEviiT3_lPKT2_lT1_lS3_lS4_lS0_lPT4_lS4_li,"axG",@progbits,_ZL32rocblas_gemvt_warp_reduce_kernelILb0ELi256EiDF16_ffEviiT3_lPKT2_lT1_lS3_lS4_lS0_lPT4_lS4_li,comdat
	.globl	_ZL32rocblas_gemvt_warp_reduce_kernelILb0ELi256EiDF16_ffEviiT3_lPKT2_lT1_lS3_lS4_lS0_lPT4_lS4_li ; -- Begin function _ZL32rocblas_gemvt_warp_reduce_kernelILb0ELi256EiDF16_ffEviiT3_lPKT2_lT1_lS3_lS4_lS0_lPT4_lS4_li
	.p2align	8
	.type	_ZL32rocblas_gemvt_warp_reduce_kernelILb0ELi256EiDF16_ffEviiT3_lPKT2_lT1_lS3_lS4_lS0_lPT4_lS4_li,@function
_ZL32rocblas_gemvt_warp_reduce_kernelILb0ELi256EiDF16_ffEviiT3_lPKT2_lT1_lS3_lS4_lS0_lPT4_lS4_li: ; @_ZL32rocblas_gemvt_warp_reduce_kernelILb0ELi256EiDF16_ffEviiT3_lPKT2_lT1_lS3_lS4_lS0_lPT4_lS4_li
; %bb.0:
	s_load_b32 s19, s[0:1], 0x88
	s_bfe_u32 s2, ttmp6, 0x40014
	s_lshr_b32 s3, ttmp7, 16
	s_add_co_i32 s2, s2, 1
	s_bfe_u32 s4, ttmp6, 0x40008
	s_mul_i32 s2, s3, s2
	s_getreg_b32 s23, hwreg(HW_REG_IB_STS2, 6, 4)
	s_add_co_i32 s4, s4, s2
	s_cmp_eq_u32 s23, 0
	s_mov_b32 s25, 0
	s_cselect_b32 s24, s3, s4
	s_wait_kmcnt 0x0
	s_cmp_ge_u32 s24, s19
	s_cbranch_scc1 .LBB488_34
; %bb.1:
	s_clause 0x7
	s_load_b96 s[20:22], s[0:1], 0x40
	s_load_b128 s[4:7], s[0:1], 0x68
	s_load_b128 s[12:15], s[0:1], 0x18
	s_load_b32 s30, s[0:1], 0x8
	s_load_b96 s[16:18], s[0:1], 0x50
	s_load_b128 s[8:11], s[0:1], 0x30
	s_load_b32 s35, s[0:1], 0x0
	s_load_b32 s36, s[0:1], 0x28
	v_dual_mov_b32 v3, 0 :: v_dual_bitop2_b32 v2, 31, v0 bitop3:0x40
	v_lshrrev_b32_e32 v4, 3, v0
	v_mbcnt_lo_u32_b32 v1, -1, 0
	v_cmp_gt_u32_e64 s2, 8, v0
	s_delay_alu instid0(VALU_DEP_4)
	v_lshlrev_b32_e32 v12, 2, v2
	v_cmp_eq_u32_e64 s3, 0, v2
	s_wait_kmcnt 0x0
	s_lshl_b64 s[20:21], s[20:21], 1
	s_lshl_b64 s[28:29], s[6:7], 2
	;; [unrolled: 1-line block ×3, first 2 shown]
	s_cmp_eq_f32 s30, 0
	s_clause 0x1
	s_load_b32 s37, s[0:1], 0x78
	s_load_b64 s[6:7], s[0:1], 0x80
	s_add_nc_u64 s[10:11], s[10:11], s[20:21]
	v_cmp_gt_i32_e32 vcc_lo, s35, v0
	s_cselect_b32 s31, -1, 0
	s_cmp_neq_f32 s30, 0
	v_mul_lo_u32 v14, v0, s22
	s_wait_xcnt 0x0
	v_cmp_eq_u32_e64 s0, 0, v0
	v_cmp_gt_u32_e64 s1, 32, v0
	s_cselect_b32 s14, -1, 0
	s_cmp_neq_f32 s18, 1.0
	s_cselect_b32 s15, -1, 0
	s_delay_alu instid0(SALU_CYCLE_1)
	s_or_b32 s33, s14, s15
	s_cmp_neq_f32 s18, 0
	s_cselect_b32 s34, -1, 0
	s_bfe_u32 s14, ttmp6, 0x4000c
	s_and_b32 s15, ttmp6, 15
	s_add_co_i32 s14, s14, 1
	s_delay_alu instid0(SALU_CYCLE_1) | instskip(NEXT) | instid1(SALU_CYCLE_1)
	s_mul_i32 s14, ttmp9, s14
	s_add_co_i32 s20, s15, s14
	s_cmp_eq_u32 s23, 0
	s_add_nc_u64 s[14:15], s[4:5], s[28:29]
	s_cselect_b32 s21, ttmp9, s20
	s_ashr_i32 s4, s35, 31
	s_wait_kmcnt 0x0
	s_mul_i32 s28, s37, s21
	s_lshr_b32 s20, s4, 24
	s_add_nc_u64 s[4:5], s[12:13], s[26:27]
	s_add_co_i32 s20, s35, s20
	s_ashr_i32 s29, s28, 31
	s_and_b32 s20, s20, 0xffffff00
	s_delay_alu instid0(SALU_CYCLE_1) | instskip(NEXT) | instid1(VALU_DEP_1)
	v_dual_cndmask_b32 v2, 0, v0, vcc_lo :: v_dual_bitop2_b32 v5, s20, v0 bitop3:0x54
	v_dual_lshlrev_b32 v2, 1, v2 :: v_dual_bitop2_b32 v13, 28, v4 bitop3:0x40
	s_delay_alu instid0(VALU_DEP_2) | instskip(NEXT) | instid1(VALU_DEP_2)
	v_mul_lo_u32 v4, s22, v5
	v_add_nc_u64_e32 v[6:7], s[4:5], v[2:3]
	s_mul_i32 s4, s36, s21
	s_ashr_i32 s21, s20, 31
	s_ashr_i32 s5, s4, 31
	s_delay_alu instid0(SALU_CYCLE_1) | instskip(NEXT) | instid1(SALU_CYCLE_1)
	s_lshl_b64 s[4:5], s[4:5], 1
	s_add_nc_u64 s[26:27], s[26:27], s[4:5]
	s_delay_alu instid0(VALU_DEP_1)
	v_add_nc_u64_e32 v[6:7], s[4:5], v[6:7]
	s_add_nc_u64 s[12:13], s[12:13], s[26:27]
	v_cmp_gt_i32_e64 s4, s20, v0
	v_add_nc_u64_e32 v[8:9], s[12:13], v[2:3]
	v_cmp_gt_i32_e64 s5, s35, v5
	v_ashrrev_i32_e32 v5, 31, v4
	v_lshl_or_b32 v2, v1, 2, 64
	s_lshl_b64 s[12:13], s[8:9], 1
	s_lshl_b32 s35, s22, 8
	s_lshl_b64 s[22:23], s[28:29], 2
	s_branch .LBB488_4
.LBB488_2:                              ;   in Loop: Header=BB488_4 Depth=1
	s_wait_xcnt 0x0
	s_or_b32 exec_lo, exec_lo, s28
.LBB488_3:                              ;   in Loop: Header=BB488_4 Depth=1
	s_add_co_i32 s24, s24, 0x10000
	s_delay_alu instid0(SALU_CYCLE_1)
	s_cmp_lt_u32 s24, s19
	s_cbranch_scc0 .LBB488_34
.LBB488_4:                              ; =>This Loop Header: Depth=1
                                        ;     Child Loop BB488_23 Depth 2
	s_and_not1_b32 vcc_lo, exec_lo, s33
	s_cbranch_vccnz .LBB488_3
; %bb.5:                                ;   in Loop: Header=BB488_4 Depth=1
	s_mul_u64 s[26:27], s[6:7], s[24:25]
	s_and_not1_b32 vcc_lo, exec_lo, s31
	s_lshl_b64 s[26:27], s[26:27], 2
	s_delay_alu instid0(SALU_CYCLE_1)
	s_add_nc_u64 s[26:27], s[14:15], s[26:27]
	s_cbranch_vccnz .LBB488_9
; %bb.6:                                ;   in Loop: Header=BB488_4 Depth=1
	s_mov_b32 s28, 0
	s_mov_b32 s36, 0
                                        ; implicit-def: $vgpr10
	s_and_saveexec_b32 s29, s0
	s_cbranch_execz .LBB488_10
; %bb.7:                                ;   in Loop: Header=BB488_4 Depth=1
	s_and_not1_b32 vcc_lo, exec_lo, s34
	s_cbranch_vccnz .LBB488_11
; %bb.8:                                ;   in Loop: Header=BB488_4 Depth=1
	s_add_nc_u64 s[36:37], s[26:27], s[22:23]
	global_load_b32 v10, v3, s[36:37]
	s_wait_loadcnt 0x0
	v_mul_f32_e32 v10, s18, v10
	s_branch .LBB488_12
.LBB488_9:                              ;   in Loop: Header=BB488_4 Depth=1
	s_mov_b32 s36, 0
                                        ; implicit-def: $vgpr10
	s_cbranch_execnz .LBB488_13
	s_branch .LBB488_32
.LBB488_10:                             ;   in Loop: Header=BB488_4 Depth=1
	s_or_b32 exec_lo, exec_lo, s29
	s_delay_alu instid0(SALU_CYCLE_1)
	s_and_b32 vcc_lo, exec_lo, s28
	s_cbranch_vccnz .LBB488_13
	s_branch .LBB488_32
.LBB488_11:                             ;   in Loop: Header=BB488_4 Depth=1
	v_mov_b32_e32 v10, 0
.LBB488_12:                             ;   in Loop: Header=BB488_4 Depth=1
	s_wait_xcnt 0x0
	s_mov_b32 s36, exec_lo
	s_or_b32 exec_lo, exec_lo, s29
	s_delay_alu instid0(SALU_CYCLE_1)
	s_and_b32 vcc_lo, exec_lo, s28
	s_cbranch_vccz .LBB488_32
.LBB488_13:                             ;   in Loop: Header=BB488_4 Depth=1
	s_mul_u64 s[28:29], s[16:17], s[24:25]
	v_mov_b32_e32 v15, 0
	s_lshl_b64 s[28:29], s[28:29], 1
	s_delay_alu instid0(SALU_CYCLE_1)
	s_add_nc_u64 s[28:29], s[10:11], s[28:29]
	s_and_saveexec_b32 s37, s4
	s_cbranch_execnz .LBB488_22
; %bb.14:                               ;   in Loop: Header=BB488_4 Depth=1
	s_or_b32 exec_lo, exec_lo, s37
	s_and_saveexec_b32 s37, s5
	s_cbranch_execnz .LBB488_25
.LBB488_15:                             ;   in Loop: Header=BB488_4 Depth=1
	s_or_b32 exec_lo, exec_lo, s37
	s_and_saveexec_b32 s28, s1
.LBB488_16:                             ;   in Loop: Header=BB488_4 Depth=1
	ds_store_b32 v12, v3
.LBB488_17:                             ;   in Loop: Header=BB488_4 Depth=1
	s_or_b32 exec_lo, exec_lo, s28
	ds_bpermute_b32 v10, v2, v15
	v_cmp_gt_u32_e32 vcc_lo, 24, v1
	s_wait_dscnt 0x0
	s_barrier_signal -1
	s_barrier_wait -1
	v_cndmask_b32_e64 v11, 0, 8, vcc_lo
	v_cmp_gt_u32_e32 vcc_lo, 28, v1
	s_delay_alu instid0(VALU_DEP_2)
	v_add_lshl_u32 v11, v11, v1, 2
	v_add_f32_e32 v15, v15, v10
	v_cndmask_b32_e64 v10, 0, 4, vcc_lo
	v_cmp_gt_u32_e32 vcc_lo, 30, v1
	ds_bpermute_b32 v11, v11, v15
	v_add_lshl_u32 v10, v10, v1, 2
	s_wait_dscnt 0x0
	v_add_f32_e32 v15, v15, v11
	v_cndmask_b32_e64 v11, 0, 2, vcc_lo
	v_cmp_ne_u32_e32 vcc_lo, 31, v1
	ds_bpermute_b32 v16, v10, v15
	v_add_lshl_u32 v11, v11, v1, 2
	v_add_co_ci_u32_e64 v17, null, 0, v1, vcc_lo
	s_wait_dscnt 0x0
	v_add_f32_e32 v15, v15, v16
	ds_bpermute_b32 v16, v11, v15
	s_wait_dscnt 0x0
	v_dual_add_f32 v16, v15, v16 :: v_dual_lshlrev_b32 v15, 2, v17
	ds_bpermute_b32 v17, v15, v16
	s_and_saveexec_b32 s28, s3
	s_cbranch_execz .LBB488_19
; %bb.18:                               ;   in Loop: Header=BB488_4 Depth=1
	s_wait_dscnt 0x0
	v_add_f32_e32 v16, v16, v17
	ds_store_b32 v13, v16
.LBB488_19:                             ;   in Loop: Header=BB488_4 Depth=1
	s_or_b32 exec_lo, exec_lo, s28
	v_mov_b32_e32 v16, 0
	s_wait_dscnt 0x0
	s_barrier_signal -1
	s_barrier_wait -1
	s_and_saveexec_b32 s28, s2
	s_cbranch_execnz .LBB488_26
; %bb.20:                               ;   in Loop: Header=BB488_4 Depth=1
	s_or_b32 exec_lo, exec_lo, s28
	s_and_saveexec_b32 s28, s1
	s_cbranch_execnz .LBB488_27
.LBB488_21:                             ;   in Loop: Header=BB488_4 Depth=1
	s_or_b32 exec_lo, exec_lo, s28
                                        ; implicit-def: $vgpr10
	s_and_saveexec_b32 s28, s0
	s_cbranch_execnz .LBB488_28
	s_branch .LBB488_31
.LBB488_22:                             ;   in Loop: Header=BB488_4 Depth=1
	v_mad_nc_u64_u32 v[10:11], s12, s24, v[8:9]
	s_wait_dscnt 0x0
	v_dual_mov_b32 v15, 0 :: v_dual_mov_b32 v16, v14
	v_mov_b32_e32 v17, v0
	s_mov_b32 s38, 0
	s_delay_alu instid0(VALU_DEP_3)
	v_mad_u32 v11, s13, s24, v11
.LBB488_23:                             ;   Parent Loop BB488_4 Depth=1
                                        ; =>  This Inner Loop Header: Depth=2
	global_load_u16 v18, v[10:11], off
	global_load_u16 v19, v16, s[28:29] scale_offset
	v_add_nc_u32_e32 v17, 0x100, v17
	s_wait_xcnt 0x1
	v_add_nc_u64_e32 v[10:11], 0x200, v[10:11]
	s_delay_alu instid0(VALU_DEP_2) | instskip(SKIP_3) | instid1(VALU_DEP_1)
	v_cmp_le_i32_e32 vcc_lo, s20, v17
	s_or_b32 s38, vcc_lo, s38
	s_wait_loadcnt 0x0
	v_mul_f16_e32 v18, v18, v19
	v_cvt_f32_f16_e32 v18, v18
	s_wait_xcnt 0x0
	s_delay_alu instid0(VALU_DEP_1)
	v_dual_add_f32 v15, v15, v18 :: v_dual_add_nc_u32 v16, s35, v16
	s_and_not1_b32 exec_lo, exec_lo, s38
	s_cbranch_execnz .LBB488_23
; %bb.24:                               ;   in Loop: Header=BB488_4 Depth=1
	s_or_b32 exec_lo, exec_lo, s38
	s_delay_alu instid0(SALU_CYCLE_1)
	s_or_b32 exec_lo, exec_lo, s37
	s_and_saveexec_b32 s37, s5
	s_cbranch_execz .LBB488_15
.LBB488_25:                             ;   in Loop: Header=BB488_4 Depth=1
	s_mul_u64 s[38:39], s[8:9], s[24:25]
	s_wait_dscnt 0x0
	v_lshl_add_u64 v[16:17], v[4:5], 1, s[28:29]
	v_lshl_add_u64 v[10:11], s[38:39], 1, v[6:7]
	s_delay_alu instid0(VALU_DEP_1)
	v_lshl_add_u64 v[10:11], s[20:21], 1, v[10:11]
	global_load_u16 v18, v[10:11], off
	global_load_u16 v19, v[16:17], off
	s_wait_loadcnt 0x0
	s_wait_xcnt 0x1
	v_mul_f16_e32 v10, v18, v19
	s_delay_alu instid0(VALU_DEP_1) | instskip(NEXT) | instid1(VALU_DEP_1)
	v_cvt_f32_f16_e32 v10, v10
	v_add_f32_e32 v15, v15, v10
	s_wait_xcnt 0x0
	s_or_b32 exec_lo, exec_lo, s37
	s_and_saveexec_b32 s28, s1
	s_cbranch_execnz .LBB488_16
	s_branch .LBB488_17
.LBB488_26:                             ;   in Loop: Header=BB488_4 Depth=1
	ds_load_b32 v16, v12
	s_or_b32 exec_lo, exec_lo, s28
	s_and_saveexec_b32 s28, s1
	s_cbranch_execz .LBB488_21
.LBB488_27:                             ;   in Loop: Header=BB488_4 Depth=1
	s_wait_dscnt 0x0
	ds_bpermute_b32 v10, v10, v16
	s_wait_dscnt 0x0
	v_add_f32_e32 v10, v16, v10
	ds_bpermute_b32 v11, v11, v10
	s_wait_dscnt 0x0
	v_add_f32_e32 v10, v10, v11
	;; [unrolled: 3-line block ×3, first 2 shown]
	s_or_b32 exec_lo, exec_lo, s28
                                        ; implicit-def: $vgpr10
	s_and_saveexec_b32 s28, s0
	s_cbranch_execz .LBB488_31
.LBB488_28:                             ;   in Loop: Header=BB488_4 Depth=1
	s_wait_dscnt 0x0
	v_mul_f32_e32 v10, s30, v16
	s_and_not1_b32 vcc_lo, exec_lo, s34
	s_cbranch_vccnz .LBB488_30
; %bb.29:                               ;   in Loop: Header=BB488_4 Depth=1
	s_add_nc_u64 s[38:39], s[26:27], s[22:23]
	global_load_b32 v11, v3, s[38:39]
	s_wait_loadcnt 0x0
	v_fmac_f32_e32 v10, s18, v11
.LBB488_30:                             ;   in Loop: Header=BB488_4 Depth=1
	s_or_b32 s36, s36, exec_lo
.LBB488_31:                             ;   in Loop: Header=BB488_4 Depth=1
	s_wait_xcnt 0x0
	s_or_b32 exec_lo, exec_lo, s28
.LBB488_32:                             ;   in Loop: Header=BB488_4 Depth=1
	s_and_saveexec_b32 s28, s36
	s_cbranch_execz .LBB488_2
; %bb.33:                               ;   in Loop: Header=BB488_4 Depth=1
	s_add_nc_u64 s[26:27], s[26:27], s[22:23]
	global_store_b32 v3, v10, s[26:27]
	s_branch .LBB488_2
.LBB488_34:
	s_endpgm
	.section	.rodata,"a",@progbits
	.p2align	6, 0x0
	.amdhsa_kernel _ZL32rocblas_gemvt_warp_reduce_kernelILb0ELi256EiDF16_ffEviiT3_lPKT2_lT1_lS3_lS4_lS0_lPT4_lS4_li
		.amdhsa_group_segment_fixed_size 128
		.amdhsa_private_segment_fixed_size 0
		.amdhsa_kernarg_size 140
		.amdhsa_user_sgpr_count 2
		.amdhsa_user_sgpr_dispatch_ptr 0
		.amdhsa_user_sgpr_queue_ptr 0
		.amdhsa_user_sgpr_kernarg_segment_ptr 1
		.amdhsa_user_sgpr_dispatch_id 0
		.amdhsa_user_sgpr_kernarg_preload_length 0
		.amdhsa_user_sgpr_kernarg_preload_offset 0
		.amdhsa_user_sgpr_private_segment_size 0
		.amdhsa_wavefront_size32 1
		.amdhsa_uses_dynamic_stack 0
		.amdhsa_enable_private_segment 0
		.amdhsa_system_sgpr_workgroup_id_x 1
		.amdhsa_system_sgpr_workgroup_id_y 0
		.amdhsa_system_sgpr_workgroup_id_z 1
		.amdhsa_system_sgpr_workgroup_info 0
		.amdhsa_system_vgpr_workitem_id 0
		.amdhsa_next_free_vgpr 20
		.amdhsa_next_free_sgpr 40
		.amdhsa_named_barrier_count 0
		.amdhsa_reserve_vcc 1
		.amdhsa_float_round_mode_32 0
		.amdhsa_float_round_mode_16_64 0
		.amdhsa_float_denorm_mode_32 3
		.amdhsa_float_denorm_mode_16_64 3
		.amdhsa_fp16_overflow 0
		.amdhsa_memory_ordered 1
		.amdhsa_forward_progress 1
		.amdhsa_inst_pref_size 11
		.amdhsa_round_robin_scheduling 0
		.amdhsa_exception_fp_ieee_invalid_op 0
		.amdhsa_exception_fp_denorm_src 0
		.amdhsa_exception_fp_ieee_div_zero 0
		.amdhsa_exception_fp_ieee_overflow 0
		.amdhsa_exception_fp_ieee_underflow 0
		.amdhsa_exception_fp_ieee_inexact 0
		.amdhsa_exception_int_div_zero 0
	.end_amdhsa_kernel
	.section	.text._ZL32rocblas_gemvt_warp_reduce_kernelILb0ELi256EiDF16_ffEviiT3_lPKT2_lT1_lS3_lS4_lS0_lPT4_lS4_li,"axG",@progbits,_ZL32rocblas_gemvt_warp_reduce_kernelILb0ELi256EiDF16_ffEviiT3_lPKT2_lT1_lS3_lS4_lS0_lPT4_lS4_li,comdat
.Lfunc_end488:
	.size	_ZL32rocblas_gemvt_warp_reduce_kernelILb0ELi256EiDF16_ffEviiT3_lPKT2_lT1_lS3_lS4_lS0_lPT4_lS4_li, .Lfunc_end488-_ZL32rocblas_gemvt_warp_reduce_kernelILb0ELi256EiDF16_ffEviiT3_lPKT2_lT1_lS3_lS4_lS0_lPT4_lS4_li
                                        ; -- End function
	.set _ZL32rocblas_gemvt_warp_reduce_kernelILb0ELi256EiDF16_ffEviiT3_lPKT2_lT1_lS3_lS4_lS0_lPT4_lS4_li.num_vgpr, 20
	.set _ZL32rocblas_gemvt_warp_reduce_kernelILb0ELi256EiDF16_ffEviiT3_lPKT2_lT1_lS3_lS4_lS0_lPT4_lS4_li.num_agpr, 0
	.set _ZL32rocblas_gemvt_warp_reduce_kernelILb0ELi256EiDF16_ffEviiT3_lPKT2_lT1_lS3_lS4_lS0_lPT4_lS4_li.numbered_sgpr, 40
	.set _ZL32rocblas_gemvt_warp_reduce_kernelILb0ELi256EiDF16_ffEviiT3_lPKT2_lT1_lS3_lS4_lS0_lPT4_lS4_li.num_named_barrier, 0
	.set _ZL32rocblas_gemvt_warp_reduce_kernelILb0ELi256EiDF16_ffEviiT3_lPKT2_lT1_lS3_lS4_lS0_lPT4_lS4_li.private_seg_size, 0
	.set _ZL32rocblas_gemvt_warp_reduce_kernelILb0ELi256EiDF16_ffEviiT3_lPKT2_lT1_lS3_lS4_lS0_lPT4_lS4_li.uses_vcc, 1
	.set _ZL32rocblas_gemvt_warp_reduce_kernelILb0ELi256EiDF16_ffEviiT3_lPKT2_lT1_lS3_lS4_lS0_lPT4_lS4_li.uses_flat_scratch, 0
	.set _ZL32rocblas_gemvt_warp_reduce_kernelILb0ELi256EiDF16_ffEviiT3_lPKT2_lT1_lS3_lS4_lS0_lPT4_lS4_li.has_dyn_sized_stack, 0
	.set _ZL32rocblas_gemvt_warp_reduce_kernelILb0ELi256EiDF16_ffEviiT3_lPKT2_lT1_lS3_lS4_lS0_lPT4_lS4_li.has_recursion, 0
	.set _ZL32rocblas_gemvt_warp_reduce_kernelILb0ELi256EiDF16_ffEviiT3_lPKT2_lT1_lS3_lS4_lS0_lPT4_lS4_li.has_indirect_call, 0
	.section	.AMDGPU.csdata,"",@progbits
; Kernel info:
; codeLenInByte = 1396
; TotalNumSgprs: 42
; NumVgprs: 20
; ScratchSize: 0
; MemoryBound: 0
; FloatMode: 240
; IeeeMode: 1
; LDSByteSize: 128 bytes/workgroup (compile time only)
; SGPRBlocks: 0
; VGPRBlocks: 1
; NumSGPRsForWavesPerEU: 42
; NumVGPRsForWavesPerEU: 20
; NamedBarCnt: 0
; Occupancy: 16
; WaveLimiterHint : 0
; COMPUTE_PGM_RSRC2:SCRATCH_EN: 0
; COMPUTE_PGM_RSRC2:USER_SGPR: 2
; COMPUTE_PGM_RSRC2:TRAP_HANDLER: 0
; COMPUTE_PGM_RSRC2:TGID_X_EN: 1
; COMPUTE_PGM_RSRC2:TGID_Y_EN: 0
; COMPUTE_PGM_RSRC2:TGID_Z_EN: 1
; COMPUTE_PGM_RSRC2:TIDIG_COMP_CNT: 0
	.section	.text._ZL32rocblas_gemvt_warp_reduce_kernelILb0ELi256ElDF16_ffEviiT3_lPKT2_lT1_lS3_lS4_lS0_lPT4_lS4_li,"axG",@progbits,_ZL32rocblas_gemvt_warp_reduce_kernelILb0ELi256ElDF16_ffEviiT3_lPKT2_lT1_lS3_lS4_lS0_lPT4_lS4_li,comdat
	.globl	_ZL32rocblas_gemvt_warp_reduce_kernelILb0ELi256ElDF16_ffEviiT3_lPKT2_lT1_lS3_lS4_lS0_lPT4_lS4_li ; -- Begin function _ZL32rocblas_gemvt_warp_reduce_kernelILb0ELi256ElDF16_ffEviiT3_lPKT2_lT1_lS3_lS4_lS0_lPT4_lS4_li
	.p2align	8
	.type	_ZL32rocblas_gemvt_warp_reduce_kernelILb0ELi256ElDF16_ffEviiT3_lPKT2_lT1_lS3_lS4_lS0_lPT4_lS4_li,@function
_ZL32rocblas_gemvt_warp_reduce_kernelILb0ELi256ElDF16_ffEviiT3_lPKT2_lT1_lS3_lS4_lS0_lPT4_lS4_li: ; @_ZL32rocblas_gemvt_warp_reduce_kernelILb0ELi256ElDF16_ffEviiT3_lPKT2_lT1_lS3_lS4_lS0_lPT4_lS4_li
; %bb.0:
	s_load_b32 s33, s[0:1], 0x88
	s_bfe_u32 s2, ttmp6, 0x40014
	s_lshr_b32 s3, ttmp7, 16
	s_add_co_i32 s2, s2, 1
	s_bfe_u32 s5, ttmp6, 0x40008
	s_mul_i32 s4, s3, s2
	s_getreg_b32 s2, hwreg(HW_REG_IB_STS2, 6, 4)
	s_add_co_i32 s5, s5, s4
	s_cmp_eq_u32 s2, 0
	s_mov_b32 s7, 0
	s_cselect_b32 s6, s3, s5
	s_wait_kmcnt 0x0
	s_cmp_ge_u32 s6, s33
	s_cbranch_scc1 .LBB489_34
; %bb.1:
	s_clause 0x3
	s_load_b512 s[8:23], s[0:1], 0x18
	s_load_b256 s[24:31], s[0:1], 0x68
	s_load_b32 s34, s[0:1], 0x8
	s_load_b32 s35, s[0:1], 0x58
	s_wait_kmcnt 0x0
	s_lshl_b64 s[4:5], s[18:19], 1
	s_lshl_b64 s[18:19], s[26:27], 2
	;; [unrolled: 1-line block ×3, first 2 shown]
	s_cmp_eq_f32 s34, 0
	s_load_b32 s11, s[0:1], 0x0
	s_add_nc_u64 s[16:17], s[16:17], s[4:5]
	s_add_nc_u64 s[18:19], s[24:25], s[18:19]
	s_cselect_b32 s36, -1, 0
	s_cmp_neq_f32 s34, 0
	s_cselect_b32 s3, -1, 0
	s_cmp_neq_f32 s35, 1.0
	s_wait_xcnt 0x0
	s_cselect_b32 s0, -1, 0
	s_delay_alu instid0(SALU_CYCLE_1)
	s_or_b32 s37, s3, s0
	s_cmp_neq_f32 s35, 0
	s_cselect_b32 s38, -1, 0
	s_bfe_u32 s0, ttmp6, 0x4000c
	s_and_b32 s1, ttmp6, 15
	s_add_co_i32 s0, s0, 1
	s_wait_kmcnt 0x0
	v_cmp_gt_i32_e32 vcc_lo, s11, v0
	s_mul_i32 s0, ttmp9, s0
	v_mov_b32_e32 v3, 0
	s_add_co_i32 s1, s1, s0
	s_cmp_eq_u32 s2, 0
	v_cndmask_b32_e32 v2, 0, v0, vcc_lo
	s_cselect_b32 s2, ttmp9, s1
	s_ashr_i32 s0, s11, 31
	s_ashr_i32 s3, s2, 31
	s_lshr_b32 s0, s0, 24
	s_mul_u64 s[4:5], s[12:13], s[2:3]
	s_add_co_i32 s0, s11, s0
	s_lshl_b64 s[12:13], s[4:5], 1
	s_and_b32 s10, s0, 0xffffff00
	s_delay_alu instid0(SALU_CYCLE_1) | instskip(SKIP_3) | instid1(VALU_DEP_2)
	v_dual_mov_b32 v1, v3 :: v_dual_bitop2_b32 v8, s10, v0 bitop3:0x54
	v_lshlrev_b32_e32 v2, 1, v2
	s_add_nc_u64 s[0:1], s[8:9], s[26:27]
	s_mul_u64 s[24:25], s[28:29], s[2:3]
	v_mul_u64_e32 v[10:11], s[20:21], v[0:1]
	v_ashrrev_i32_e32 v9, 31, v8
	v_add_nc_u64_e32 v[6:7], s[0:1], v[2:3]
	v_cmp_gt_i32_e64 s2, s11, v8
	v_cmp_eq_u32_e64 s0, 0, v0
	v_cmp_gt_i32_e64 s1, s10, v0
	v_mul_u64_e32 v[4:5], s[20:21], v[8:9]
	v_dual_lshrrev_b32 v8, 3, v0 :: v_dual_bitop2_b32 v9, 31, v0 bitop3:0x40
	v_add_nc_u64_e32 v[6:7], s[12:13], v[6:7]
	s_add_nc_u64 s[12:13], s[12:13], s[26:27]
	v_cmp_gt_u32_e64 s3, 32, v0
	s_add_nc_u64 s[8:9], s[8:9], s[12:13]
	v_dual_lshlrev_b32 v1, 2, v9 :: v_dual_bitop2_b32 v16, 28, v8 bitop3:0x40
	v_cmp_eq_u32_e64 s4, 0, v9
	v_add_nc_u64_e32 v[8:9], s[8:9], v[2:3]
	v_mbcnt_lo_u32_b32 v2, -1, 0
	v_cmp_gt_u32_e64 s5, 8, v0
	s_ashr_i32 s11, s10, 31
	s_lshl_b64 s[8:9], s[14:15], 1
	s_lshl_b64 s[12:13], s[22:23], 1
	v_lshl_or_b32 v17, v2, 2, 64
	s_lshl_b64 s[20:21], s[20:21], 9
	s_lshl_b64 s[24:25], s[24:25], 2
	v_lshl_add_u64 v[10:11], v[10:11], 1, s[16:17]
	s_branch .LBB489_4
.LBB489_2:                              ;   in Loop: Header=BB489_4 Depth=1
	s_wait_xcnt 0x0
	s_or_b32 exec_lo, exec_lo, s29
.LBB489_3:                              ;   in Loop: Header=BB489_4 Depth=1
	s_add_co_i32 s6, s6, 0x10000
	s_delay_alu instid0(SALU_CYCLE_1)
	s_cmp_lt_u32 s6, s33
	s_cbranch_scc0 .LBB489_34
.LBB489_4:                              ; =>This Loop Header: Depth=1
                                        ;     Child Loop BB489_23 Depth 2
	s_and_not1_b32 vcc_lo, exec_lo, s37
	s_cbranch_vccnz .LBB489_3
; %bb.5:                                ;   in Loop: Header=BB489_4 Depth=1
	s_mul_u64 s[26:27], s[30:31], s[6:7]
	s_and_not1_b32 vcc_lo, exec_lo, s36
	s_lshl_b64 s[26:27], s[26:27], 2
	s_delay_alu instid0(SALU_CYCLE_1)
	s_add_nc_u64 s[26:27], s[18:19], s[26:27]
	s_cbranch_vccnz .LBB489_9
; %bb.6:                                ;   in Loop: Header=BB489_4 Depth=1
	s_mov_b32 s29, 0
	s_mov_b32 s28, 0
                                        ; implicit-def: $vgpr12
	s_and_saveexec_b32 s39, s0
	s_cbranch_execz .LBB489_10
; %bb.7:                                ;   in Loop: Header=BB489_4 Depth=1
	s_and_not1_b32 vcc_lo, exec_lo, s38
	s_cbranch_vccnz .LBB489_11
; %bb.8:                                ;   in Loop: Header=BB489_4 Depth=1
	s_add_nc_u64 s[40:41], s[26:27], s[24:25]
	global_load_b32 v12, v3, s[40:41]
	s_wait_loadcnt 0x0
	v_mul_f32_e32 v12, s35, v12
	s_branch .LBB489_12
.LBB489_9:                              ;   in Loop: Header=BB489_4 Depth=1
	s_mov_b32 s28, 0
                                        ; implicit-def: $vgpr12
	s_cbranch_execnz .LBB489_13
	s_branch .LBB489_32
.LBB489_10:                             ;   in Loop: Header=BB489_4 Depth=1
	s_or_b32 exec_lo, exec_lo, s39
	s_delay_alu instid0(SALU_CYCLE_1)
	s_and_b32 vcc_lo, exec_lo, s29
	s_cbranch_vccnz .LBB489_13
	s_branch .LBB489_32
.LBB489_11:                             ;   in Loop: Header=BB489_4 Depth=1
	v_mov_b32_e32 v12, 0
.LBB489_12:                             ;   in Loop: Header=BB489_4 Depth=1
	s_mov_b32 s28, exec_lo
	s_wait_xcnt 0x0
	s_or_b32 exec_lo, exec_lo, s39
	s_delay_alu instid0(SALU_CYCLE_1)
	s_and_b32 vcc_lo, exec_lo, s29
	s_cbranch_vccz .LBB489_32
.LBB489_13:                             ;   in Loop: Header=BB489_4 Depth=1
	v_mov_b32_e32 v18, 0
	s_and_saveexec_b32 s29, s1
	s_cbranch_execnz .LBB489_22
; %bb.14:                               ;   in Loop: Header=BB489_4 Depth=1
	s_or_b32 exec_lo, exec_lo, s29
	s_and_saveexec_b32 s29, s2
	s_cbranch_execnz .LBB489_25
.LBB489_15:                             ;   in Loop: Header=BB489_4 Depth=1
	s_or_b32 exec_lo, exec_lo, s29
	s_and_saveexec_b32 s29, s3
.LBB489_16:                             ;   in Loop: Header=BB489_4 Depth=1
	ds_store_b32 v1, v3
.LBB489_17:                             ;   in Loop: Header=BB489_4 Depth=1
	s_or_b32 exec_lo, exec_lo, s29
	ds_bpermute_b32 v12, v17, v18
	v_cmp_gt_u32_e32 vcc_lo, 24, v2
	s_wait_dscnt 0x0
	s_barrier_signal -1
	s_barrier_wait -1
	v_cndmask_b32_e64 v13, 0, 8, vcc_lo
	v_cmp_gt_u32_e32 vcc_lo, 28, v2
	s_delay_alu instid0(VALU_DEP_2)
	v_add_lshl_u32 v13, v13, v2, 2
	v_add_f32_e32 v14, v18, v12
	v_cndmask_b32_e64 v12, 0, 4, vcc_lo
	v_cmp_gt_u32_e32 vcc_lo, 30, v2
	ds_bpermute_b32 v13, v13, v14
	v_add_lshl_u32 v12, v12, v2, 2
	s_wait_dscnt 0x0
	v_add_f32_e32 v14, v14, v13
	v_cndmask_b32_e64 v13, 0, 2, vcc_lo
	v_cmp_ne_u32_e32 vcc_lo, 31, v2
	ds_bpermute_b32 v15, v12, v14
	v_add_lshl_u32 v13, v13, v2, 2
	v_add_co_ci_u32_e64 v18, null, 0, v2, vcc_lo
	s_wait_dscnt 0x0
	v_add_f32_e32 v14, v14, v15
	ds_bpermute_b32 v15, v13, v14
	s_wait_dscnt 0x0
	v_dual_add_f32 v15, v14, v15 :: v_dual_lshlrev_b32 v14, 2, v18
	ds_bpermute_b32 v18, v14, v15
	s_and_saveexec_b32 s29, s4
	s_cbranch_execz .LBB489_19
; %bb.18:                               ;   in Loop: Header=BB489_4 Depth=1
	s_wait_dscnt 0x0
	v_add_f32_e32 v15, v15, v18
	ds_store_b32 v16, v15
.LBB489_19:                             ;   in Loop: Header=BB489_4 Depth=1
	s_or_b32 exec_lo, exec_lo, s29
	v_mov_b32_e32 v15, 0
	s_wait_dscnt 0x0
	s_barrier_signal -1
	s_barrier_wait -1
	s_and_saveexec_b32 s29, s5
	s_cbranch_execnz .LBB489_26
; %bb.20:                               ;   in Loop: Header=BB489_4 Depth=1
	s_or_b32 exec_lo, exec_lo, s29
	s_and_saveexec_b32 s29, s3
	s_cbranch_execnz .LBB489_27
.LBB489_21:                             ;   in Loop: Header=BB489_4 Depth=1
	s_or_b32 exec_lo, exec_lo, s29
                                        ; implicit-def: $vgpr12
	s_and_saveexec_b32 s29, s0
	s_cbranch_execnz .LBB489_28
	s_branch .LBB489_31
.LBB489_22:                             ;   in Loop: Header=BB489_4 Depth=1
	v_mad_nc_u64_u32 v[12:13], s8, s6, v[8:9]
	s_wait_dscnt 0x0
	v_mad_nc_u64_u32 v[14:15], s12, s6, v[10:11]
	v_dual_mov_b32 v18, 0 :: v_dual_mov_b32 v19, v0
	s_mov_b32 s39, 0
	s_delay_alu instid0(VALU_DEP_3) | instskip(NEXT) | instid1(VALU_DEP_3)
	v_mad_u32 v13, s9, s6, v13
	v_mad_u32 v15, s13, s6, v15
.LBB489_23:                             ;   Parent Loop BB489_4 Depth=1
                                        ; =>  This Inner Loop Header: Depth=2
	global_load_u16 v20, v[12:13], off
	global_load_u16 v21, v[14:15], off
	s_wait_xcnt 0x1
	v_add_nc_u64_e32 v[12:13], 0x200, v[12:13]
	s_wait_xcnt 0x0
	v_add_nc_u64_e32 v[14:15], s[20:21], v[14:15]
	s_wait_loadcnt 0x0
	v_mul_f16_e32 v20, v20, v21
	s_delay_alu instid0(VALU_DEP_1) | instskip(NEXT) | instid1(VALU_DEP_1)
	v_cvt_f32_f16_e32 v20, v20
	v_dual_add_f32 v18, v18, v20 :: v_dual_add_nc_u32 v19, 0x100, v19
	s_delay_alu instid0(VALU_DEP_1) | instskip(SKIP_1) | instid1(SALU_CYCLE_1)
	v_cmp_le_i32_e32 vcc_lo, s10, v19
	s_or_b32 s39, vcc_lo, s39
	s_and_not1_b32 exec_lo, exec_lo, s39
	s_cbranch_execnz .LBB489_23
; %bb.24:                               ;   in Loop: Header=BB489_4 Depth=1
	s_or_b32 exec_lo, exec_lo, s39
	s_delay_alu instid0(SALU_CYCLE_1)
	s_or_b32 exec_lo, exec_lo, s29
	s_and_saveexec_b32 s29, s2
	s_cbranch_execz .LBB489_15
.LBB489_25:                             ;   in Loop: Header=BB489_4 Depth=1
	s_mul_u64 s[40:41], s[14:15], s[6:7]
	s_mul_u64 s[42:43], s[22:23], s[6:7]
	v_lshl_add_u64 v[12:13], s[40:41], 1, v[6:7]
	s_lshl_b64 s[40:41], s[42:43], 1
	s_delay_alu instid0(SALU_CYCLE_1)
	s_add_nc_u64 s[40:41], s[16:17], s[40:41]
	s_wait_dscnt 0x0
	v_lshl_add_u64 v[14:15], v[4:5], 1, s[40:41]
	v_lshl_add_u64 v[12:13], s[10:11], 1, v[12:13]
	global_load_u16 v19, v[12:13], off
	global_load_u16 v20, v[14:15], off
	s_wait_loadcnt 0x0
	s_wait_xcnt 0x1
	v_mul_f16_e32 v12, v19, v20
	s_delay_alu instid0(VALU_DEP_1) | instskip(NEXT) | instid1(VALU_DEP_1)
	v_cvt_f32_f16_e32 v12, v12
	v_add_f32_e32 v18, v18, v12
	s_wait_xcnt 0x0
	s_or_b32 exec_lo, exec_lo, s29
	s_and_saveexec_b32 s29, s3
	s_cbranch_execnz .LBB489_16
	s_branch .LBB489_17
.LBB489_26:                             ;   in Loop: Header=BB489_4 Depth=1
	ds_load_b32 v15, v1
	s_or_b32 exec_lo, exec_lo, s29
	s_and_saveexec_b32 s29, s3
	s_cbranch_execz .LBB489_21
.LBB489_27:                             ;   in Loop: Header=BB489_4 Depth=1
	s_wait_dscnt 0x0
	ds_bpermute_b32 v12, v12, v15
	s_wait_dscnt 0x0
	v_add_f32_e32 v12, v15, v12
	ds_bpermute_b32 v13, v13, v12
	s_wait_dscnt 0x0
	v_add_f32_e32 v12, v12, v13
	;; [unrolled: 3-line block ×3, first 2 shown]
	s_or_b32 exec_lo, exec_lo, s29
                                        ; implicit-def: $vgpr12
	s_and_saveexec_b32 s29, s0
	s_cbranch_execz .LBB489_31
.LBB489_28:                             ;   in Loop: Header=BB489_4 Depth=1
	s_wait_dscnt 0x0
	v_mul_f32_e32 v12, s34, v15
	s_and_not1_b32 vcc_lo, exec_lo, s38
	s_cbranch_vccnz .LBB489_30
; %bb.29:                               ;   in Loop: Header=BB489_4 Depth=1
	s_add_nc_u64 s[40:41], s[26:27], s[24:25]
	global_load_b32 v13, v3, s[40:41]
	s_wait_loadcnt 0x0
	v_fmac_f32_e32 v12, s35, v13
.LBB489_30:                             ;   in Loop: Header=BB489_4 Depth=1
	s_or_b32 s28, s28, exec_lo
.LBB489_31:                             ;   in Loop: Header=BB489_4 Depth=1
	s_wait_xcnt 0x0
	s_or_b32 exec_lo, exec_lo, s29
.LBB489_32:                             ;   in Loop: Header=BB489_4 Depth=1
	s_and_saveexec_b32 s29, s28
	s_cbranch_execz .LBB489_2
; %bb.33:                               ;   in Loop: Header=BB489_4 Depth=1
	s_add_nc_u64 s[26:27], s[26:27], s[24:25]
	global_store_b32 v3, v12, s[26:27]
	s_branch .LBB489_2
.LBB489_34:
	s_endpgm
	.section	.rodata,"a",@progbits
	.p2align	6, 0x0
	.amdhsa_kernel _ZL32rocblas_gemvt_warp_reduce_kernelILb0ELi256ElDF16_ffEviiT3_lPKT2_lT1_lS3_lS4_lS0_lPT4_lS4_li
		.amdhsa_group_segment_fixed_size 128
		.amdhsa_private_segment_fixed_size 0
		.amdhsa_kernarg_size 140
		.amdhsa_user_sgpr_count 2
		.amdhsa_user_sgpr_dispatch_ptr 0
		.amdhsa_user_sgpr_queue_ptr 0
		.amdhsa_user_sgpr_kernarg_segment_ptr 1
		.amdhsa_user_sgpr_dispatch_id 0
		.amdhsa_user_sgpr_kernarg_preload_length 0
		.amdhsa_user_sgpr_kernarg_preload_offset 0
		.amdhsa_user_sgpr_private_segment_size 0
		.amdhsa_wavefront_size32 1
		.amdhsa_uses_dynamic_stack 0
		.amdhsa_enable_private_segment 0
		.amdhsa_system_sgpr_workgroup_id_x 1
		.amdhsa_system_sgpr_workgroup_id_y 0
		.amdhsa_system_sgpr_workgroup_id_z 1
		.amdhsa_system_sgpr_workgroup_info 0
		.amdhsa_system_vgpr_workitem_id 0
		.amdhsa_next_free_vgpr 22
		.amdhsa_next_free_sgpr 44
		.amdhsa_named_barrier_count 0
		.amdhsa_reserve_vcc 1
		.amdhsa_float_round_mode_32 0
		.amdhsa_float_round_mode_16_64 0
		.amdhsa_float_denorm_mode_32 3
		.amdhsa_float_denorm_mode_16_64 3
		.amdhsa_fp16_overflow 0
		.amdhsa_memory_ordered 1
		.amdhsa_forward_progress 1
		.amdhsa_inst_pref_size 11
		.amdhsa_round_robin_scheduling 0
		.amdhsa_exception_fp_ieee_invalid_op 0
		.amdhsa_exception_fp_denorm_src 0
		.amdhsa_exception_fp_ieee_div_zero 0
		.amdhsa_exception_fp_ieee_overflow 0
		.amdhsa_exception_fp_ieee_underflow 0
		.amdhsa_exception_fp_ieee_inexact 0
		.amdhsa_exception_int_div_zero 0
	.end_amdhsa_kernel
	.section	.text._ZL32rocblas_gemvt_warp_reduce_kernelILb0ELi256ElDF16_ffEviiT3_lPKT2_lT1_lS3_lS4_lS0_lPT4_lS4_li,"axG",@progbits,_ZL32rocblas_gemvt_warp_reduce_kernelILb0ELi256ElDF16_ffEviiT3_lPKT2_lT1_lS3_lS4_lS0_lPT4_lS4_li,comdat
.Lfunc_end489:
	.size	_ZL32rocblas_gemvt_warp_reduce_kernelILb0ELi256ElDF16_ffEviiT3_lPKT2_lT1_lS3_lS4_lS0_lPT4_lS4_li, .Lfunc_end489-_ZL32rocblas_gemvt_warp_reduce_kernelILb0ELi256ElDF16_ffEviiT3_lPKT2_lT1_lS3_lS4_lS0_lPT4_lS4_li
                                        ; -- End function
	.set _ZL32rocblas_gemvt_warp_reduce_kernelILb0ELi256ElDF16_ffEviiT3_lPKT2_lT1_lS3_lS4_lS0_lPT4_lS4_li.num_vgpr, 22
	.set _ZL32rocblas_gemvt_warp_reduce_kernelILb0ELi256ElDF16_ffEviiT3_lPKT2_lT1_lS3_lS4_lS0_lPT4_lS4_li.num_agpr, 0
	.set _ZL32rocblas_gemvt_warp_reduce_kernelILb0ELi256ElDF16_ffEviiT3_lPKT2_lT1_lS3_lS4_lS0_lPT4_lS4_li.numbered_sgpr, 44
	.set _ZL32rocblas_gemvt_warp_reduce_kernelILb0ELi256ElDF16_ffEviiT3_lPKT2_lT1_lS3_lS4_lS0_lPT4_lS4_li.num_named_barrier, 0
	.set _ZL32rocblas_gemvt_warp_reduce_kernelILb0ELi256ElDF16_ffEviiT3_lPKT2_lT1_lS3_lS4_lS0_lPT4_lS4_li.private_seg_size, 0
	.set _ZL32rocblas_gemvt_warp_reduce_kernelILb0ELi256ElDF16_ffEviiT3_lPKT2_lT1_lS3_lS4_lS0_lPT4_lS4_li.uses_vcc, 1
	.set _ZL32rocblas_gemvt_warp_reduce_kernelILb0ELi256ElDF16_ffEviiT3_lPKT2_lT1_lS3_lS4_lS0_lPT4_lS4_li.uses_flat_scratch, 0
	.set _ZL32rocblas_gemvt_warp_reduce_kernelILb0ELi256ElDF16_ffEviiT3_lPKT2_lT1_lS3_lS4_lS0_lPT4_lS4_li.has_dyn_sized_stack, 0
	.set _ZL32rocblas_gemvt_warp_reduce_kernelILb0ELi256ElDF16_ffEviiT3_lPKT2_lT1_lS3_lS4_lS0_lPT4_lS4_li.has_recursion, 0
	.set _ZL32rocblas_gemvt_warp_reduce_kernelILb0ELi256ElDF16_ffEviiT3_lPKT2_lT1_lS3_lS4_lS0_lPT4_lS4_li.has_indirect_call, 0
	.section	.AMDGPU.csdata,"",@progbits
; Kernel info:
; codeLenInByte = 1344
; TotalNumSgprs: 46
; NumVgprs: 22
; ScratchSize: 0
; MemoryBound: 0
; FloatMode: 240
; IeeeMode: 1
; LDSByteSize: 128 bytes/workgroup (compile time only)
; SGPRBlocks: 0
; VGPRBlocks: 1
; NumSGPRsForWavesPerEU: 46
; NumVGPRsForWavesPerEU: 22
; NamedBarCnt: 0
; Occupancy: 16
; WaveLimiterHint : 0
; COMPUTE_PGM_RSRC2:SCRATCH_EN: 0
; COMPUTE_PGM_RSRC2:USER_SGPR: 2
; COMPUTE_PGM_RSRC2:TRAP_HANDLER: 0
; COMPUTE_PGM_RSRC2:TGID_X_EN: 1
; COMPUTE_PGM_RSRC2:TGID_Y_EN: 0
; COMPUTE_PGM_RSRC2:TGID_Z_EN: 1
; COMPUTE_PGM_RSRC2:TIDIG_COMP_CNT: 0
	.section	.text._ZL20rocblas_gemvt_kernelILb0ELi256EDF16_PKffEviiT2_lPKT1_lilS5_lilS2_lPT3_lili,"axG",@progbits,_ZL20rocblas_gemvt_kernelILb0ELi256EDF16_PKffEviiT2_lPKT1_lilS5_lilS2_lPT3_lili,comdat
	.globl	_ZL20rocblas_gemvt_kernelILb0ELi256EDF16_PKffEviiT2_lPKT1_lilS5_lilS2_lPT3_lili ; -- Begin function _ZL20rocblas_gemvt_kernelILb0ELi256EDF16_PKffEviiT2_lPKT1_lilS5_lilS2_lPT3_lili
	.p2align	8
	.type	_ZL20rocblas_gemvt_kernelILb0ELi256EDF16_PKffEviiT2_lPKT1_lilS5_lilS2_lPT3_lili,@function
_ZL20rocblas_gemvt_kernelILb0ELi256EDF16_PKffEviiT2_lPKT1_lilS5_lilS2_lPT3_lili: ; @_ZL20rocblas_gemvt_kernelILb0ELi256EDF16_PKffEviiT2_lPKT1_lilS5_lilS2_lPT3_lili
; %bb.0:
	s_load_b32 s33, s[0:1], 0x88
	s_bfe_u32 s2, ttmp6, 0x40014
	s_lshr_b32 s3, ttmp7, 16
	s_add_co_i32 s2, s2, 1
	s_bfe_u32 s4, ttmp6, 0x40008
	s_mul_i32 s2, s3, s2
	s_getreg_b32 s7, hwreg(HW_REG_IB_STS2, 6, 4)
	s_add_co_i32 s4, s4, s2
	s_cmp_eq_u32 s7, 0
	s_mov_b32 s35, 0
	s_cselect_b32 s34, s3, s4
	s_wait_kmcnt 0x0
	s_cmp_ge_u32 s34, s33
	s_cbranch_scc1 .LBB490_41
; %bb.1:
	s_clause 0x4
	s_load_b32 s2, s[0:1], 0x28
	s_load_b96 s[4:6], s[0:1], 0x40
	s_load_b96 s[8:10], s[0:1], 0x70
	s_load_b256 s[12:19], s[0:1], 0x8
	s_load_b32 s46, s[0:1], 0x0
	s_bfe_u32 s3, ttmp6, 0x4000c
	s_and_b32 s11, ttmp6, 15
	s_add_co_i32 s3, s3, 1
	s_load_b128 s[28:31], s[0:1], 0x30
	s_mul_i32 s3, ttmp9, s3
	s_load_b64 s[36:37], s[0:1], 0x80
	s_add_co_i32 s11, s11, s3
	s_load_b256 s[20:27], s[0:1], 0x50
	v_lshlrev_b32_e32 v14, 2, v0
	s_wait_kmcnt 0x0
	s_ashr_i32 s3, s2, 31
	s_ashr_i32 s39, s6, 31
	;; [unrolled: 1-line block ×3, first 2 shown]
	s_lshl_b64 s[4:5], s[4:5], 1
	s_lshl_b64 s[8:9], s[8:9], 2
	;; [unrolled: 1-line block ×3, first 2 shown]
	s_cmp_eq_u32 s7, 0
	s_mov_b32 s38, s6
	s_cselect_b32 s44, ttmp9, s11
	s_ashr_i32 s7, s46, 31
	v_cmp_gt_i32_e32 vcc_lo, s46, v0
	s_lshr_b32 s0, s7, 24
	s_ashr_i32 s45, s44, 31
	s_add_co_i32 s0, s46, s0
	s_mul_u64 s[2:3], s[2:3], s[44:45]
	s_and_b32 s18, s0, 0xffffff00
	s_delay_alu instid0(SALU_CYCLE_1) | instskip(SKIP_3) | instid1(VALU_DEP_1)
	v_dual_mov_b32 v3, 0 :: v_dual_bitop2_b32 v8, s18, v0 bitop3:0x54
	s_add_nc_u64 s[0:1], s[16:17], s[42:43]
	s_add_nc_u64 s[26:27], s[26:27], s[8:9]
	s_lshl_b64 s[8:9], s[2:3], 1
	v_dual_mov_b32 v1, v3 :: v_dual_ashrrev_i32 v9, 31, v8
	s_mov_b32 s40, s10
	s_add_nc_u64 s[10:11], s[30:31], s[4:5]
	s_add_nc_u64 s[30:31], s[8:9], s[42:43]
	s_delay_alu instid0(VALU_DEP_1)
	v_mul_u64_e32 v[10:11], s[38:39], v[0:1]
	v_mul_u64_e32 v[4:5], s[38:39], v[8:9]
	v_cndmask_b32_e32 v1, 0, v0, vcc_lo
	s_add_nc_u64 s[16:17], s[16:17], s[30:31]
	v_cmp_gt_u32_e64 s2, 0x80, v0
	v_cmp_gt_u32_e64 s3, 64, v0
	;; [unrolled: 1-line block ×3, first 2 shown]
	v_lshlrev_b32_e32 v2, 1, v1
	v_cmp_gt_u32_e64 s5, 16, v0
	v_cmp_gt_u32_e64 s6, 8, v0
	;; [unrolled: 1-line block ×3, first 2 shown]
	s_mul_u64 s[40:41], s[40:41], s[44:45]
	v_add_nc_u64_e32 v[6:7], s[0:1], v[2:3]
	v_cmp_gt_i32_e64 s1, s46, v8
	v_add_nc_u64_e32 v[8:9], s[16:17], v[2:3]
	v_cmp_eq_u32_e64 s0, 0, v0
	s_cmp_gt_i32 s46, 0xff
	s_cselect_b32 s44, -1, 0
	v_add_nc_u64_e32 v[6:7], s[8:9], v[6:7]
	v_cmp_gt_u32_e64 s8, 2, v0
	s_ashr_i32 s19, s18, 31
	s_lshl_b64 s[16:17], s[20:21], 1
	s_lshl_b64 s[30:31], s[38:39], 9
	;; [unrolled: 1-line block ×4, first 2 shown]
	v_lshl_add_u64 v[0:1], v[10:11], 1, s[10:11]
	s_branch .LBB490_4
.LBB490_2:                              ;   in Loop: Header=BB490_4 Depth=1
	s_wait_xcnt 0x0
	s_or_b32 exec_lo, exec_lo, s45
.LBB490_3:                              ;   in Loop: Header=BB490_4 Depth=1
	s_add_co_i32 s34, s34, 0x10000
	s_delay_alu instid0(SALU_CYCLE_1)
	s_cmp_lt_u32 s34, s33
	s_cbranch_scc0 .LBB490_41
.LBB490_4:                              ; =>This Loop Header: Depth=1
                                        ;     Child Loop BB490_15 Depth 2
	s_wait_xcnt 0x1
	s_mul_u64 s[42:43], s[14:15], s[34:35]
	s_wait_xcnt 0x0
	s_mul_u64 s[46:47], s[24:25], s[34:35]
	s_lshl_b64 s[42:43], s[42:43], 2
	s_lshl_b64 s[46:47], s[46:47], 2
	s_add_nc_u64 s[42:43], s[12:13], s[42:43]
	s_add_nc_u64 s[46:47], s[22:23], s[46:47]
	s_clause 0x1
	global_load_b32 v15, v3, s[42:43]
	global_load_b32 v2, v3, s[46:47]
	s_wait_loadcnt 0x1
	v_cmp_eq_f32_e32 vcc_lo, 0, v15
	s_wait_loadcnt 0x0
	v_cmp_eq_f32_e64 s9, 1.0, v2
	s_and_b32 s9, vcc_lo, s9
	s_delay_alu instid0(SALU_CYCLE_1)
	s_and_b32 vcc_lo, exec_lo, s9
	s_cbranch_vccnz .LBB490_3
; %bb.5:                                ;   in Loop: Header=BB490_4 Depth=1
	v_cmp_neq_f32_e32 vcc_lo, 0, v15
	s_wait_xcnt 0x1
	s_mul_u64 s[42:43], s[36:37], s[34:35]
	s_delay_alu instid0(SALU_CYCLE_1) | instskip(NEXT) | instid1(SALU_CYCLE_1)
	s_lshl_b64 s[42:43], s[42:43], 2
	s_add_nc_u64 s[42:43], s[26:27], s[42:43]
	s_cbranch_vccnz .LBB490_9
; %bb.6:                                ;   in Loop: Header=BB490_4 Depth=1
	s_mov_b32 s45, 0
	s_mov_b32 s9, 0
                                        ; implicit-def: $vgpr10
	s_wait_xcnt 0x0
	s_and_saveexec_b32 s46, s0
	s_cbranch_execz .LBB490_10
; %bb.7:                                ;   in Loop: Header=BB490_4 Depth=1
	v_cmp_eq_f32_e32 vcc_lo, 0, v2
	s_cbranch_vccnz .LBB490_11
; %bb.8:                                ;   in Loop: Header=BB490_4 Depth=1
	s_add_nc_u64 s[48:49], s[42:43], s[40:41]
	global_load_b32 v10, v3, s[48:49]
	s_wait_loadcnt 0x0
	v_mul_f32_e32 v10, v2, v10
	s_branch .LBB490_12
.LBB490_9:                              ;   in Loop: Header=BB490_4 Depth=1
	s_mov_b32 s9, 0
                                        ; implicit-def: $vgpr10
	s_cbranch_execnz .LBB490_13
	s_branch .LBB490_39
.LBB490_10:                             ;   in Loop: Header=BB490_4 Depth=1
	s_or_b32 exec_lo, exec_lo, s46
	s_delay_alu instid0(SALU_CYCLE_1)
	s_and_b32 vcc_lo, exec_lo, s45
	s_cbranch_vccnz .LBB490_13
	s_branch .LBB490_39
.LBB490_11:                             ;   in Loop: Header=BB490_4 Depth=1
	v_mov_b32_e32 v10, 0
.LBB490_12:                             ;   in Loop: Header=BB490_4 Depth=1
	s_mov_b32 s9, exec_lo
	s_wait_xcnt 0x0
	s_or_b32 exec_lo, exec_lo, s46
	s_delay_alu instid0(SALU_CYCLE_1)
	s_and_b32 vcc_lo, exec_lo, s45
	s_cbranch_vccz .LBB490_39
.LBB490_13:                             ;   in Loop: Header=BB490_4 Depth=1
	v_mov_b32_e32 v16, 0
	s_and_not1_b32 vcc_lo, exec_lo, s44
	s_cbranch_vccnz .LBB490_16
; %bb.14:                               ;   in Loop: Header=BB490_4 Depth=1
	v_mad_nc_u64_u32 v[10:11], s16, s34, v[0:1]
	v_mad_nc_u64_u32 v[12:13], s38, s34, v[8:9]
	v_mov_b32_e32 v16, 0
	s_mov_b32 s45, 0
	s_delay_alu instid0(VALU_DEP_3) | instskip(NEXT) | instid1(VALU_DEP_3)
	v_mad_u32 v11, s17, s34, v11
	v_mad_u32 v13, s39, s34, v13
.LBB490_15:                             ;   Parent Loop BB490_4 Depth=1
                                        ; =>  This Inner Loop Header: Depth=2
	global_load_u16 v17, v[12:13], off
	global_load_u16 v18, v[10:11], off
	s_wait_xcnt 0x0
	v_add_nc_u64_e32 v[10:11], s[30:31], v[10:11]
	v_add_nc_u64_e32 v[12:13], 0x200, v[12:13]
	s_addk_co_i32 s45, 0x100
	s_delay_alu instid0(SALU_CYCLE_1) | instskip(SKIP_2) | instid1(VALU_DEP_1)
	s_cmp_ge_i32 s45, s18
	s_wait_loadcnt 0x0
	v_mul_f16_e32 v17, v17, v18
	v_cvt_f32_f16_e32 v17, v17
	s_delay_alu instid0(VALU_DEP_1)
	v_add_f32_e32 v16, v16, v17
	s_cbranch_scc0 .LBB490_15
.LBB490_16:                             ;   in Loop: Header=BB490_4 Depth=1
	s_wait_xcnt 0x0
	s_and_saveexec_b32 s45, s1
	s_cbranch_execz .LBB490_18
; %bb.17:                               ;   in Loop: Header=BB490_4 Depth=1
	s_mul_u64 s[46:47], s[28:29], s[34:35]
	s_mul_u64 s[48:49], s[20:21], s[34:35]
	v_lshl_add_u64 v[10:11], s[46:47], 1, v[6:7]
	s_lshl_b64 s[46:47], s[48:49], 1
	s_delay_alu instid0(SALU_CYCLE_1) | instskip(NEXT) | instid1(SALU_CYCLE_1)
	s_add_nc_u64 s[46:47], s[10:11], s[46:47]
	v_lshl_add_u64 v[12:13], v[4:5], 1, s[46:47]
	s_delay_alu instid0(VALU_DEP_2)
	v_lshl_add_u64 v[10:11], s[18:19], 1, v[10:11]
	global_load_u16 v17, v[10:11], off
	global_load_u16 v18, v[12:13], off
	s_wait_loadcnt 0x0
	s_wait_xcnt 0x1
	v_mul_f16_e32 v10, v17, v18
	s_delay_alu instid0(VALU_DEP_1) | instskip(NEXT) | instid1(VALU_DEP_1)
	v_cvt_f32_f16_e32 v10, v10
	v_add_f32_e32 v16, v16, v10
.LBB490_18:                             ;   in Loop: Header=BB490_4 Depth=1
	s_wait_xcnt 0x0
	s_or_b32 exec_lo, exec_lo, s45
	ds_store_b32 v14, v16
	s_wait_dscnt 0x0
	s_barrier_signal -1
	s_barrier_wait -1
	s_and_saveexec_b32 s45, s2
	s_cbranch_execz .LBB490_20
; %bb.19:                               ;   in Loop: Header=BB490_4 Depth=1
	ds_load_2addr_stride64_b32 v[10:11], v14 offset1:2
	s_wait_dscnt 0x0
	v_add_f32_e32 v10, v11, v10
	ds_store_b32 v14, v10
.LBB490_20:                             ;   in Loop: Header=BB490_4 Depth=1
	s_or_b32 exec_lo, exec_lo, s45
	s_wait_dscnt 0x0
	s_barrier_signal -1
	s_barrier_wait -1
	s_and_saveexec_b32 s45, s3
	s_cbranch_execz .LBB490_22
; %bb.21:                               ;   in Loop: Header=BB490_4 Depth=1
	ds_load_2addr_stride64_b32 v[10:11], v14 offset1:1
	s_wait_dscnt 0x0
	v_add_f32_e32 v10, v11, v10
	ds_store_b32 v14, v10
.LBB490_22:                             ;   in Loop: Header=BB490_4 Depth=1
	s_or_b32 exec_lo, exec_lo, s45
	s_wait_dscnt 0x0
	s_barrier_signal -1
	s_barrier_wait -1
	s_and_saveexec_b32 s45, s4
	s_cbranch_execz .LBB490_24
; %bb.23:                               ;   in Loop: Header=BB490_4 Depth=1
	ds_load_2addr_b32 v[10:11], v14 offset1:32
	s_wait_dscnt 0x0
	v_add_f32_e32 v10, v11, v10
	ds_store_b32 v14, v10
.LBB490_24:                             ;   in Loop: Header=BB490_4 Depth=1
	s_or_b32 exec_lo, exec_lo, s45
	s_wait_dscnt 0x0
	s_barrier_signal -1
	s_barrier_wait -1
	s_and_saveexec_b32 s45, s5
	s_cbranch_execz .LBB490_26
; %bb.25:                               ;   in Loop: Header=BB490_4 Depth=1
	ds_load_2addr_b32 v[10:11], v14 offset1:16
	s_wait_dscnt 0x0
	v_add_f32_e32 v10, v11, v10
	ds_store_b32 v14, v10
.LBB490_26:                             ;   in Loop: Header=BB490_4 Depth=1
	;; [unrolled: 12-line block ×5, first 2 shown]
	s_or_b32 exec_lo, exec_lo, s45
	s_wait_dscnt 0x0
	s_barrier_signal -1
	s_barrier_wait -1
	s_and_saveexec_b32 s45, s0
	s_cbranch_execz .LBB490_34
; %bb.33:                               ;   in Loop: Header=BB490_4 Depth=1
	ds_load_b64 v[10:11], v3
	s_wait_dscnt 0x0
	v_add_f32_e32 v10, v11, v10
	ds_store_b32 v3, v10
.LBB490_34:                             ;   in Loop: Header=BB490_4 Depth=1
	s_or_b32 exec_lo, exec_lo, s45
	s_wait_dscnt 0x0
	s_barrier_signal -1
	s_barrier_wait -1
                                        ; implicit-def: $vgpr10
	s_and_saveexec_b32 s45, s0
	s_cbranch_execz .LBB490_38
; %bb.35:                               ;   in Loop: Header=BB490_4 Depth=1
	ds_load_b32 v10, v3
	v_cmp_eq_f32_e32 vcc_lo, 0, v2
	s_wait_dscnt 0x0
	v_mul_f32_e32 v10, v15, v10
	s_cbranch_vccnz .LBB490_37
; %bb.36:                               ;   in Loop: Header=BB490_4 Depth=1
	s_add_nc_u64 s[46:47], s[42:43], s[40:41]
	global_load_b32 v11, v3, s[46:47]
	s_wait_loadcnt 0x0
	v_fmac_f32_e32 v10, v2, v11
.LBB490_37:                             ;   in Loop: Header=BB490_4 Depth=1
	s_or_b32 s9, s9, exec_lo
.LBB490_38:                             ;   in Loop: Header=BB490_4 Depth=1
	s_wait_xcnt 0x0
	s_or_b32 exec_lo, exec_lo, s45
.LBB490_39:                             ;   in Loop: Header=BB490_4 Depth=1
	s_wait_xcnt 0x0
	s_and_saveexec_b32 s45, s9
	s_cbranch_execz .LBB490_2
; %bb.40:                               ;   in Loop: Header=BB490_4 Depth=1
	s_add_nc_u64 s[42:43], s[42:43], s[40:41]
	global_store_b32 v3, v10, s[42:43]
	s_branch .LBB490_2
.LBB490_41:
	s_endpgm
	.section	.rodata,"a",@progbits
	.p2align	6, 0x0
	.amdhsa_kernel _ZL20rocblas_gemvt_kernelILb0ELi256EDF16_PKffEviiT2_lPKT1_lilS5_lilS2_lPT3_lili
		.amdhsa_group_segment_fixed_size 1024
		.amdhsa_private_segment_fixed_size 0
		.amdhsa_kernarg_size 140
		.amdhsa_user_sgpr_count 2
		.amdhsa_user_sgpr_dispatch_ptr 0
		.amdhsa_user_sgpr_queue_ptr 0
		.amdhsa_user_sgpr_kernarg_segment_ptr 1
		.amdhsa_user_sgpr_dispatch_id 0
		.amdhsa_user_sgpr_kernarg_preload_length 0
		.amdhsa_user_sgpr_kernarg_preload_offset 0
		.amdhsa_user_sgpr_private_segment_size 0
		.amdhsa_wavefront_size32 1
		.amdhsa_uses_dynamic_stack 0
		.amdhsa_enable_private_segment 0
		.amdhsa_system_sgpr_workgroup_id_x 1
		.amdhsa_system_sgpr_workgroup_id_y 0
		.amdhsa_system_sgpr_workgroup_id_z 1
		.amdhsa_system_sgpr_workgroup_info 0
		.amdhsa_system_vgpr_workitem_id 0
		.amdhsa_next_free_vgpr 19
		.amdhsa_next_free_sgpr 50
		.amdhsa_named_barrier_count 0
		.amdhsa_reserve_vcc 1
		.amdhsa_float_round_mode_32 0
		.amdhsa_float_round_mode_16_64 0
		.amdhsa_float_denorm_mode_32 3
		.amdhsa_float_denorm_mode_16_64 3
		.amdhsa_fp16_overflow 0
		.amdhsa_memory_ordered 1
		.amdhsa_forward_progress 1
		.amdhsa_inst_pref_size 12
		.amdhsa_round_robin_scheduling 0
		.amdhsa_exception_fp_ieee_invalid_op 0
		.amdhsa_exception_fp_denorm_src 0
		.amdhsa_exception_fp_ieee_div_zero 0
		.amdhsa_exception_fp_ieee_overflow 0
		.amdhsa_exception_fp_ieee_underflow 0
		.amdhsa_exception_fp_ieee_inexact 0
		.amdhsa_exception_int_div_zero 0
	.end_amdhsa_kernel
	.section	.text._ZL20rocblas_gemvt_kernelILb0ELi256EDF16_PKffEviiT2_lPKT1_lilS5_lilS2_lPT3_lili,"axG",@progbits,_ZL20rocblas_gemvt_kernelILb0ELi256EDF16_PKffEviiT2_lPKT1_lilS5_lilS2_lPT3_lili,comdat
.Lfunc_end490:
	.size	_ZL20rocblas_gemvt_kernelILb0ELi256EDF16_PKffEviiT2_lPKT1_lilS5_lilS2_lPT3_lili, .Lfunc_end490-_ZL20rocblas_gemvt_kernelILb0ELi256EDF16_PKffEviiT2_lPKT1_lilS5_lilS2_lPT3_lili
                                        ; -- End function
	.set _ZL20rocblas_gemvt_kernelILb0ELi256EDF16_PKffEviiT2_lPKT1_lilS5_lilS2_lPT3_lili.num_vgpr, 19
	.set _ZL20rocblas_gemvt_kernelILb0ELi256EDF16_PKffEviiT2_lPKT1_lilS5_lilS2_lPT3_lili.num_agpr, 0
	.set _ZL20rocblas_gemvt_kernelILb0ELi256EDF16_PKffEviiT2_lPKT1_lilS5_lilS2_lPT3_lili.numbered_sgpr, 50
	.set _ZL20rocblas_gemvt_kernelILb0ELi256EDF16_PKffEviiT2_lPKT1_lilS5_lilS2_lPT3_lili.num_named_barrier, 0
	.set _ZL20rocblas_gemvt_kernelILb0ELi256EDF16_PKffEviiT2_lPKT1_lilS5_lilS2_lPT3_lili.private_seg_size, 0
	.set _ZL20rocblas_gemvt_kernelILb0ELi256EDF16_PKffEviiT2_lPKT1_lilS5_lilS2_lPT3_lili.uses_vcc, 1
	.set _ZL20rocblas_gemvt_kernelILb0ELi256EDF16_PKffEviiT2_lPKT1_lilS5_lilS2_lPT3_lili.uses_flat_scratch, 0
	.set _ZL20rocblas_gemvt_kernelILb0ELi256EDF16_PKffEviiT2_lPKT1_lilS5_lilS2_lPT3_lili.has_dyn_sized_stack, 0
	.set _ZL20rocblas_gemvt_kernelILb0ELi256EDF16_PKffEviiT2_lPKT1_lilS5_lilS2_lPT3_lili.has_recursion, 0
	.set _ZL20rocblas_gemvt_kernelILb0ELi256EDF16_PKffEviiT2_lPKT1_lilS5_lilS2_lPT3_lili.has_indirect_call, 0
	.section	.AMDGPU.csdata,"",@progbits
; Kernel info:
; codeLenInByte = 1472
; TotalNumSgprs: 52
; NumVgprs: 19
; ScratchSize: 0
; MemoryBound: 0
; FloatMode: 240
; IeeeMode: 1
; LDSByteSize: 1024 bytes/workgroup (compile time only)
; SGPRBlocks: 0
; VGPRBlocks: 1
; NumSGPRsForWavesPerEU: 52
; NumVGPRsForWavesPerEU: 19
; NamedBarCnt: 0
; Occupancy: 16
; WaveLimiterHint : 0
; COMPUTE_PGM_RSRC2:SCRATCH_EN: 0
; COMPUTE_PGM_RSRC2:USER_SGPR: 2
; COMPUTE_PGM_RSRC2:TRAP_HANDLER: 0
; COMPUTE_PGM_RSRC2:TGID_X_EN: 1
; COMPUTE_PGM_RSRC2:TGID_Y_EN: 0
; COMPUTE_PGM_RSRC2:TGID_Z_EN: 1
; COMPUTE_PGM_RSRC2:TIDIG_COMP_CNT: 0
	.section	.text._ZL20rocblas_gemvt_kernelILb0ELi256EDF16_ffEviiT2_lPKT1_lilS3_lilS0_lPT3_lili,"axG",@progbits,_ZL20rocblas_gemvt_kernelILb0ELi256EDF16_ffEviiT2_lPKT1_lilS3_lilS0_lPT3_lili,comdat
	.globl	_ZL20rocblas_gemvt_kernelILb0ELi256EDF16_ffEviiT2_lPKT1_lilS3_lilS0_lPT3_lili ; -- Begin function _ZL20rocblas_gemvt_kernelILb0ELi256EDF16_ffEviiT2_lPKT1_lilS3_lilS0_lPT3_lili
	.p2align	8
	.type	_ZL20rocblas_gemvt_kernelILb0ELi256EDF16_ffEviiT2_lPKT1_lilS3_lilS0_lPT3_lili,@function
_ZL20rocblas_gemvt_kernelILb0ELi256EDF16_ffEviiT2_lPKT1_lilS3_lilS0_lPT3_lili: ; @_ZL20rocblas_gemvt_kernelILb0ELi256EDF16_ffEviiT2_lPKT1_lilS3_lilS0_lPT3_lili
; %bb.0:
	s_load_b32 s23, s[0:1], 0x88
	s_bfe_u32 s2, ttmp6, 0x40014
	s_lshr_b32 s3, ttmp7, 16
	s_add_co_i32 s2, s2, 1
	s_bfe_u32 s4, ttmp6, 0x40008
	s_mul_i32 s2, s3, s2
	s_getreg_b32 s11, hwreg(HW_REG_IB_STS2, 6, 4)
	s_add_co_i32 s4, s4, s2
	s_cmp_eq_u32 s11, 0
	s_mov_b32 s25, 0
	s_cselect_b32 s24, s3, s4
	s_wait_kmcnt 0x0
	s_cmp_ge_u32 s24, s23
	s_cbranch_scc1 .LBB491_41
; %bb.1:
	s_clause 0x8
	s_load_b32 s2, s[0:1], 0x28
	s_load_b96 s[8:10], s[0:1], 0x40
	s_load_b32 s30, s[0:1], 0x78
	s_load_b128 s[4:7], s[0:1], 0x68
	s_load_b128 s[16:19], s[0:1], 0x18
	s_load_b32 s33, s[0:1], 0x8
	s_load_b96 s[20:22], s[0:1], 0x50
	s_load_b64 s[26:27], s[0:1], 0x80
	s_load_b32 s42, s[0:1], 0x0
	v_lshlrev_b32_e32 v14, 2, v0
	s_wait_kmcnt 0x0
	s_ashr_i32 s3, s2, 31
	s_ashr_i32 s29, s10, 31
	;; [unrolled: 1-line block ×3, first 2 shown]
	s_lshl_b64 s[34:35], s[8:9], 1
	s_lshl_b64 s[6:7], s[6:7], 2
	;; [unrolled: 1-line block ×3, first 2 shown]
	s_cmp_eq_f32 s33, 0
	s_mov_b32 s28, s10
	s_cselect_b32 s9, -1, 0
	s_cmp_neq_f32 s33, 0
	s_cselect_b32 s8, -1, 0
	s_cmp_neq_f32 s22, 1.0
	s_cselect_b32 s12, -1, 0
	s_delay_alu instid0(SALU_CYCLE_1)
	s_or_b32 s38, s8, s12
	s_cmp_neq_f32 s22, 0
	s_load_b128 s[12:15], s[0:1], 0x30
	v_cmp_gt_i32_e32 vcc_lo, s42, v0
	v_mov_b32_e32 v3, 0
	s_cselect_b32 s39, -1, 0
	s_bfe_u32 s8, ttmp6, 0x4000c
	s_and_b32 s18, ttmp6, 15
	s_add_co_i32 s8, s8, 1
	s_delay_alu instid0(SALU_CYCLE_1) | instskip(NEXT) | instid1(SALU_CYCLE_1)
	s_mul_i32 s8, ttmp9, s8
	s_add_co_i32 s18, s18, s8
	s_cmp_eq_u32 s11, 0
	v_cmp_gt_u32_e64 s8, 2, v0
	s_cselect_b32 s40, ttmp9, s18
	s_wait_xcnt 0x0
	s_ashr_i32 s0, s42, 31
	s_ashr_i32 s41, s40, 31
	s_lshr_b32 s0, s0, 24
	s_mul_u64 s[2:3], s[2:3], s[40:41]
	s_add_co_i32 s0, s42, s0
	s_add_nc_u64 s[18:19], s[4:5], s[6:7]
	s_and_b32 s10, s0, 0xffffff00
	s_delay_alu instid0(SALU_CYCLE_1)
	v_dual_mov_b32 v1, v3 :: v_dual_bitop2_b32 v10, s10, v0 bitop3:0x54
	s_add_nc_u64 s[0:1], s[16:17], s[36:37]
	s_wait_kmcnt 0x0
	s_add_nc_u64 s[14:15], s[14:15], s[34:35]
	s_mul_u64 s[34:35], s[30:31], s[40:41]
	v_mul_u64_e32 v[8:9], s[28:29], v[0:1]
	v_dual_cndmask_b32 v1, 0, v0, vcc_lo :: v_dual_ashrrev_i32 v11, 31, v10
	s_lshl_b64 s[30:31], s[2:3], 1
	v_cmp_gt_u32_e64 s2, 0x80, v0
	v_cmp_gt_u32_e64 s3, 64, v0
	s_delay_alu instid0(VALU_DEP_3)
	v_lshlrev_b32_e32 v2, 1, v1
	v_mul_u64_e32 v[4:5], s[28:29], v[10:11]
	v_cmp_gt_u32_e64 s4, 32, v0
	v_cmp_gt_u32_e64 s5, 16, v0
	;; [unrolled: 1-line block ×3, first 2 shown]
	v_add_nc_u64_e32 v[6:7], s[0:1], v[2:3]
	v_cmp_eq_u32_e64 s0, 0, v0
	v_cmp_gt_u32_e64 s7, 4, v0
	v_cmp_gt_i32_e64 s1, s42, v10
	s_cmp_gt_i32 s42, 0xff
	s_cselect_b32 s40, -1, 0
	v_add_nc_u64_e32 v[6:7], s[30:31], v[6:7]
	s_add_nc_u64 s[30:31], s[30:31], s[36:37]
	s_ashr_i32 s11, s10, 31
	s_add_nc_u64 s[30:31], s[16:17], s[30:31]
	s_lshl_b64 s[16:17], s[20:21], 1
	s_lshl_b64 s[28:29], s[28:29], 9
	;; [unrolled: 1-line block ×3, first 2 shown]
	v_lshl_add_u64 v[0:1], v[8:9], 1, s[14:15]
	v_add_nc_u64_e32 v[8:9], s[30:31], v[2:3]
	s_lshl_b64 s[30:31], s[12:13], 1
	s_branch .LBB491_4
.LBB491_2:                              ;   in Loop: Header=BB491_4 Depth=1
	s_wait_xcnt 0x0
	s_or_b32 exec_lo, exec_lo, s42
.LBB491_3:                              ;   in Loop: Header=BB491_4 Depth=1
	s_add_co_i32 s24, s24, 0x10000
	s_delay_alu instid0(SALU_CYCLE_1)
	s_cmp_lt_u32 s24, s23
	s_cbranch_scc0 .LBB491_41
.LBB491_4:                              ; =>This Loop Header: Depth=1
                                        ;     Child Loop BB491_15 Depth 2
	s_and_not1_b32 vcc_lo, exec_lo, s38
	s_cbranch_vccnz .LBB491_3
; %bb.5:                                ;   in Loop: Header=BB491_4 Depth=1
	s_mul_u64 s[36:37], s[26:27], s[24:25]
	s_and_not1_b32 vcc_lo, exec_lo, s9
	s_lshl_b64 s[36:37], s[36:37], 2
	s_delay_alu instid0(SALU_CYCLE_1)
	s_add_nc_u64 s[36:37], s[18:19], s[36:37]
	s_cbranch_vccnz .LBB491_9
; %bb.6:                                ;   in Loop: Header=BB491_4 Depth=1
	s_mov_b32 s42, 0
	s_mov_b32 s41, 0
                                        ; implicit-def: $vgpr2
	s_and_saveexec_b32 s43, s0
	s_cbranch_execz .LBB491_10
; %bb.7:                                ;   in Loop: Header=BB491_4 Depth=1
	s_and_not1_b32 vcc_lo, exec_lo, s39
	s_cbranch_vccnz .LBB491_11
; %bb.8:                                ;   in Loop: Header=BB491_4 Depth=1
	s_add_nc_u64 s[44:45], s[36:37], s[34:35]
	global_load_b32 v2, v3, s[44:45]
	s_wait_loadcnt 0x0
	v_mul_f32_e32 v2, s22, v2
	s_branch .LBB491_12
.LBB491_9:                              ;   in Loop: Header=BB491_4 Depth=1
	s_mov_b32 s41, 0
                                        ; implicit-def: $vgpr2
	s_cbranch_execnz .LBB491_13
	s_branch .LBB491_39
.LBB491_10:                             ;   in Loop: Header=BB491_4 Depth=1
	s_or_b32 exec_lo, exec_lo, s43
	s_delay_alu instid0(SALU_CYCLE_1)
	s_and_b32 vcc_lo, exec_lo, s42
	s_cbranch_vccnz .LBB491_13
	s_branch .LBB491_39
.LBB491_11:                             ;   in Loop: Header=BB491_4 Depth=1
	v_mov_b32_e32 v2, 0
.LBB491_12:                             ;   in Loop: Header=BB491_4 Depth=1
	s_mov_b32 s41, exec_lo
	s_wait_xcnt 0x0
	s_or_b32 exec_lo, exec_lo, s43
	s_delay_alu instid0(SALU_CYCLE_1)
	s_and_b32 vcc_lo, exec_lo, s42
	s_cbranch_vccz .LBB491_39
.LBB491_13:                             ;   in Loop: Header=BB491_4 Depth=1
	v_mov_b32_e32 v2, 0
	s_and_not1_b32 vcc_lo, exec_lo, s40
	s_cbranch_vccnz .LBB491_16
; %bb.14:                               ;   in Loop: Header=BB491_4 Depth=1
	v_mad_nc_u64_u32 v[10:11], s16, s24, v[0:1]
	v_mad_nc_u64_u32 v[12:13], s30, s24, v[8:9]
	v_mov_b32_e32 v2, 0
	s_mov_b32 s42, 0
	s_delay_alu instid0(VALU_DEP_3) | instskip(NEXT) | instid1(VALU_DEP_3)
	v_mad_u32 v11, s17, s24, v11
	v_mad_u32 v13, s31, s24, v13
.LBB491_15:                             ;   Parent Loop BB491_4 Depth=1
                                        ; =>  This Inner Loop Header: Depth=2
	global_load_u16 v15, v[12:13], off
	global_load_u16 v16, v[10:11], off
	s_wait_xcnt 0x0
	v_add_nc_u64_e32 v[10:11], s[28:29], v[10:11]
	v_add_nc_u64_e32 v[12:13], 0x200, v[12:13]
	s_addk_co_i32 s42, 0x100
	s_delay_alu instid0(SALU_CYCLE_1) | instskip(SKIP_2) | instid1(VALU_DEP_1)
	s_cmp_ge_i32 s42, s10
	s_wait_loadcnt 0x0
	v_mul_f16_e32 v15, v15, v16
	v_cvt_f32_f16_e32 v15, v15
	s_delay_alu instid0(VALU_DEP_1)
	v_add_f32_e32 v2, v2, v15
	s_cbranch_scc0 .LBB491_15
.LBB491_16:                             ;   in Loop: Header=BB491_4 Depth=1
	s_and_saveexec_b32 s42, s1
	s_cbranch_execz .LBB491_18
; %bb.17:                               ;   in Loop: Header=BB491_4 Depth=1
	s_mul_u64 s[44:45], s[12:13], s[24:25]
	s_mul_u64 s[46:47], s[20:21], s[24:25]
	v_lshl_add_u64 v[10:11], s[44:45], 1, v[6:7]
	s_lshl_b64 s[44:45], s[46:47], 1
	s_delay_alu instid0(SALU_CYCLE_1) | instskip(NEXT) | instid1(SALU_CYCLE_1)
	s_add_nc_u64 s[44:45], s[14:15], s[44:45]
	v_lshl_add_u64 v[12:13], v[4:5], 1, s[44:45]
	s_delay_alu instid0(VALU_DEP_2)
	v_lshl_add_u64 v[10:11], s[10:11], 1, v[10:11]
	global_load_u16 v15, v[10:11], off
	global_load_u16 v16, v[12:13], off
	s_wait_loadcnt 0x0
	s_wait_xcnt 0x1
	v_mul_f16_e32 v10, v15, v16
	s_delay_alu instid0(VALU_DEP_1) | instskip(NEXT) | instid1(VALU_DEP_1)
	v_cvt_f32_f16_e32 v10, v10
	v_add_f32_e32 v2, v2, v10
.LBB491_18:                             ;   in Loop: Header=BB491_4 Depth=1
	s_wait_xcnt 0x0
	s_or_b32 exec_lo, exec_lo, s42
	ds_store_b32 v14, v2
	s_wait_dscnt 0x0
	s_barrier_signal -1
	s_barrier_wait -1
	s_and_saveexec_b32 s42, s2
	s_cbranch_execz .LBB491_20
; %bb.19:                               ;   in Loop: Header=BB491_4 Depth=1
	ds_load_2addr_stride64_b32 v[10:11], v14 offset1:2
	s_wait_dscnt 0x0
	v_add_f32_e32 v2, v11, v10
	ds_store_b32 v14, v2
.LBB491_20:                             ;   in Loop: Header=BB491_4 Depth=1
	s_or_b32 exec_lo, exec_lo, s42
	s_wait_dscnt 0x0
	s_barrier_signal -1
	s_barrier_wait -1
	s_and_saveexec_b32 s42, s3
	s_cbranch_execz .LBB491_22
; %bb.21:                               ;   in Loop: Header=BB491_4 Depth=1
	ds_load_2addr_stride64_b32 v[10:11], v14 offset1:1
	s_wait_dscnt 0x0
	v_add_f32_e32 v2, v11, v10
	ds_store_b32 v14, v2
.LBB491_22:                             ;   in Loop: Header=BB491_4 Depth=1
	s_or_b32 exec_lo, exec_lo, s42
	s_wait_dscnt 0x0
	s_barrier_signal -1
	s_barrier_wait -1
	s_and_saveexec_b32 s42, s4
	s_cbranch_execz .LBB491_24
; %bb.23:                               ;   in Loop: Header=BB491_4 Depth=1
	ds_load_2addr_b32 v[10:11], v14 offset1:32
	s_wait_dscnt 0x0
	v_add_f32_e32 v2, v11, v10
	ds_store_b32 v14, v2
.LBB491_24:                             ;   in Loop: Header=BB491_4 Depth=1
	s_or_b32 exec_lo, exec_lo, s42
	s_wait_dscnt 0x0
	s_barrier_signal -1
	s_barrier_wait -1
	s_and_saveexec_b32 s42, s5
	s_cbranch_execz .LBB491_26
; %bb.25:                               ;   in Loop: Header=BB491_4 Depth=1
	ds_load_2addr_b32 v[10:11], v14 offset1:16
	s_wait_dscnt 0x0
	v_add_f32_e32 v2, v11, v10
	ds_store_b32 v14, v2
.LBB491_26:                             ;   in Loop: Header=BB491_4 Depth=1
	;; [unrolled: 12-line block ×5, first 2 shown]
	s_or_b32 exec_lo, exec_lo, s42
	s_wait_dscnt 0x0
	s_barrier_signal -1
	s_barrier_wait -1
	s_and_saveexec_b32 s42, s0
	s_cbranch_execz .LBB491_34
; %bb.33:                               ;   in Loop: Header=BB491_4 Depth=1
	ds_load_b64 v[10:11], v3
	s_wait_dscnt 0x0
	v_add_f32_e32 v2, v11, v10
	ds_store_b32 v3, v2
.LBB491_34:                             ;   in Loop: Header=BB491_4 Depth=1
	s_or_b32 exec_lo, exec_lo, s42
	s_wait_dscnt 0x0
	s_barrier_signal -1
	s_barrier_wait -1
                                        ; implicit-def: $vgpr2
	s_and_saveexec_b32 s42, s0
	s_cbranch_execz .LBB491_38
; %bb.35:                               ;   in Loop: Header=BB491_4 Depth=1
	ds_load_b32 v2, v3
	s_and_not1_b32 vcc_lo, exec_lo, s39
	s_wait_dscnt 0x0
	v_mul_f32_e32 v2, s33, v2
	s_cbranch_vccnz .LBB491_37
; %bb.36:                               ;   in Loop: Header=BB491_4 Depth=1
	s_add_nc_u64 s[44:45], s[36:37], s[34:35]
	global_load_b32 v10, v3, s[44:45]
	s_wait_loadcnt 0x0
	v_fmac_f32_e32 v2, s22, v10
.LBB491_37:                             ;   in Loop: Header=BB491_4 Depth=1
	s_or_b32 s41, s41, exec_lo
.LBB491_38:                             ;   in Loop: Header=BB491_4 Depth=1
	s_wait_xcnt 0x0
	s_or_b32 exec_lo, exec_lo, s42
.LBB491_39:                             ;   in Loop: Header=BB491_4 Depth=1
	s_and_saveexec_b32 s42, s41
	s_cbranch_execz .LBB491_2
; %bb.40:                               ;   in Loop: Header=BB491_4 Depth=1
	s_add_nc_u64 s[36:37], s[36:37], s[34:35]
	global_store_b32 v3, v2, s[36:37]
	s_branch .LBB491_2
.LBB491_41:
	s_endpgm
	.section	.rodata,"a",@progbits
	.p2align	6, 0x0
	.amdhsa_kernel _ZL20rocblas_gemvt_kernelILb0ELi256EDF16_ffEviiT2_lPKT1_lilS3_lilS0_lPT3_lili
		.amdhsa_group_segment_fixed_size 1024
		.amdhsa_private_segment_fixed_size 0
		.amdhsa_kernarg_size 140
		.amdhsa_user_sgpr_count 2
		.amdhsa_user_sgpr_dispatch_ptr 0
		.amdhsa_user_sgpr_queue_ptr 0
		.amdhsa_user_sgpr_kernarg_segment_ptr 1
		.amdhsa_user_sgpr_dispatch_id 0
		.amdhsa_user_sgpr_kernarg_preload_length 0
		.amdhsa_user_sgpr_kernarg_preload_offset 0
		.amdhsa_user_sgpr_private_segment_size 0
		.amdhsa_wavefront_size32 1
		.amdhsa_uses_dynamic_stack 0
		.amdhsa_enable_private_segment 0
		.amdhsa_system_sgpr_workgroup_id_x 1
		.amdhsa_system_sgpr_workgroup_id_y 0
		.amdhsa_system_sgpr_workgroup_id_z 1
		.amdhsa_system_sgpr_workgroup_info 0
		.amdhsa_system_vgpr_workitem_id 0
		.amdhsa_next_free_vgpr 17
		.amdhsa_next_free_sgpr 48
		.amdhsa_named_barrier_count 0
		.amdhsa_reserve_vcc 1
		.amdhsa_float_round_mode_32 0
		.amdhsa_float_round_mode_16_64 0
		.amdhsa_float_denorm_mode_32 3
		.amdhsa_float_denorm_mode_16_64 3
		.amdhsa_fp16_overflow 0
		.amdhsa_memory_ordered 1
		.amdhsa_forward_progress 1
		.amdhsa_inst_pref_size 12
		.amdhsa_round_robin_scheduling 0
		.amdhsa_exception_fp_ieee_invalid_op 0
		.amdhsa_exception_fp_denorm_src 0
		.amdhsa_exception_fp_ieee_div_zero 0
		.amdhsa_exception_fp_ieee_overflow 0
		.amdhsa_exception_fp_ieee_underflow 0
		.amdhsa_exception_fp_ieee_inexact 0
		.amdhsa_exception_int_div_zero 0
	.end_amdhsa_kernel
	.section	.text._ZL20rocblas_gemvt_kernelILb0ELi256EDF16_ffEviiT2_lPKT1_lilS3_lilS0_lPT3_lili,"axG",@progbits,_ZL20rocblas_gemvt_kernelILb0ELi256EDF16_ffEviiT2_lPKT1_lilS3_lilS0_lPT3_lili,comdat
.Lfunc_end491:
	.size	_ZL20rocblas_gemvt_kernelILb0ELi256EDF16_ffEviiT2_lPKT1_lilS3_lilS0_lPT3_lili, .Lfunc_end491-_ZL20rocblas_gemvt_kernelILb0ELi256EDF16_ffEviiT2_lPKT1_lilS3_lilS0_lPT3_lili
                                        ; -- End function
	.set _ZL20rocblas_gemvt_kernelILb0ELi256EDF16_ffEviiT2_lPKT1_lilS3_lilS0_lPT3_lili.num_vgpr, 17
	.set _ZL20rocblas_gemvt_kernelILb0ELi256EDF16_ffEviiT2_lPKT1_lilS3_lilS0_lPT3_lili.num_agpr, 0
	.set _ZL20rocblas_gemvt_kernelILb0ELi256EDF16_ffEviiT2_lPKT1_lilS3_lilS0_lPT3_lili.numbered_sgpr, 48
	.set _ZL20rocblas_gemvt_kernelILb0ELi256EDF16_ffEviiT2_lPKT1_lilS3_lilS0_lPT3_lili.num_named_barrier, 0
	.set _ZL20rocblas_gemvt_kernelILb0ELi256EDF16_ffEviiT2_lPKT1_lilS3_lilS0_lPT3_lili.private_seg_size, 0
	.set _ZL20rocblas_gemvt_kernelILb0ELi256EDF16_ffEviiT2_lPKT1_lilS3_lilS0_lPT3_lili.uses_vcc, 1
	.set _ZL20rocblas_gemvt_kernelILb0ELi256EDF16_ffEviiT2_lPKT1_lilS3_lilS0_lPT3_lili.uses_flat_scratch, 0
	.set _ZL20rocblas_gemvt_kernelILb0ELi256EDF16_ffEviiT2_lPKT1_lilS3_lilS0_lPT3_lili.has_dyn_sized_stack, 0
	.set _ZL20rocblas_gemvt_kernelILb0ELi256EDF16_ffEviiT2_lPKT1_lilS3_lilS0_lPT3_lili.has_recursion, 0
	.set _ZL20rocblas_gemvt_kernelILb0ELi256EDF16_ffEviiT2_lPKT1_lilS3_lilS0_lPT3_lili.has_indirect_call, 0
	.section	.AMDGPU.csdata,"",@progbits
; Kernel info:
; codeLenInByte = 1432
; TotalNumSgprs: 50
; NumVgprs: 17
; ScratchSize: 0
; MemoryBound: 0
; FloatMode: 240
; IeeeMode: 1
; LDSByteSize: 1024 bytes/workgroup (compile time only)
; SGPRBlocks: 0
; VGPRBlocks: 1
; NumSGPRsForWavesPerEU: 50
; NumVGPRsForWavesPerEU: 17
; NamedBarCnt: 0
; Occupancy: 16
; WaveLimiterHint : 0
; COMPUTE_PGM_RSRC2:SCRATCH_EN: 0
; COMPUTE_PGM_RSRC2:USER_SGPR: 2
; COMPUTE_PGM_RSRC2:TRAP_HANDLER: 0
; COMPUTE_PGM_RSRC2:TGID_X_EN: 1
; COMPUTE_PGM_RSRC2:TGID_Y_EN: 0
; COMPUTE_PGM_RSRC2:TGID_Z_EN: 1
; COMPUTE_PGM_RSRC2:TIDIG_COMP_CNT: 0
	.section	.text._ZL32rocblas_gemvt_warp_reduce_kernelILb0ELi1024EiDF16_PKffEviiT3_lPKT2_lT1_lS5_lS6_lS2_lPT4_lS6_li,"axG",@progbits,_ZL32rocblas_gemvt_warp_reduce_kernelILb0ELi1024EiDF16_PKffEviiT3_lPKT2_lT1_lS5_lS6_lS2_lPT4_lS6_li,comdat
	.globl	_ZL32rocblas_gemvt_warp_reduce_kernelILb0ELi1024EiDF16_PKffEviiT3_lPKT2_lT1_lS5_lS6_lS2_lPT4_lS6_li ; -- Begin function _ZL32rocblas_gemvt_warp_reduce_kernelILb0ELi1024EiDF16_PKffEviiT3_lPKT2_lT1_lS5_lS6_lS2_lPT4_lS6_li
	.p2align	8
	.type	_ZL32rocblas_gemvt_warp_reduce_kernelILb0ELi1024EiDF16_PKffEviiT3_lPKT2_lT1_lS5_lS6_lS2_lPT4_lS6_li,@function
_ZL32rocblas_gemvt_warp_reduce_kernelILb0ELi1024EiDF16_PKffEviiT3_lPKT2_lT1_lS5_lS6_lS2_lPT4_lS6_li: ; @_ZL32rocblas_gemvt_warp_reduce_kernelILb0ELi1024EiDF16_PKffEviiT3_lPKT2_lT1_lS5_lS6_lS2_lPT4_lS6_li
; %bb.0:
	s_load_b32 s33, s[0:1], 0x88
	s_bfe_u32 s2, ttmp6, 0x40014
	s_lshr_b32 s3, ttmp7, 16
	s_add_co_i32 s2, s2, 1
	s_bfe_u32 s5, ttmp6, 0x40008
	s_mul_i32 s4, s3, s2
	s_getreg_b32 s2, hwreg(HW_REG_IB_STS2, 6, 4)
	s_add_co_i32 s5, s5, s4
	s_cmp_eq_u32 s2, 0
	s_mov_b32 s35, 0
	s_cselect_b32 s34, s3, s5
	s_wait_kmcnt 0x0
	s_cmp_ge_u32 s34, s33
	s_cbranch_scc1 .LBB492_34
; %bb.1:
	s_clause 0x7
	s_load_b96 s[4:6], s[0:1], 0x40
	s_load_b96 s[28:30], s[0:1], 0x70
	s_load_b256 s[8:15], s[0:1], 0x8
	s_load_b32 s7, s[0:1], 0x0
	s_load_b32 s31, s[0:1], 0x28
	s_load_b128 s[24:27], s[0:1], 0x30
	s_load_b256 s[16:23], s[0:1], 0x50
	s_load_b64 s[36:37], s[0:1], 0x80
	s_wait_xcnt 0x0
	s_bfe_u32 s1, ttmp6, 0x4000c
	s_and_b32 s3, ttmp6, 15
	s_add_co_i32 s1, s1, 1
	v_dual_mov_b32 v3, 0 :: v_dual_bitop2_b32 v8, 31, v0 bitop3:0x40
	s_mul_i32 s1, ttmp9, s1
	v_mbcnt_lo_u32_b32 v13, -1, 0
	s_add_co_i32 s3, s3, s1
	v_cmp_eq_u32_e64 s0, 0, v0
	v_cmp_gt_u32_e64 s1, 32, v0
	s_delay_alu instid0(VALU_DEP_3)
	v_lshl_or_b32 v14, v13, 2, 64
	s_wait_kmcnt 0x0
	s_lshl_b64 s[4:5], s[4:5], 1
	s_lshl_b64 s[28:29], s[28:29], 2
	;; [unrolled: 1-line block ×3, first 2 shown]
	v_cmp_gt_i32_e32 vcc_lo, s7, v0
	s_cmp_eq_u32 s2, 0
	v_lshrrev_b32_e32 v10, 3, v0
	s_cselect_b32 s15, ttmp9, s3
	s_ashr_i32 s2, s7, 31
	v_cndmask_b32_e32 v2, 0, v0, vcc_lo
	s_lshr_b32 s2, s2, 22
	v_lshlrev_b32_e32 v1, 2, v8
	s_add_co_i32 s2, s7, s2
	s_add_nc_u64 s[26:27], s[26:27], s[4:5]
	s_and_b32 s14, s2, 0xfffffc00
	s_delay_alu instid0(SALU_CYCLE_1) | instskip(SKIP_3) | instid1(VALU_DEP_2)
	v_dual_lshlrev_b32 v2, 1, v2 :: v_dual_bitop2_b32 v5, s14, v0 bitop3:0x54
	s_add_nc_u64 s[2:3], s[12:13], s[38:39]
	s_mul_i32 s4, s31, s15
	v_mul_lo_u32 v12, v0, s6
	v_add_nc_u64_e32 v[6:7], s[2:3], v[2:3]
	v_mul_lo_u32 v4, s6, v5
	s_ashr_i32 s5, s4, 31
	s_add_nc_u64 s[22:23], s[22:23], s[28:29]
	s_lshl_b64 s[4:5], s[4:5], 1
	s_mul_i32 s28, s30, s15
	v_cmp_gt_i32_e64 s2, s14, v0
	v_add_nc_u64_e32 v[6:7], s[4:5], v[6:7]
	s_add_nc_u64 s[4:5], s[38:39], s[4:5]
	v_cmp_gt_i32_e64 s3, s7, v5
	s_add_nc_u64 s[12:13], s[12:13], s[4:5]
	v_cmp_eq_u32_e64 s4, 0, v8
	v_add_nc_u64_e32 v[8:9], s[12:13], v[2:3]
	v_ashrrev_i32_e32 v5, 31, v4
	v_and_b32_e32 v2, 0x7c, v10
	s_ashr_i32 s29, s28, 31
	s_ashr_i32 s15, s14, 31
	s_lshl_b32 s38, s6, 10
	s_lshl_b64 s[6:7], s[24:25], 1
	s_lshl_b64 s[12:13], s[28:29], 2
	s_branch .LBB492_4
.LBB492_2:                              ;   in Loop: Header=BB492_4 Depth=1
	s_wait_xcnt 0x0
	s_or_b32 exec_lo, exec_lo, s5
.LBB492_3:                              ;   in Loop: Header=BB492_4 Depth=1
	s_add_co_i32 s34, s34, 0x10000
	s_delay_alu instid0(SALU_CYCLE_1)
	s_cmp_lt_u32 s34, s33
	s_cbranch_scc0 .LBB492_34
.LBB492_4:                              ; =>This Loop Header: Depth=1
                                        ;     Child Loop BB492_23 Depth 2
	s_mul_u64 s[28:29], s[10:11], s[34:35]
	s_wait_xcnt 0x0
	s_mul_u64 s[30:31], s[20:21], s[34:35]
	s_lshl_b64 s[28:29], s[28:29], 2
	s_lshl_b64 s[30:31], s[30:31], 2
	s_add_nc_u64 s[28:29], s[8:9], s[28:29]
	s_add_nc_u64 s[30:31], s[18:19], s[30:31]
	s_clause 0x1
	global_load_b32 v15, v3, s[28:29]
	global_load_b32 v10, v3, s[30:31]
	s_wait_loadcnt 0x1
	v_cmp_eq_f32_e32 vcc_lo, 0, v15
	s_wait_loadcnt 0x0
	v_cmp_eq_f32_e64 s5, 1.0, v10
	s_wait_xcnt 0x1
	s_and_b32 s28, vcc_lo, s5
	v_readfirstlane_b32 s5, v10
	s_and_b32 vcc_lo, exec_lo, s28
	s_cbranch_vccnz .LBB492_3
; %bb.5:                                ;   in Loop: Header=BB492_4 Depth=1
	v_cmp_neq_f32_e32 vcc_lo, 0, v15
	s_mul_u64 s[28:29], s[36:37], s[34:35]
	s_delay_alu instid0(SALU_CYCLE_1) | instskip(NEXT) | instid1(SALU_CYCLE_1)
	s_lshl_b64 s[28:29], s[28:29], 2
	s_add_nc_u64 s[28:29], s[22:23], s[28:29]
	s_cbranch_vccnz .LBB492_9
; %bb.6:                                ;   in Loop: Header=BB492_4 Depth=1
	s_wait_xcnt 0x0
	s_mov_b32 s30, 0
	s_mov_b32 s39, 0
                                        ; implicit-def: $vgpr10
	s_and_saveexec_b32 s31, s0
	s_cbranch_execz .LBB492_10
; %bb.7:                                ;   in Loop: Header=BB492_4 Depth=1
	s_cmp_eq_f32 s5, 0
	s_cbranch_scc1 .LBB492_11
; %bb.8:                                ;   in Loop: Header=BB492_4 Depth=1
	s_add_nc_u64 s[40:41], s[28:29], s[12:13]
	global_load_b32 v10, v3, s[40:41]
	s_wait_loadcnt 0x0
	v_mul_f32_e32 v10, s5, v10
	s_branch .LBB492_12
.LBB492_9:                              ;   in Loop: Header=BB492_4 Depth=1
	s_wait_xcnt 0x0
	s_mov_b32 s39, 0
                                        ; implicit-def: $vgpr10
	s_cbranch_execnz .LBB492_13
	s_branch .LBB492_32
.LBB492_10:                             ;   in Loop: Header=BB492_4 Depth=1
	s_or_b32 exec_lo, exec_lo, s31
	s_delay_alu instid0(SALU_CYCLE_1)
	s_and_b32 vcc_lo, exec_lo, s30
	s_cbranch_vccnz .LBB492_13
	s_branch .LBB492_32
.LBB492_11:                             ;   in Loop: Header=BB492_4 Depth=1
	v_mov_b32_e32 v10, 0
.LBB492_12:                             ;   in Loop: Header=BB492_4 Depth=1
	s_mov_b32 s39, exec_lo
	s_wait_xcnt 0x0
	s_or_b32 exec_lo, exec_lo, s31
	s_delay_alu instid0(SALU_CYCLE_1)
	s_and_b32 vcc_lo, exec_lo, s30
	s_cbranch_vccz .LBB492_32
.LBB492_13:                             ;   in Loop: Header=BB492_4 Depth=1
	s_mul_u64 s[30:31], s[16:17], s[34:35]
	v_mov_b32_e32 v16, 0
	s_lshl_b64 s[30:31], s[30:31], 1
	s_delay_alu instid0(SALU_CYCLE_1)
	s_add_nc_u64 s[30:31], s[26:27], s[30:31]
	s_and_saveexec_b32 s40, s2
	s_cbranch_execnz .LBB492_22
; %bb.14:                               ;   in Loop: Header=BB492_4 Depth=1
	s_or_b32 exec_lo, exec_lo, s40
	s_and_saveexec_b32 s40, s3
	s_cbranch_execnz .LBB492_25
.LBB492_15:                             ;   in Loop: Header=BB492_4 Depth=1
	s_or_b32 exec_lo, exec_lo, s40
	s_and_saveexec_b32 s30, s1
.LBB492_16:                             ;   in Loop: Header=BB492_4 Depth=1
	ds_store_b32 v1, v3
.LBB492_17:                             ;   in Loop: Header=BB492_4 Depth=1
	s_or_b32 exec_lo, exec_lo, s30
	ds_bpermute_b32 v11, v14, v16
	v_cmp_gt_u32_e32 vcc_lo, 24, v13
	s_wait_dscnt 0x0
	s_barrier_signal -1
	s_barrier_wait -1
	v_cndmask_b32_e64 v10, 0, 8, vcc_lo
	v_cmp_gt_u32_e32 vcc_lo, 28, v13
	s_delay_alu instid0(VALU_DEP_2)
	v_add_lshl_u32 v10, v10, v13, 2
	v_add_f32_e32 v16, v16, v11
	v_cndmask_b32_e64 v11, 0, 4, vcc_lo
	v_cmp_gt_u32_e32 vcc_lo, 30, v13
	ds_bpermute_b32 v17, v10, v16
	v_add_lshl_u32 v11, v11, v13, 2
	s_wait_dscnt 0x0
	v_add_f32_e32 v17, v16, v17
	v_cndmask_b32_e64 v16, 0, 2, vcc_lo
	v_cmp_ne_u32_e32 vcc_lo, 31, v13
	ds_bpermute_b32 v18, v11, v17
	v_add_lshl_u32 v16, v16, v13, 2
	v_add_co_ci_u32_e64 v19, null, 0, v13, vcc_lo
	s_wait_dscnt 0x0
	v_add_f32_e32 v17, v17, v18
	ds_bpermute_b32 v18, v16, v17
	s_wait_dscnt 0x0
	v_dual_add_f32 v18, v17, v18 :: v_dual_lshlrev_b32 v17, 2, v19
	ds_bpermute_b32 v19, v17, v18
	s_and_saveexec_b32 s30, s4
	s_cbranch_execz .LBB492_19
; %bb.18:                               ;   in Loop: Header=BB492_4 Depth=1
	s_wait_dscnt 0x0
	v_add_f32_e32 v18, v18, v19
	ds_store_b32 v2, v18
.LBB492_19:                             ;   in Loop: Header=BB492_4 Depth=1
	s_or_b32 exec_lo, exec_lo, s30
	v_mov_b32_e32 v18, 0
	s_wait_dscnt 0x0
	s_barrier_signal -1
	s_barrier_wait -1
	s_and_saveexec_b32 s30, s1
	s_cbranch_execnz .LBB492_26
; %bb.20:                               ;   in Loop: Header=BB492_4 Depth=1
	s_or_b32 exec_lo, exec_lo, s30
	s_and_saveexec_b32 s30, s1
	s_cbranch_execnz .LBB492_27
.LBB492_21:                             ;   in Loop: Header=BB492_4 Depth=1
	s_or_b32 exec_lo, exec_lo, s30
                                        ; implicit-def: $vgpr10
	s_and_saveexec_b32 s30, s0
	s_cbranch_execnz .LBB492_28
	s_branch .LBB492_31
.LBB492_22:                             ;   in Loop: Header=BB492_4 Depth=1
	v_mad_nc_u64_u32 v[10:11], s6, s34, v[8:9]
	v_dual_mov_b32 v16, 0 :: v_dual_mov_b32 v17, v0
	s_wait_dscnt 0x0
	v_mov_b32_e32 v18, v12
	s_mov_b32 s41, 0
	s_delay_alu instid0(VALU_DEP_3)
	v_mad_u32 v11, s7, s34, v11
.LBB492_23:                             ;   Parent Loop BB492_4 Depth=1
                                        ; =>  This Inner Loop Header: Depth=2
	global_load_u16 v19, v[10:11], off
	global_load_u16 v20, v18, s[30:31] scale_offset
	s_wait_xcnt 0x1
	v_add_nc_u64_e32 v[10:11], 0x800, v[10:11]
	s_wait_xcnt 0x0
	v_add_nc_u32_e32 v18, s38, v18
	s_wait_loadcnt 0x0
	v_mul_f16_e32 v19, v19, v20
	s_delay_alu instid0(VALU_DEP_1) | instskip(NEXT) | instid1(VALU_DEP_1)
	v_cvt_f32_f16_e32 v19, v19
	v_dual_add_f32 v16, v16, v19 :: v_dual_add_nc_u32 v17, 0x400, v17
	s_delay_alu instid0(VALU_DEP_1) | instskip(SKIP_1) | instid1(SALU_CYCLE_1)
	v_cmp_le_i32_e32 vcc_lo, s14, v17
	s_or_b32 s41, vcc_lo, s41
	s_and_not1_b32 exec_lo, exec_lo, s41
	s_cbranch_execnz .LBB492_23
; %bb.24:                               ;   in Loop: Header=BB492_4 Depth=1
	s_or_b32 exec_lo, exec_lo, s41
	s_delay_alu instid0(SALU_CYCLE_1)
	s_or_b32 exec_lo, exec_lo, s40
	s_and_saveexec_b32 s40, s3
	s_cbranch_execz .LBB492_15
.LBB492_25:                             ;   in Loop: Header=BB492_4 Depth=1
	s_mul_u64 s[42:43], s[24:25], s[34:35]
	s_wait_dscnt 0x0
	v_lshl_add_u64 v[18:19], v[4:5], 1, s[30:31]
	v_lshl_add_u64 v[10:11], s[42:43], 1, v[6:7]
	s_delay_alu instid0(VALU_DEP_1)
	v_lshl_add_u64 v[10:11], s[14:15], 1, v[10:11]
	global_load_u16 v17, v[10:11], off
	global_load_u16 v20, v[18:19], off
	s_wait_loadcnt 0x0
	s_wait_xcnt 0x1
	v_mul_f16_e32 v10, v17, v20
	s_delay_alu instid0(VALU_DEP_1) | instskip(NEXT) | instid1(VALU_DEP_1)
	v_cvt_f32_f16_e32 v10, v10
	v_add_f32_e32 v16, v16, v10
	s_wait_xcnt 0x0
	s_or_b32 exec_lo, exec_lo, s40
	s_and_saveexec_b32 s30, s1
	s_cbranch_execnz .LBB492_16
	s_branch .LBB492_17
.LBB492_26:                             ;   in Loop: Header=BB492_4 Depth=1
	ds_load_b32 v18, v1
	s_or_b32 exec_lo, exec_lo, s30
	s_and_saveexec_b32 s30, s1
	s_cbranch_execz .LBB492_21
.LBB492_27:                             ;   in Loop: Header=BB492_4 Depth=1
	s_wait_dscnt 0x0
	ds_bpermute_b32 v19, v14, v18
	s_wait_dscnt 0x0
	v_add_f32_e32 v18, v18, v19
	ds_bpermute_b32 v10, v10, v18
	s_wait_dscnt 0x0
	v_add_f32_e32 v10, v18, v10
	;; [unrolled: 3-line block ×5, first 2 shown]
	s_or_b32 exec_lo, exec_lo, s30
                                        ; implicit-def: $vgpr10
	s_and_saveexec_b32 s30, s0
	s_cbranch_execz .LBB492_31
.LBB492_28:                             ;   in Loop: Header=BB492_4 Depth=1
	s_wait_dscnt 0x0
	v_mul_f32_e32 v10, v15, v18
	s_cmp_eq_f32 s5, 0
	s_cbranch_scc1 .LBB492_30
; %bb.29:                               ;   in Loop: Header=BB492_4 Depth=1
	s_add_nc_u64 s[40:41], s[28:29], s[12:13]
	global_load_b32 v11, v3, s[40:41]
	s_wait_loadcnt 0x0
	v_fmac_f32_e32 v10, s5, v11
.LBB492_30:                             ;   in Loop: Header=BB492_4 Depth=1
	s_or_b32 s39, s39, exec_lo
.LBB492_31:                             ;   in Loop: Header=BB492_4 Depth=1
	s_wait_xcnt 0x0
	s_or_b32 exec_lo, exec_lo, s30
.LBB492_32:                             ;   in Loop: Header=BB492_4 Depth=1
	s_and_saveexec_b32 s5, s39
	s_cbranch_execz .LBB492_2
; %bb.33:                               ;   in Loop: Header=BB492_4 Depth=1
	s_add_nc_u64 s[28:29], s[28:29], s[12:13]
	global_store_b32 v3, v10, s[28:29]
	s_branch .LBB492_2
.LBB492_34:
	s_endpgm
	.section	.rodata,"a",@progbits
	.p2align	6, 0x0
	.amdhsa_kernel _ZL32rocblas_gemvt_warp_reduce_kernelILb0ELi1024EiDF16_PKffEviiT3_lPKT2_lT1_lS5_lS6_lS2_lPT4_lS6_li
		.amdhsa_group_segment_fixed_size 128
		.amdhsa_private_segment_fixed_size 0
		.amdhsa_kernarg_size 140
		.amdhsa_user_sgpr_count 2
		.amdhsa_user_sgpr_dispatch_ptr 0
		.amdhsa_user_sgpr_queue_ptr 0
		.amdhsa_user_sgpr_kernarg_segment_ptr 1
		.amdhsa_user_sgpr_dispatch_id 0
		.amdhsa_user_sgpr_kernarg_preload_length 0
		.amdhsa_user_sgpr_kernarg_preload_offset 0
		.amdhsa_user_sgpr_private_segment_size 0
		.amdhsa_wavefront_size32 1
		.amdhsa_uses_dynamic_stack 0
		.amdhsa_enable_private_segment 0
		.amdhsa_system_sgpr_workgroup_id_x 1
		.amdhsa_system_sgpr_workgroup_id_y 0
		.amdhsa_system_sgpr_workgroup_id_z 1
		.amdhsa_system_sgpr_workgroup_info 0
		.amdhsa_system_vgpr_workitem_id 0
		.amdhsa_next_free_vgpr 21
		.amdhsa_next_free_sgpr 44
		.amdhsa_named_barrier_count 0
		.amdhsa_reserve_vcc 1
		.amdhsa_float_round_mode_32 0
		.amdhsa_float_round_mode_16_64 0
		.amdhsa_float_denorm_mode_32 3
		.amdhsa_float_denorm_mode_16_64 3
		.amdhsa_fp16_overflow 0
		.amdhsa_memory_ordered 1
		.amdhsa_forward_progress 1
		.amdhsa_inst_pref_size 12
		.amdhsa_round_robin_scheduling 0
		.amdhsa_exception_fp_ieee_invalid_op 0
		.amdhsa_exception_fp_denorm_src 0
		.amdhsa_exception_fp_ieee_div_zero 0
		.amdhsa_exception_fp_ieee_overflow 0
		.amdhsa_exception_fp_ieee_underflow 0
		.amdhsa_exception_fp_ieee_inexact 0
		.amdhsa_exception_int_div_zero 0
	.end_amdhsa_kernel
	.section	.text._ZL32rocblas_gemvt_warp_reduce_kernelILb0ELi1024EiDF16_PKffEviiT3_lPKT2_lT1_lS5_lS6_lS2_lPT4_lS6_li,"axG",@progbits,_ZL32rocblas_gemvt_warp_reduce_kernelILb0ELi1024EiDF16_PKffEviiT3_lPKT2_lT1_lS5_lS6_lS2_lPT4_lS6_li,comdat
.Lfunc_end492:
	.size	_ZL32rocblas_gemvt_warp_reduce_kernelILb0ELi1024EiDF16_PKffEviiT3_lPKT2_lT1_lS5_lS6_lS2_lPT4_lS6_li, .Lfunc_end492-_ZL32rocblas_gemvt_warp_reduce_kernelILb0ELi1024EiDF16_PKffEviiT3_lPKT2_lT1_lS5_lS6_lS2_lPT4_lS6_li
                                        ; -- End function
	.set _ZL32rocblas_gemvt_warp_reduce_kernelILb0ELi1024EiDF16_PKffEviiT3_lPKT2_lT1_lS5_lS6_lS2_lPT4_lS6_li.num_vgpr, 21
	.set _ZL32rocblas_gemvt_warp_reduce_kernelILb0ELi1024EiDF16_PKffEviiT3_lPKT2_lT1_lS5_lS6_lS2_lPT4_lS6_li.num_agpr, 0
	.set _ZL32rocblas_gemvt_warp_reduce_kernelILb0ELi1024EiDF16_PKffEviiT3_lPKT2_lT1_lS5_lS6_lS2_lPT4_lS6_li.numbered_sgpr, 44
	.set _ZL32rocblas_gemvt_warp_reduce_kernelILb0ELi1024EiDF16_PKffEviiT3_lPKT2_lT1_lS5_lS6_lS2_lPT4_lS6_li.num_named_barrier, 0
	.set _ZL32rocblas_gemvt_warp_reduce_kernelILb0ELi1024EiDF16_PKffEviiT3_lPKT2_lT1_lS5_lS6_lS2_lPT4_lS6_li.private_seg_size, 0
	.set _ZL32rocblas_gemvt_warp_reduce_kernelILb0ELi1024EiDF16_PKffEviiT3_lPKT2_lT1_lS5_lS6_lS2_lPT4_lS6_li.uses_vcc, 1
	.set _ZL32rocblas_gemvt_warp_reduce_kernelILb0ELi1024EiDF16_PKffEviiT3_lPKT2_lT1_lS5_lS6_lS2_lPT4_lS6_li.uses_flat_scratch, 0
	.set _ZL32rocblas_gemvt_warp_reduce_kernelILb0ELi1024EiDF16_PKffEviiT3_lPKT2_lT1_lS5_lS6_lS2_lPT4_lS6_li.has_dyn_sized_stack, 0
	.set _ZL32rocblas_gemvt_warp_reduce_kernelILb0ELi1024EiDF16_PKffEviiT3_lPKT2_lT1_lS5_lS6_lS2_lPT4_lS6_li.has_recursion, 0
	.set _ZL32rocblas_gemvt_warp_reduce_kernelILb0ELi1024EiDF16_PKffEviiT3_lPKT2_lT1_lS5_lS6_lS2_lPT4_lS6_li.has_indirect_call, 0
	.section	.AMDGPU.csdata,"",@progbits
; Kernel info:
; codeLenInByte = 1436
; TotalNumSgprs: 46
; NumVgprs: 21
; ScratchSize: 0
; MemoryBound: 0
; FloatMode: 240
; IeeeMode: 1
; LDSByteSize: 128 bytes/workgroup (compile time only)
; SGPRBlocks: 0
; VGPRBlocks: 1
; NumSGPRsForWavesPerEU: 46
; NumVGPRsForWavesPerEU: 21
; NamedBarCnt: 0
; Occupancy: 16
; WaveLimiterHint : 0
; COMPUTE_PGM_RSRC2:SCRATCH_EN: 0
; COMPUTE_PGM_RSRC2:USER_SGPR: 2
; COMPUTE_PGM_RSRC2:TRAP_HANDLER: 0
; COMPUTE_PGM_RSRC2:TGID_X_EN: 1
; COMPUTE_PGM_RSRC2:TGID_Y_EN: 0
; COMPUTE_PGM_RSRC2:TGID_Z_EN: 1
; COMPUTE_PGM_RSRC2:TIDIG_COMP_CNT: 0
	.section	.text._ZL32rocblas_gemvt_warp_reduce_kernelILb0ELi1024ElDF16_PKffEviiT3_lPKT2_lT1_lS5_lS6_lS2_lPT4_lS6_li,"axG",@progbits,_ZL32rocblas_gemvt_warp_reduce_kernelILb0ELi1024ElDF16_PKffEviiT3_lPKT2_lT1_lS5_lS6_lS2_lPT4_lS6_li,comdat
	.globl	_ZL32rocblas_gemvt_warp_reduce_kernelILb0ELi1024ElDF16_PKffEviiT3_lPKT2_lT1_lS5_lS6_lS2_lPT4_lS6_li ; -- Begin function _ZL32rocblas_gemvt_warp_reduce_kernelILb0ELi1024ElDF16_PKffEviiT3_lPKT2_lT1_lS5_lS6_lS2_lPT4_lS6_li
	.p2align	8
	.type	_ZL32rocblas_gemvt_warp_reduce_kernelILb0ELi1024ElDF16_PKffEviiT3_lPKT2_lT1_lS5_lS6_lS2_lPT4_lS6_li,@function
_ZL32rocblas_gemvt_warp_reduce_kernelILb0ELi1024ElDF16_PKffEviiT3_lPKT2_lT1_lS5_lS6_lS2_lPT4_lS6_li: ; @_ZL32rocblas_gemvt_warp_reduce_kernelILb0ELi1024ElDF16_PKffEviiT3_lPKT2_lT1_lS5_lS6_lS2_lPT4_lS6_li
; %bb.0:
	s_load_b32 s30, s[0:1], 0x88
	s_bfe_u32 s2, ttmp6, 0x40014
	s_lshr_b32 s3, ttmp7, 16
	s_add_co_i32 s2, s2, 1
	s_bfe_u32 s5, ttmp6, 0x40008
	s_mul_i32 s4, s3, s2
	s_getreg_b32 s2, hwreg(HW_REG_IB_STS2, 6, 4)
	s_add_co_i32 s5, s5, s4
	s_cmp_eq_u32 s2, 0
	s_mov_b32 s7, 0
	s_cselect_b32 s6, s3, s5
	s_wait_kmcnt 0x0
	s_cmp_ge_u32 s6, s30
	s_cbranch_scc1 .LBB493_34
; %bb.1:
	s_clause 0x2
	s_load_b512 s[8:23], s[0:1], 0x8
	s_load_b512 s[36:51], s[0:1], 0x48
	s_load_b32 s28, s[0:1], 0x0
	s_wait_xcnt 0x0
	s_bfe_u32 s0, ttmp6, 0x4000c
	s_and_b32 s1, ttmp6, 15
	s_add_co_i32 s0, s0, 1
	v_mbcnt_lo_u32_b32 v16, -1, 0
	s_mul_i32 s0, ttmp9, s0
	s_delay_alu instid0(SALU_CYCLE_1)
	s_add_co_i32 s3, s1, s0
	s_wait_kmcnt 0x0
	s_lshl_b64 s[0:1], s[22:23], 1
	s_lshl_b64 s[4:5], s[46:47], 2
	;; [unrolled: 1-line block ×3, first 2 shown]
	s_cmp_eq_u32 s2, 0
	v_cmp_gt_i32_e32 vcc_lo, s28, v0
	s_cselect_b32 s2, ttmp9, s3
	s_ashr_i32 s3, s28, 31
	s_add_nc_u64 s[22:23], s[12:13], s[24:25]
	s_lshr_b32 s3, s3, 22
	s_add_nc_u64 s[20:21], s[20:21], s[0:1]
	s_add_co_i32 s3, s28, s3
	v_cmp_eq_u32_e64 s0, 0, v0
	s_and_b32 s14, s3, 0xfffffc00
	s_delay_alu instid0(SALU_CYCLE_1) | instskip(SKIP_3) | instid1(VALU_DEP_3)
	v_dual_mov_b32 v3, 0 :: v_dual_bitop2_b32 v8, s14, v0 bitop3:0x54
	v_cndmask_b32_e32 v2, 0, v0, vcc_lo
	s_ashr_i32 s3, s2, 31
	v_cmp_gt_i32_e64 s1, s14, v0
	v_dual_mov_b32 v1, v3 :: v_dual_ashrrev_i32 v9, 31, v8
	s_delay_alu instid0(VALU_DEP_3) | instskip(SKIP_2) | instid1(VALU_DEP_2)
	v_lshlrev_b32_e32 v2, 1, v2
	s_mul_u64 s[26:27], s[48:49], s[2:3]
	s_ashr_i32 s15, s14, 31
	v_mul_u64_e32 v[10:11], s[36:37], v[0:1]
	v_mul_u64_e32 v[4:5], s[36:37], v[8:9]
	v_add_nc_u64_e32 v[6:7], s[22:23], v[2:3]
	s_add_nc_u64 s[22:23], s[44:45], s[4:5]
	s_mul_u64 s[4:5], s[16:17], s[2:3]
	v_and_b32_e32 v9, 31, v0
	s_lshl_b64 s[4:5], s[4:5], 1
	v_cmp_gt_i32_e64 s2, s28, v8
	v_lshrrev_b32_e32 v8, 3, v0
	s_add_nc_u64 s[16:17], s[4:5], s[24:25]
	v_add_nc_u64_e32 v[6:7], s[4:5], v[6:7]
	s_add_nc_u64 s[12:13], s[12:13], s[16:17]
	v_lshlrev_b32_e32 v1, 2, v9
	v_cmp_eq_u32_e64 s4, 0, v9
	v_and_b32_e32 v17, 0x7c, v8
	v_add_nc_u64_e32 v[8:9], s[12:13], v[2:3]
	v_cmp_gt_u32_e64 s3, 32, v0
	v_lshl_or_b32 v2, v16, 2, 64
	s_lshl_b64 s[12:13], s[18:19], 1
	s_lshl_b64 s[16:17], s[38:39], 1
	;; [unrolled: 1-line block ×4, first 2 shown]
	v_lshl_add_u64 v[10:11], v[10:11], 1, s[20:21]
	s_branch .LBB493_4
.LBB493_2:                              ;   in Loop: Header=BB493_4 Depth=1
	s_wait_xcnt 0x0
	s_or_b32 exec_lo, exec_lo, s5
.LBB493_3:                              ;   in Loop: Header=BB493_4 Depth=1
	s_add_co_i32 s6, s6, 0x10000
	s_delay_alu instid0(SALU_CYCLE_1)
	s_cmp_lt_u32 s6, s30
	s_cbranch_scc0 .LBB493_34
.LBB493_4:                              ; =>This Loop Header: Depth=1
                                        ;     Child Loop BB493_23 Depth 2
	s_mul_u64 s[28:29], s[10:11], s[6:7]
	s_wait_xcnt 0x0
	s_mul_u64 s[34:35], s[42:43], s[6:7]
	s_lshl_b64 s[28:29], s[28:29], 2
	s_lshl_b64 s[34:35], s[34:35], 2
	s_add_nc_u64 s[28:29], s[8:9], s[28:29]
	s_add_nc_u64 s[34:35], s[40:41], s[34:35]
	s_clause 0x1
	global_load_b32 v18, v3, s[28:29]
	global_load_b32 v12, v3, s[34:35]
	s_wait_loadcnt 0x1
	v_cmp_eq_f32_e32 vcc_lo, 0, v18
	s_wait_loadcnt 0x0
	v_cmp_eq_f32_e64 s5, 1.0, v12
	s_wait_xcnt 0x1
	s_and_b32 s28, vcc_lo, s5
	v_readfirstlane_b32 s5, v12
	s_and_b32 vcc_lo, exec_lo, s28
	s_cbranch_vccnz .LBB493_3
; %bb.5:                                ;   in Loop: Header=BB493_4 Depth=1
	v_cmp_neq_f32_e32 vcc_lo, 0, v18
	s_mul_u64 s[28:29], s[50:51], s[6:7]
	s_delay_alu instid0(SALU_CYCLE_1) | instskip(NEXT) | instid1(SALU_CYCLE_1)
	s_lshl_b64 s[28:29], s[28:29], 2
	s_add_nc_u64 s[28:29], s[22:23], s[28:29]
	s_cbranch_vccnz .LBB493_9
; %bb.6:                                ;   in Loop: Header=BB493_4 Depth=1
	s_mov_b32 s33, 0
	s_mov_b32 s31, 0
                                        ; implicit-def: $vgpr12
	s_wait_xcnt 0x0
	s_and_saveexec_b32 s34, s0
	s_cbranch_execz .LBB493_10
; %bb.7:                                ;   in Loop: Header=BB493_4 Depth=1
	s_cmp_eq_f32 s5, 0
	s_cbranch_scc1 .LBB493_11
; %bb.8:                                ;   in Loop: Header=BB493_4 Depth=1
	s_add_nc_u64 s[36:37], s[28:29], s[26:27]
	global_load_b32 v12, v3, s[36:37]
	s_wait_loadcnt 0x0
	v_mul_f32_e32 v12, s5, v12
	s_branch .LBB493_12
.LBB493_9:                              ;   in Loop: Header=BB493_4 Depth=1
	s_mov_b32 s31, 0
                                        ; implicit-def: $vgpr12
	s_cbranch_execnz .LBB493_13
	s_branch .LBB493_32
.LBB493_10:                             ;   in Loop: Header=BB493_4 Depth=1
	s_or_b32 exec_lo, exec_lo, s34
	s_delay_alu instid0(SALU_CYCLE_1)
	s_and_b32 vcc_lo, exec_lo, s33
	s_cbranch_vccnz .LBB493_13
	s_branch .LBB493_32
.LBB493_11:                             ;   in Loop: Header=BB493_4 Depth=1
	v_mov_b32_e32 v12, 0
.LBB493_12:                             ;   in Loop: Header=BB493_4 Depth=1
	s_mov_b32 s31, exec_lo
	s_wait_xcnt 0x0
	s_or_b32 exec_lo, exec_lo, s34
	s_delay_alu instid0(SALU_CYCLE_1)
	s_and_b32 vcc_lo, exec_lo, s33
	s_cbranch_vccz .LBB493_32
.LBB493_13:                             ;   in Loop: Header=BB493_4 Depth=1
	s_wait_dscnt 0x0
	v_mov_b32_e32 v19, 0
	s_wait_xcnt 0x0
	s_and_saveexec_b32 s33, s1
	s_cbranch_execnz .LBB493_22
; %bb.14:                               ;   in Loop: Header=BB493_4 Depth=1
	s_or_b32 exec_lo, exec_lo, s33
	s_and_saveexec_b32 s33, s2
	s_cbranch_execnz .LBB493_25
.LBB493_15:                             ;   in Loop: Header=BB493_4 Depth=1
	s_or_b32 exec_lo, exec_lo, s33
	s_and_saveexec_b32 s33, s3
.LBB493_16:                             ;   in Loop: Header=BB493_4 Depth=1
	ds_store_b32 v1, v3
.LBB493_17:                             ;   in Loop: Header=BB493_4 Depth=1
	s_or_b32 exec_lo, exec_lo, s33
	ds_bpermute_b32 v13, v2, v19
	v_cmp_gt_u32_e32 vcc_lo, 24, v16
	s_wait_dscnt 0x0
	s_barrier_signal -1
	s_barrier_wait -1
	v_cndmask_b32_e64 v12, 0, 8, vcc_lo
	v_cmp_gt_u32_e32 vcc_lo, 28, v16
	s_delay_alu instid0(VALU_DEP_2)
	v_add_lshl_u32 v12, v12, v16, 2
	v_add_f32_e32 v14, v19, v13
	v_cndmask_b32_e64 v13, 0, 4, vcc_lo
	v_cmp_gt_u32_e32 vcc_lo, 30, v16
	ds_bpermute_b32 v15, v12, v14
	v_add_lshl_u32 v13, v13, v16, 2
	s_wait_dscnt 0x0
	v_add_f32_e32 v15, v14, v15
	v_cndmask_b32_e64 v14, 0, 2, vcc_lo
	v_cmp_ne_u32_e32 vcc_lo, 31, v16
	ds_bpermute_b32 v19, v13, v15
	v_add_lshl_u32 v14, v14, v16, 2
	v_add_co_ci_u32_e64 v20, null, 0, v16, vcc_lo
	s_wait_dscnt 0x0
	v_add_f32_e32 v15, v15, v19
	ds_bpermute_b32 v19, v14, v15
	s_wait_dscnt 0x0
	v_dual_add_f32 v19, v15, v19 :: v_dual_lshlrev_b32 v15, 2, v20
	ds_bpermute_b32 v20, v15, v19
	s_and_saveexec_b32 s33, s4
	s_cbranch_execz .LBB493_19
; %bb.18:                               ;   in Loop: Header=BB493_4 Depth=1
	s_wait_dscnt 0x0
	v_add_f32_e32 v19, v19, v20
	ds_store_b32 v17, v19
.LBB493_19:                             ;   in Loop: Header=BB493_4 Depth=1
	s_or_b32 exec_lo, exec_lo, s33
	v_mov_b32_e32 v19, 0
	s_wait_dscnt 0x0
	s_barrier_signal -1
	s_barrier_wait -1
	s_and_saveexec_b32 s33, s3
	s_cbranch_execnz .LBB493_26
; %bb.20:                               ;   in Loop: Header=BB493_4 Depth=1
	s_or_b32 exec_lo, exec_lo, s33
	s_and_saveexec_b32 s33, s3
	s_cbranch_execnz .LBB493_27
.LBB493_21:                             ;   in Loop: Header=BB493_4 Depth=1
	s_or_b32 exec_lo, exec_lo, s33
                                        ; implicit-def: $vgpr12
	s_and_saveexec_b32 s33, s0
	s_cbranch_execnz .LBB493_28
	s_branch .LBB493_31
.LBB493_22:                             ;   in Loop: Header=BB493_4 Depth=1
	v_mad_nc_u64_u32 v[12:13], s12, s6, v[8:9]
	v_mad_nc_u64_u32 v[14:15], s16, s6, v[10:11]
	v_dual_mov_b32 v19, 0 :: v_dual_mov_b32 v20, v0
	s_mov_b32 s34, 0
	s_delay_alu instid0(VALU_DEP_3) | instskip(NEXT) | instid1(VALU_DEP_3)
	v_mad_u32 v13, s13, s6, v13
	v_mad_u32 v15, s17, s6, v15
.LBB493_23:                             ;   Parent Loop BB493_4 Depth=1
                                        ; =>  This Inner Loop Header: Depth=2
	global_load_u16 v21, v[12:13], off
	global_load_u16 v22, v[14:15], off
	s_wait_xcnt 0x1
	v_add_nc_u64_e32 v[12:13], 0x800, v[12:13]
	s_wait_xcnt 0x0
	v_add_nc_u64_e32 v[14:15], s[24:25], v[14:15]
	s_wait_loadcnt 0x0
	v_mul_f16_e32 v21, v21, v22
	s_delay_alu instid0(VALU_DEP_1) | instskip(NEXT) | instid1(VALU_DEP_1)
	v_cvt_f32_f16_e32 v21, v21
	v_dual_add_f32 v19, v19, v21 :: v_dual_add_nc_u32 v20, 0x400, v20
	s_delay_alu instid0(VALU_DEP_1) | instskip(SKIP_1) | instid1(SALU_CYCLE_1)
	v_cmp_le_i32_e32 vcc_lo, s14, v20
	s_or_b32 s34, vcc_lo, s34
	s_and_not1_b32 exec_lo, exec_lo, s34
	s_cbranch_execnz .LBB493_23
; %bb.24:                               ;   in Loop: Header=BB493_4 Depth=1
	s_or_b32 exec_lo, exec_lo, s34
	s_delay_alu instid0(SALU_CYCLE_1)
	s_or_b32 exec_lo, exec_lo, s33
	s_and_saveexec_b32 s33, s2
	s_cbranch_execz .LBB493_15
.LBB493_25:                             ;   in Loop: Header=BB493_4 Depth=1
	s_mul_u64 s[34:35], s[18:19], s[6:7]
	s_mul_u64 s[36:37], s[38:39], s[6:7]
	v_lshl_add_u64 v[12:13], s[34:35], 1, v[6:7]
	s_lshl_b64 s[34:35], s[36:37], 1
	s_delay_alu instid0(SALU_CYCLE_1) | instskip(NEXT) | instid1(SALU_CYCLE_1)
	s_add_nc_u64 s[34:35], s[20:21], s[34:35]
	v_lshl_add_u64 v[14:15], v[4:5], 1, s[34:35]
	s_delay_alu instid0(VALU_DEP_2)
	v_lshl_add_u64 v[12:13], s[14:15], 1, v[12:13]
	global_load_u16 v20, v[12:13], off
	global_load_u16 v21, v[14:15], off
	s_wait_loadcnt 0x0
	s_wait_xcnt 0x1
	v_mul_f16_e32 v12, v20, v21
	s_delay_alu instid0(VALU_DEP_1) | instskip(NEXT) | instid1(VALU_DEP_1)
	v_cvt_f32_f16_e32 v12, v12
	v_add_f32_e32 v19, v19, v12
	s_wait_xcnt 0x0
	s_or_b32 exec_lo, exec_lo, s33
	s_and_saveexec_b32 s33, s3
	s_cbranch_execnz .LBB493_16
	s_branch .LBB493_17
.LBB493_26:                             ;   in Loop: Header=BB493_4 Depth=1
	ds_load_b32 v19, v1
	s_or_b32 exec_lo, exec_lo, s33
	s_and_saveexec_b32 s33, s3
	s_cbranch_execz .LBB493_21
.LBB493_27:                             ;   in Loop: Header=BB493_4 Depth=1
	s_wait_dscnt 0x0
	ds_bpermute_b32 v20, v2, v19
	s_wait_dscnt 0x0
	v_add_f32_e32 v19, v19, v20
	ds_bpermute_b32 v12, v12, v19
	s_wait_dscnt 0x0
	v_add_f32_e32 v12, v19, v12
	;; [unrolled: 3-line block ×5, first 2 shown]
	s_or_b32 exec_lo, exec_lo, s33
                                        ; implicit-def: $vgpr12
	s_and_saveexec_b32 s33, s0
	s_cbranch_execz .LBB493_31
.LBB493_28:                             ;   in Loop: Header=BB493_4 Depth=1
	s_wait_dscnt 0x0
	v_mul_f32_e32 v12, v18, v19
	s_cmp_eq_f32 s5, 0
	s_cbranch_scc1 .LBB493_30
; %bb.29:                               ;   in Loop: Header=BB493_4 Depth=1
	s_add_nc_u64 s[34:35], s[28:29], s[26:27]
	global_load_b32 v13, v3, s[34:35]
	s_wait_loadcnt 0x0
	v_fmac_f32_e32 v12, s5, v13
.LBB493_30:                             ;   in Loop: Header=BB493_4 Depth=1
	s_or_b32 s31, s31, exec_lo
.LBB493_31:                             ;   in Loop: Header=BB493_4 Depth=1
	s_wait_xcnt 0x0
	s_or_b32 exec_lo, exec_lo, s33
.LBB493_32:                             ;   in Loop: Header=BB493_4 Depth=1
	s_wait_xcnt 0x0
	s_and_saveexec_b32 s5, s31
	s_cbranch_execz .LBB493_2
; %bb.33:                               ;   in Loop: Header=BB493_4 Depth=1
	s_add_nc_u64 s[28:29], s[28:29], s[26:27]
	global_store_b32 v3, v12, s[28:29]
	s_branch .LBB493_2
.LBB493_34:
	s_endpgm
	.section	.rodata,"a",@progbits
	.p2align	6, 0x0
	.amdhsa_kernel _ZL32rocblas_gemvt_warp_reduce_kernelILb0ELi1024ElDF16_PKffEviiT3_lPKT2_lT1_lS5_lS6_lS2_lPT4_lS6_li
		.amdhsa_group_segment_fixed_size 128
		.amdhsa_private_segment_fixed_size 0
		.amdhsa_kernarg_size 140
		.amdhsa_user_sgpr_count 2
		.amdhsa_user_sgpr_dispatch_ptr 0
		.amdhsa_user_sgpr_queue_ptr 0
		.amdhsa_user_sgpr_kernarg_segment_ptr 1
		.amdhsa_user_sgpr_dispatch_id 0
		.amdhsa_user_sgpr_kernarg_preload_length 0
		.amdhsa_user_sgpr_kernarg_preload_offset 0
		.amdhsa_user_sgpr_private_segment_size 0
		.amdhsa_wavefront_size32 1
		.amdhsa_uses_dynamic_stack 0
		.amdhsa_enable_private_segment 0
		.amdhsa_system_sgpr_workgroup_id_x 1
		.amdhsa_system_sgpr_workgroup_id_y 0
		.amdhsa_system_sgpr_workgroup_id_z 1
		.amdhsa_system_sgpr_workgroup_info 0
		.amdhsa_system_vgpr_workitem_id 0
		.amdhsa_next_free_vgpr 23
		.amdhsa_next_free_sgpr 52
		.amdhsa_named_barrier_count 0
		.amdhsa_reserve_vcc 1
		.amdhsa_float_round_mode_32 0
		.amdhsa_float_round_mode_16_64 0
		.amdhsa_float_denorm_mode_32 3
		.amdhsa_float_denorm_mode_16_64 3
		.amdhsa_fp16_overflow 0
		.amdhsa_memory_ordered 1
		.amdhsa_forward_progress 1
		.amdhsa_inst_pref_size 12
		.amdhsa_round_robin_scheduling 0
		.amdhsa_exception_fp_ieee_invalid_op 0
		.amdhsa_exception_fp_denorm_src 0
		.amdhsa_exception_fp_ieee_div_zero 0
		.amdhsa_exception_fp_ieee_overflow 0
		.amdhsa_exception_fp_ieee_underflow 0
		.amdhsa_exception_fp_ieee_inexact 0
		.amdhsa_exception_int_div_zero 0
	.end_amdhsa_kernel
	.section	.text._ZL32rocblas_gemvt_warp_reduce_kernelILb0ELi1024ElDF16_PKffEviiT3_lPKT2_lT1_lS5_lS6_lS2_lPT4_lS6_li,"axG",@progbits,_ZL32rocblas_gemvt_warp_reduce_kernelILb0ELi1024ElDF16_PKffEviiT3_lPKT2_lT1_lS5_lS6_lS2_lPT4_lS6_li,comdat
.Lfunc_end493:
	.size	_ZL32rocblas_gemvt_warp_reduce_kernelILb0ELi1024ElDF16_PKffEviiT3_lPKT2_lT1_lS5_lS6_lS2_lPT4_lS6_li, .Lfunc_end493-_ZL32rocblas_gemvt_warp_reduce_kernelILb0ELi1024ElDF16_PKffEviiT3_lPKT2_lT1_lS5_lS6_lS2_lPT4_lS6_li
                                        ; -- End function
	.set _ZL32rocblas_gemvt_warp_reduce_kernelILb0ELi1024ElDF16_PKffEviiT3_lPKT2_lT1_lS5_lS6_lS2_lPT4_lS6_li.num_vgpr, 23
	.set _ZL32rocblas_gemvt_warp_reduce_kernelILb0ELi1024ElDF16_PKffEviiT3_lPKT2_lT1_lS5_lS6_lS2_lPT4_lS6_li.num_agpr, 0
	.set _ZL32rocblas_gemvt_warp_reduce_kernelILb0ELi1024ElDF16_PKffEviiT3_lPKT2_lT1_lS5_lS6_lS2_lPT4_lS6_li.numbered_sgpr, 52
	.set _ZL32rocblas_gemvt_warp_reduce_kernelILb0ELi1024ElDF16_PKffEviiT3_lPKT2_lT1_lS5_lS6_lS2_lPT4_lS6_li.num_named_barrier, 0
	.set _ZL32rocblas_gemvt_warp_reduce_kernelILb0ELi1024ElDF16_PKffEviiT3_lPKT2_lT1_lS5_lS6_lS2_lPT4_lS6_li.private_seg_size, 0
	.set _ZL32rocblas_gemvt_warp_reduce_kernelILb0ELi1024ElDF16_PKffEviiT3_lPKT2_lT1_lS5_lS6_lS2_lPT4_lS6_li.uses_vcc, 1
	.set _ZL32rocblas_gemvt_warp_reduce_kernelILb0ELi1024ElDF16_PKffEviiT3_lPKT2_lT1_lS5_lS6_lS2_lPT4_lS6_li.uses_flat_scratch, 0
	.set _ZL32rocblas_gemvt_warp_reduce_kernelILb0ELi1024ElDF16_PKffEviiT3_lPKT2_lT1_lS5_lS6_lS2_lPT4_lS6_li.has_dyn_sized_stack, 0
	.set _ZL32rocblas_gemvt_warp_reduce_kernelILb0ELi1024ElDF16_PKffEviiT3_lPKT2_lT1_lS5_lS6_lS2_lPT4_lS6_li.has_recursion, 0
	.set _ZL32rocblas_gemvt_warp_reduce_kernelILb0ELi1024ElDF16_PKffEviiT3_lPKT2_lT1_lS5_lS6_lS2_lPT4_lS6_li.has_indirect_call, 0
	.section	.AMDGPU.csdata,"",@progbits
; Kernel info:
; codeLenInByte = 1420
; TotalNumSgprs: 54
; NumVgprs: 23
; ScratchSize: 0
; MemoryBound: 0
; FloatMode: 240
; IeeeMode: 1
; LDSByteSize: 128 bytes/workgroup (compile time only)
; SGPRBlocks: 0
; VGPRBlocks: 1
; NumSGPRsForWavesPerEU: 54
; NumVGPRsForWavesPerEU: 23
; NamedBarCnt: 0
; Occupancy: 16
; WaveLimiterHint : 0
; COMPUTE_PGM_RSRC2:SCRATCH_EN: 0
; COMPUTE_PGM_RSRC2:USER_SGPR: 2
; COMPUTE_PGM_RSRC2:TRAP_HANDLER: 0
; COMPUTE_PGM_RSRC2:TGID_X_EN: 1
; COMPUTE_PGM_RSRC2:TGID_Y_EN: 0
; COMPUTE_PGM_RSRC2:TGID_Z_EN: 1
; COMPUTE_PGM_RSRC2:TIDIG_COMP_CNT: 0
	.section	.text._ZL32rocblas_gemvt_warp_reduce_kernelILb0ELi1024EiDF16_ffEviiT3_lPKT2_lT1_lS3_lS4_lS0_lPT4_lS4_li,"axG",@progbits,_ZL32rocblas_gemvt_warp_reduce_kernelILb0ELi1024EiDF16_ffEviiT3_lPKT2_lT1_lS3_lS4_lS0_lPT4_lS4_li,comdat
	.globl	_ZL32rocblas_gemvt_warp_reduce_kernelILb0ELi1024EiDF16_ffEviiT3_lPKT2_lT1_lS3_lS4_lS0_lPT4_lS4_li ; -- Begin function _ZL32rocblas_gemvt_warp_reduce_kernelILb0ELi1024EiDF16_ffEviiT3_lPKT2_lT1_lS3_lS4_lS0_lPT4_lS4_li
	.p2align	8
	.type	_ZL32rocblas_gemvt_warp_reduce_kernelILb0ELi1024EiDF16_ffEviiT3_lPKT2_lT1_lS3_lS4_lS0_lPT4_lS4_li,@function
_ZL32rocblas_gemvt_warp_reduce_kernelILb0ELi1024EiDF16_ffEviiT3_lPKT2_lT1_lS3_lS4_lS0_lPT4_lS4_li: ; @_ZL32rocblas_gemvt_warp_reduce_kernelILb0ELi1024EiDF16_ffEviiT3_lPKT2_lT1_lS3_lS4_lS0_lPT4_lS4_li
; %bb.0:
	s_load_b32 s19, s[0:1], 0x88
	s_bfe_u32 s2, ttmp6, 0x40014
	s_lshr_b32 s4, ttmp7, 16
	s_add_co_i32 s2, s2, 1
	s_bfe_u32 s5, ttmp6, 0x40008
	s_mul_i32 s2, s4, s2
	s_getreg_b32 s3, hwreg(HW_REG_IB_STS2, 6, 4)
	s_add_co_i32 s5, s5, s2
	s_cmp_eq_u32 s3, 0
	s_mov_b32 s25, 0
	s_cselect_b32 s24, s4, s5
	s_wait_kmcnt 0x0
	s_cmp_ge_u32 s24, s19
	s_cbranch_scc1 .LBB494_34
; %bb.1:
	s_clause 0x7
	s_load_b96 s[20:22], s[0:1], 0x40
	s_load_b128 s[12:15], s[0:1], 0x68
	s_load_b128 s[4:7], s[0:1], 0x18
	s_load_b32 s30, s[0:1], 0x8
	s_load_b96 s[16:18], s[0:1], 0x50
	s_load_b128 s[8:11], s[0:1], 0x30
	s_load_b32 s23, s[0:1], 0x0
	s_load_b32 s28, s[0:1], 0x28
	v_dual_mov_b32 v3, 0 :: v_dual_bitop2_b32 v2, 31, v0 bitop3:0x40
	v_lshrrev_b32_e32 v4, 3, v0
	v_mbcnt_lo_u32_b32 v1, -1, 0
	s_delay_alu instid0(VALU_DEP_3) | instskip(SKIP_1) | instid1(VALU_DEP_4)
	v_lshlrev_b32_e32 v12, 2, v2
	v_cmp_eq_u32_e64 s2, 0, v2
	v_and_b32_e32 v13, 0x7c, v4
	s_wait_kmcnt 0x0
	s_lshl_b64 s[26:27], s[20:21], 1
	s_lshl_b64 s[14:15], s[14:15], 2
	;; [unrolled: 1-line block ×3, first 2 shown]
	s_cmp_eq_f32 s30, 0
	s_add_nc_u64 s[12:13], s[12:13], s[14:15]
	s_clause 0x1
	s_load_b32 s29, s[0:1], 0x78
	s_load_b64 s[6:7], s[0:1], 0x80
	v_cmp_gt_i32_e32 vcc_lo, s23, v0
	s_cselect_b32 s31, -1, 0
	s_cmp_neq_f32 s30, 0
	s_add_nc_u64 s[10:11], s[10:11], s[26:27]
	s_add_nc_u64 s[26:27], s[4:5], s[20:21]
	v_mul_lo_u32 v14, v0, s22
	s_cselect_b32 s33, -1, 0
	s_cmp_neq_f32 s18, 1.0
	s_wait_xcnt 0x0
	v_cmp_eq_u32_e64 s0, 0, v0
	v_cmp_gt_u32_e64 s1, 32, v0
	s_cselect_b32 s34, -1, 0
	s_delay_alu instid0(SALU_CYCLE_1)
	s_or_b32 s33, s33, s34
	s_cmp_neq_f32 s18, 0
	s_cselect_b32 s34, -1, 0
	s_bfe_u32 s35, ttmp6, 0x4000c
	s_and_b32 s36, ttmp6, 15
	s_add_co_i32 s35, s35, 1
	s_delay_alu instid0(SALU_CYCLE_1) | instskip(NEXT) | instid1(SALU_CYCLE_1)
	s_mul_i32 s35, ttmp9, s35
	s_add_co_i32 s36, s36, s35
	s_cmp_eq_u32 s3, 0
	s_cselect_b32 s3, ttmp9, s36
	s_ashr_i32 s14, s23, 31
	s_delay_alu instid0(SALU_CYCLE_1) | instskip(NEXT) | instid1(SALU_CYCLE_1)
	s_lshr_b32 s14, s14, 22
	s_add_co_i32 s14, s23, s14
	s_delay_alu instid0(SALU_CYCLE_1) | instskip(NEXT) | instid1(SALU_CYCLE_1)
	s_and_b32 s14, s14, 0xfffffc00
	v_dual_cndmask_b32 v2, 0, v0, vcc_lo :: v_dual_bitop2_b32 v5, s14, v0 bitop3:0x54
	s_ashr_i32 s15, s14, 31
	s_delay_alu instid0(VALU_DEP_1) | instskip(NEXT) | instid1(VALU_DEP_2)
	v_mul_lo_u32 v4, s22, v5
	v_lshlrev_b32_e32 v2, 1, v2
	s_delay_alu instid0(VALU_DEP_1)
	v_add_nc_u64_e32 v[6:7], s[26:27], v[2:3]
	s_mul_i32 s26, s28, s3
	s_wait_kmcnt 0x0
	s_mul_i32 s28, s29, s3
	s_ashr_i32 s27, s26, 31
	v_cmp_gt_i32_e64 s3, s14, v0
	s_lshl_b64 s[26:27], s[26:27], 1
	s_ashr_i32 s29, s28, 31
	s_add_nc_u64 s[20:21], s[20:21], s[26:27]
	v_add_nc_u64_e32 v[6:7], s[26:27], v[6:7]
	s_add_nc_u64 s[4:5], s[4:5], s[20:21]
	s_lshl_b64 s[20:21], s[8:9], 1
	v_add_nc_u64_e32 v[8:9], s[4:5], v[2:3]
	v_cmp_gt_i32_e64 s4, s23, v5
	v_ashrrev_i32_e32 v5, 31, v4
	v_lshl_or_b32 v2, v1, 2, 64
	s_lshl_b32 s5, s22, 10
	s_lshl_b64 s[22:23], s[28:29], 2
	s_branch .LBB494_4
.LBB494_2:                              ;   in Loop: Header=BB494_4 Depth=1
	s_wait_xcnt 0x0
	s_or_b32 exec_lo, exec_lo, s28
.LBB494_3:                              ;   in Loop: Header=BB494_4 Depth=1
	s_add_co_i32 s24, s24, 0x10000
	s_delay_alu instid0(SALU_CYCLE_1)
	s_cmp_lt_u32 s24, s19
	s_cbranch_scc0 .LBB494_34
.LBB494_4:                              ; =>This Loop Header: Depth=1
                                        ;     Child Loop BB494_23 Depth 2
	s_and_not1_b32 vcc_lo, exec_lo, s33
	s_cbranch_vccnz .LBB494_3
; %bb.5:                                ;   in Loop: Header=BB494_4 Depth=1
	s_mul_u64 s[26:27], s[6:7], s[24:25]
	s_and_not1_b32 vcc_lo, exec_lo, s31
	s_lshl_b64 s[26:27], s[26:27], 2
	s_delay_alu instid0(SALU_CYCLE_1)
	s_add_nc_u64 s[26:27], s[12:13], s[26:27]
	s_cbranch_vccnz .LBB494_9
; %bb.6:                                ;   in Loop: Header=BB494_4 Depth=1
	s_mov_b32 s28, 0
	s_mov_b32 s35, 0
                                        ; implicit-def: $vgpr10
	s_and_saveexec_b32 s29, s0
	s_cbranch_execz .LBB494_10
; %bb.7:                                ;   in Loop: Header=BB494_4 Depth=1
	s_and_not1_b32 vcc_lo, exec_lo, s34
	s_cbranch_vccnz .LBB494_11
; %bb.8:                                ;   in Loop: Header=BB494_4 Depth=1
	s_add_nc_u64 s[36:37], s[26:27], s[22:23]
	global_load_b32 v10, v3, s[36:37]
	s_wait_loadcnt 0x0
	v_mul_f32_e32 v10, s18, v10
	s_branch .LBB494_12
.LBB494_9:                              ;   in Loop: Header=BB494_4 Depth=1
	s_mov_b32 s35, 0
                                        ; implicit-def: $vgpr10
	s_cbranch_execnz .LBB494_13
	s_branch .LBB494_32
.LBB494_10:                             ;   in Loop: Header=BB494_4 Depth=1
	s_or_b32 exec_lo, exec_lo, s29
	s_delay_alu instid0(SALU_CYCLE_1)
	s_and_b32 vcc_lo, exec_lo, s28
	s_cbranch_vccnz .LBB494_13
	s_branch .LBB494_32
.LBB494_11:                             ;   in Loop: Header=BB494_4 Depth=1
	v_mov_b32_e32 v10, 0
.LBB494_12:                             ;   in Loop: Header=BB494_4 Depth=1
	s_mov_b32 s35, exec_lo
	s_wait_xcnt 0x0
	s_or_b32 exec_lo, exec_lo, s29
	s_delay_alu instid0(SALU_CYCLE_1)
	s_and_b32 vcc_lo, exec_lo, s28
	s_cbranch_vccz .LBB494_32
.LBB494_13:                             ;   in Loop: Header=BB494_4 Depth=1
	s_mul_u64 s[28:29], s[16:17], s[24:25]
	v_mov_b32_e32 v15, 0
	s_lshl_b64 s[28:29], s[28:29], 1
	s_delay_alu instid0(SALU_CYCLE_1)
	s_add_nc_u64 s[28:29], s[10:11], s[28:29]
	s_and_saveexec_b32 s36, s3
	s_cbranch_execnz .LBB494_22
; %bb.14:                               ;   in Loop: Header=BB494_4 Depth=1
	s_or_b32 exec_lo, exec_lo, s36
	s_and_saveexec_b32 s36, s4
	s_cbranch_execnz .LBB494_25
.LBB494_15:                             ;   in Loop: Header=BB494_4 Depth=1
	s_or_b32 exec_lo, exec_lo, s36
	s_and_saveexec_b32 s28, s1
.LBB494_16:                             ;   in Loop: Header=BB494_4 Depth=1
	ds_store_b32 v12, v3
.LBB494_17:                             ;   in Loop: Header=BB494_4 Depth=1
	s_or_b32 exec_lo, exec_lo, s28
	ds_bpermute_b32 v11, v2, v15
	v_cmp_gt_u32_e32 vcc_lo, 24, v1
	s_wait_dscnt 0x0
	s_barrier_signal -1
	s_barrier_wait -1
	v_cndmask_b32_e64 v10, 0, 8, vcc_lo
	v_cmp_gt_u32_e32 vcc_lo, 28, v1
	s_delay_alu instid0(VALU_DEP_2)
	v_add_lshl_u32 v10, v10, v1, 2
	v_add_f32_e32 v15, v15, v11
	v_cndmask_b32_e64 v11, 0, 4, vcc_lo
	v_cmp_gt_u32_e32 vcc_lo, 30, v1
	ds_bpermute_b32 v16, v10, v15
	v_add_lshl_u32 v11, v11, v1, 2
	s_wait_dscnt 0x0
	v_add_f32_e32 v16, v15, v16
	v_cndmask_b32_e64 v15, 0, 2, vcc_lo
	v_cmp_ne_u32_e32 vcc_lo, 31, v1
	ds_bpermute_b32 v17, v11, v16
	v_add_lshl_u32 v15, v15, v1, 2
	v_add_co_ci_u32_e64 v18, null, 0, v1, vcc_lo
	s_wait_dscnt 0x0
	v_add_f32_e32 v16, v16, v17
	ds_bpermute_b32 v17, v15, v16
	s_wait_dscnt 0x0
	v_dual_add_f32 v17, v16, v17 :: v_dual_lshlrev_b32 v16, 2, v18
	ds_bpermute_b32 v18, v16, v17
	s_and_saveexec_b32 s28, s2
	s_cbranch_execz .LBB494_19
; %bb.18:                               ;   in Loop: Header=BB494_4 Depth=1
	s_wait_dscnt 0x0
	v_add_f32_e32 v17, v17, v18
	ds_store_b32 v13, v17
.LBB494_19:                             ;   in Loop: Header=BB494_4 Depth=1
	s_or_b32 exec_lo, exec_lo, s28
	v_mov_b32_e32 v17, 0
	s_wait_dscnt 0x0
	s_barrier_signal -1
	s_barrier_wait -1
	s_and_saveexec_b32 s28, s1
	s_cbranch_execnz .LBB494_26
; %bb.20:                               ;   in Loop: Header=BB494_4 Depth=1
	s_or_b32 exec_lo, exec_lo, s28
	s_and_saveexec_b32 s28, s1
	s_cbranch_execnz .LBB494_27
.LBB494_21:                             ;   in Loop: Header=BB494_4 Depth=1
	s_or_b32 exec_lo, exec_lo, s28
                                        ; implicit-def: $vgpr10
	s_and_saveexec_b32 s28, s0
	s_cbranch_execnz .LBB494_28
	s_branch .LBB494_31
.LBB494_22:                             ;   in Loop: Header=BB494_4 Depth=1
	v_mad_nc_u64_u32 v[10:11], s20, s24, v[8:9]
	v_dual_mov_b32 v15, 0 :: v_dual_mov_b32 v16, v0
	s_wait_dscnt 0x0
	v_mov_b32_e32 v17, v14
	s_mov_b32 s37, 0
	s_delay_alu instid0(VALU_DEP_3)
	v_mad_u32 v11, s21, s24, v11
.LBB494_23:                             ;   Parent Loop BB494_4 Depth=1
                                        ; =>  This Inner Loop Header: Depth=2
	global_load_u16 v18, v[10:11], off
	global_load_u16 v19, v17, s[28:29] scale_offset
	s_wait_xcnt 0x1
	v_add_nc_u64_e32 v[10:11], 0x800, v[10:11]
	s_wait_xcnt 0x0
	v_add_nc_u32_e32 v17, s5, v17
	s_wait_loadcnt 0x0
	v_mul_f16_e32 v18, v18, v19
	s_delay_alu instid0(VALU_DEP_1) | instskip(NEXT) | instid1(VALU_DEP_1)
	v_cvt_f32_f16_e32 v18, v18
	v_dual_add_f32 v15, v15, v18 :: v_dual_add_nc_u32 v16, 0x400, v16
	s_delay_alu instid0(VALU_DEP_1) | instskip(SKIP_1) | instid1(SALU_CYCLE_1)
	v_cmp_le_i32_e32 vcc_lo, s14, v16
	s_or_b32 s37, vcc_lo, s37
	s_and_not1_b32 exec_lo, exec_lo, s37
	s_cbranch_execnz .LBB494_23
; %bb.24:                               ;   in Loop: Header=BB494_4 Depth=1
	s_or_b32 exec_lo, exec_lo, s37
	s_delay_alu instid0(SALU_CYCLE_1)
	s_or_b32 exec_lo, exec_lo, s36
	s_and_saveexec_b32 s36, s4
	s_cbranch_execz .LBB494_15
.LBB494_25:                             ;   in Loop: Header=BB494_4 Depth=1
	s_mul_u64 s[38:39], s[8:9], s[24:25]
	s_wait_dscnt 0x0
	v_lshl_add_u64 v[16:17], v[4:5], 1, s[28:29]
	v_lshl_add_u64 v[10:11], s[38:39], 1, v[6:7]
	s_delay_alu instid0(VALU_DEP_1)
	v_lshl_add_u64 v[10:11], s[14:15], 1, v[10:11]
	global_load_u16 v18, v[10:11], off
	global_load_u16 v19, v[16:17], off
	s_wait_loadcnt 0x0
	s_wait_xcnt 0x1
	v_mul_f16_e32 v10, v18, v19
	s_delay_alu instid0(VALU_DEP_1) | instskip(NEXT) | instid1(VALU_DEP_1)
	v_cvt_f32_f16_e32 v10, v10
	v_add_f32_e32 v15, v15, v10
	s_wait_xcnt 0x0
	s_or_b32 exec_lo, exec_lo, s36
	s_and_saveexec_b32 s28, s1
	s_cbranch_execnz .LBB494_16
	s_branch .LBB494_17
.LBB494_26:                             ;   in Loop: Header=BB494_4 Depth=1
	ds_load_b32 v17, v12
	s_or_b32 exec_lo, exec_lo, s28
	s_and_saveexec_b32 s28, s1
	s_cbranch_execz .LBB494_21
.LBB494_27:                             ;   in Loop: Header=BB494_4 Depth=1
	s_wait_dscnt 0x0
	ds_bpermute_b32 v18, v2, v17
	s_wait_dscnt 0x0
	v_add_f32_e32 v17, v17, v18
	ds_bpermute_b32 v10, v10, v17
	s_wait_dscnt 0x0
	v_add_f32_e32 v10, v17, v10
	;; [unrolled: 3-line block ×5, first 2 shown]
	s_or_b32 exec_lo, exec_lo, s28
                                        ; implicit-def: $vgpr10
	s_and_saveexec_b32 s28, s0
	s_cbranch_execz .LBB494_31
.LBB494_28:                             ;   in Loop: Header=BB494_4 Depth=1
	s_wait_dscnt 0x0
	v_mul_f32_e32 v10, s30, v17
	s_and_not1_b32 vcc_lo, exec_lo, s34
	s_cbranch_vccnz .LBB494_30
; %bb.29:                               ;   in Loop: Header=BB494_4 Depth=1
	s_add_nc_u64 s[36:37], s[26:27], s[22:23]
	global_load_b32 v11, v3, s[36:37]
	s_wait_loadcnt 0x0
	v_fmac_f32_e32 v10, s18, v11
.LBB494_30:                             ;   in Loop: Header=BB494_4 Depth=1
	s_or_b32 s35, s35, exec_lo
.LBB494_31:                             ;   in Loop: Header=BB494_4 Depth=1
	s_wait_xcnt 0x0
	s_or_b32 exec_lo, exec_lo, s28
.LBB494_32:                             ;   in Loop: Header=BB494_4 Depth=1
	s_and_saveexec_b32 s28, s35
	s_cbranch_execz .LBB494_2
; %bb.33:                               ;   in Loop: Header=BB494_4 Depth=1
	s_add_nc_u64 s[26:27], s[26:27], s[22:23]
	global_store_b32 v3, v10, s[26:27]
	s_branch .LBB494_2
.LBB494_34:
	s_endpgm
	.section	.rodata,"a",@progbits
	.p2align	6, 0x0
	.amdhsa_kernel _ZL32rocblas_gemvt_warp_reduce_kernelILb0ELi1024EiDF16_ffEviiT3_lPKT2_lT1_lS3_lS4_lS0_lPT4_lS4_li
		.amdhsa_group_segment_fixed_size 128
		.amdhsa_private_segment_fixed_size 0
		.amdhsa_kernarg_size 140
		.amdhsa_user_sgpr_count 2
		.amdhsa_user_sgpr_dispatch_ptr 0
		.amdhsa_user_sgpr_queue_ptr 0
		.amdhsa_user_sgpr_kernarg_segment_ptr 1
		.amdhsa_user_sgpr_dispatch_id 0
		.amdhsa_user_sgpr_kernarg_preload_length 0
		.amdhsa_user_sgpr_kernarg_preload_offset 0
		.amdhsa_user_sgpr_private_segment_size 0
		.amdhsa_wavefront_size32 1
		.amdhsa_uses_dynamic_stack 0
		.amdhsa_enable_private_segment 0
		.amdhsa_system_sgpr_workgroup_id_x 1
		.amdhsa_system_sgpr_workgroup_id_y 0
		.amdhsa_system_sgpr_workgroup_id_z 1
		.amdhsa_system_sgpr_workgroup_info 0
		.amdhsa_system_vgpr_workitem_id 0
		.amdhsa_next_free_vgpr 20
		.amdhsa_next_free_sgpr 40
		.amdhsa_named_barrier_count 0
		.amdhsa_reserve_vcc 1
		.amdhsa_float_round_mode_32 0
		.amdhsa_float_round_mode_16_64 0
		.amdhsa_float_denorm_mode_32 3
		.amdhsa_float_denorm_mode_16_64 3
		.amdhsa_fp16_overflow 0
		.amdhsa_memory_ordered 1
		.amdhsa_forward_progress 1
		.amdhsa_inst_pref_size 12
		.amdhsa_round_robin_scheduling 0
		.amdhsa_exception_fp_ieee_invalid_op 0
		.amdhsa_exception_fp_denorm_src 0
		.amdhsa_exception_fp_ieee_div_zero 0
		.amdhsa_exception_fp_ieee_overflow 0
		.amdhsa_exception_fp_ieee_underflow 0
		.amdhsa_exception_fp_ieee_inexact 0
		.amdhsa_exception_int_div_zero 0
	.end_amdhsa_kernel
	.section	.text._ZL32rocblas_gemvt_warp_reduce_kernelILb0ELi1024EiDF16_ffEviiT3_lPKT2_lT1_lS3_lS4_lS0_lPT4_lS4_li,"axG",@progbits,_ZL32rocblas_gemvt_warp_reduce_kernelILb0ELi1024EiDF16_ffEviiT3_lPKT2_lT1_lS3_lS4_lS0_lPT4_lS4_li,comdat
.Lfunc_end494:
	.size	_ZL32rocblas_gemvt_warp_reduce_kernelILb0ELi1024EiDF16_ffEviiT3_lPKT2_lT1_lS3_lS4_lS0_lPT4_lS4_li, .Lfunc_end494-_ZL32rocblas_gemvt_warp_reduce_kernelILb0ELi1024EiDF16_ffEviiT3_lPKT2_lT1_lS3_lS4_lS0_lPT4_lS4_li
                                        ; -- End function
	.set _ZL32rocblas_gemvt_warp_reduce_kernelILb0ELi1024EiDF16_ffEviiT3_lPKT2_lT1_lS3_lS4_lS0_lPT4_lS4_li.num_vgpr, 20
	.set _ZL32rocblas_gemvt_warp_reduce_kernelILb0ELi1024EiDF16_ffEviiT3_lPKT2_lT1_lS3_lS4_lS0_lPT4_lS4_li.num_agpr, 0
	.set _ZL32rocblas_gemvt_warp_reduce_kernelILb0ELi1024EiDF16_ffEviiT3_lPKT2_lT1_lS3_lS4_lS0_lPT4_lS4_li.numbered_sgpr, 40
	.set _ZL32rocblas_gemvt_warp_reduce_kernelILb0ELi1024EiDF16_ffEviiT3_lPKT2_lT1_lS3_lS4_lS0_lPT4_lS4_li.num_named_barrier, 0
	.set _ZL32rocblas_gemvt_warp_reduce_kernelILb0ELi1024EiDF16_ffEviiT3_lPKT2_lT1_lS3_lS4_lS0_lPT4_lS4_li.private_seg_size, 0
	.set _ZL32rocblas_gemvt_warp_reduce_kernelILb0ELi1024EiDF16_ffEviiT3_lPKT2_lT1_lS3_lS4_lS0_lPT4_lS4_li.uses_vcc, 1
	.set _ZL32rocblas_gemvt_warp_reduce_kernelILb0ELi1024EiDF16_ffEviiT3_lPKT2_lT1_lS3_lS4_lS0_lPT4_lS4_li.uses_flat_scratch, 0
	.set _ZL32rocblas_gemvt_warp_reduce_kernelILb0ELi1024EiDF16_ffEviiT3_lPKT2_lT1_lS3_lS4_lS0_lPT4_lS4_li.has_dyn_sized_stack, 0
	.set _ZL32rocblas_gemvt_warp_reduce_kernelILb0ELi1024EiDF16_ffEviiT3_lPKT2_lT1_lS3_lS4_lS0_lPT4_lS4_li.has_recursion, 0
	.set _ZL32rocblas_gemvt_warp_reduce_kernelILb0ELi1024EiDF16_ffEviiT3_lPKT2_lT1_lS3_lS4_lS0_lPT4_lS4_li.has_indirect_call, 0
	.section	.AMDGPU.csdata,"",@progbits
; Kernel info:
; codeLenInByte = 1420
; TotalNumSgprs: 42
; NumVgprs: 20
; ScratchSize: 0
; MemoryBound: 0
; FloatMode: 240
; IeeeMode: 1
; LDSByteSize: 128 bytes/workgroup (compile time only)
; SGPRBlocks: 0
; VGPRBlocks: 1
; NumSGPRsForWavesPerEU: 42
; NumVGPRsForWavesPerEU: 20
; NamedBarCnt: 0
; Occupancy: 16
; WaveLimiterHint : 0
; COMPUTE_PGM_RSRC2:SCRATCH_EN: 0
; COMPUTE_PGM_RSRC2:USER_SGPR: 2
; COMPUTE_PGM_RSRC2:TRAP_HANDLER: 0
; COMPUTE_PGM_RSRC2:TGID_X_EN: 1
; COMPUTE_PGM_RSRC2:TGID_Y_EN: 0
; COMPUTE_PGM_RSRC2:TGID_Z_EN: 1
; COMPUTE_PGM_RSRC2:TIDIG_COMP_CNT: 0
	.section	.text._ZL32rocblas_gemvt_warp_reduce_kernelILb0ELi1024ElDF16_ffEviiT3_lPKT2_lT1_lS3_lS4_lS0_lPT4_lS4_li,"axG",@progbits,_ZL32rocblas_gemvt_warp_reduce_kernelILb0ELi1024ElDF16_ffEviiT3_lPKT2_lT1_lS3_lS4_lS0_lPT4_lS4_li,comdat
	.globl	_ZL32rocblas_gemvt_warp_reduce_kernelILb0ELi1024ElDF16_ffEviiT3_lPKT2_lT1_lS3_lS4_lS0_lPT4_lS4_li ; -- Begin function _ZL32rocblas_gemvt_warp_reduce_kernelILb0ELi1024ElDF16_ffEviiT3_lPKT2_lT1_lS3_lS4_lS0_lPT4_lS4_li
	.p2align	8
	.type	_ZL32rocblas_gemvt_warp_reduce_kernelILb0ELi1024ElDF16_ffEviiT3_lPKT2_lT1_lS3_lS4_lS0_lPT4_lS4_li,@function
_ZL32rocblas_gemvt_warp_reduce_kernelILb0ELi1024ElDF16_ffEviiT3_lPKT2_lT1_lS3_lS4_lS0_lPT4_lS4_li: ; @_ZL32rocblas_gemvt_warp_reduce_kernelILb0ELi1024ElDF16_ffEviiT3_lPKT2_lT1_lS3_lS4_lS0_lPT4_lS4_li
; %bb.0:
	s_load_b32 s5, s[0:1], 0x88
	s_bfe_u32 s2, ttmp6, 0x40014
	s_lshr_b32 s3, ttmp7, 16
	s_add_co_i32 s2, s2, 1
	s_bfe_u32 s6, ttmp6, 0x40008
	s_mul_i32 s4, s3, s2
	s_getreg_b32 s2, hwreg(HW_REG_IB_STS2, 6, 4)
	s_add_co_i32 s6, s6, s4
	s_cmp_eq_u32 s2, 0
	s_mov_b32 s7, 0
	s_cselect_b32 s6, s3, s6
	s_wait_kmcnt 0x0
	s_cmp_ge_u32 s6, s5
	s_cbranch_scc1 .LBB495_34
; %bb.1:
	s_clause 0x4
	s_load_b512 s[8:23], s[0:1], 0x18
	s_load_b256 s[24:31], s[0:1], 0x68
	s_load_b32 s33, s[0:1], 0x8
	s_load_b32 s34, s[0:1], 0x58
	;; [unrolled: 1-line block ×3, first 2 shown]
	s_wait_kmcnt 0x0
	s_lshl_b64 s[18:19], s[18:19], 1
	s_lshl_b64 s[26:27], s[26:27], 2
	;; [unrolled: 1-line block ×3, first 2 shown]
	s_cmp_eq_f32 s33, 0
	v_cmp_gt_i32_e32 vcc_lo, s4, v0
	v_mov_b32_e32 v3, 0
	s_add_nc_u64 s[16:17], s[16:17], s[18:19]
	s_cselect_b32 s35, -1, 0
	s_cmp_neq_f32 s33, 0
	v_cndmask_b32_e32 v2, 0, v0, vcc_lo
	s_add_nc_u64 s[18:19], s[24:25], s[26:27]
	s_cselect_b32 s3, -1, 0
	s_cmp_neq_f32 s34, 1.0
	s_delay_alu instid0(VALU_DEP_1) | instskip(SKIP_1) | instid1(SALU_CYCLE_1)
	v_lshlrev_b32_e32 v2, 1, v2
	s_cselect_b32 s0, -1, 0
	s_or_b32 s36, s3, s0
	s_cmp_neq_f32 s34, 0
	s_cselect_b32 s37, -1, 0
	s_bfe_u32 s0, ttmp6, 0x4000c
	s_and_b32 s1, ttmp6, 15
	s_add_co_i32 s0, s0, 1
	s_delay_alu instid0(SALU_CYCLE_1) | instskip(NEXT) | instid1(SALU_CYCLE_1)
	s_mul_i32 s0, ttmp9, s0
	s_add_co_i32 s1, s1, s0
	s_cmp_eq_u32 s2, 0
	s_cselect_b32 s2, ttmp9, s1
	s_ashr_i32 s0, s4, 31
	s_ashr_i32 s3, s2, 31
	s_lshr_b32 s0, s0, 22
	s_mul_u64 s[12:13], s[12:13], s[2:3]
	s_add_co_i32 s0, s4, s0
	s_lshl_b64 s[12:13], s[12:13], 1
	s_and_b32 s10, s0, 0xfffffc00
	s_delay_alu instid0(SALU_CYCLE_1) | instskip(SKIP_3) | instid1(VALU_DEP_2)
	v_dual_mov_b32 v1, v3 :: v_dual_bitop2_b32 v8, s10, v0 bitop3:0x54
	s_add_nc_u64 s[0:1], s[8:9], s[38:39]
	s_mul_u64 s[24:25], s[28:29], s[2:3]
	v_cmp_gt_u32_e64 s3, 32, v0
	v_mul_u64_e32 v[10:11], s[20:21], v[0:1]
	v_ashrrev_i32_e32 v9, 31, v8
	v_add_nc_u64_e32 v[6:7], s[0:1], v[2:3]
	v_cmp_gt_i32_e64 s2, s4, v8
	v_cmp_eq_u32_e64 s0, 0, v0
	v_cmp_gt_i32_e64 s1, s10, v0
	v_mul_u64_e32 v[4:5], s[20:21], v[8:9]
	v_dual_lshrrev_b32 v8, 3, v0 :: v_dual_bitop2_b32 v9, 31, v0 bitop3:0x40
	v_add_nc_u64_e32 v[6:7], s[12:13], v[6:7]
	s_add_nc_u64 s[12:13], s[12:13], s[38:39]
	s_ashr_i32 s11, s10, 31
	s_add_nc_u64 s[8:9], s[8:9], s[12:13]
	v_lshlrev_b32_e32 v1, 2, v9
	v_cmp_eq_u32_e64 s4, 0, v9
	v_and_b32_e32 v16, 0x7c, v8
	v_add_nc_u64_e32 v[8:9], s[8:9], v[2:3]
	v_mbcnt_lo_u32_b32 v2, -1, 0
	s_lshl_b64 s[8:9], s[14:15], 1
	s_lshl_b64 s[12:13], s[22:23], 1
	;; [unrolled: 1-line block ×4, first 2 shown]
	v_lshl_or_b32 v17, v2, 2, 64
	v_lshl_add_u64 v[10:11], v[10:11], 1, s[16:17]
	s_branch .LBB495_4
.LBB495_2:                              ;   in Loop: Header=BB495_4 Depth=1
	s_wait_xcnt 0x0
	s_or_b32 exec_lo, exec_lo, s29
.LBB495_3:                              ;   in Loop: Header=BB495_4 Depth=1
	s_add_co_i32 s6, s6, 0x10000
	s_delay_alu instid0(SALU_CYCLE_1)
	s_cmp_lt_u32 s6, s5
	s_cbranch_scc0 .LBB495_34
.LBB495_4:                              ; =>This Loop Header: Depth=1
                                        ;     Child Loop BB495_23 Depth 2
	s_and_not1_b32 vcc_lo, exec_lo, s36
	s_cbranch_vccnz .LBB495_3
; %bb.5:                                ;   in Loop: Header=BB495_4 Depth=1
	s_mul_u64 s[26:27], s[30:31], s[6:7]
	s_and_not1_b32 vcc_lo, exec_lo, s35
	s_lshl_b64 s[26:27], s[26:27], 2
	s_delay_alu instid0(SALU_CYCLE_1)
	s_add_nc_u64 s[26:27], s[18:19], s[26:27]
	s_cbranch_vccnz .LBB495_9
; %bb.6:                                ;   in Loop: Header=BB495_4 Depth=1
	s_mov_b32 s29, 0
	s_mov_b32 s28, 0
                                        ; implicit-def: $vgpr12
	s_and_saveexec_b32 s38, s0
	s_cbranch_execz .LBB495_10
; %bb.7:                                ;   in Loop: Header=BB495_4 Depth=1
	s_and_not1_b32 vcc_lo, exec_lo, s37
	s_cbranch_vccnz .LBB495_11
; %bb.8:                                ;   in Loop: Header=BB495_4 Depth=1
	s_add_nc_u64 s[40:41], s[26:27], s[24:25]
	global_load_b32 v12, v3, s[40:41]
	s_wait_loadcnt 0x0
	v_mul_f32_e32 v12, s34, v12
	s_branch .LBB495_12
.LBB495_9:                              ;   in Loop: Header=BB495_4 Depth=1
	s_mov_b32 s28, 0
                                        ; implicit-def: $vgpr12
	s_cbranch_execnz .LBB495_13
	s_branch .LBB495_32
.LBB495_10:                             ;   in Loop: Header=BB495_4 Depth=1
	s_or_b32 exec_lo, exec_lo, s38
	s_delay_alu instid0(SALU_CYCLE_1)
	s_and_b32 vcc_lo, exec_lo, s29
	s_cbranch_vccnz .LBB495_13
	s_branch .LBB495_32
.LBB495_11:                             ;   in Loop: Header=BB495_4 Depth=1
	v_mov_b32_e32 v12, 0
.LBB495_12:                             ;   in Loop: Header=BB495_4 Depth=1
	s_mov_b32 s28, exec_lo
	s_wait_xcnt 0x0
	s_or_b32 exec_lo, exec_lo, s38
	s_delay_alu instid0(SALU_CYCLE_1)
	s_and_b32 vcc_lo, exec_lo, s29
	s_cbranch_vccz .LBB495_32
.LBB495_13:                             ;   in Loop: Header=BB495_4 Depth=1
	s_wait_dscnt 0x0
	v_mov_b32_e32 v18, 0
	s_and_saveexec_b32 s29, s1
	s_cbranch_execnz .LBB495_22
; %bb.14:                               ;   in Loop: Header=BB495_4 Depth=1
	s_or_b32 exec_lo, exec_lo, s29
	s_and_saveexec_b32 s29, s2
	s_cbranch_execnz .LBB495_25
.LBB495_15:                             ;   in Loop: Header=BB495_4 Depth=1
	s_or_b32 exec_lo, exec_lo, s29
	s_and_saveexec_b32 s29, s3
.LBB495_16:                             ;   in Loop: Header=BB495_4 Depth=1
	ds_store_b32 v1, v3
.LBB495_17:                             ;   in Loop: Header=BB495_4 Depth=1
	s_or_b32 exec_lo, exec_lo, s29
	ds_bpermute_b32 v13, v17, v18
	v_cmp_gt_u32_e32 vcc_lo, 24, v2
	s_wait_dscnt 0x0
	s_barrier_signal -1
	s_barrier_wait -1
	v_cndmask_b32_e64 v12, 0, 8, vcc_lo
	v_cmp_gt_u32_e32 vcc_lo, 28, v2
	s_delay_alu instid0(VALU_DEP_2)
	v_add_lshl_u32 v12, v12, v2, 2
	v_add_f32_e32 v14, v18, v13
	v_cndmask_b32_e64 v13, 0, 4, vcc_lo
	v_cmp_gt_u32_e32 vcc_lo, 30, v2
	ds_bpermute_b32 v15, v12, v14
	v_add_lshl_u32 v13, v13, v2, 2
	s_wait_dscnt 0x0
	v_add_f32_e32 v15, v14, v15
	v_cndmask_b32_e64 v14, 0, 2, vcc_lo
	v_cmp_ne_u32_e32 vcc_lo, 31, v2
	ds_bpermute_b32 v18, v13, v15
	v_add_lshl_u32 v14, v14, v2, 2
	v_add_co_ci_u32_e64 v19, null, 0, v2, vcc_lo
	s_wait_dscnt 0x0
	v_add_f32_e32 v15, v15, v18
	ds_bpermute_b32 v18, v14, v15
	s_wait_dscnt 0x0
	v_dual_add_f32 v18, v15, v18 :: v_dual_lshlrev_b32 v15, 2, v19
	ds_bpermute_b32 v19, v15, v18
	s_and_saveexec_b32 s29, s4
	s_cbranch_execz .LBB495_19
; %bb.18:                               ;   in Loop: Header=BB495_4 Depth=1
	s_wait_dscnt 0x0
	v_add_f32_e32 v18, v18, v19
	ds_store_b32 v16, v18
.LBB495_19:                             ;   in Loop: Header=BB495_4 Depth=1
	s_or_b32 exec_lo, exec_lo, s29
	v_mov_b32_e32 v18, 0
	s_wait_dscnt 0x0
	s_barrier_signal -1
	s_barrier_wait -1
	s_and_saveexec_b32 s29, s3
	s_cbranch_execnz .LBB495_26
; %bb.20:                               ;   in Loop: Header=BB495_4 Depth=1
	s_or_b32 exec_lo, exec_lo, s29
	s_and_saveexec_b32 s29, s3
	s_cbranch_execnz .LBB495_27
.LBB495_21:                             ;   in Loop: Header=BB495_4 Depth=1
	s_or_b32 exec_lo, exec_lo, s29
                                        ; implicit-def: $vgpr12
	s_and_saveexec_b32 s29, s0
	s_cbranch_execnz .LBB495_28
	s_branch .LBB495_31
.LBB495_22:                             ;   in Loop: Header=BB495_4 Depth=1
	v_mad_nc_u64_u32 v[12:13], s8, s6, v[8:9]
	v_mad_nc_u64_u32 v[14:15], s12, s6, v[10:11]
	v_dual_mov_b32 v18, 0 :: v_dual_mov_b32 v19, v0
	s_mov_b32 s38, 0
	s_delay_alu instid0(VALU_DEP_3) | instskip(NEXT) | instid1(VALU_DEP_3)
	v_mad_u32 v13, s9, s6, v13
	v_mad_u32 v15, s13, s6, v15
.LBB495_23:                             ;   Parent Loop BB495_4 Depth=1
                                        ; =>  This Inner Loop Header: Depth=2
	global_load_u16 v20, v[12:13], off
	global_load_u16 v21, v[14:15], off
	s_wait_xcnt 0x1
	v_add_nc_u64_e32 v[12:13], 0x800, v[12:13]
	s_wait_xcnt 0x0
	v_add_nc_u64_e32 v[14:15], s[20:21], v[14:15]
	s_wait_loadcnt 0x0
	v_mul_f16_e32 v20, v20, v21
	s_delay_alu instid0(VALU_DEP_1) | instskip(NEXT) | instid1(VALU_DEP_1)
	v_cvt_f32_f16_e32 v20, v20
	v_dual_add_f32 v18, v18, v20 :: v_dual_add_nc_u32 v19, 0x400, v19
	s_delay_alu instid0(VALU_DEP_1) | instskip(SKIP_1) | instid1(SALU_CYCLE_1)
	v_cmp_le_i32_e32 vcc_lo, s10, v19
	s_or_b32 s38, vcc_lo, s38
	s_and_not1_b32 exec_lo, exec_lo, s38
	s_cbranch_execnz .LBB495_23
; %bb.24:                               ;   in Loop: Header=BB495_4 Depth=1
	s_or_b32 exec_lo, exec_lo, s38
	s_delay_alu instid0(SALU_CYCLE_1)
	s_or_b32 exec_lo, exec_lo, s29
	s_and_saveexec_b32 s29, s2
	s_cbranch_execz .LBB495_15
.LBB495_25:                             ;   in Loop: Header=BB495_4 Depth=1
	s_mul_u64 s[38:39], s[14:15], s[6:7]
	s_mul_u64 s[40:41], s[22:23], s[6:7]
	v_lshl_add_u64 v[12:13], s[38:39], 1, v[6:7]
	s_lshl_b64 s[38:39], s[40:41], 1
	s_delay_alu instid0(SALU_CYCLE_1) | instskip(NEXT) | instid1(SALU_CYCLE_1)
	s_add_nc_u64 s[38:39], s[16:17], s[38:39]
	v_lshl_add_u64 v[14:15], v[4:5], 1, s[38:39]
	s_delay_alu instid0(VALU_DEP_2)
	v_lshl_add_u64 v[12:13], s[10:11], 1, v[12:13]
	global_load_u16 v19, v[12:13], off
	global_load_u16 v20, v[14:15], off
	s_wait_loadcnt 0x0
	s_wait_xcnt 0x1
	v_mul_f16_e32 v12, v19, v20
	s_delay_alu instid0(VALU_DEP_1) | instskip(NEXT) | instid1(VALU_DEP_1)
	v_cvt_f32_f16_e32 v12, v12
	v_add_f32_e32 v18, v18, v12
	s_wait_xcnt 0x0
	s_or_b32 exec_lo, exec_lo, s29
	s_and_saveexec_b32 s29, s3
	s_cbranch_execnz .LBB495_16
	s_branch .LBB495_17
.LBB495_26:                             ;   in Loop: Header=BB495_4 Depth=1
	ds_load_b32 v18, v1
	s_or_b32 exec_lo, exec_lo, s29
	s_and_saveexec_b32 s29, s3
	s_cbranch_execz .LBB495_21
.LBB495_27:                             ;   in Loop: Header=BB495_4 Depth=1
	s_wait_dscnt 0x0
	ds_bpermute_b32 v19, v17, v18
	s_wait_dscnt 0x0
	v_add_f32_e32 v18, v18, v19
	ds_bpermute_b32 v12, v12, v18
	s_wait_dscnt 0x0
	v_add_f32_e32 v12, v18, v12
	;; [unrolled: 3-line block ×5, first 2 shown]
	s_or_b32 exec_lo, exec_lo, s29
                                        ; implicit-def: $vgpr12
	s_and_saveexec_b32 s29, s0
	s_cbranch_execz .LBB495_31
.LBB495_28:                             ;   in Loop: Header=BB495_4 Depth=1
	s_wait_dscnt 0x0
	v_mul_f32_e32 v12, s33, v18
	s_and_not1_b32 vcc_lo, exec_lo, s37
	s_cbranch_vccnz .LBB495_30
; %bb.29:                               ;   in Loop: Header=BB495_4 Depth=1
	s_add_nc_u64 s[38:39], s[26:27], s[24:25]
	global_load_b32 v13, v3, s[38:39]
	s_wait_loadcnt 0x0
	v_fmac_f32_e32 v12, s34, v13
.LBB495_30:                             ;   in Loop: Header=BB495_4 Depth=1
	s_or_b32 s28, s28, exec_lo
.LBB495_31:                             ;   in Loop: Header=BB495_4 Depth=1
	s_wait_xcnt 0x0
	s_or_b32 exec_lo, exec_lo, s29
.LBB495_32:                             ;   in Loop: Header=BB495_4 Depth=1
	s_and_saveexec_b32 s29, s28
	s_cbranch_execz .LBB495_2
; %bb.33:                               ;   in Loop: Header=BB495_4 Depth=1
	s_add_nc_u64 s[26:27], s[26:27], s[24:25]
	global_store_b32 v3, v12, s[26:27]
	s_branch .LBB495_2
.LBB495_34:
	s_endpgm
	.section	.rodata,"a",@progbits
	.p2align	6, 0x0
	.amdhsa_kernel _ZL32rocblas_gemvt_warp_reduce_kernelILb0ELi1024ElDF16_ffEviiT3_lPKT2_lT1_lS3_lS4_lS0_lPT4_lS4_li
		.amdhsa_group_segment_fixed_size 128
		.amdhsa_private_segment_fixed_size 0
		.amdhsa_kernarg_size 140
		.amdhsa_user_sgpr_count 2
		.amdhsa_user_sgpr_dispatch_ptr 0
		.amdhsa_user_sgpr_queue_ptr 0
		.amdhsa_user_sgpr_kernarg_segment_ptr 1
		.amdhsa_user_sgpr_dispatch_id 0
		.amdhsa_user_sgpr_kernarg_preload_length 0
		.amdhsa_user_sgpr_kernarg_preload_offset 0
		.amdhsa_user_sgpr_private_segment_size 0
		.amdhsa_wavefront_size32 1
		.amdhsa_uses_dynamic_stack 0
		.amdhsa_enable_private_segment 0
		.amdhsa_system_sgpr_workgroup_id_x 1
		.amdhsa_system_sgpr_workgroup_id_y 0
		.amdhsa_system_sgpr_workgroup_id_z 1
		.amdhsa_system_sgpr_workgroup_info 0
		.amdhsa_system_vgpr_workitem_id 0
		.amdhsa_next_free_vgpr 22
		.amdhsa_next_free_sgpr 42
		.amdhsa_named_barrier_count 0
		.amdhsa_reserve_vcc 1
		.amdhsa_float_round_mode_32 0
		.amdhsa_float_round_mode_16_64 0
		.amdhsa_float_denorm_mode_32 3
		.amdhsa_float_denorm_mode_16_64 3
		.amdhsa_fp16_overflow 0
		.amdhsa_memory_ordered 1
		.amdhsa_forward_progress 1
		.amdhsa_inst_pref_size 11
		.amdhsa_round_robin_scheduling 0
		.amdhsa_exception_fp_ieee_invalid_op 0
		.amdhsa_exception_fp_denorm_src 0
		.amdhsa_exception_fp_ieee_div_zero 0
		.amdhsa_exception_fp_ieee_overflow 0
		.amdhsa_exception_fp_ieee_underflow 0
		.amdhsa_exception_fp_ieee_inexact 0
		.amdhsa_exception_int_div_zero 0
	.end_amdhsa_kernel
	.section	.text._ZL32rocblas_gemvt_warp_reduce_kernelILb0ELi1024ElDF16_ffEviiT3_lPKT2_lT1_lS3_lS4_lS0_lPT4_lS4_li,"axG",@progbits,_ZL32rocblas_gemvt_warp_reduce_kernelILb0ELi1024ElDF16_ffEviiT3_lPKT2_lT1_lS3_lS4_lS0_lPT4_lS4_li,comdat
.Lfunc_end495:
	.size	_ZL32rocblas_gemvt_warp_reduce_kernelILb0ELi1024ElDF16_ffEviiT3_lPKT2_lT1_lS3_lS4_lS0_lPT4_lS4_li, .Lfunc_end495-_ZL32rocblas_gemvt_warp_reduce_kernelILb0ELi1024ElDF16_ffEviiT3_lPKT2_lT1_lS3_lS4_lS0_lPT4_lS4_li
                                        ; -- End function
	.set _ZL32rocblas_gemvt_warp_reduce_kernelILb0ELi1024ElDF16_ffEviiT3_lPKT2_lT1_lS3_lS4_lS0_lPT4_lS4_li.num_vgpr, 22
	.set _ZL32rocblas_gemvt_warp_reduce_kernelILb0ELi1024ElDF16_ffEviiT3_lPKT2_lT1_lS3_lS4_lS0_lPT4_lS4_li.num_agpr, 0
	.set _ZL32rocblas_gemvt_warp_reduce_kernelILb0ELi1024ElDF16_ffEviiT3_lPKT2_lT1_lS3_lS4_lS0_lPT4_lS4_li.numbered_sgpr, 42
	.set _ZL32rocblas_gemvt_warp_reduce_kernelILb0ELi1024ElDF16_ffEviiT3_lPKT2_lT1_lS3_lS4_lS0_lPT4_lS4_li.num_named_barrier, 0
	.set _ZL32rocblas_gemvt_warp_reduce_kernelILb0ELi1024ElDF16_ffEviiT3_lPKT2_lT1_lS3_lS4_lS0_lPT4_lS4_li.private_seg_size, 0
	.set _ZL32rocblas_gemvt_warp_reduce_kernelILb0ELi1024ElDF16_ffEviiT3_lPKT2_lT1_lS3_lS4_lS0_lPT4_lS4_li.uses_vcc, 1
	.set _ZL32rocblas_gemvt_warp_reduce_kernelILb0ELi1024ElDF16_ffEviiT3_lPKT2_lT1_lS3_lS4_lS0_lPT4_lS4_li.uses_flat_scratch, 0
	.set _ZL32rocblas_gemvt_warp_reduce_kernelILb0ELi1024ElDF16_ffEviiT3_lPKT2_lT1_lS3_lS4_lS0_lPT4_lS4_li.has_dyn_sized_stack, 0
	.set _ZL32rocblas_gemvt_warp_reduce_kernelILb0ELi1024ElDF16_ffEviiT3_lPKT2_lT1_lS3_lS4_lS0_lPT4_lS4_li.has_recursion, 0
	.set _ZL32rocblas_gemvt_warp_reduce_kernelILb0ELi1024ElDF16_ffEviiT3_lPKT2_lT1_lS3_lS4_lS0_lPT4_lS4_li.has_indirect_call, 0
	.section	.AMDGPU.csdata,"",@progbits
; Kernel info:
; codeLenInByte = 1364
; TotalNumSgprs: 44
; NumVgprs: 22
; ScratchSize: 0
; MemoryBound: 0
; FloatMode: 240
; IeeeMode: 1
; LDSByteSize: 128 bytes/workgroup (compile time only)
; SGPRBlocks: 0
; VGPRBlocks: 1
; NumSGPRsForWavesPerEU: 44
; NumVGPRsForWavesPerEU: 22
; NamedBarCnt: 0
; Occupancy: 16
; WaveLimiterHint : 0
; COMPUTE_PGM_RSRC2:SCRATCH_EN: 0
; COMPUTE_PGM_RSRC2:USER_SGPR: 2
; COMPUTE_PGM_RSRC2:TRAP_HANDLER: 0
; COMPUTE_PGM_RSRC2:TGID_X_EN: 1
; COMPUTE_PGM_RSRC2:TGID_Y_EN: 0
; COMPUTE_PGM_RSRC2:TGID_Z_EN: 1
; COMPUTE_PGM_RSRC2:TIDIG_COMP_CNT: 0
	.section	.text._ZL22rocblas_gemvtsm_kernelILb1ELi256EDF16_PKffEviiT2_lPKT1_lilS5_lilS2_lPT3_lil,"axG",@progbits,_ZL22rocblas_gemvtsm_kernelILb1ELi256EDF16_PKffEviiT2_lPKT1_lilS5_lilS2_lPT3_lil,comdat
	.globl	_ZL22rocblas_gemvtsm_kernelILb1ELi256EDF16_PKffEviiT2_lPKT1_lilS5_lilS2_lPT3_lil ; -- Begin function _ZL22rocblas_gemvtsm_kernelILb1ELi256EDF16_PKffEviiT2_lPKT1_lilS5_lilS2_lPT3_lil
	.p2align	8
	.type	_ZL22rocblas_gemvtsm_kernelILb1ELi256EDF16_PKffEviiT2_lPKT1_lilS5_lilS2_lPT3_lil,@function
_ZL22rocblas_gemvtsm_kernelILb1ELi256EDF16_PKffEviiT2_lPKT1_lilS5_lilS2_lPT3_lil: ; @_ZL22rocblas_gemvtsm_kernelILb1ELi256EDF16_PKffEviiT2_lPKT1_lilS5_lilS2_lPT3_lil
; %bb.0:
	s_clause 0x1
	s_load_b256 s[4:11], s[0:1], 0x8
	s_load_b256 s[12:19], s[0:1], 0x50
	s_bfe_u32 s2, ttmp6, 0x4000c
	s_and_b32 s3, ttmp6, 15
	s_add_co_i32 s2, s2, 1
	s_getreg_b32 s20, hwreg(HW_REG_IB_STS2, 6, 4)
	s_mul_i32 s2, ttmp9, s2
	s_mov_b32 s25, 0
	s_add_co_i32 s3, s3, s2
	s_cmp_eq_u32 s20, 0
	s_cselect_b32 s24, ttmp9, s3
	s_wait_kmcnt 0x0
	s_mul_u64 s[2:3], s[6:7], s[24:25]
	s_delay_alu instid0(SALU_CYCLE_1) | instskip(NEXT) | instid1(SALU_CYCLE_1)
	s_lshl_b64 s[2:3], s[2:3], 2
	s_add_nc_u64 s[2:3], s[4:5], s[2:3]
	s_mul_u64 s[4:5], s[16:17], s[24:25]
	s_load_b32 s26, s[2:3], 0x0
	s_wait_xcnt 0x0
	s_lshl_b64 s[2:3], s[4:5], 2
	s_delay_alu instid0(SALU_CYCLE_1)
	s_add_nc_u64 s[2:3], s[14:15], s[2:3]
	s_load_b32 s23, s[2:3], 0x0
	s_wait_kmcnt 0x0
	s_cmp_eq_f32 s26, 0
	s_cselect_b32 s2, -1, 0
	s_cmp_eq_f32 s23, 1.0
	s_cselect_b32 s3, -1, 0
	s_delay_alu instid0(SALU_CYCLE_1) | instskip(NEXT) | instid1(SALU_CYCLE_1)
	s_and_b32 s2, s2, s3
	s_and_b32 vcc_lo, exec_lo, s2
	s_cbranch_vccnz .LBB496_34
; %bb.1:
	s_clause 0x2
	s_load_b64 s[4:5], s[0:1], 0x80
	s_load_b96 s[20:22], s[0:1], 0x70
	s_load_b64 s[2:3], s[0:1], 0x0
	s_cmp_neq_f32 s26, 0
	s_wait_kmcnt 0x0
	s_mul_u64 s[14:15], s[4:5], s[24:25]
	s_cbranch_scc1 .LBB496_9
; %bb.2:
	s_cmp_gt_i32 s3, 0
	s_cselect_b32 s6, -1, 0
	s_cmp_neq_f32 s23, 0
	v_cndmask_b32_e64 v1, 0, 1, s6
	s_delay_alu instid0(VALU_DEP_1)
	v_cmp_ne_u32_e32 vcc_lo, 1, v1
	s_cbranch_scc1 .LBB496_10
; %bb.3:
	s_and_b32 vcc_lo, exec_lo, vcc_lo
	s_cbranch_vccnz .LBB496_8
; %bb.4:
	v_mov_b32_e32 v1, 0
	s_ashr_i32 s5, s22, 31
	s_mov_b32 s4, s22
	s_lshl_b64 s[16:17], s[20:21], 2
	s_lshl_b64 s[28:29], s[14:15], 2
	v_mul_u64_e32 v[2:3], s[4:5], v[0:1]
	s_add_nc_u64 s[16:17], s[18:19], s[16:17]
	s_lshl_b64 s[4:5], s[4:5], 10
	s_add_nc_u64 s[16:17], s[16:17], s[28:29]
	s_mov_b32 s7, 0
	s_delay_alu instid0(VALU_DEP_1)
	v_lshl_add_u64 v[2:3], v[2:3], 2, s[16:17]
	s_branch .LBB496_6
.LBB496_5:                              ;   in Loop: Header=BB496_6 Depth=1
	s_wait_xcnt 0x0
	s_or_b32 exec_lo, exec_lo, s16
	v_add_nc_u64_e32 v[2:3], s[4:5], v[2:3]
	s_addk_co_i32 s7, 0x100
	s_delay_alu instid0(SALU_CYCLE_1)
	s_cmp_ge_i32 s7, s3
	s_cbranch_scc1 .LBB496_8
.LBB496_6:                              ; =>This Inner Loop Header: Depth=1
	v_add_nc_u32_e32 v4, s7, v0
	s_mov_b32 s16, exec_lo
	s_delay_alu instid0(VALU_DEP_1)
	v_cmpx_gt_i32_e64 s3, v4
	s_cbranch_execz .LBB496_5
; %bb.7:                                ;   in Loop: Header=BB496_6 Depth=1
	global_store_b32 v[2:3], v1, off
	s_branch .LBB496_5
.LBB496_8:
	s_cbranch_execz .LBB496_11
	s_branch .LBB496_16
.LBB496_9:
	s_branch .LBB496_17
.LBB496_10:
.LBB496_11:
	s_and_not1_b32 vcc_lo, exec_lo, s6
	s_cbranch_vccnz .LBB496_16
; %bb.12:
	v_mov_b32_e32 v1, 0
	s_ashr_i32 s5, s22, 31
	s_mov_b32 s4, s22
	s_lshl_b64 s[6:7], s[20:21], 2
	s_lshl_b64 s[16:17], s[14:15], 2
	v_mul_u64_e32 v[2:3], s[4:5], v[0:1]
	s_add_nc_u64 s[6:7], s[18:19], s[6:7]
	s_lshl_b64 s[4:5], s[4:5], 10
	s_add_nc_u64 s[6:7], s[6:7], s[16:17]
	s_delay_alu instid0(VALU_DEP_1) | instid1(SALU_CYCLE_1)
	v_lshl_add_u64 v[2:3], v[2:3], 2, s[6:7]
	s_mov_b32 s6, 0
	s_branch .LBB496_14
.LBB496_13:                             ;   in Loop: Header=BB496_14 Depth=1
	s_wait_xcnt 0x0
	s_or_b32 exec_lo, exec_lo, s7
	v_add_nc_u64_e32 v[2:3], s[4:5], v[2:3]
	s_addk_co_i32 s6, 0x100
	s_delay_alu instid0(SALU_CYCLE_1)
	s_cmp_ge_i32 s6, s3
	s_cbranch_scc1 .LBB496_16
.LBB496_14:                             ; =>This Inner Loop Header: Depth=1
	v_add_nc_u32_e32 v1, s6, v0
	s_mov_b32 s7, exec_lo
	s_delay_alu instid0(VALU_DEP_1)
	v_cmpx_gt_i32_e64 s3, v1
	s_cbranch_execz .LBB496_13
; %bb.15:                               ;   in Loop: Header=BB496_14 Depth=1
	global_load_b32 v1, v[2:3], off
	s_wait_loadcnt 0x0
	v_mul_f32_e32 v1, s23, v1
	global_store_b32 v[2:3], v1, off
	s_branch .LBB496_13
.LBB496_16:
	s_cbranch_execnz .LBB496_34
.LBB496_17:
	s_clause 0x1
	s_load_b128 s[4:7], s[0:1], 0x30
	s_load_b64 s[16:17], s[0:1], 0x40
	s_mov_b32 s27, exec_lo
	v_cmpx_gt_i32_e64 s2, v0
	s_cbranch_execz .LBB496_19
; %bb.18:
	s_load_b32 s28, s[0:1], 0x48
	v_mov_b32_e32 v1, 0
	s_mul_u64 s[12:13], s[12:13], s[24:25]
	s_wait_kmcnt 0x0
	s_lshl_b64 s[16:17], s[16:17], 1
	s_lshl_b64 s[12:13], s[12:13], 1
	s_delay_alu instid0(SALU_CYCLE_1) | instskip(NEXT) | instid1(SALU_CYCLE_1)
	s_add_nc_u64 s[6:7], s[6:7], s[12:13]
	s_add_nc_u64 s[6:7], s[6:7], s[16:17]
	s_ashr_i32 s29, s28, 31
	s_delay_alu instid0(SALU_CYCLE_1) | instskip(NEXT) | instid1(VALU_DEP_1)
	v_mul_u64_e32 v[2:3], s[28:29], v[0:1]
	v_lshl_add_u64 v[2:3], v[2:3], 1, s[6:7]
	global_load_u16 v1, v[2:3], off
	s_wait_xcnt 0x0
	v_lshlrev_b32_e32 v2, 2, v0
	s_wait_loadcnt 0x0
	v_cvt_f32_f16_e32 v1, v1
	s_delay_alu instid0(VALU_DEP_1)
	v_mul_f32_e32 v1, s26, v1
	ds_store_b32 v2, v1
.LBB496_19:
	s_or_b32 exec_lo, exec_lo, s27
	s_cmp_lt_i32 s3, 1
	s_wait_storecnt_dscnt 0x0
	s_barrier_signal -1
	s_barrier_wait -1
	s_cbranch_scc1 .LBB496_34
; %bb.20:
	s_load_b32 s26, s[0:1], 0x28
	v_mov_b32_e32 v3, 0
	s_wait_kmcnt 0x0
	s_lshl_b64 s[6:7], s[14:15], 2
	s_lshl_b64 s[20:21], s[20:21], 2
	s_ashr_i32 s1, s22, 31
	s_mul_u64 s[4:5], s[4:5], s[24:25]
	v_mov_b32_e32 v1, v3
	s_mov_b32 s0, s22
	s_ashr_i32 s27, s26, 31
	s_cmp_neq_f32 s23, 0
	s_delay_alu instid0(VALU_DEP_1)
	v_mul_u64_e32 v[4:5], s[26:27], v[0:1]
	s_cselect_b32 s12, -1, 0
	s_cmp_gt_i32 s2, 0
	s_cselect_b32 s13, -1, 0
	s_and_b32 s14, s2, 7
	s_cmp_gt_u32 s2, 7
	s_cselect_b32 s15, -1, 0
	s_and_b32 s2, s2, 0x7ffffff8
	s_cmp_lg_u32 s14, 0
	s_cselect_b32 s16, -1, 0
	s_lshl_b64 s[10:11], s[10:11], 1
	s_lshl_b64 s[4:5], s[4:5], 1
	s_add_nc_u64 s[8:9], s[8:9], s[10:11]
	s_mov_b32 s10, 0
	s_add_nc_u64 s[4:5], s[8:9], s[4:5]
	s_lshl_b64 s[8:9], s[26:27], 9
	s_delay_alu instid0(VALU_DEP_1) | instskip(SKIP_3) | instid1(VALU_DEP_1)
	v_lshl_add_u64 v[4:5], v[4:5], 1, s[4:5]
	s_add_nc_u64 s[4:5], s[18:19], s[6:7]
	s_mov_b32 s7, 0
	s_add_nc_u64 s[4:5], s[4:5], s[20:21]
	v_add_nc_u64_e32 v[6:7], 14, v[4:5]
	s_branch .LBB496_23
.LBB496_21:                             ;   in Loop: Header=BB496_23 Depth=1
	global_store_b32 v[8:9], v1, off
.LBB496_22:                             ;   in Loop: Header=BB496_23 Depth=1
	s_wait_xcnt 0x0
	s_or_b32 exec_lo, exec_lo, s11
	v_add_nc_u64_e32 v[6:7], s[8:9], v[6:7]
	v_add_nc_u64_e32 v[4:5], s[8:9], v[4:5]
	s_addk_co_i32 s10, 0x100
	s_delay_alu instid0(SALU_CYCLE_1)
	s_cmp_ge_i32 s10, s3
	s_cbranch_scc1 .LBB496_34
.LBB496_23:                             ; =>This Loop Header: Depth=1
                                        ;     Child Loop BB496_29 Depth 2
                                        ;     Child Loop BB496_33 Depth 2
	v_add_nc_u32_e32 v2, s10, v0
	s_mov_b32 s11, exec_lo
	s_delay_alu instid0(VALU_DEP_1)
	v_cmpx_gt_i32_e64 s3, v2
	s_cbranch_execz .LBB496_22
; %bb.24:                               ;   in Loop: Header=BB496_23 Depth=1
	v_mul_u64_e32 v[8:9], s[0:1], v[2:3]
	s_and_not1_b32 vcc_lo, exec_lo, s12
	s_delay_alu instid0(VALU_DEP_1)
	v_lshl_add_u64 v[8:9], v[8:9], 2, s[4:5]
	s_cbranch_vccnz .LBB496_26
; %bb.25:                               ;   in Loop: Header=BB496_23 Depth=1
	global_load_b32 v1, v[8:9], off
	s_wait_loadcnt 0x0
	v_mul_f32_e32 v1, s23, v1
	s_and_not1_b32 vcc_lo, exec_lo, s13
	s_cbranch_vccz .LBB496_27
	s_branch .LBB496_21
.LBB496_26:                             ;   in Loop: Header=BB496_23 Depth=1
	v_mov_b32_e32 v1, 0
	s_and_not1_b32 vcc_lo, exec_lo, s13
	s_cbranch_vccnz .LBB496_21
.LBB496_27:                             ;   in Loop: Header=BB496_23 Depth=1
	s_and_not1_b32 vcc_lo, exec_lo, s15
	s_mov_b32 s17, 0
	s_cbranch_vccnz .LBB496_31
; %bb.28:                               ;   in Loop: Header=BB496_23 Depth=1
	v_mov_b64_e32 v[10:11], v[6:7]
	s_mov_b32 s6, 0
.LBB496_29:                             ;   Parent Loop BB496_23 Depth=1
                                        ; =>  This Inner Loop Header: Depth=2
	global_load_b128 v[12:15], v[10:11], off offset:-14
	v_mov_b32_e32 v2, s6
	s_wait_xcnt 0x0
	v_add_nc_u64_e32 v[10:11], 16, v[10:11]
	s_add_co_i32 s17, s17, 8
	s_add_co_i32 s6, s6, 32
	ds_load_b128 v[16:19], v2
	ds_load_b128 v[20:23], v2 offset:16
	s_cmp_eq_u32 s2, s17
	s_wait_loadcnt_dscnt 0x1
	v_fma_mix_f32 v1, v16, v12, v1 op_sel_hi:[0,1,0]
	s_delay_alu instid0(VALU_DEP_1) | instskip(NEXT) | instid1(VALU_DEP_1)
	v_fma_mix_f32 v1, v17, v12, v1 op_sel:[0,1,0] op_sel_hi:[0,1,0]
	v_fma_mix_f32 v1, v18, v13, v1 op_sel_hi:[0,1,0]
	s_delay_alu instid0(VALU_DEP_1) | instskip(SKIP_1) | instid1(VALU_DEP_1)
	v_fma_mix_f32 v1, v19, v13, v1 op_sel:[0,1,0] op_sel_hi:[0,1,0]
	s_wait_dscnt 0x0
	v_fma_mix_f32 v1, v20, v14, v1 op_sel_hi:[0,1,0]
	s_delay_alu instid0(VALU_DEP_1) | instskip(NEXT) | instid1(VALU_DEP_1)
	v_fma_mix_f32 v1, v21, v14, v1 op_sel:[0,1,0] op_sel_hi:[0,1,0]
	v_fma_mix_f32 v1, v22, v15, v1 op_sel_hi:[0,1,0]
	s_delay_alu instid0(VALU_DEP_1)
	v_fma_mix_f32 v1, v23, v15, v1 op_sel:[0,1,0] op_sel_hi:[0,1,0]
	s_cbranch_scc0 .LBB496_29
; %bb.30:                               ;   in Loop: Header=BB496_23 Depth=1
	s_mov_b32 s17, s2
.LBB496_31:                             ;   in Loop: Header=BB496_23 Depth=1
	s_and_not1_b32 vcc_lo, exec_lo, s16
	s_cbranch_vccnz .LBB496_21
; %bb.32:                               ;   in Loop: Header=BB496_23 Depth=1
	s_lshl_b32 s6, s17, 1
	s_delay_alu instid0(SALU_CYCLE_1)
	v_add_nc_u64_e32 v[10:11], s[6:7], v[4:5]
	s_lshl_b32 s6, s17, 2
	s_mov_b32 s17, s14
.LBB496_33:                             ;   Parent Loop BB496_23 Depth=1
                                        ; =>  This Inner Loop Header: Depth=2
	global_load_u16 v2, v[10:11], off
	v_mov_b32_e32 v12, s6
	s_wait_xcnt 0x0
	v_add_nc_u64_e32 v[10:11], 2, v[10:11]
	s_add_co_i32 s17, s17, -1
	s_add_co_i32 s6, s6, 4
	s_cmp_lg_u32 s17, 0
	ds_load_b32 v12, v12
	s_wait_loadcnt_dscnt 0x0
	v_fma_mix_f32 v1, v12, v2, v1 op_sel_hi:[0,1,0]
	s_cbranch_scc1 .LBB496_33
	s_branch .LBB496_21
.LBB496_34:
	s_endpgm
	.section	.rodata,"a",@progbits
	.p2align	6, 0x0
	.amdhsa_kernel _ZL22rocblas_gemvtsm_kernelILb1ELi256EDF16_PKffEviiT2_lPKT1_lilS5_lilS2_lPT3_lil
		.amdhsa_group_segment_fixed_size 256
		.amdhsa_private_segment_fixed_size 0
		.amdhsa_kernarg_size 136
		.amdhsa_user_sgpr_count 2
		.amdhsa_user_sgpr_dispatch_ptr 0
		.amdhsa_user_sgpr_queue_ptr 0
		.amdhsa_user_sgpr_kernarg_segment_ptr 1
		.amdhsa_user_sgpr_dispatch_id 0
		.amdhsa_user_sgpr_kernarg_preload_length 0
		.amdhsa_user_sgpr_kernarg_preload_offset 0
		.amdhsa_user_sgpr_private_segment_size 0
		.amdhsa_wavefront_size32 1
		.amdhsa_uses_dynamic_stack 0
		.amdhsa_enable_private_segment 0
		.amdhsa_system_sgpr_workgroup_id_x 1
		.amdhsa_system_sgpr_workgroup_id_y 0
		.amdhsa_system_sgpr_workgroup_id_z 0
		.amdhsa_system_sgpr_workgroup_info 0
		.amdhsa_system_vgpr_workitem_id 0
		.amdhsa_next_free_vgpr 24
		.amdhsa_next_free_sgpr 30
		.amdhsa_named_barrier_count 0
		.amdhsa_reserve_vcc 1
		.amdhsa_float_round_mode_32 0
		.amdhsa_float_round_mode_16_64 0
		.amdhsa_float_denorm_mode_32 3
		.amdhsa_float_denorm_mode_16_64 3
		.amdhsa_fp16_overflow 0
		.amdhsa_memory_ordered 1
		.amdhsa_forward_progress 1
		.amdhsa_inst_pref_size 10
		.amdhsa_round_robin_scheduling 0
		.amdhsa_exception_fp_ieee_invalid_op 0
		.amdhsa_exception_fp_denorm_src 0
		.amdhsa_exception_fp_ieee_div_zero 0
		.amdhsa_exception_fp_ieee_overflow 0
		.amdhsa_exception_fp_ieee_underflow 0
		.amdhsa_exception_fp_ieee_inexact 0
		.amdhsa_exception_int_div_zero 0
	.end_amdhsa_kernel
	.section	.text._ZL22rocblas_gemvtsm_kernelILb1ELi256EDF16_PKffEviiT2_lPKT1_lilS5_lilS2_lPT3_lil,"axG",@progbits,_ZL22rocblas_gemvtsm_kernelILb1ELi256EDF16_PKffEviiT2_lPKT1_lilS5_lilS2_lPT3_lil,comdat
.Lfunc_end496:
	.size	_ZL22rocblas_gemvtsm_kernelILb1ELi256EDF16_PKffEviiT2_lPKT1_lilS5_lilS2_lPT3_lil, .Lfunc_end496-_ZL22rocblas_gemvtsm_kernelILb1ELi256EDF16_PKffEviiT2_lPKT1_lilS5_lilS2_lPT3_lil
                                        ; -- End function
	.set _ZL22rocblas_gemvtsm_kernelILb1ELi256EDF16_PKffEviiT2_lPKT1_lilS5_lilS2_lPT3_lil.num_vgpr, 24
	.set _ZL22rocblas_gemvtsm_kernelILb1ELi256EDF16_PKffEviiT2_lPKT1_lilS5_lilS2_lPT3_lil.num_agpr, 0
	.set _ZL22rocblas_gemvtsm_kernelILb1ELi256EDF16_PKffEviiT2_lPKT1_lilS5_lilS2_lPT3_lil.numbered_sgpr, 30
	.set _ZL22rocblas_gemvtsm_kernelILb1ELi256EDF16_PKffEviiT2_lPKT1_lilS5_lilS2_lPT3_lil.num_named_barrier, 0
	.set _ZL22rocblas_gemvtsm_kernelILb1ELi256EDF16_PKffEviiT2_lPKT1_lilS5_lilS2_lPT3_lil.private_seg_size, 0
	.set _ZL22rocblas_gemvtsm_kernelILb1ELi256EDF16_PKffEviiT2_lPKT1_lilS5_lilS2_lPT3_lil.uses_vcc, 1
	.set _ZL22rocblas_gemvtsm_kernelILb1ELi256EDF16_PKffEviiT2_lPKT1_lilS5_lilS2_lPT3_lil.uses_flat_scratch, 0
	.set _ZL22rocblas_gemvtsm_kernelILb1ELi256EDF16_PKffEviiT2_lPKT1_lilS5_lilS2_lPT3_lil.has_dyn_sized_stack, 0
	.set _ZL22rocblas_gemvtsm_kernelILb1ELi256EDF16_PKffEviiT2_lPKT1_lilS5_lilS2_lPT3_lil.has_recursion, 0
	.set _ZL22rocblas_gemvtsm_kernelILb1ELi256EDF16_PKffEviiT2_lPKT1_lilS5_lilS2_lPT3_lil.has_indirect_call, 0
	.section	.AMDGPU.csdata,"",@progbits
; Kernel info:
; codeLenInByte = 1244
; TotalNumSgprs: 32
; NumVgprs: 24
; ScratchSize: 0
; MemoryBound: 0
; FloatMode: 240
; IeeeMode: 1
; LDSByteSize: 256 bytes/workgroup (compile time only)
; SGPRBlocks: 0
; VGPRBlocks: 1
; NumSGPRsForWavesPerEU: 32
; NumVGPRsForWavesPerEU: 24
; NamedBarCnt: 0
; Occupancy: 16
; WaveLimiterHint : 1
; COMPUTE_PGM_RSRC2:SCRATCH_EN: 0
; COMPUTE_PGM_RSRC2:USER_SGPR: 2
; COMPUTE_PGM_RSRC2:TRAP_HANDLER: 0
; COMPUTE_PGM_RSRC2:TGID_X_EN: 1
; COMPUTE_PGM_RSRC2:TGID_Y_EN: 0
; COMPUTE_PGM_RSRC2:TGID_Z_EN: 0
; COMPUTE_PGM_RSRC2:TIDIG_COMP_CNT: 0
	.section	.text._ZL22rocblas_gemvtsm_kernelILb1ELi256EDF16_ffEviiT2_lPKT1_lilS3_lilS0_lPT3_lil,"axG",@progbits,_ZL22rocblas_gemvtsm_kernelILb1ELi256EDF16_ffEviiT2_lPKT1_lilS3_lilS0_lPT3_lil,comdat
	.globl	_ZL22rocblas_gemvtsm_kernelILb1ELi256EDF16_ffEviiT2_lPKT1_lilS3_lilS0_lPT3_lil ; -- Begin function _ZL22rocblas_gemvtsm_kernelILb1ELi256EDF16_ffEviiT2_lPKT1_lilS3_lilS0_lPT3_lil
	.p2align	8
	.type	_ZL22rocblas_gemvtsm_kernelILb1ELi256EDF16_ffEviiT2_lPKT1_lilS3_lilS0_lPT3_lil,@function
_ZL22rocblas_gemvtsm_kernelILb1ELi256EDF16_ffEviiT2_lPKT1_lilS3_lilS0_lPT3_lil: ; @_ZL22rocblas_gemvtsm_kernelILb1ELi256EDF16_ffEviiT2_lPKT1_lilS3_lilS0_lPT3_lil
; %bb.0:
	s_clause 0x1
	s_load_b96 s[12:14], s[0:1], 0x0
	s_load_b32 s15, s[0:1], 0x58
	s_mov_b32 s17, 0
	s_wait_kmcnt 0x0
	s_cmp_eq_f32 s14, 0
	s_cselect_b32 s2, -1, 0
	s_cmp_eq_f32 s15, 1.0
	s_cselect_b32 s3, -1, 0
	s_delay_alu instid0(SALU_CYCLE_1) | instskip(NEXT) | instid1(SALU_CYCLE_1)
	s_and_b32 s2, s2, s3
	s_and_b32 vcc_lo, exec_lo, s2
	s_cbranch_vccnz .LBB497_34
; %bb.1:
	s_clause 0x2
	s_load_b64 s[8:9], s[0:1], 0x80
	s_load_b128 s[4:7], s[0:1], 0x68
	s_load_b32 s2, s[0:1], 0x78
	s_bfe_u32 s3, ttmp6, 0x4000c
	s_and_b32 s10, ttmp6, 15
	s_add_co_i32 s3, s3, 1
	s_getreg_b32 s11, hwreg(HW_REG_IB_STS2, 6, 4)
	s_mul_i32 s3, ttmp9, s3
	s_delay_alu instid0(SALU_CYCLE_1)
	s_add_co_i32 s10, s10, s3
	s_cmp_eq_u32 s11, 0
	s_cselect_b32 s16, ttmp9, s10
	s_cmp_neq_f32 s14, 0
	s_wait_kmcnt 0x0
	s_mul_u64 s[18:19], s[8:9], s[16:17]
	s_cbranch_scc1 .LBB497_9
; %bb.2:
	s_cmp_gt_i32 s13, 0
	s_cselect_b32 s10, -1, 0
	s_cmp_neq_f32 s15, 0
	v_cndmask_b32_e64 v1, 0, 1, s10
	s_delay_alu instid0(VALU_DEP_1)
	v_cmp_ne_u32_e32 vcc_lo, 1, v1
	s_cbranch_scc1 .LBB497_10
; %bb.3:
	s_and_b32 vcc_lo, exec_lo, vcc_lo
	s_cbranch_vccnz .LBB497_8
; %bb.4:
	v_mov_b32_e32 v1, 0
	s_ashr_i32 s3, s2, 31
	s_lshl_b64 s[8:9], s[6:7], 2
	s_lshl_b64 s[20:21], s[18:19], 2
	s_add_nc_u64 s[8:9], s[4:5], s[8:9]
	v_mul_u64_e32 v[2:3], s[2:3], v[0:1]
	s_add_nc_u64 s[8:9], s[8:9], s[20:21]
	s_delay_alu instid0(VALU_DEP_1) | instid1(SALU_CYCLE_1)
	v_lshl_add_u64 v[2:3], v[2:3], 2, s[8:9]
	s_lshl_b64 s[8:9], s[2:3], 10
	s_mov_b32 s3, 0
	s_branch .LBB497_6
.LBB497_5:                              ;   in Loop: Header=BB497_6 Depth=1
	s_wait_xcnt 0x0
	s_or_b32 exec_lo, exec_lo, s11
	v_add_nc_u64_e32 v[2:3], s[8:9], v[2:3]
	s_addk_co_i32 s3, 0x100
	s_delay_alu instid0(SALU_CYCLE_1)
	s_cmp_ge_i32 s3, s13
	s_cbranch_scc1 .LBB497_8
.LBB497_6:                              ; =>This Inner Loop Header: Depth=1
	v_add_nc_u32_e32 v4, s3, v0
	s_mov_b32 s11, exec_lo
	s_delay_alu instid0(VALU_DEP_1)
	v_cmpx_gt_i32_e64 s13, v4
	s_cbranch_execz .LBB497_5
; %bb.7:                                ;   in Loop: Header=BB497_6 Depth=1
	global_store_b32 v[2:3], v1, off
	s_branch .LBB497_5
.LBB497_8:
	s_cbranch_execz .LBB497_11
	s_branch .LBB497_16
.LBB497_9:
	s_branch .LBB497_17
.LBB497_10:
.LBB497_11:
	s_and_not1_b32 vcc_lo, exec_lo, s10
	s_cbranch_vccnz .LBB497_16
; %bb.12:
	v_mov_b32_e32 v1, 0
	s_ashr_i32 s3, s2, 31
	s_lshl_b64 s[8:9], s[6:7], 2
	s_lshl_b64 s[10:11], s[18:19], 2
	s_add_nc_u64 s[8:9], s[4:5], s[8:9]
	v_mul_u64_e32 v[2:3], s[2:3], v[0:1]
	s_add_nc_u64 s[8:9], s[8:9], s[10:11]
	s_delay_alu instid0(VALU_DEP_1) | instid1(SALU_CYCLE_1)
	v_lshl_add_u64 v[2:3], v[2:3], 2, s[8:9]
	s_lshl_b64 s[8:9], s[2:3], 10
	s_mov_b32 s3, 0
	s_branch .LBB497_14
.LBB497_13:                             ;   in Loop: Header=BB497_14 Depth=1
	s_wait_xcnt 0x0
	s_or_b32 exec_lo, exec_lo, s10
	v_add_nc_u64_e32 v[2:3], s[8:9], v[2:3]
	s_addk_co_i32 s3, 0x100
	s_delay_alu instid0(SALU_CYCLE_1)
	s_cmp_ge_i32 s3, s13
	s_cbranch_scc1 .LBB497_16
.LBB497_14:                             ; =>This Inner Loop Header: Depth=1
	v_add_nc_u32_e32 v1, s3, v0
	s_mov_b32 s10, exec_lo
	s_delay_alu instid0(VALU_DEP_1)
	v_cmpx_gt_i32_e64 s13, v1
	s_cbranch_execz .LBB497_13
; %bb.15:                               ;   in Loop: Header=BB497_14 Depth=1
	global_load_b32 v1, v[2:3], off
	s_wait_loadcnt 0x0
	v_mul_f32_e32 v1, s15, v1
	global_store_b32 v[2:3], v1, off
	s_branch .LBB497_13
.LBB497_16:
	s_cbranch_execnz .LBB497_34
.LBB497_17:
	s_clause 0x1
	s_load_b128 s[8:11], s[0:1], 0x30
	s_load_b64 s[20:21], s[0:1], 0x40
	s_mov_b32 s3, exec_lo
	v_cmpx_gt_i32_e64 s12, v0
	s_cbranch_execz .LBB497_19
; %bb.18:
	s_clause 0x1
	s_load_b32 s22, s[0:1], 0x48
	s_load_b64 s[24:25], s[0:1], 0x50
	v_mov_b32_e32 v1, 0
	s_wait_kmcnt 0x0
	s_lshl_b64 s[20:21], s[20:21], 1
	s_ashr_i32 s23, s22, 31
	s_delay_alu instid0(VALU_DEP_1) | instid1(SALU_CYCLE_1)
	v_mul_u64_e32 v[2:3], s[22:23], v[0:1]
	s_mul_u64 s[22:23], s[24:25], s[16:17]
	s_delay_alu instid0(SALU_CYCLE_1) | instskip(NEXT) | instid1(SALU_CYCLE_1)
	s_lshl_b64 s[22:23], s[22:23], 1
	s_add_nc_u64 s[10:11], s[10:11], s[22:23]
	s_delay_alu instid0(SALU_CYCLE_1)
	s_add_nc_u64 s[10:11], s[10:11], s[20:21]
	s_delay_alu instid0(VALU_DEP_1) | instid1(SALU_CYCLE_1)
	v_lshl_add_u64 v[2:3], v[2:3], 1, s[10:11]
	global_load_u16 v1, v[2:3], off
	s_wait_xcnt 0x0
	v_lshlrev_b32_e32 v2, 2, v0
	s_wait_loadcnt 0x0
	v_cvt_f32_f16_e32 v1, v1
	s_delay_alu instid0(VALU_DEP_1)
	v_mul_f32_e32 v1, s14, v1
	ds_store_b32 v2, v1
.LBB497_19:
	s_or_b32 exec_lo, exec_lo, s3
	s_cmp_lt_i32 s13, 1
	s_wait_storecnt_dscnt 0x0
	s_barrier_signal -1
	s_barrier_wait -1
	s_cbranch_scc1 .LBB497_34
; %bb.20:
	s_load_b32 s24, s[0:1], 0x28
	s_wait_kmcnt 0x0
	s_load_b128 s[20:23], s[0:1], 0x18
	v_mov_b32_e32 v3, 0
	s_wait_xcnt 0x0
	s_lshl_b64 s[0:1], s[18:19], 2
	s_lshl_b64 s[6:7], s[6:7], 2
	s_ashr_i32 s3, s2, 31
	s_mul_u64 s[16:17], s[8:9], s[16:17]
	v_mov_b32_e32 v1, v3
	s_add_nc_u64 s[0:1], s[4:5], s[0:1]
	s_mov_b32 s5, 0
	s_add_nc_u64 s[0:1], s[0:1], s[6:7]
	s_mov_b32 s9, 0
	s_ashr_i32 s25, s24, 31
	s_cmp_neq_f32 s15, 0
	v_mul_u64_e32 v[4:5], s[24:25], v[0:1]
	s_cselect_b32 s10, -1, 0
	s_cmp_gt_i32 s12, 0
	s_cselect_b32 s11, -1, 0
	s_and_b32 s14, s12, 7
	s_cmp_gt_u32 s12, 7
	s_cselect_b32 s18, -1, 0
	s_and_b32 s12, s12, 0x7ffffff8
	s_cmp_lg_u32 s14, 0
	s_cselect_b32 s8, -1, 0
	s_wait_kmcnt 0x0
	s_lshl_b64 s[22:23], s[22:23], 1
	s_lshl_b64 s[16:17], s[16:17], 1
	s_add_nc_u64 s[20:21], s[20:21], s[22:23]
	s_lshl_b64 s[6:7], s[24:25], 9
	s_add_nc_u64 s[16:17], s[20:21], s[16:17]
	s_delay_alu instid0(VALU_DEP_1) | instid1(SALU_CYCLE_1)
	v_lshl_add_u64 v[4:5], v[4:5], 1, s[16:17]
	s_delay_alu instid0(VALU_DEP_1)
	v_add_nc_u64_e32 v[6:7], 14, v[4:5]
	s_branch .LBB497_23
.LBB497_21:                             ;   in Loop: Header=BB497_23 Depth=1
	global_store_b32 v[8:9], v1, off
.LBB497_22:                             ;   in Loop: Header=BB497_23 Depth=1
	s_wait_xcnt 0x0
	s_or_b32 exec_lo, exec_lo, s16
	v_add_nc_u64_e32 v[6:7], s[6:7], v[6:7]
	v_add_nc_u64_e32 v[4:5], s[6:7], v[4:5]
	s_addk_co_i32 s9, 0x100
	s_delay_alu instid0(SALU_CYCLE_1)
	s_cmp_ge_i32 s9, s13
	s_cbranch_scc1 .LBB497_34
.LBB497_23:                             ; =>This Loop Header: Depth=1
                                        ;     Child Loop BB497_29 Depth 2
                                        ;     Child Loop BB497_33 Depth 2
	v_add_nc_u32_e32 v2, s9, v0
	s_mov_b32 s16, exec_lo
	s_delay_alu instid0(VALU_DEP_1)
	v_cmpx_gt_i32_e64 s13, v2
	s_cbranch_execz .LBB497_22
; %bb.24:                               ;   in Loop: Header=BB497_23 Depth=1
	v_mul_u64_e32 v[8:9], s[2:3], v[2:3]
	s_and_not1_b32 vcc_lo, exec_lo, s10
	s_delay_alu instid0(VALU_DEP_1)
	v_lshl_add_u64 v[8:9], v[8:9], 2, s[0:1]
	s_cbranch_vccnz .LBB497_26
; %bb.25:                               ;   in Loop: Header=BB497_23 Depth=1
	global_load_b32 v1, v[8:9], off
	s_wait_loadcnt 0x0
	v_mul_f32_e32 v1, s15, v1
	s_and_not1_b32 vcc_lo, exec_lo, s11
	s_cbranch_vccz .LBB497_27
	s_branch .LBB497_21
.LBB497_26:                             ;   in Loop: Header=BB497_23 Depth=1
	v_mov_b32_e32 v1, 0
	s_and_not1_b32 vcc_lo, exec_lo, s11
	s_cbranch_vccnz .LBB497_21
.LBB497_27:                             ;   in Loop: Header=BB497_23 Depth=1
	s_and_not1_b32 vcc_lo, exec_lo, s18
	s_mov_b32 s17, 0
	s_cbranch_vccnz .LBB497_31
; %bb.28:                               ;   in Loop: Header=BB497_23 Depth=1
	v_mov_b64_e32 v[10:11], v[6:7]
	s_mov_b32 s4, 0
.LBB497_29:                             ;   Parent Loop BB497_23 Depth=1
                                        ; =>  This Inner Loop Header: Depth=2
	global_load_b128 v[12:15], v[10:11], off offset:-14
	v_mov_b32_e32 v2, s4
	s_wait_xcnt 0x0
	v_add_nc_u64_e32 v[10:11], 16, v[10:11]
	s_add_co_i32 s17, s17, 8
	s_add_co_i32 s4, s4, 32
	ds_load_b128 v[16:19], v2
	ds_load_b128 v[20:23], v2 offset:16
	s_cmp_eq_u32 s12, s17
	s_wait_loadcnt_dscnt 0x1
	v_fma_mix_f32 v1, v16, v12, v1 op_sel_hi:[0,1,0]
	s_delay_alu instid0(VALU_DEP_1) | instskip(NEXT) | instid1(VALU_DEP_1)
	v_fma_mix_f32 v1, v17, v12, v1 op_sel:[0,1,0] op_sel_hi:[0,1,0]
	v_fma_mix_f32 v1, v18, v13, v1 op_sel_hi:[0,1,0]
	s_delay_alu instid0(VALU_DEP_1) | instskip(SKIP_1) | instid1(VALU_DEP_1)
	v_fma_mix_f32 v1, v19, v13, v1 op_sel:[0,1,0] op_sel_hi:[0,1,0]
	s_wait_dscnt 0x0
	v_fma_mix_f32 v1, v20, v14, v1 op_sel_hi:[0,1,0]
	s_delay_alu instid0(VALU_DEP_1) | instskip(NEXT) | instid1(VALU_DEP_1)
	v_fma_mix_f32 v1, v21, v14, v1 op_sel:[0,1,0] op_sel_hi:[0,1,0]
	v_fma_mix_f32 v1, v22, v15, v1 op_sel_hi:[0,1,0]
	s_delay_alu instid0(VALU_DEP_1)
	v_fma_mix_f32 v1, v23, v15, v1 op_sel:[0,1,0] op_sel_hi:[0,1,0]
	s_cbranch_scc0 .LBB497_29
; %bb.30:                               ;   in Loop: Header=BB497_23 Depth=1
	s_mov_b32 s17, s12
.LBB497_31:                             ;   in Loop: Header=BB497_23 Depth=1
	s_and_not1_b32 vcc_lo, exec_lo, s8
	s_cbranch_vccnz .LBB497_21
; %bb.32:                               ;   in Loop: Header=BB497_23 Depth=1
	s_lshl_b32 s4, s17, 1
	s_delay_alu instid0(SALU_CYCLE_1)
	v_add_nc_u64_e32 v[10:11], s[4:5], v[4:5]
	s_lshl_b32 s4, s17, 2
	s_mov_b32 s17, s14
.LBB497_33:                             ;   Parent Loop BB497_23 Depth=1
                                        ; =>  This Inner Loop Header: Depth=2
	global_load_u16 v2, v[10:11], off
	v_mov_b32_e32 v12, s4
	s_wait_xcnt 0x0
	v_add_nc_u64_e32 v[10:11], 2, v[10:11]
	s_add_co_i32 s17, s17, -1
	s_add_co_i32 s4, s4, 4
	s_cmp_lg_u32 s17, 0
	ds_load_b32 v12, v12
	s_wait_loadcnt_dscnt 0x0
	v_fma_mix_f32 v1, v12, v2, v1 op_sel_hi:[0,1,0]
	s_cbranch_scc1 .LBB497_33
	s_branch .LBB497_21
.LBB497_34:
	s_endpgm
	.section	.rodata,"a",@progbits
	.p2align	6, 0x0
	.amdhsa_kernel _ZL22rocblas_gemvtsm_kernelILb1ELi256EDF16_ffEviiT2_lPKT1_lilS3_lilS0_lPT3_lil
		.amdhsa_group_segment_fixed_size 256
		.amdhsa_private_segment_fixed_size 0
		.amdhsa_kernarg_size 136
		.amdhsa_user_sgpr_count 2
		.amdhsa_user_sgpr_dispatch_ptr 0
		.amdhsa_user_sgpr_queue_ptr 0
		.amdhsa_user_sgpr_kernarg_segment_ptr 1
		.amdhsa_user_sgpr_dispatch_id 0
		.amdhsa_user_sgpr_kernarg_preload_length 0
		.amdhsa_user_sgpr_kernarg_preload_offset 0
		.amdhsa_user_sgpr_private_segment_size 0
		.amdhsa_wavefront_size32 1
		.amdhsa_uses_dynamic_stack 0
		.amdhsa_enable_private_segment 0
		.amdhsa_system_sgpr_workgroup_id_x 1
		.amdhsa_system_sgpr_workgroup_id_y 0
		.amdhsa_system_sgpr_workgroup_id_z 0
		.amdhsa_system_sgpr_workgroup_info 0
		.amdhsa_system_vgpr_workitem_id 0
		.amdhsa_next_free_vgpr 24
		.amdhsa_next_free_sgpr 26
		.amdhsa_named_barrier_count 0
		.amdhsa_reserve_vcc 1
		.amdhsa_float_round_mode_32 0
		.amdhsa_float_round_mode_16_64 0
		.amdhsa_float_denorm_mode_32 3
		.amdhsa_float_denorm_mode_16_64 3
		.amdhsa_fp16_overflow 0
		.amdhsa_memory_ordered 1
		.amdhsa_forward_progress 1
		.amdhsa_inst_pref_size 10
		.amdhsa_round_robin_scheduling 0
		.amdhsa_exception_fp_ieee_invalid_op 0
		.amdhsa_exception_fp_denorm_src 0
		.amdhsa_exception_fp_ieee_div_zero 0
		.amdhsa_exception_fp_ieee_overflow 0
		.amdhsa_exception_fp_ieee_underflow 0
		.amdhsa_exception_fp_ieee_inexact 0
		.amdhsa_exception_int_div_zero 0
	.end_amdhsa_kernel
	.section	.text._ZL22rocblas_gemvtsm_kernelILb1ELi256EDF16_ffEviiT2_lPKT1_lilS3_lilS0_lPT3_lil,"axG",@progbits,_ZL22rocblas_gemvtsm_kernelILb1ELi256EDF16_ffEviiT2_lPKT1_lilS3_lilS0_lPT3_lil,comdat
.Lfunc_end497:
	.size	_ZL22rocblas_gemvtsm_kernelILb1ELi256EDF16_ffEviiT2_lPKT1_lilS3_lilS0_lPT3_lil, .Lfunc_end497-_ZL22rocblas_gemvtsm_kernelILb1ELi256EDF16_ffEviiT2_lPKT1_lilS3_lilS0_lPT3_lil
                                        ; -- End function
	.set _ZL22rocblas_gemvtsm_kernelILb1ELi256EDF16_ffEviiT2_lPKT1_lilS3_lilS0_lPT3_lil.num_vgpr, 24
	.set _ZL22rocblas_gemvtsm_kernelILb1ELi256EDF16_ffEviiT2_lPKT1_lilS3_lilS0_lPT3_lil.num_agpr, 0
	.set _ZL22rocblas_gemvtsm_kernelILb1ELi256EDF16_ffEviiT2_lPKT1_lilS3_lilS0_lPT3_lil.numbered_sgpr, 26
	.set _ZL22rocblas_gemvtsm_kernelILb1ELi256EDF16_ffEviiT2_lPKT1_lilS3_lilS0_lPT3_lil.num_named_barrier, 0
	.set _ZL22rocblas_gemvtsm_kernelILb1ELi256EDF16_ffEviiT2_lPKT1_lilS3_lilS0_lPT3_lil.private_seg_size, 0
	.set _ZL22rocblas_gemvtsm_kernelILb1ELi256EDF16_ffEviiT2_lPKT1_lilS3_lilS0_lPT3_lil.uses_vcc, 1
	.set _ZL22rocblas_gemvtsm_kernelILb1ELi256EDF16_ffEviiT2_lPKT1_lilS3_lilS0_lPT3_lil.uses_flat_scratch, 0
	.set _ZL22rocblas_gemvtsm_kernelILb1ELi256EDF16_ffEviiT2_lPKT1_lilS3_lilS0_lPT3_lil.has_dyn_sized_stack, 0
	.set _ZL22rocblas_gemvtsm_kernelILb1ELi256EDF16_ffEviiT2_lPKT1_lilS3_lilS0_lPT3_lil.has_recursion, 0
	.set _ZL22rocblas_gemvtsm_kernelILb1ELi256EDF16_ffEviiT2_lPKT1_lilS3_lilS0_lPT3_lil.has_indirect_call, 0
	.section	.AMDGPU.csdata,"",@progbits
; Kernel info:
; codeLenInByte = 1216
; TotalNumSgprs: 28
; NumVgprs: 24
; ScratchSize: 0
; MemoryBound: 0
; FloatMode: 240
; IeeeMode: 1
; LDSByteSize: 256 bytes/workgroup (compile time only)
; SGPRBlocks: 0
; VGPRBlocks: 1
; NumSGPRsForWavesPerEU: 28
; NumVGPRsForWavesPerEU: 24
; NamedBarCnt: 0
; Occupancy: 16
; WaveLimiterHint : 1
; COMPUTE_PGM_RSRC2:SCRATCH_EN: 0
; COMPUTE_PGM_RSRC2:USER_SGPR: 2
; COMPUTE_PGM_RSRC2:TRAP_HANDLER: 0
; COMPUTE_PGM_RSRC2:TGID_X_EN: 1
; COMPUTE_PGM_RSRC2:TGID_Y_EN: 0
; COMPUTE_PGM_RSRC2:TGID_Z_EN: 0
; COMPUTE_PGM_RSRC2:TIDIG_COMP_CNT: 0
	.section	.text._ZL20rocblas_gemvt_kernelILb1ELi256EDF16_PKffEviiT2_lPKT1_lilS5_lilS2_lPT3_lili,"axG",@progbits,_ZL20rocblas_gemvt_kernelILb1ELi256EDF16_PKffEviiT2_lPKT1_lilS5_lilS2_lPT3_lili,comdat
	.globl	_ZL20rocblas_gemvt_kernelILb1ELi256EDF16_PKffEviiT2_lPKT1_lilS5_lilS2_lPT3_lili ; -- Begin function _ZL20rocblas_gemvt_kernelILb1ELi256EDF16_PKffEviiT2_lPKT1_lilS5_lilS2_lPT3_lili
	.p2align	8
	.type	_ZL20rocblas_gemvt_kernelILb1ELi256EDF16_PKffEviiT2_lPKT1_lilS5_lilS2_lPT3_lili,@function
_ZL20rocblas_gemvt_kernelILb1ELi256EDF16_PKffEviiT2_lPKT1_lilS5_lilS2_lPT3_lili: ; @_ZL20rocblas_gemvt_kernelILb1ELi256EDF16_PKffEviiT2_lPKT1_lilS5_lilS2_lPT3_lili
; %bb.0:
	s_load_b32 s33, s[0:1], 0x88
	s_bfe_u32 s2, ttmp6, 0x40014
	s_lshr_b32 s3, ttmp7, 16
	s_add_co_i32 s2, s2, 1
	s_bfe_u32 s4, ttmp6, 0x40008
	s_mul_i32 s2, s3, s2
	s_getreg_b32 s7, hwreg(HW_REG_IB_STS2, 6, 4)
	s_add_co_i32 s4, s4, s2
	s_cmp_eq_u32 s7, 0
	s_mov_b32 s35, 0
	s_cselect_b32 s34, s3, s4
	s_wait_kmcnt 0x0
	s_cmp_ge_u32 s34, s33
	s_cbranch_scc1 .LBB498_41
; %bb.1:
	s_clause 0x4
	s_load_b32 s2, s[0:1], 0x28
	s_load_b96 s[4:6], s[0:1], 0x40
	s_load_b96 s[8:10], s[0:1], 0x70
	s_load_b256 s[12:19], s[0:1], 0x8
	s_load_b32 s46, s[0:1], 0x0
	s_bfe_u32 s3, ttmp6, 0x4000c
	s_and_b32 s11, ttmp6, 15
	s_add_co_i32 s3, s3, 1
	s_load_b128 s[28:31], s[0:1], 0x30
	s_mul_i32 s3, ttmp9, s3
	s_load_b64 s[36:37], s[0:1], 0x80
	s_add_co_i32 s11, s11, s3
	s_load_b256 s[20:27], s[0:1], 0x50
	v_lshlrev_b32_e32 v14, 2, v0
	s_wait_kmcnt 0x0
	s_ashr_i32 s3, s2, 31
	s_ashr_i32 s39, s6, 31
	;; [unrolled: 1-line block ×3, first 2 shown]
	s_lshl_b64 s[4:5], s[4:5], 1
	s_lshl_b64 s[8:9], s[8:9], 2
	;; [unrolled: 1-line block ×3, first 2 shown]
	s_cmp_eq_u32 s7, 0
	s_mov_b32 s38, s6
	s_cselect_b32 s44, ttmp9, s11
	s_ashr_i32 s7, s46, 31
	v_cmp_gt_i32_e32 vcc_lo, s46, v0
	s_lshr_b32 s0, s7, 24
	s_ashr_i32 s45, s44, 31
	s_add_co_i32 s0, s46, s0
	s_mul_u64 s[2:3], s[2:3], s[44:45]
	s_and_b32 s18, s0, 0xffffff00
	s_delay_alu instid0(SALU_CYCLE_1) | instskip(SKIP_3) | instid1(VALU_DEP_1)
	v_dual_mov_b32 v3, 0 :: v_dual_bitop2_b32 v8, s18, v0 bitop3:0x54
	s_add_nc_u64 s[0:1], s[16:17], s[42:43]
	s_add_nc_u64 s[26:27], s[26:27], s[8:9]
	s_lshl_b64 s[8:9], s[2:3], 1
	v_dual_mov_b32 v1, v3 :: v_dual_ashrrev_i32 v9, 31, v8
	s_mov_b32 s40, s10
	s_add_nc_u64 s[10:11], s[30:31], s[4:5]
	s_add_nc_u64 s[30:31], s[8:9], s[42:43]
	s_delay_alu instid0(VALU_DEP_1)
	v_mul_u64_e32 v[10:11], s[38:39], v[0:1]
	v_mul_u64_e32 v[4:5], s[38:39], v[8:9]
	v_cndmask_b32_e32 v1, 0, v0, vcc_lo
	s_add_nc_u64 s[16:17], s[16:17], s[30:31]
	v_cmp_gt_u32_e64 s2, 0x80, v0
	v_cmp_gt_u32_e64 s3, 64, v0
	;; [unrolled: 1-line block ×3, first 2 shown]
	v_lshlrev_b32_e32 v2, 1, v1
	v_cmp_gt_u32_e64 s5, 16, v0
	v_cmp_gt_u32_e64 s6, 8, v0
	;; [unrolled: 1-line block ×3, first 2 shown]
	s_mul_u64 s[40:41], s[40:41], s[44:45]
	v_add_nc_u64_e32 v[6:7], s[0:1], v[2:3]
	v_cmp_gt_i32_e64 s1, s46, v8
	v_add_nc_u64_e32 v[8:9], s[16:17], v[2:3]
	v_cmp_eq_u32_e64 s0, 0, v0
	s_cmp_gt_i32 s46, 0xff
	s_cselect_b32 s44, -1, 0
	v_add_nc_u64_e32 v[6:7], s[8:9], v[6:7]
	v_cmp_gt_u32_e64 s8, 2, v0
	s_ashr_i32 s19, s18, 31
	s_lshl_b64 s[16:17], s[20:21], 1
	s_lshl_b64 s[30:31], s[38:39], 9
	;; [unrolled: 1-line block ×4, first 2 shown]
	v_lshl_add_u64 v[0:1], v[10:11], 1, s[10:11]
	s_branch .LBB498_4
.LBB498_2:                              ;   in Loop: Header=BB498_4 Depth=1
	s_wait_xcnt 0x0
	s_or_b32 exec_lo, exec_lo, s45
.LBB498_3:                              ;   in Loop: Header=BB498_4 Depth=1
	s_add_co_i32 s34, s34, 0x10000
	s_delay_alu instid0(SALU_CYCLE_1)
	s_cmp_lt_u32 s34, s33
	s_cbranch_scc0 .LBB498_41
.LBB498_4:                              ; =>This Loop Header: Depth=1
                                        ;     Child Loop BB498_15 Depth 2
	s_wait_xcnt 0x1
	s_mul_u64 s[42:43], s[14:15], s[34:35]
	s_wait_xcnt 0x0
	s_mul_u64 s[46:47], s[24:25], s[34:35]
	s_lshl_b64 s[42:43], s[42:43], 2
	s_lshl_b64 s[46:47], s[46:47], 2
	s_add_nc_u64 s[42:43], s[12:13], s[42:43]
	s_add_nc_u64 s[46:47], s[22:23], s[46:47]
	s_clause 0x1
	global_load_b32 v15, v3, s[42:43]
	global_load_b32 v2, v3, s[46:47]
	s_wait_loadcnt 0x1
	v_cmp_eq_f32_e32 vcc_lo, 0, v15
	s_wait_loadcnt 0x0
	v_cmp_eq_f32_e64 s9, 1.0, v2
	s_and_b32 s9, vcc_lo, s9
	s_delay_alu instid0(SALU_CYCLE_1)
	s_and_b32 vcc_lo, exec_lo, s9
	s_cbranch_vccnz .LBB498_3
; %bb.5:                                ;   in Loop: Header=BB498_4 Depth=1
	v_cmp_neq_f32_e32 vcc_lo, 0, v15
	s_wait_xcnt 0x1
	s_mul_u64 s[42:43], s[36:37], s[34:35]
	s_delay_alu instid0(SALU_CYCLE_1) | instskip(NEXT) | instid1(SALU_CYCLE_1)
	s_lshl_b64 s[42:43], s[42:43], 2
	s_add_nc_u64 s[42:43], s[26:27], s[42:43]
	s_cbranch_vccnz .LBB498_9
; %bb.6:                                ;   in Loop: Header=BB498_4 Depth=1
	s_mov_b32 s45, 0
	s_mov_b32 s9, 0
                                        ; implicit-def: $vgpr10
	s_wait_xcnt 0x0
	s_and_saveexec_b32 s46, s0
	s_cbranch_execz .LBB498_10
; %bb.7:                                ;   in Loop: Header=BB498_4 Depth=1
	v_cmp_eq_f32_e32 vcc_lo, 0, v2
	s_cbranch_vccnz .LBB498_11
; %bb.8:                                ;   in Loop: Header=BB498_4 Depth=1
	s_add_nc_u64 s[48:49], s[42:43], s[40:41]
	global_load_b32 v10, v3, s[48:49]
	s_wait_loadcnt 0x0
	v_mul_f32_e32 v10, v2, v10
	s_branch .LBB498_12
.LBB498_9:                              ;   in Loop: Header=BB498_4 Depth=1
	s_mov_b32 s9, 0
                                        ; implicit-def: $vgpr10
	s_cbranch_execnz .LBB498_13
	s_branch .LBB498_39
.LBB498_10:                             ;   in Loop: Header=BB498_4 Depth=1
	s_or_b32 exec_lo, exec_lo, s46
	s_delay_alu instid0(SALU_CYCLE_1)
	s_and_b32 vcc_lo, exec_lo, s45
	s_cbranch_vccnz .LBB498_13
	s_branch .LBB498_39
.LBB498_11:                             ;   in Loop: Header=BB498_4 Depth=1
	v_mov_b32_e32 v10, 0
.LBB498_12:                             ;   in Loop: Header=BB498_4 Depth=1
	s_mov_b32 s9, exec_lo
	s_wait_xcnt 0x0
	s_or_b32 exec_lo, exec_lo, s46
	s_delay_alu instid0(SALU_CYCLE_1)
	s_and_b32 vcc_lo, exec_lo, s45
	s_cbranch_vccz .LBB498_39
.LBB498_13:                             ;   in Loop: Header=BB498_4 Depth=1
	v_mov_b32_e32 v16, 0
	s_and_not1_b32 vcc_lo, exec_lo, s44
	s_cbranch_vccnz .LBB498_16
; %bb.14:                               ;   in Loop: Header=BB498_4 Depth=1
	v_mad_nc_u64_u32 v[10:11], s16, s34, v[0:1]
	v_mad_nc_u64_u32 v[12:13], s38, s34, v[8:9]
	v_mov_b32_e32 v16, 0
	s_mov_b32 s45, 0
	s_delay_alu instid0(VALU_DEP_3) | instskip(NEXT) | instid1(VALU_DEP_3)
	v_mad_u32 v11, s17, s34, v11
	v_mad_u32 v13, s39, s34, v13
.LBB498_15:                             ;   Parent Loop BB498_4 Depth=1
                                        ; =>  This Inner Loop Header: Depth=2
	global_load_u16 v17, v[12:13], off
	global_load_u16 v18, v[10:11], off
	s_wait_xcnt 0x0
	v_add_nc_u64_e32 v[10:11], s[30:31], v[10:11]
	v_add_nc_u64_e32 v[12:13], 0x200, v[12:13]
	s_addk_co_i32 s45, 0x100
	s_delay_alu instid0(SALU_CYCLE_1) | instskip(SKIP_2) | instid1(VALU_DEP_1)
	s_cmp_ge_i32 s45, s18
	s_wait_loadcnt 0x0
	v_mul_f16_e32 v17, v17, v18
	v_cvt_f32_f16_e32 v17, v17
	s_delay_alu instid0(VALU_DEP_1)
	v_add_f32_e32 v16, v16, v17
	s_cbranch_scc0 .LBB498_15
.LBB498_16:                             ;   in Loop: Header=BB498_4 Depth=1
	s_wait_xcnt 0x0
	s_and_saveexec_b32 s45, s1
	s_cbranch_execz .LBB498_18
; %bb.17:                               ;   in Loop: Header=BB498_4 Depth=1
	s_mul_u64 s[46:47], s[28:29], s[34:35]
	s_mul_u64 s[48:49], s[20:21], s[34:35]
	v_lshl_add_u64 v[10:11], s[46:47], 1, v[6:7]
	s_lshl_b64 s[46:47], s[48:49], 1
	s_delay_alu instid0(SALU_CYCLE_1) | instskip(NEXT) | instid1(SALU_CYCLE_1)
	s_add_nc_u64 s[46:47], s[10:11], s[46:47]
	v_lshl_add_u64 v[12:13], v[4:5], 1, s[46:47]
	s_delay_alu instid0(VALU_DEP_2)
	v_lshl_add_u64 v[10:11], s[18:19], 1, v[10:11]
	global_load_u16 v17, v[10:11], off
	global_load_u16 v18, v[12:13], off
	s_wait_loadcnt 0x0
	s_wait_xcnt 0x1
	v_mul_f16_e32 v10, v17, v18
	s_delay_alu instid0(VALU_DEP_1) | instskip(NEXT) | instid1(VALU_DEP_1)
	v_cvt_f32_f16_e32 v10, v10
	v_add_f32_e32 v16, v16, v10
.LBB498_18:                             ;   in Loop: Header=BB498_4 Depth=1
	s_wait_xcnt 0x0
	s_or_b32 exec_lo, exec_lo, s45
	ds_store_b32 v14, v16
	s_wait_dscnt 0x0
	s_barrier_signal -1
	s_barrier_wait -1
	s_and_saveexec_b32 s45, s2
	s_cbranch_execz .LBB498_20
; %bb.19:                               ;   in Loop: Header=BB498_4 Depth=1
	ds_load_2addr_stride64_b32 v[10:11], v14 offset1:2
	s_wait_dscnt 0x0
	v_add_f32_e32 v10, v11, v10
	ds_store_b32 v14, v10
.LBB498_20:                             ;   in Loop: Header=BB498_4 Depth=1
	s_or_b32 exec_lo, exec_lo, s45
	s_wait_dscnt 0x0
	s_barrier_signal -1
	s_barrier_wait -1
	s_and_saveexec_b32 s45, s3
	s_cbranch_execz .LBB498_22
; %bb.21:                               ;   in Loop: Header=BB498_4 Depth=1
	ds_load_2addr_stride64_b32 v[10:11], v14 offset1:1
	s_wait_dscnt 0x0
	v_add_f32_e32 v10, v11, v10
	ds_store_b32 v14, v10
.LBB498_22:                             ;   in Loop: Header=BB498_4 Depth=1
	s_or_b32 exec_lo, exec_lo, s45
	s_wait_dscnt 0x0
	s_barrier_signal -1
	s_barrier_wait -1
	s_and_saveexec_b32 s45, s4
	s_cbranch_execz .LBB498_24
; %bb.23:                               ;   in Loop: Header=BB498_4 Depth=1
	ds_load_2addr_b32 v[10:11], v14 offset1:32
	s_wait_dscnt 0x0
	v_add_f32_e32 v10, v11, v10
	ds_store_b32 v14, v10
.LBB498_24:                             ;   in Loop: Header=BB498_4 Depth=1
	s_or_b32 exec_lo, exec_lo, s45
	s_wait_dscnt 0x0
	s_barrier_signal -1
	s_barrier_wait -1
	s_and_saveexec_b32 s45, s5
	s_cbranch_execz .LBB498_26
; %bb.25:                               ;   in Loop: Header=BB498_4 Depth=1
	ds_load_2addr_b32 v[10:11], v14 offset1:16
	s_wait_dscnt 0x0
	v_add_f32_e32 v10, v11, v10
	ds_store_b32 v14, v10
.LBB498_26:                             ;   in Loop: Header=BB498_4 Depth=1
	;; [unrolled: 12-line block ×5, first 2 shown]
	s_or_b32 exec_lo, exec_lo, s45
	s_wait_dscnt 0x0
	s_barrier_signal -1
	s_barrier_wait -1
	s_and_saveexec_b32 s45, s0
	s_cbranch_execz .LBB498_34
; %bb.33:                               ;   in Loop: Header=BB498_4 Depth=1
	ds_load_b64 v[10:11], v3
	s_wait_dscnt 0x0
	v_add_f32_e32 v10, v11, v10
	ds_store_b32 v3, v10
.LBB498_34:                             ;   in Loop: Header=BB498_4 Depth=1
	s_or_b32 exec_lo, exec_lo, s45
	s_wait_dscnt 0x0
	s_barrier_signal -1
	s_barrier_wait -1
                                        ; implicit-def: $vgpr10
	s_and_saveexec_b32 s45, s0
	s_cbranch_execz .LBB498_38
; %bb.35:                               ;   in Loop: Header=BB498_4 Depth=1
	ds_load_b32 v10, v3
	v_cmp_eq_f32_e32 vcc_lo, 0, v2
	s_wait_dscnt 0x0
	v_mul_f32_e32 v10, v15, v10
	s_cbranch_vccnz .LBB498_37
; %bb.36:                               ;   in Loop: Header=BB498_4 Depth=1
	s_add_nc_u64 s[46:47], s[42:43], s[40:41]
	global_load_b32 v11, v3, s[46:47]
	s_wait_loadcnt 0x0
	v_fmac_f32_e32 v10, v2, v11
.LBB498_37:                             ;   in Loop: Header=BB498_4 Depth=1
	s_or_b32 s9, s9, exec_lo
.LBB498_38:                             ;   in Loop: Header=BB498_4 Depth=1
	s_wait_xcnt 0x0
	s_or_b32 exec_lo, exec_lo, s45
.LBB498_39:                             ;   in Loop: Header=BB498_4 Depth=1
	s_wait_xcnt 0x0
	s_and_saveexec_b32 s45, s9
	s_cbranch_execz .LBB498_2
; %bb.40:                               ;   in Loop: Header=BB498_4 Depth=1
	s_add_nc_u64 s[42:43], s[42:43], s[40:41]
	global_store_b32 v3, v10, s[42:43]
	s_branch .LBB498_2
.LBB498_41:
	s_endpgm
	.section	.rodata,"a",@progbits
	.p2align	6, 0x0
	.amdhsa_kernel _ZL20rocblas_gemvt_kernelILb1ELi256EDF16_PKffEviiT2_lPKT1_lilS5_lilS2_lPT3_lili
		.amdhsa_group_segment_fixed_size 1024
		.amdhsa_private_segment_fixed_size 0
		.amdhsa_kernarg_size 140
		.amdhsa_user_sgpr_count 2
		.amdhsa_user_sgpr_dispatch_ptr 0
		.amdhsa_user_sgpr_queue_ptr 0
		.amdhsa_user_sgpr_kernarg_segment_ptr 1
		.amdhsa_user_sgpr_dispatch_id 0
		.amdhsa_user_sgpr_kernarg_preload_length 0
		.amdhsa_user_sgpr_kernarg_preload_offset 0
		.amdhsa_user_sgpr_private_segment_size 0
		.amdhsa_wavefront_size32 1
		.amdhsa_uses_dynamic_stack 0
		.amdhsa_enable_private_segment 0
		.amdhsa_system_sgpr_workgroup_id_x 1
		.amdhsa_system_sgpr_workgroup_id_y 0
		.amdhsa_system_sgpr_workgroup_id_z 1
		.amdhsa_system_sgpr_workgroup_info 0
		.amdhsa_system_vgpr_workitem_id 0
		.amdhsa_next_free_vgpr 19
		.amdhsa_next_free_sgpr 50
		.amdhsa_named_barrier_count 0
		.amdhsa_reserve_vcc 1
		.amdhsa_float_round_mode_32 0
		.amdhsa_float_round_mode_16_64 0
		.amdhsa_float_denorm_mode_32 3
		.amdhsa_float_denorm_mode_16_64 3
		.amdhsa_fp16_overflow 0
		.amdhsa_memory_ordered 1
		.amdhsa_forward_progress 1
		.amdhsa_inst_pref_size 12
		.amdhsa_round_robin_scheduling 0
		.amdhsa_exception_fp_ieee_invalid_op 0
		.amdhsa_exception_fp_denorm_src 0
		.amdhsa_exception_fp_ieee_div_zero 0
		.amdhsa_exception_fp_ieee_overflow 0
		.amdhsa_exception_fp_ieee_underflow 0
		.amdhsa_exception_fp_ieee_inexact 0
		.amdhsa_exception_int_div_zero 0
	.end_amdhsa_kernel
	.section	.text._ZL20rocblas_gemvt_kernelILb1ELi256EDF16_PKffEviiT2_lPKT1_lilS5_lilS2_lPT3_lili,"axG",@progbits,_ZL20rocblas_gemvt_kernelILb1ELi256EDF16_PKffEviiT2_lPKT1_lilS5_lilS2_lPT3_lili,comdat
.Lfunc_end498:
	.size	_ZL20rocblas_gemvt_kernelILb1ELi256EDF16_PKffEviiT2_lPKT1_lilS5_lilS2_lPT3_lili, .Lfunc_end498-_ZL20rocblas_gemvt_kernelILb1ELi256EDF16_PKffEviiT2_lPKT1_lilS5_lilS2_lPT3_lili
                                        ; -- End function
	.set _ZL20rocblas_gemvt_kernelILb1ELi256EDF16_PKffEviiT2_lPKT1_lilS5_lilS2_lPT3_lili.num_vgpr, 19
	.set _ZL20rocblas_gemvt_kernelILb1ELi256EDF16_PKffEviiT2_lPKT1_lilS5_lilS2_lPT3_lili.num_agpr, 0
	.set _ZL20rocblas_gemvt_kernelILb1ELi256EDF16_PKffEviiT2_lPKT1_lilS5_lilS2_lPT3_lili.numbered_sgpr, 50
	.set _ZL20rocblas_gemvt_kernelILb1ELi256EDF16_PKffEviiT2_lPKT1_lilS5_lilS2_lPT3_lili.num_named_barrier, 0
	.set _ZL20rocblas_gemvt_kernelILb1ELi256EDF16_PKffEviiT2_lPKT1_lilS5_lilS2_lPT3_lili.private_seg_size, 0
	.set _ZL20rocblas_gemvt_kernelILb1ELi256EDF16_PKffEviiT2_lPKT1_lilS5_lilS2_lPT3_lili.uses_vcc, 1
	.set _ZL20rocblas_gemvt_kernelILb1ELi256EDF16_PKffEviiT2_lPKT1_lilS5_lilS2_lPT3_lili.uses_flat_scratch, 0
	.set _ZL20rocblas_gemvt_kernelILb1ELi256EDF16_PKffEviiT2_lPKT1_lilS5_lilS2_lPT3_lili.has_dyn_sized_stack, 0
	.set _ZL20rocblas_gemvt_kernelILb1ELi256EDF16_PKffEviiT2_lPKT1_lilS5_lilS2_lPT3_lili.has_recursion, 0
	.set _ZL20rocblas_gemvt_kernelILb1ELi256EDF16_PKffEviiT2_lPKT1_lilS5_lilS2_lPT3_lili.has_indirect_call, 0
	.section	.AMDGPU.csdata,"",@progbits
; Kernel info:
; codeLenInByte = 1472
; TotalNumSgprs: 52
; NumVgprs: 19
; ScratchSize: 0
; MemoryBound: 0
; FloatMode: 240
; IeeeMode: 1
; LDSByteSize: 1024 bytes/workgroup (compile time only)
; SGPRBlocks: 0
; VGPRBlocks: 1
; NumSGPRsForWavesPerEU: 52
; NumVGPRsForWavesPerEU: 19
; NamedBarCnt: 0
; Occupancy: 16
; WaveLimiterHint : 0
; COMPUTE_PGM_RSRC2:SCRATCH_EN: 0
; COMPUTE_PGM_RSRC2:USER_SGPR: 2
; COMPUTE_PGM_RSRC2:TRAP_HANDLER: 0
; COMPUTE_PGM_RSRC2:TGID_X_EN: 1
; COMPUTE_PGM_RSRC2:TGID_Y_EN: 0
; COMPUTE_PGM_RSRC2:TGID_Z_EN: 1
; COMPUTE_PGM_RSRC2:TIDIG_COMP_CNT: 0
	.section	.text._ZL20rocblas_gemvt_kernelILb1ELi256EDF16_ffEviiT2_lPKT1_lilS3_lilS0_lPT3_lili,"axG",@progbits,_ZL20rocblas_gemvt_kernelILb1ELi256EDF16_ffEviiT2_lPKT1_lilS3_lilS0_lPT3_lili,comdat
	.globl	_ZL20rocblas_gemvt_kernelILb1ELi256EDF16_ffEviiT2_lPKT1_lilS3_lilS0_lPT3_lili ; -- Begin function _ZL20rocblas_gemvt_kernelILb1ELi256EDF16_ffEviiT2_lPKT1_lilS3_lilS0_lPT3_lili
	.p2align	8
	.type	_ZL20rocblas_gemvt_kernelILb1ELi256EDF16_ffEviiT2_lPKT1_lilS3_lilS0_lPT3_lili,@function
_ZL20rocblas_gemvt_kernelILb1ELi256EDF16_ffEviiT2_lPKT1_lilS3_lilS0_lPT3_lili: ; @_ZL20rocblas_gemvt_kernelILb1ELi256EDF16_ffEviiT2_lPKT1_lilS3_lilS0_lPT3_lili
; %bb.0:
	s_load_b32 s23, s[0:1], 0x88
	s_bfe_u32 s2, ttmp6, 0x40014
	s_lshr_b32 s3, ttmp7, 16
	s_add_co_i32 s2, s2, 1
	s_bfe_u32 s4, ttmp6, 0x40008
	s_mul_i32 s2, s3, s2
	s_getreg_b32 s11, hwreg(HW_REG_IB_STS2, 6, 4)
	s_add_co_i32 s4, s4, s2
	s_cmp_eq_u32 s11, 0
	s_mov_b32 s25, 0
	s_cselect_b32 s24, s3, s4
	s_wait_kmcnt 0x0
	s_cmp_ge_u32 s24, s23
	s_cbranch_scc1 .LBB499_41
; %bb.1:
	s_clause 0x8
	s_load_b32 s2, s[0:1], 0x28
	s_load_b96 s[8:10], s[0:1], 0x40
	s_load_b32 s30, s[0:1], 0x78
	s_load_b128 s[4:7], s[0:1], 0x68
	s_load_b128 s[16:19], s[0:1], 0x18
	s_load_b32 s33, s[0:1], 0x8
	s_load_b96 s[20:22], s[0:1], 0x50
	s_load_b64 s[26:27], s[0:1], 0x80
	s_load_b32 s42, s[0:1], 0x0
	v_lshlrev_b32_e32 v14, 2, v0
	s_wait_kmcnt 0x0
	s_ashr_i32 s3, s2, 31
	s_ashr_i32 s29, s10, 31
	;; [unrolled: 1-line block ×3, first 2 shown]
	s_lshl_b64 s[34:35], s[8:9], 1
	s_lshl_b64 s[6:7], s[6:7], 2
	;; [unrolled: 1-line block ×3, first 2 shown]
	s_cmp_eq_f32 s33, 0
	s_mov_b32 s28, s10
	s_cselect_b32 s9, -1, 0
	s_cmp_neq_f32 s33, 0
	s_cselect_b32 s8, -1, 0
	s_cmp_neq_f32 s22, 1.0
	s_cselect_b32 s12, -1, 0
	s_delay_alu instid0(SALU_CYCLE_1)
	s_or_b32 s38, s8, s12
	s_cmp_neq_f32 s22, 0
	s_load_b128 s[12:15], s[0:1], 0x30
	v_cmp_gt_i32_e32 vcc_lo, s42, v0
	v_mov_b32_e32 v3, 0
	s_cselect_b32 s39, -1, 0
	s_bfe_u32 s8, ttmp6, 0x4000c
	s_and_b32 s18, ttmp6, 15
	s_add_co_i32 s8, s8, 1
	s_delay_alu instid0(SALU_CYCLE_1) | instskip(NEXT) | instid1(SALU_CYCLE_1)
	s_mul_i32 s8, ttmp9, s8
	s_add_co_i32 s18, s18, s8
	s_cmp_eq_u32 s11, 0
	v_cmp_gt_u32_e64 s8, 2, v0
	s_cselect_b32 s40, ttmp9, s18
	s_wait_xcnt 0x0
	s_ashr_i32 s0, s42, 31
	s_ashr_i32 s41, s40, 31
	s_lshr_b32 s0, s0, 24
	s_mul_u64 s[2:3], s[2:3], s[40:41]
	s_add_co_i32 s0, s42, s0
	s_add_nc_u64 s[18:19], s[4:5], s[6:7]
	s_and_b32 s10, s0, 0xffffff00
	s_delay_alu instid0(SALU_CYCLE_1)
	v_dual_mov_b32 v1, v3 :: v_dual_bitop2_b32 v10, s10, v0 bitop3:0x54
	s_add_nc_u64 s[0:1], s[16:17], s[36:37]
	s_wait_kmcnt 0x0
	s_add_nc_u64 s[14:15], s[14:15], s[34:35]
	s_mul_u64 s[34:35], s[30:31], s[40:41]
	v_mul_u64_e32 v[8:9], s[28:29], v[0:1]
	v_dual_cndmask_b32 v1, 0, v0, vcc_lo :: v_dual_ashrrev_i32 v11, 31, v10
	s_lshl_b64 s[30:31], s[2:3], 1
	v_cmp_gt_u32_e64 s2, 0x80, v0
	v_cmp_gt_u32_e64 s3, 64, v0
	s_delay_alu instid0(VALU_DEP_3)
	v_lshlrev_b32_e32 v2, 1, v1
	v_mul_u64_e32 v[4:5], s[28:29], v[10:11]
	v_cmp_gt_u32_e64 s4, 32, v0
	v_cmp_gt_u32_e64 s5, 16, v0
	;; [unrolled: 1-line block ×3, first 2 shown]
	v_add_nc_u64_e32 v[6:7], s[0:1], v[2:3]
	v_cmp_eq_u32_e64 s0, 0, v0
	v_cmp_gt_u32_e64 s7, 4, v0
	v_cmp_gt_i32_e64 s1, s42, v10
	s_cmp_gt_i32 s42, 0xff
	s_cselect_b32 s40, -1, 0
	v_add_nc_u64_e32 v[6:7], s[30:31], v[6:7]
	s_add_nc_u64 s[30:31], s[30:31], s[36:37]
	s_ashr_i32 s11, s10, 31
	s_add_nc_u64 s[30:31], s[16:17], s[30:31]
	s_lshl_b64 s[16:17], s[20:21], 1
	s_lshl_b64 s[28:29], s[28:29], 9
	;; [unrolled: 1-line block ×3, first 2 shown]
	v_lshl_add_u64 v[0:1], v[8:9], 1, s[14:15]
	v_add_nc_u64_e32 v[8:9], s[30:31], v[2:3]
	s_lshl_b64 s[30:31], s[12:13], 1
	s_branch .LBB499_4
.LBB499_2:                              ;   in Loop: Header=BB499_4 Depth=1
	s_wait_xcnt 0x0
	s_or_b32 exec_lo, exec_lo, s42
.LBB499_3:                              ;   in Loop: Header=BB499_4 Depth=1
	s_add_co_i32 s24, s24, 0x10000
	s_delay_alu instid0(SALU_CYCLE_1)
	s_cmp_lt_u32 s24, s23
	s_cbranch_scc0 .LBB499_41
.LBB499_4:                              ; =>This Loop Header: Depth=1
                                        ;     Child Loop BB499_15 Depth 2
	s_and_not1_b32 vcc_lo, exec_lo, s38
	s_cbranch_vccnz .LBB499_3
; %bb.5:                                ;   in Loop: Header=BB499_4 Depth=1
	s_mul_u64 s[36:37], s[26:27], s[24:25]
	s_and_not1_b32 vcc_lo, exec_lo, s9
	s_lshl_b64 s[36:37], s[36:37], 2
	s_delay_alu instid0(SALU_CYCLE_1)
	s_add_nc_u64 s[36:37], s[18:19], s[36:37]
	s_cbranch_vccnz .LBB499_9
; %bb.6:                                ;   in Loop: Header=BB499_4 Depth=1
	s_mov_b32 s42, 0
	s_mov_b32 s41, 0
                                        ; implicit-def: $vgpr2
	s_and_saveexec_b32 s43, s0
	s_cbranch_execz .LBB499_10
; %bb.7:                                ;   in Loop: Header=BB499_4 Depth=1
	s_and_not1_b32 vcc_lo, exec_lo, s39
	s_cbranch_vccnz .LBB499_11
; %bb.8:                                ;   in Loop: Header=BB499_4 Depth=1
	s_add_nc_u64 s[44:45], s[36:37], s[34:35]
	global_load_b32 v2, v3, s[44:45]
	s_wait_loadcnt 0x0
	v_mul_f32_e32 v2, s22, v2
	s_branch .LBB499_12
.LBB499_9:                              ;   in Loop: Header=BB499_4 Depth=1
	s_mov_b32 s41, 0
                                        ; implicit-def: $vgpr2
	s_cbranch_execnz .LBB499_13
	s_branch .LBB499_39
.LBB499_10:                             ;   in Loop: Header=BB499_4 Depth=1
	s_or_b32 exec_lo, exec_lo, s43
	s_delay_alu instid0(SALU_CYCLE_1)
	s_and_b32 vcc_lo, exec_lo, s42
	s_cbranch_vccnz .LBB499_13
	s_branch .LBB499_39
.LBB499_11:                             ;   in Loop: Header=BB499_4 Depth=1
	v_mov_b32_e32 v2, 0
.LBB499_12:                             ;   in Loop: Header=BB499_4 Depth=1
	s_mov_b32 s41, exec_lo
	s_wait_xcnt 0x0
	s_or_b32 exec_lo, exec_lo, s43
	s_delay_alu instid0(SALU_CYCLE_1)
	s_and_b32 vcc_lo, exec_lo, s42
	s_cbranch_vccz .LBB499_39
.LBB499_13:                             ;   in Loop: Header=BB499_4 Depth=1
	v_mov_b32_e32 v2, 0
	s_and_not1_b32 vcc_lo, exec_lo, s40
	s_cbranch_vccnz .LBB499_16
; %bb.14:                               ;   in Loop: Header=BB499_4 Depth=1
	v_mad_nc_u64_u32 v[10:11], s16, s24, v[0:1]
	v_mad_nc_u64_u32 v[12:13], s30, s24, v[8:9]
	v_mov_b32_e32 v2, 0
	s_mov_b32 s42, 0
	s_delay_alu instid0(VALU_DEP_3) | instskip(NEXT) | instid1(VALU_DEP_3)
	v_mad_u32 v11, s17, s24, v11
	v_mad_u32 v13, s31, s24, v13
.LBB499_15:                             ;   Parent Loop BB499_4 Depth=1
                                        ; =>  This Inner Loop Header: Depth=2
	global_load_u16 v15, v[12:13], off
	global_load_u16 v16, v[10:11], off
	s_wait_xcnt 0x0
	v_add_nc_u64_e32 v[10:11], s[28:29], v[10:11]
	v_add_nc_u64_e32 v[12:13], 0x200, v[12:13]
	s_addk_co_i32 s42, 0x100
	s_delay_alu instid0(SALU_CYCLE_1) | instskip(SKIP_2) | instid1(VALU_DEP_1)
	s_cmp_ge_i32 s42, s10
	s_wait_loadcnt 0x0
	v_mul_f16_e32 v15, v15, v16
	v_cvt_f32_f16_e32 v15, v15
	s_delay_alu instid0(VALU_DEP_1)
	v_add_f32_e32 v2, v2, v15
	s_cbranch_scc0 .LBB499_15
.LBB499_16:                             ;   in Loop: Header=BB499_4 Depth=1
	s_and_saveexec_b32 s42, s1
	s_cbranch_execz .LBB499_18
; %bb.17:                               ;   in Loop: Header=BB499_4 Depth=1
	s_mul_u64 s[44:45], s[12:13], s[24:25]
	s_mul_u64 s[46:47], s[20:21], s[24:25]
	v_lshl_add_u64 v[10:11], s[44:45], 1, v[6:7]
	s_lshl_b64 s[44:45], s[46:47], 1
	s_delay_alu instid0(SALU_CYCLE_1) | instskip(NEXT) | instid1(SALU_CYCLE_1)
	s_add_nc_u64 s[44:45], s[14:15], s[44:45]
	v_lshl_add_u64 v[12:13], v[4:5], 1, s[44:45]
	s_delay_alu instid0(VALU_DEP_2)
	v_lshl_add_u64 v[10:11], s[10:11], 1, v[10:11]
	global_load_u16 v15, v[10:11], off
	global_load_u16 v16, v[12:13], off
	s_wait_loadcnt 0x0
	s_wait_xcnt 0x1
	v_mul_f16_e32 v10, v15, v16
	s_delay_alu instid0(VALU_DEP_1) | instskip(NEXT) | instid1(VALU_DEP_1)
	v_cvt_f32_f16_e32 v10, v10
	v_add_f32_e32 v2, v2, v10
.LBB499_18:                             ;   in Loop: Header=BB499_4 Depth=1
	s_wait_xcnt 0x0
	s_or_b32 exec_lo, exec_lo, s42
	ds_store_b32 v14, v2
	s_wait_dscnt 0x0
	s_barrier_signal -1
	s_barrier_wait -1
	s_and_saveexec_b32 s42, s2
	s_cbranch_execz .LBB499_20
; %bb.19:                               ;   in Loop: Header=BB499_4 Depth=1
	ds_load_2addr_stride64_b32 v[10:11], v14 offset1:2
	s_wait_dscnt 0x0
	v_add_f32_e32 v2, v11, v10
	ds_store_b32 v14, v2
.LBB499_20:                             ;   in Loop: Header=BB499_4 Depth=1
	s_or_b32 exec_lo, exec_lo, s42
	s_wait_dscnt 0x0
	s_barrier_signal -1
	s_barrier_wait -1
	s_and_saveexec_b32 s42, s3
	s_cbranch_execz .LBB499_22
; %bb.21:                               ;   in Loop: Header=BB499_4 Depth=1
	ds_load_2addr_stride64_b32 v[10:11], v14 offset1:1
	s_wait_dscnt 0x0
	v_add_f32_e32 v2, v11, v10
	ds_store_b32 v14, v2
.LBB499_22:                             ;   in Loop: Header=BB499_4 Depth=1
	s_or_b32 exec_lo, exec_lo, s42
	s_wait_dscnt 0x0
	s_barrier_signal -1
	s_barrier_wait -1
	s_and_saveexec_b32 s42, s4
	s_cbranch_execz .LBB499_24
; %bb.23:                               ;   in Loop: Header=BB499_4 Depth=1
	ds_load_2addr_b32 v[10:11], v14 offset1:32
	s_wait_dscnt 0x0
	v_add_f32_e32 v2, v11, v10
	ds_store_b32 v14, v2
.LBB499_24:                             ;   in Loop: Header=BB499_4 Depth=1
	s_or_b32 exec_lo, exec_lo, s42
	s_wait_dscnt 0x0
	s_barrier_signal -1
	s_barrier_wait -1
	s_and_saveexec_b32 s42, s5
	s_cbranch_execz .LBB499_26
; %bb.25:                               ;   in Loop: Header=BB499_4 Depth=1
	ds_load_2addr_b32 v[10:11], v14 offset1:16
	s_wait_dscnt 0x0
	v_add_f32_e32 v2, v11, v10
	ds_store_b32 v14, v2
.LBB499_26:                             ;   in Loop: Header=BB499_4 Depth=1
	;; [unrolled: 12-line block ×5, first 2 shown]
	s_or_b32 exec_lo, exec_lo, s42
	s_wait_dscnt 0x0
	s_barrier_signal -1
	s_barrier_wait -1
	s_and_saveexec_b32 s42, s0
	s_cbranch_execz .LBB499_34
; %bb.33:                               ;   in Loop: Header=BB499_4 Depth=1
	ds_load_b64 v[10:11], v3
	s_wait_dscnt 0x0
	v_add_f32_e32 v2, v11, v10
	ds_store_b32 v3, v2
.LBB499_34:                             ;   in Loop: Header=BB499_4 Depth=1
	s_or_b32 exec_lo, exec_lo, s42
	s_wait_dscnt 0x0
	s_barrier_signal -1
	s_barrier_wait -1
                                        ; implicit-def: $vgpr2
	s_and_saveexec_b32 s42, s0
	s_cbranch_execz .LBB499_38
; %bb.35:                               ;   in Loop: Header=BB499_4 Depth=1
	ds_load_b32 v2, v3
	s_and_not1_b32 vcc_lo, exec_lo, s39
	s_wait_dscnt 0x0
	v_mul_f32_e32 v2, s33, v2
	s_cbranch_vccnz .LBB499_37
; %bb.36:                               ;   in Loop: Header=BB499_4 Depth=1
	s_add_nc_u64 s[44:45], s[36:37], s[34:35]
	global_load_b32 v10, v3, s[44:45]
	s_wait_loadcnt 0x0
	v_fmac_f32_e32 v2, s22, v10
.LBB499_37:                             ;   in Loop: Header=BB499_4 Depth=1
	s_or_b32 s41, s41, exec_lo
.LBB499_38:                             ;   in Loop: Header=BB499_4 Depth=1
	s_wait_xcnt 0x0
	s_or_b32 exec_lo, exec_lo, s42
.LBB499_39:                             ;   in Loop: Header=BB499_4 Depth=1
	s_and_saveexec_b32 s42, s41
	s_cbranch_execz .LBB499_2
; %bb.40:                               ;   in Loop: Header=BB499_4 Depth=1
	s_add_nc_u64 s[36:37], s[36:37], s[34:35]
	global_store_b32 v3, v2, s[36:37]
	s_branch .LBB499_2
.LBB499_41:
	s_endpgm
	.section	.rodata,"a",@progbits
	.p2align	6, 0x0
	.amdhsa_kernel _ZL20rocblas_gemvt_kernelILb1ELi256EDF16_ffEviiT2_lPKT1_lilS3_lilS0_lPT3_lili
		.amdhsa_group_segment_fixed_size 1024
		.amdhsa_private_segment_fixed_size 0
		.amdhsa_kernarg_size 140
		.amdhsa_user_sgpr_count 2
		.amdhsa_user_sgpr_dispatch_ptr 0
		.amdhsa_user_sgpr_queue_ptr 0
		.amdhsa_user_sgpr_kernarg_segment_ptr 1
		.amdhsa_user_sgpr_dispatch_id 0
		.amdhsa_user_sgpr_kernarg_preload_length 0
		.amdhsa_user_sgpr_kernarg_preload_offset 0
		.amdhsa_user_sgpr_private_segment_size 0
		.amdhsa_wavefront_size32 1
		.amdhsa_uses_dynamic_stack 0
		.amdhsa_enable_private_segment 0
		.amdhsa_system_sgpr_workgroup_id_x 1
		.amdhsa_system_sgpr_workgroup_id_y 0
		.amdhsa_system_sgpr_workgroup_id_z 1
		.amdhsa_system_sgpr_workgroup_info 0
		.amdhsa_system_vgpr_workitem_id 0
		.amdhsa_next_free_vgpr 17
		.amdhsa_next_free_sgpr 48
		.amdhsa_named_barrier_count 0
		.amdhsa_reserve_vcc 1
		.amdhsa_float_round_mode_32 0
		.amdhsa_float_round_mode_16_64 0
		.amdhsa_float_denorm_mode_32 3
		.amdhsa_float_denorm_mode_16_64 3
		.amdhsa_fp16_overflow 0
		.amdhsa_memory_ordered 1
		.amdhsa_forward_progress 1
		.amdhsa_inst_pref_size 12
		.amdhsa_round_robin_scheduling 0
		.amdhsa_exception_fp_ieee_invalid_op 0
		.amdhsa_exception_fp_denorm_src 0
		.amdhsa_exception_fp_ieee_div_zero 0
		.amdhsa_exception_fp_ieee_overflow 0
		.amdhsa_exception_fp_ieee_underflow 0
		.amdhsa_exception_fp_ieee_inexact 0
		.amdhsa_exception_int_div_zero 0
	.end_amdhsa_kernel
	.section	.text._ZL20rocblas_gemvt_kernelILb1ELi256EDF16_ffEviiT2_lPKT1_lilS3_lilS0_lPT3_lili,"axG",@progbits,_ZL20rocblas_gemvt_kernelILb1ELi256EDF16_ffEviiT2_lPKT1_lilS3_lilS0_lPT3_lili,comdat
.Lfunc_end499:
	.size	_ZL20rocblas_gemvt_kernelILb1ELi256EDF16_ffEviiT2_lPKT1_lilS3_lilS0_lPT3_lili, .Lfunc_end499-_ZL20rocblas_gemvt_kernelILb1ELi256EDF16_ffEviiT2_lPKT1_lilS3_lilS0_lPT3_lili
                                        ; -- End function
	.set _ZL20rocblas_gemvt_kernelILb1ELi256EDF16_ffEviiT2_lPKT1_lilS3_lilS0_lPT3_lili.num_vgpr, 17
	.set _ZL20rocblas_gemvt_kernelILb1ELi256EDF16_ffEviiT2_lPKT1_lilS3_lilS0_lPT3_lili.num_agpr, 0
	.set _ZL20rocblas_gemvt_kernelILb1ELi256EDF16_ffEviiT2_lPKT1_lilS3_lilS0_lPT3_lili.numbered_sgpr, 48
	.set _ZL20rocblas_gemvt_kernelILb1ELi256EDF16_ffEviiT2_lPKT1_lilS3_lilS0_lPT3_lili.num_named_barrier, 0
	.set _ZL20rocblas_gemvt_kernelILb1ELi256EDF16_ffEviiT2_lPKT1_lilS3_lilS0_lPT3_lili.private_seg_size, 0
	.set _ZL20rocblas_gemvt_kernelILb1ELi256EDF16_ffEviiT2_lPKT1_lilS3_lilS0_lPT3_lili.uses_vcc, 1
	.set _ZL20rocblas_gemvt_kernelILb1ELi256EDF16_ffEviiT2_lPKT1_lilS3_lilS0_lPT3_lili.uses_flat_scratch, 0
	.set _ZL20rocblas_gemvt_kernelILb1ELi256EDF16_ffEviiT2_lPKT1_lilS3_lilS0_lPT3_lili.has_dyn_sized_stack, 0
	.set _ZL20rocblas_gemvt_kernelILb1ELi256EDF16_ffEviiT2_lPKT1_lilS3_lilS0_lPT3_lili.has_recursion, 0
	.set _ZL20rocblas_gemvt_kernelILb1ELi256EDF16_ffEviiT2_lPKT1_lilS3_lilS0_lPT3_lili.has_indirect_call, 0
	.section	.AMDGPU.csdata,"",@progbits
; Kernel info:
; codeLenInByte = 1432
; TotalNumSgprs: 50
; NumVgprs: 17
; ScratchSize: 0
; MemoryBound: 0
; FloatMode: 240
; IeeeMode: 1
; LDSByteSize: 1024 bytes/workgroup (compile time only)
; SGPRBlocks: 0
; VGPRBlocks: 1
; NumSGPRsForWavesPerEU: 50
; NumVGPRsForWavesPerEU: 17
; NamedBarCnt: 0
; Occupancy: 16
; WaveLimiterHint : 0
; COMPUTE_PGM_RSRC2:SCRATCH_EN: 0
; COMPUTE_PGM_RSRC2:USER_SGPR: 2
; COMPUTE_PGM_RSRC2:TRAP_HANDLER: 0
; COMPUTE_PGM_RSRC2:TGID_X_EN: 1
; COMPUTE_PGM_RSRC2:TGID_Y_EN: 0
; COMPUTE_PGM_RSRC2:TGID_Z_EN: 1
; COMPUTE_PGM_RSRC2:TIDIG_COMP_CNT: 0
	.section	.text._ZL32rocblas_gemvt_warp_reduce_kernelILb1ELi1024EiDF16_PKffEviiT3_lPKT2_lT1_lS5_lS6_lS2_lPT4_lS6_li,"axG",@progbits,_ZL32rocblas_gemvt_warp_reduce_kernelILb1ELi1024EiDF16_PKffEviiT3_lPKT2_lT1_lS5_lS6_lS2_lPT4_lS6_li,comdat
	.globl	_ZL32rocblas_gemvt_warp_reduce_kernelILb1ELi1024EiDF16_PKffEviiT3_lPKT2_lT1_lS5_lS6_lS2_lPT4_lS6_li ; -- Begin function _ZL32rocblas_gemvt_warp_reduce_kernelILb1ELi1024EiDF16_PKffEviiT3_lPKT2_lT1_lS5_lS6_lS2_lPT4_lS6_li
	.p2align	8
	.type	_ZL32rocblas_gemvt_warp_reduce_kernelILb1ELi1024EiDF16_PKffEviiT3_lPKT2_lT1_lS5_lS6_lS2_lPT4_lS6_li,@function
_ZL32rocblas_gemvt_warp_reduce_kernelILb1ELi1024EiDF16_PKffEviiT3_lPKT2_lT1_lS5_lS6_lS2_lPT4_lS6_li: ; @_ZL32rocblas_gemvt_warp_reduce_kernelILb1ELi1024EiDF16_PKffEviiT3_lPKT2_lT1_lS5_lS6_lS2_lPT4_lS6_li
; %bb.0:
	s_load_b32 s33, s[0:1], 0x88
	s_bfe_u32 s2, ttmp6, 0x40014
	s_lshr_b32 s3, ttmp7, 16
	s_add_co_i32 s2, s2, 1
	s_bfe_u32 s5, ttmp6, 0x40008
	s_mul_i32 s4, s3, s2
	s_getreg_b32 s2, hwreg(HW_REG_IB_STS2, 6, 4)
	s_add_co_i32 s5, s5, s4
	s_cmp_eq_u32 s2, 0
	s_mov_b32 s35, 0
	s_cselect_b32 s34, s3, s5
	s_wait_kmcnt 0x0
	s_cmp_ge_u32 s34, s33
	s_cbranch_scc1 .LBB500_34
; %bb.1:
	s_clause 0x7
	s_load_b96 s[4:6], s[0:1], 0x40
	s_load_b96 s[28:30], s[0:1], 0x70
	s_load_b256 s[8:15], s[0:1], 0x8
	s_load_b32 s7, s[0:1], 0x0
	s_load_b32 s31, s[0:1], 0x28
	s_load_b128 s[24:27], s[0:1], 0x30
	s_load_b256 s[16:23], s[0:1], 0x50
	s_load_b64 s[36:37], s[0:1], 0x80
	s_wait_xcnt 0x0
	s_bfe_u32 s1, ttmp6, 0x4000c
	s_and_b32 s3, ttmp6, 15
	s_add_co_i32 s1, s1, 1
	v_dual_mov_b32 v3, 0 :: v_dual_bitop2_b32 v8, 31, v0 bitop3:0x40
	s_mul_i32 s1, ttmp9, s1
	v_mbcnt_lo_u32_b32 v13, -1, 0
	s_add_co_i32 s3, s3, s1
	v_cmp_eq_u32_e64 s0, 0, v0
	v_cmp_gt_u32_e64 s1, 32, v0
	s_delay_alu instid0(VALU_DEP_3)
	v_lshl_or_b32 v14, v13, 2, 64
	s_wait_kmcnt 0x0
	s_lshl_b64 s[4:5], s[4:5], 1
	s_lshl_b64 s[28:29], s[28:29], 2
	;; [unrolled: 1-line block ×3, first 2 shown]
	v_cmp_gt_i32_e32 vcc_lo, s7, v0
	s_cmp_eq_u32 s2, 0
	v_lshrrev_b32_e32 v10, 3, v0
	s_cselect_b32 s15, ttmp9, s3
	s_ashr_i32 s2, s7, 31
	v_cndmask_b32_e32 v2, 0, v0, vcc_lo
	s_lshr_b32 s2, s2, 22
	v_lshlrev_b32_e32 v1, 2, v8
	s_add_co_i32 s2, s7, s2
	s_add_nc_u64 s[26:27], s[26:27], s[4:5]
	s_and_b32 s14, s2, 0xfffffc00
	s_delay_alu instid0(SALU_CYCLE_1) | instskip(SKIP_3) | instid1(VALU_DEP_2)
	v_dual_lshlrev_b32 v2, 1, v2 :: v_dual_bitop2_b32 v5, s14, v0 bitop3:0x54
	s_add_nc_u64 s[2:3], s[12:13], s[38:39]
	s_mul_i32 s4, s31, s15
	v_mul_lo_u32 v12, v0, s6
	v_add_nc_u64_e32 v[6:7], s[2:3], v[2:3]
	v_mul_lo_u32 v4, s6, v5
	s_ashr_i32 s5, s4, 31
	s_add_nc_u64 s[22:23], s[22:23], s[28:29]
	s_lshl_b64 s[4:5], s[4:5], 1
	s_mul_i32 s28, s30, s15
	v_cmp_gt_i32_e64 s2, s14, v0
	v_add_nc_u64_e32 v[6:7], s[4:5], v[6:7]
	s_add_nc_u64 s[4:5], s[38:39], s[4:5]
	v_cmp_gt_i32_e64 s3, s7, v5
	s_add_nc_u64 s[12:13], s[12:13], s[4:5]
	v_cmp_eq_u32_e64 s4, 0, v8
	v_add_nc_u64_e32 v[8:9], s[12:13], v[2:3]
	v_ashrrev_i32_e32 v5, 31, v4
	v_and_b32_e32 v2, 0x7c, v10
	s_ashr_i32 s29, s28, 31
	s_ashr_i32 s15, s14, 31
	s_lshl_b32 s38, s6, 10
	s_lshl_b64 s[6:7], s[24:25], 1
	s_lshl_b64 s[12:13], s[28:29], 2
	s_branch .LBB500_4
.LBB500_2:                              ;   in Loop: Header=BB500_4 Depth=1
	s_wait_xcnt 0x0
	s_or_b32 exec_lo, exec_lo, s5
.LBB500_3:                              ;   in Loop: Header=BB500_4 Depth=1
	s_add_co_i32 s34, s34, 0x10000
	s_delay_alu instid0(SALU_CYCLE_1)
	s_cmp_lt_u32 s34, s33
	s_cbranch_scc0 .LBB500_34
.LBB500_4:                              ; =>This Loop Header: Depth=1
                                        ;     Child Loop BB500_23 Depth 2
	s_mul_u64 s[28:29], s[10:11], s[34:35]
	s_wait_xcnt 0x0
	s_mul_u64 s[30:31], s[20:21], s[34:35]
	s_lshl_b64 s[28:29], s[28:29], 2
	s_lshl_b64 s[30:31], s[30:31], 2
	s_add_nc_u64 s[28:29], s[8:9], s[28:29]
	s_add_nc_u64 s[30:31], s[18:19], s[30:31]
	s_clause 0x1
	global_load_b32 v15, v3, s[28:29]
	global_load_b32 v10, v3, s[30:31]
	s_wait_loadcnt 0x1
	v_cmp_eq_f32_e32 vcc_lo, 0, v15
	s_wait_loadcnt 0x0
	v_cmp_eq_f32_e64 s5, 1.0, v10
	s_wait_xcnt 0x1
	s_and_b32 s28, vcc_lo, s5
	v_readfirstlane_b32 s5, v10
	s_and_b32 vcc_lo, exec_lo, s28
	s_cbranch_vccnz .LBB500_3
; %bb.5:                                ;   in Loop: Header=BB500_4 Depth=1
	v_cmp_neq_f32_e32 vcc_lo, 0, v15
	s_mul_u64 s[28:29], s[36:37], s[34:35]
	s_delay_alu instid0(SALU_CYCLE_1) | instskip(NEXT) | instid1(SALU_CYCLE_1)
	s_lshl_b64 s[28:29], s[28:29], 2
	s_add_nc_u64 s[28:29], s[22:23], s[28:29]
	s_cbranch_vccnz .LBB500_9
; %bb.6:                                ;   in Loop: Header=BB500_4 Depth=1
	s_wait_xcnt 0x0
	s_mov_b32 s30, 0
	s_mov_b32 s39, 0
                                        ; implicit-def: $vgpr10
	s_and_saveexec_b32 s31, s0
	s_cbranch_execz .LBB500_10
; %bb.7:                                ;   in Loop: Header=BB500_4 Depth=1
	s_cmp_eq_f32 s5, 0
	s_cbranch_scc1 .LBB500_11
; %bb.8:                                ;   in Loop: Header=BB500_4 Depth=1
	s_add_nc_u64 s[40:41], s[28:29], s[12:13]
	global_load_b32 v10, v3, s[40:41]
	s_wait_loadcnt 0x0
	v_mul_f32_e32 v10, s5, v10
	s_branch .LBB500_12
.LBB500_9:                              ;   in Loop: Header=BB500_4 Depth=1
	s_wait_xcnt 0x0
	s_mov_b32 s39, 0
                                        ; implicit-def: $vgpr10
	s_cbranch_execnz .LBB500_13
	s_branch .LBB500_32
.LBB500_10:                             ;   in Loop: Header=BB500_4 Depth=1
	s_or_b32 exec_lo, exec_lo, s31
	s_delay_alu instid0(SALU_CYCLE_1)
	s_and_b32 vcc_lo, exec_lo, s30
	s_cbranch_vccnz .LBB500_13
	s_branch .LBB500_32
.LBB500_11:                             ;   in Loop: Header=BB500_4 Depth=1
	v_mov_b32_e32 v10, 0
.LBB500_12:                             ;   in Loop: Header=BB500_4 Depth=1
	s_mov_b32 s39, exec_lo
	s_wait_xcnt 0x0
	s_or_b32 exec_lo, exec_lo, s31
	s_delay_alu instid0(SALU_CYCLE_1)
	s_and_b32 vcc_lo, exec_lo, s30
	s_cbranch_vccz .LBB500_32
.LBB500_13:                             ;   in Loop: Header=BB500_4 Depth=1
	s_mul_u64 s[30:31], s[16:17], s[34:35]
	v_mov_b32_e32 v16, 0
	s_lshl_b64 s[30:31], s[30:31], 1
	s_delay_alu instid0(SALU_CYCLE_1)
	s_add_nc_u64 s[30:31], s[26:27], s[30:31]
	s_and_saveexec_b32 s40, s2
	s_cbranch_execnz .LBB500_22
; %bb.14:                               ;   in Loop: Header=BB500_4 Depth=1
	s_or_b32 exec_lo, exec_lo, s40
	s_and_saveexec_b32 s40, s3
	s_cbranch_execnz .LBB500_25
.LBB500_15:                             ;   in Loop: Header=BB500_4 Depth=1
	s_or_b32 exec_lo, exec_lo, s40
	s_and_saveexec_b32 s30, s1
.LBB500_16:                             ;   in Loop: Header=BB500_4 Depth=1
	ds_store_b32 v1, v3
.LBB500_17:                             ;   in Loop: Header=BB500_4 Depth=1
	s_or_b32 exec_lo, exec_lo, s30
	ds_bpermute_b32 v11, v14, v16
	v_cmp_gt_u32_e32 vcc_lo, 24, v13
	s_wait_dscnt 0x0
	s_barrier_signal -1
	s_barrier_wait -1
	v_cndmask_b32_e64 v10, 0, 8, vcc_lo
	v_cmp_gt_u32_e32 vcc_lo, 28, v13
	s_delay_alu instid0(VALU_DEP_2)
	v_add_lshl_u32 v10, v10, v13, 2
	v_add_f32_e32 v16, v16, v11
	v_cndmask_b32_e64 v11, 0, 4, vcc_lo
	v_cmp_gt_u32_e32 vcc_lo, 30, v13
	ds_bpermute_b32 v17, v10, v16
	v_add_lshl_u32 v11, v11, v13, 2
	s_wait_dscnt 0x0
	v_add_f32_e32 v17, v16, v17
	v_cndmask_b32_e64 v16, 0, 2, vcc_lo
	v_cmp_ne_u32_e32 vcc_lo, 31, v13
	ds_bpermute_b32 v18, v11, v17
	v_add_lshl_u32 v16, v16, v13, 2
	v_add_co_ci_u32_e64 v19, null, 0, v13, vcc_lo
	s_wait_dscnt 0x0
	v_add_f32_e32 v17, v17, v18
	ds_bpermute_b32 v18, v16, v17
	s_wait_dscnt 0x0
	v_dual_add_f32 v18, v17, v18 :: v_dual_lshlrev_b32 v17, 2, v19
	ds_bpermute_b32 v19, v17, v18
	s_and_saveexec_b32 s30, s4
	s_cbranch_execz .LBB500_19
; %bb.18:                               ;   in Loop: Header=BB500_4 Depth=1
	s_wait_dscnt 0x0
	v_add_f32_e32 v18, v18, v19
	ds_store_b32 v2, v18
.LBB500_19:                             ;   in Loop: Header=BB500_4 Depth=1
	s_or_b32 exec_lo, exec_lo, s30
	v_mov_b32_e32 v18, 0
	s_wait_dscnt 0x0
	s_barrier_signal -1
	s_barrier_wait -1
	s_and_saveexec_b32 s30, s1
	s_cbranch_execnz .LBB500_26
; %bb.20:                               ;   in Loop: Header=BB500_4 Depth=1
	s_or_b32 exec_lo, exec_lo, s30
	s_and_saveexec_b32 s30, s1
	s_cbranch_execnz .LBB500_27
.LBB500_21:                             ;   in Loop: Header=BB500_4 Depth=1
	s_or_b32 exec_lo, exec_lo, s30
                                        ; implicit-def: $vgpr10
	s_and_saveexec_b32 s30, s0
	s_cbranch_execnz .LBB500_28
	s_branch .LBB500_31
.LBB500_22:                             ;   in Loop: Header=BB500_4 Depth=1
	v_mad_nc_u64_u32 v[10:11], s6, s34, v[8:9]
	v_dual_mov_b32 v16, 0 :: v_dual_mov_b32 v17, v0
	s_wait_dscnt 0x0
	v_mov_b32_e32 v18, v12
	s_mov_b32 s41, 0
	s_delay_alu instid0(VALU_DEP_3)
	v_mad_u32 v11, s7, s34, v11
.LBB500_23:                             ;   Parent Loop BB500_4 Depth=1
                                        ; =>  This Inner Loop Header: Depth=2
	global_load_u16 v19, v[10:11], off
	global_load_u16 v20, v18, s[30:31] scale_offset
	s_wait_xcnt 0x1
	v_add_nc_u64_e32 v[10:11], 0x800, v[10:11]
	s_wait_xcnt 0x0
	v_add_nc_u32_e32 v18, s38, v18
	s_wait_loadcnt 0x0
	v_mul_f16_e32 v19, v19, v20
	s_delay_alu instid0(VALU_DEP_1) | instskip(NEXT) | instid1(VALU_DEP_1)
	v_cvt_f32_f16_e32 v19, v19
	v_dual_add_f32 v16, v16, v19 :: v_dual_add_nc_u32 v17, 0x400, v17
	s_delay_alu instid0(VALU_DEP_1) | instskip(SKIP_1) | instid1(SALU_CYCLE_1)
	v_cmp_le_i32_e32 vcc_lo, s14, v17
	s_or_b32 s41, vcc_lo, s41
	s_and_not1_b32 exec_lo, exec_lo, s41
	s_cbranch_execnz .LBB500_23
; %bb.24:                               ;   in Loop: Header=BB500_4 Depth=1
	s_or_b32 exec_lo, exec_lo, s41
	s_delay_alu instid0(SALU_CYCLE_1)
	s_or_b32 exec_lo, exec_lo, s40
	s_and_saveexec_b32 s40, s3
	s_cbranch_execz .LBB500_15
.LBB500_25:                             ;   in Loop: Header=BB500_4 Depth=1
	s_mul_u64 s[42:43], s[24:25], s[34:35]
	s_wait_dscnt 0x0
	v_lshl_add_u64 v[18:19], v[4:5], 1, s[30:31]
	v_lshl_add_u64 v[10:11], s[42:43], 1, v[6:7]
	s_delay_alu instid0(VALU_DEP_1)
	v_lshl_add_u64 v[10:11], s[14:15], 1, v[10:11]
	global_load_u16 v17, v[10:11], off
	global_load_u16 v20, v[18:19], off
	s_wait_loadcnt 0x0
	s_wait_xcnt 0x1
	v_mul_f16_e32 v10, v17, v20
	s_delay_alu instid0(VALU_DEP_1) | instskip(NEXT) | instid1(VALU_DEP_1)
	v_cvt_f32_f16_e32 v10, v10
	v_add_f32_e32 v16, v16, v10
	s_wait_xcnt 0x0
	s_or_b32 exec_lo, exec_lo, s40
	s_and_saveexec_b32 s30, s1
	s_cbranch_execnz .LBB500_16
	s_branch .LBB500_17
.LBB500_26:                             ;   in Loop: Header=BB500_4 Depth=1
	ds_load_b32 v18, v1
	s_or_b32 exec_lo, exec_lo, s30
	s_and_saveexec_b32 s30, s1
	s_cbranch_execz .LBB500_21
.LBB500_27:                             ;   in Loop: Header=BB500_4 Depth=1
	s_wait_dscnt 0x0
	ds_bpermute_b32 v19, v14, v18
	s_wait_dscnt 0x0
	v_add_f32_e32 v18, v18, v19
	ds_bpermute_b32 v10, v10, v18
	s_wait_dscnt 0x0
	v_add_f32_e32 v10, v18, v10
	;; [unrolled: 3-line block ×5, first 2 shown]
	s_or_b32 exec_lo, exec_lo, s30
                                        ; implicit-def: $vgpr10
	s_and_saveexec_b32 s30, s0
	s_cbranch_execz .LBB500_31
.LBB500_28:                             ;   in Loop: Header=BB500_4 Depth=1
	s_wait_dscnt 0x0
	v_mul_f32_e32 v10, v15, v18
	s_cmp_eq_f32 s5, 0
	s_cbranch_scc1 .LBB500_30
; %bb.29:                               ;   in Loop: Header=BB500_4 Depth=1
	s_add_nc_u64 s[40:41], s[28:29], s[12:13]
	global_load_b32 v11, v3, s[40:41]
	s_wait_loadcnt 0x0
	v_fmac_f32_e32 v10, s5, v11
.LBB500_30:                             ;   in Loop: Header=BB500_4 Depth=1
	s_or_b32 s39, s39, exec_lo
.LBB500_31:                             ;   in Loop: Header=BB500_4 Depth=1
	s_wait_xcnt 0x0
	s_or_b32 exec_lo, exec_lo, s30
.LBB500_32:                             ;   in Loop: Header=BB500_4 Depth=1
	s_and_saveexec_b32 s5, s39
	s_cbranch_execz .LBB500_2
; %bb.33:                               ;   in Loop: Header=BB500_4 Depth=1
	s_add_nc_u64 s[28:29], s[28:29], s[12:13]
	global_store_b32 v3, v10, s[28:29]
	s_branch .LBB500_2
.LBB500_34:
	s_endpgm
	.section	.rodata,"a",@progbits
	.p2align	6, 0x0
	.amdhsa_kernel _ZL32rocblas_gemvt_warp_reduce_kernelILb1ELi1024EiDF16_PKffEviiT3_lPKT2_lT1_lS5_lS6_lS2_lPT4_lS6_li
		.amdhsa_group_segment_fixed_size 128
		.amdhsa_private_segment_fixed_size 0
		.amdhsa_kernarg_size 140
		.amdhsa_user_sgpr_count 2
		.amdhsa_user_sgpr_dispatch_ptr 0
		.amdhsa_user_sgpr_queue_ptr 0
		.amdhsa_user_sgpr_kernarg_segment_ptr 1
		.amdhsa_user_sgpr_dispatch_id 0
		.amdhsa_user_sgpr_kernarg_preload_length 0
		.amdhsa_user_sgpr_kernarg_preload_offset 0
		.amdhsa_user_sgpr_private_segment_size 0
		.amdhsa_wavefront_size32 1
		.amdhsa_uses_dynamic_stack 0
		.amdhsa_enable_private_segment 0
		.amdhsa_system_sgpr_workgroup_id_x 1
		.amdhsa_system_sgpr_workgroup_id_y 0
		.amdhsa_system_sgpr_workgroup_id_z 1
		.amdhsa_system_sgpr_workgroup_info 0
		.amdhsa_system_vgpr_workitem_id 0
		.amdhsa_next_free_vgpr 21
		.amdhsa_next_free_sgpr 44
		.amdhsa_named_barrier_count 0
		.amdhsa_reserve_vcc 1
		.amdhsa_float_round_mode_32 0
		.amdhsa_float_round_mode_16_64 0
		.amdhsa_float_denorm_mode_32 3
		.amdhsa_float_denorm_mode_16_64 3
		.amdhsa_fp16_overflow 0
		.amdhsa_memory_ordered 1
		.amdhsa_forward_progress 1
		.amdhsa_inst_pref_size 12
		.amdhsa_round_robin_scheduling 0
		.amdhsa_exception_fp_ieee_invalid_op 0
		.amdhsa_exception_fp_denorm_src 0
		.amdhsa_exception_fp_ieee_div_zero 0
		.amdhsa_exception_fp_ieee_overflow 0
		.amdhsa_exception_fp_ieee_underflow 0
		.amdhsa_exception_fp_ieee_inexact 0
		.amdhsa_exception_int_div_zero 0
	.end_amdhsa_kernel
	.section	.text._ZL32rocblas_gemvt_warp_reduce_kernelILb1ELi1024EiDF16_PKffEviiT3_lPKT2_lT1_lS5_lS6_lS2_lPT4_lS6_li,"axG",@progbits,_ZL32rocblas_gemvt_warp_reduce_kernelILb1ELi1024EiDF16_PKffEviiT3_lPKT2_lT1_lS5_lS6_lS2_lPT4_lS6_li,comdat
.Lfunc_end500:
	.size	_ZL32rocblas_gemvt_warp_reduce_kernelILb1ELi1024EiDF16_PKffEviiT3_lPKT2_lT1_lS5_lS6_lS2_lPT4_lS6_li, .Lfunc_end500-_ZL32rocblas_gemvt_warp_reduce_kernelILb1ELi1024EiDF16_PKffEviiT3_lPKT2_lT1_lS5_lS6_lS2_lPT4_lS6_li
                                        ; -- End function
	.set _ZL32rocblas_gemvt_warp_reduce_kernelILb1ELi1024EiDF16_PKffEviiT3_lPKT2_lT1_lS5_lS6_lS2_lPT4_lS6_li.num_vgpr, 21
	.set _ZL32rocblas_gemvt_warp_reduce_kernelILb1ELi1024EiDF16_PKffEviiT3_lPKT2_lT1_lS5_lS6_lS2_lPT4_lS6_li.num_agpr, 0
	.set _ZL32rocblas_gemvt_warp_reduce_kernelILb1ELi1024EiDF16_PKffEviiT3_lPKT2_lT1_lS5_lS6_lS2_lPT4_lS6_li.numbered_sgpr, 44
	.set _ZL32rocblas_gemvt_warp_reduce_kernelILb1ELi1024EiDF16_PKffEviiT3_lPKT2_lT1_lS5_lS6_lS2_lPT4_lS6_li.num_named_barrier, 0
	.set _ZL32rocblas_gemvt_warp_reduce_kernelILb1ELi1024EiDF16_PKffEviiT3_lPKT2_lT1_lS5_lS6_lS2_lPT4_lS6_li.private_seg_size, 0
	.set _ZL32rocblas_gemvt_warp_reduce_kernelILb1ELi1024EiDF16_PKffEviiT3_lPKT2_lT1_lS5_lS6_lS2_lPT4_lS6_li.uses_vcc, 1
	.set _ZL32rocblas_gemvt_warp_reduce_kernelILb1ELi1024EiDF16_PKffEviiT3_lPKT2_lT1_lS5_lS6_lS2_lPT4_lS6_li.uses_flat_scratch, 0
	.set _ZL32rocblas_gemvt_warp_reduce_kernelILb1ELi1024EiDF16_PKffEviiT3_lPKT2_lT1_lS5_lS6_lS2_lPT4_lS6_li.has_dyn_sized_stack, 0
	.set _ZL32rocblas_gemvt_warp_reduce_kernelILb1ELi1024EiDF16_PKffEviiT3_lPKT2_lT1_lS5_lS6_lS2_lPT4_lS6_li.has_recursion, 0
	.set _ZL32rocblas_gemvt_warp_reduce_kernelILb1ELi1024EiDF16_PKffEviiT3_lPKT2_lT1_lS5_lS6_lS2_lPT4_lS6_li.has_indirect_call, 0
	.section	.AMDGPU.csdata,"",@progbits
; Kernel info:
; codeLenInByte = 1436
; TotalNumSgprs: 46
; NumVgprs: 21
; ScratchSize: 0
; MemoryBound: 0
; FloatMode: 240
; IeeeMode: 1
; LDSByteSize: 128 bytes/workgroup (compile time only)
; SGPRBlocks: 0
; VGPRBlocks: 1
; NumSGPRsForWavesPerEU: 46
; NumVGPRsForWavesPerEU: 21
; NamedBarCnt: 0
; Occupancy: 16
; WaveLimiterHint : 0
; COMPUTE_PGM_RSRC2:SCRATCH_EN: 0
; COMPUTE_PGM_RSRC2:USER_SGPR: 2
; COMPUTE_PGM_RSRC2:TRAP_HANDLER: 0
; COMPUTE_PGM_RSRC2:TGID_X_EN: 1
; COMPUTE_PGM_RSRC2:TGID_Y_EN: 0
; COMPUTE_PGM_RSRC2:TGID_Z_EN: 1
; COMPUTE_PGM_RSRC2:TIDIG_COMP_CNT: 0
	.section	.text._ZL32rocblas_gemvt_warp_reduce_kernelILb1ELi1024ElDF16_PKffEviiT3_lPKT2_lT1_lS5_lS6_lS2_lPT4_lS6_li,"axG",@progbits,_ZL32rocblas_gemvt_warp_reduce_kernelILb1ELi1024ElDF16_PKffEviiT3_lPKT2_lT1_lS5_lS6_lS2_lPT4_lS6_li,comdat
	.globl	_ZL32rocblas_gemvt_warp_reduce_kernelILb1ELi1024ElDF16_PKffEviiT3_lPKT2_lT1_lS5_lS6_lS2_lPT4_lS6_li ; -- Begin function _ZL32rocblas_gemvt_warp_reduce_kernelILb1ELi1024ElDF16_PKffEviiT3_lPKT2_lT1_lS5_lS6_lS2_lPT4_lS6_li
	.p2align	8
	.type	_ZL32rocblas_gemvt_warp_reduce_kernelILb1ELi1024ElDF16_PKffEviiT3_lPKT2_lT1_lS5_lS6_lS2_lPT4_lS6_li,@function
_ZL32rocblas_gemvt_warp_reduce_kernelILb1ELi1024ElDF16_PKffEviiT3_lPKT2_lT1_lS5_lS6_lS2_lPT4_lS6_li: ; @_ZL32rocblas_gemvt_warp_reduce_kernelILb1ELi1024ElDF16_PKffEviiT3_lPKT2_lT1_lS5_lS6_lS2_lPT4_lS6_li
; %bb.0:
	s_load_b32 s30, s[0:1], 0x88
	s_bfe_u32 s2, ttmp6, 0x40014
	s_lshr_b32 s3, ttmp7, 16
	s_add_co_i32 s2, s2, 1
	s_bfe_u32 s5, ttmp6, 0x40008
	s_mul_i32 s4, s3, s2
	s_getreg_b32 s2, hwreg(HW_REG_IB_STS2, 6, 4)
	s_add_co_i32 s5, s5, s4
	s_cmp_eq_u32 s2, 0
	s_mov_b32 s7, 0
	s_cselect_b32 s6, s3, s5
	s_wait_kmcnt 0x0
	s_cmp_ge_u32 s6, s30
	s_cbranch_scc1 .LBB501_34
; %bb.1:
	s_clause 0x2
	s_load_b512 s[8:23], s[0:1], 0x8
	s_load_b512 s[36:51], s[0:1], 0x48
	s_load_b32 s28, s[0:1], 0x0
	s_wait_xcnt 0x0
	s_bfe_u32 s0, ttmp6, 0x4000c
	s_and_b32 s1, ttmp6, 15
	s_add_co_i32 s0, s0, 1
	v_mbcnt_lo_u32_b32 v16, -1, 0
	s_mul_i32 s0, ttmp9, s0
	s_delay_alu instid0(SALU_CYCLE_1)
	s_add_co_i32 s3, s1, s0
	s_wait_kmcnt 0x0
	s_lshl_b64 s[0:1], s[22:23], 1
	s_lshl_b64 s[4:5], s[46:47], 2
	;; [unrolled: 1-line block ×3, first 2 shown]
	s_cmp_eq_u32 s2, 0
	v_cmp_gt_i32_e32 vcc_lo, s28, v0
	s_cselect_b32 s2, ttmp9, s3
	s_ashr_i32 s3, s28, 31
	s_add_nc_u64 s[22:23], s[12:13], s[24:25]
	s_lshr_b32 s3, s3, 22
	s_add_nc_u64 s[20:21], s[20:21], s[0:1]
	s_add_co_i32 s3, s28, s3
	v_cmp_eq_u32_e64 s0, 0, v0
	s_and_b32 s14, s3, 0xfffffc00
	s_delay_alu instid0(SALU_CYCLE_1) | instskip(SKIP_3) | instid1(VALU_DEP_3)
	v_dual_mov_b32 v3, 0 :: v_dual_bitop2_b32 v8, s14, v0 bitop3:0x54
	v_cndmask_b32_e32 v2, 0, v0, vcc_lo
	s_ashr_i32 s3, s2, 31
	v_cmp_gt_i32_e64 s1, s14, v0
	v_dual_mov_b32 v1, v3 :: v_dual_ashrrev_i32 v9, 31, v8
	s_delay_alu instid0(VALU_DEP_3) | instskip(SKIP_2) | instid1(VALU_DEP_2)
	v_lshlrev_b32_e32 v2, 1, v2
	s_mul_u64 s[26:27], s[48:49], s[2:3]
	s_ashr_i32 s15, s14, 31
	v_mul_u64_e32 v[10:11], s[36:37], v[0:1]
	v_mul_u64_e32 v[4:5], s[36:37], v[8:9]
	v_add_nc_u64_e32 v[6:7], s[22:23], v[2:3]
	s_add_nc_u64 s[22:23], s[44:45], s[4:5]
	s_mul_u64 s[4:5], s[16:17], s[2:3]
	v_and_b32_e32 v9, 31, v0
	s_lshl_b64 s[4:5], s[4:5], 1
	v_cmp_gt_i32_e64 s2, s28, v8
	v_lshrrev_b32_e32 v8, 3, v0
	s_add_nc_u64 s[16:17], s[4:5], s[24:25]
	v_add_nc_u64_e32 v[6:7], s[4:5], v[6:7]
	s_add_nc_u64 s[12:13], s[12:13], s[16:17]
	v_lshlrev_b32_e32 v1, 2, v9
	v_cmp_eq_u32_e64 s4, 0, v9
	v_and_b32_e32 v17, 0x7c, v8
	v_add_nc_u64_e32 v[8:9], s[12:13], v[2:3]
	v_cmp_gt_u32_e64 s3, 32, v0
	v_lshl_or_b32 v2, v16, 2, 64
	s_lshl_b64 s[12:13], s[18:19], 1
	s_lshl_b64 s[16:17], s[38:39], 1
	;; [unrolled: 1-line block ×4, first 2 shown]
	v_lshl_add_u64 v[10:11], v[10:11], 1, s[20:21]
	s_branch .LBB501_4
.LBB501_2:                              ;   in Loop: Header=BB501_4 Depth=1
	s_wait_xcnt 0x0
	s_or_b32 exec_lo, exec_lo, s5
.LBB501_3:                              ;   in Loop: Header=BB501_4 Depth=1
	s_add_co_i32 s6, s6, 0x10000
	s_delay_alu instid0(SALU_CYCLE_1)
	s_cmp_lt_u32 s6, s30
	s_cbranch_scc0 .LBB501_34
.LBB501_4:                              ; =>This Loop Header: Depth=1
                                        ;     Child Loop BB501_23 Depth 2
	s_mul_u64 s[28:29], s[10:11], s[6:7]
	s_wait_xcnt 0x0
	s_mul_u64 s[34:35], s[42:43], s[6:7]
	s_lshl_b64 s[28:29], s[28:29], 2
	s_lshl_b64 s[34:35], s[34:35], 2
	s_add_nc_u64 s[28:29], s[8:9], s[28:29]
	s_add_nc_u64 s[34:35], s[40:41], s[34:35]
	s_clause 0x1
	global_load_b32 v18, v3, s[28:29]
	global_load_b32 v12, v3, s[34:35]
	s_wait_loadcnt 0x1
	v_cmp_eq_f32_e32 vcc_lo, 0, v18
	s_wait_loadcnt 0x0
	v_cmp_eq_f32_e64 s5, 1.0, v12
	s_wait_xcnt 0x1
	s_and_b32 s28, vcc_lo, s5
	v_readfirstlane_b32 s5, v12
	s_and_b32 vcc_lo, exec_lo, s28
	s_cbranch_vccnz .LBB501_3
; %bb.5:                                ;   in Loop: Header=BB501_4 Depth=1
	v_cmp_neq_f32_e32 vcc_lo, 0, v18
	s_mul_u64 s[28:29], s[50:51], s[6:7]
	s_delay_alu instid0(SALU_CYCLE_1) | instskip(NEXT) | instid1(SALU_CYCLE_1)
	s_lshl_b64 s[28:29], s[28:29], 2
	s_add_nc_u64 s[28:29], s[22:23], s[28:29]
	s_cbranch_vccnz .LBB501_9
; %bb.6:                                ;   in Loop: Header=BB501_4 Depth=1
	s_mov_b32 s33, 0
	s_mov_b32 s31, 0
                                        ; implicit-def: $vgpr12
	s_wait_xcnt 0x0
	s_and_saveexec_b32 s34, s0
	s_cbranch_execz .LBB501_10
; %bb.7:                                ;   in Loop: Header=BB501_4 Depth=1
	s_cmp_eq_f32 s5, 0
	s_cbranch_scc1 .LBB501_11
; %bb.8:                                ;   in Loop: Header=BB501_4 Depth=1
	s_add_nc_u64 s[36:37], s[28:29], s[26:27]
	global_load_b32 v12, v3, s[36:37]
	s_wait_loadcnt 0x0
	v_mul_f32_e32 v12, s5, v12
	s_branch .LBB501_12
.LBB501_9:                              ;   in Loop: Header=BB501_4 Depth=1
	s_mov_b32 s31, 0
                                        ; implicit-def: $vgpr12
	s_cbranch_execnz .LBB501_13
	s_branch .LBB501_32
.LBB501_10:                             ;   in Loop: Header=BB501_4 Depth=1
	s_or_b32 exec_lo, exec_lo, s34
	s_delay_alu instid0(SALU_CYCLE_1)
	s_and_b32 vcc_lo, exec_lo, s33
	s_cbranch_vccnz .LBB501_13
	s_branch .LBB501_32
.LBB501_11:                             ;   in Loop: Header=BB501_4 Depth=1
	v_mov_b32_e32 v12, 0
.LBB501_12:                             ;   in Loop: Header=BB501_4 Depth=1
	s_mov_b32 s31, exec_lo
	s_wait_xcnt 0x0
	s_or_b32 exec_lo, exec_lo, s34
	s_delay_alu instid0(SALU_CYCLE_1)
	s_and_b32 vcc_lo, exec_lo, s33
	s_cbranch_vccz .LBB501_32
.LBB501_13:                             ;   in Loop: Header=BB501_4 Depth=1
	s_wait_dscnt 0x0
	v_mov_b32_e32 v19, 0
	s_wait_xcnt 0x0
	s_and_saveexec_b32 s33, s1
	s_cbranch_execnz .LBB501_22
; %bb.14:                               ;   in Loop: Header=BB501_4 Depth=1
	s_or_b32 exec_lo, exec_lo, s33
	s_and_saveexec_b32 s33, s2
	s_cbranch_execnz .LBB501_25
.LBB501_15:                             ;   in Loop: Header=BB501_4 Depth=1
	s_or_b32 exec_lo, exec_lo, s33
	s_and_saveexec_b32 s33, s3
.LBB501_16:                             ;   in Loop: Header=BB501_4 Depth=1
	ds_store_b32 v1, v3
.LBB501_17:                             ;   in Loop: Header=BB501_4 Depth=1
	s_or_b32 exec_lo, exec_lo, s33
	ds_bpermute_b32 v13, v2, v19
	v_cmp_gt_u32_e32 vcc_lo, 24, v16
	s_wait_dscnt 0x0
	s_barrier_signal -1
	s_barrier_wait -1
	v_cndmask_b32_e64 v12, 0, 8, vcc_lo
	v_cmp_gt_u32_e32 vcc_lo, 28, v16
	s_delay_alu instid0(VALU_DEP_2)
	v_add_lshl_u32 v12, v12, v16, 2
	v_add_f32_e32 v14, v19, v13
	v_cndmask_b32_e64 v13, 0, 4, vcc_lo
	v_cmp_gt_u32_e32 vcc_lo, 30, v16
	ds_bpermute_b32 v15, v12, v14
	v_add_lshl_u32 v13, v13, v16, 2
	s_wait_dscnt 0x0
	v_add_f32_e32 v15, v14, v15
	v_cndmask_b32_e64 v14, 0, 2, vcc_lo
	v_cmp_ne_u32_e32 vcc_lo, 31, v16
	ds_bpermute_b32 v19, v13, v15
	v_add_lshl_u32 v14, v14, v16, 2
	v_add_co_ci_u32_e64 v20, null, 0, v16, vcc_lo
	s_wait_dscnt 0x0
	v_add_f32_e32 v15, v15, v19
	ds_bpermute_b32 v19, v14, v15
	s_wait_dscnt 0x0
	v_dual_add_f32 v19, v15, v19 :: v_dual_lshlrev_b32 v15, 2, v20
	ds_bpermute_b32 v20, v15, v19
	s_and_saveexec_b32 s33, s4
	s_cbranch_execz .LBB501_19
; %bb.18:                               ;   in Loop: Header=BB501_4 Depth=1
	s_wait_dscnt 0x0
	v_add_f32_e32 v19, v19, v20
	ds_store_b32 v17, v19
.LBB501_19:                             ;   in Loop: Header=BB501_4 Depth=1
	s_or_b32 exec_lo, exec_lo, s33
	v_mov_b32_e32 v19, 0
	s_wait_dscnt 0x0
	s_barrier_signal -1
	s_barrier_wait -1
	s_and_saveexec_b32 s33, s3
	s_cbranch_execnz .LBB501_26
; %bb.20:                               ;   in Loop: Header=BB501_4 Depth=1
	s_or_b32 exec_lo, exec_lo, s33
	s_and_saveexec_b32 s33, s3
	s_cbranch_execnz .LBB501_27
.LBB501_21:                             ;   in Loop: Header=BB501_4 Depth=1
	s_or_b32 exec_lo, exec_lo, s33
                                        ; implicit-def: $vgpr12
	s_and_saveexec_b32 s33, s0
	s_cbranch_execnz .LBB501_28
	s_branch .LBB501_31
.LBB501_22:                             ;   in Loop: Header=BB501_4 Depth=1
	v_mad_nc_u64_u32 v[12:13], s12, s6, v[8:9]
	v_mad_nc_u64_u32 v[14:15], s16, s6, v[10:11]
	v_dual_mov_b32 v19, 0 :: v_dual_mov_b32 v20, v0
	s_mov_b32 s34, 0
	s_delay_alu instid0(VALU_DEP_3) | instskip(NEXT) | instid1(VALU_DEP_3)
	v_mad_u32 v13, s13, s6, v13
	v_mad_u32 v15, s17, s6, v15
.LBB501_23:                             ;   Parent Loop BB501_4 Depth=1
                                        ; =>  This Inner Loop Header: Depth=2
	global_load_u16 v21, v[12:13], off
	global_load_u16 v22, v[14:15], off
	s_wait_xcnt 0x1
	v_add_nc_u64_e32 v[12:13], 0x800, v[12:13]
	s_wait_xcnt 0x0
	v_add_nc_u64_e32 v[14:15], s[24:25], v[14:15]
	s_wait_loadcnt 0x0
	v_mul_f16_e32 v21, v21, v22
	s_delay_alu instid0(VALU_DEP_1) | instskip(NEXT) | instid1(VALU_DEP_1)
	v_cvt_f32_f16_e32 v21, v21
	v_dual_add_f32 v19, v19, v21 :: v_dual_add_nc_u32 v20, 0x400, v20
	s_delay_alu instid0(VALU_DEP_1) | instskip(SKIP_1) | instid1(SALU_CYCLE_1)
	v_cmp_le_i32_e32 vcc_lo, s14, v20
	s_or_b32 s34, vcc_lo, s34
	s_and_not1_b32 exec_lo, exec_lo, s34
	s_cbranch_execnz .LBB501_23
; %bb.24:                               ;   in Loop: Header=BB501_4 Depth=1
	s_or_b32 exec_lo, exec_lo, s34
	s_delay_alu instid0(SALU_CYCLE_1)
	s_or_b32 exec_lo, exec_lo, s33
	s_and_saveexec_b32 s33, s2
	s_cbranch_execz .LBB501_15
.LBB501_25:                             ;   in Loop: Header=BB501_4 Depth=1
	s_mul_u64 s[34:35], s[18:19], s[6:7]
	s_mul_u64 s[36:37], s[38:39], s[6:7]
	v_lshl_add_u64 v[12:13], s[34:35], 1, v[6:7]
	s_lshl_b64 s[34:35], s[36:37], 1
	s_delay_alu instid0(SALU_CYCLE_1) | instskip(NEXT) | instid1(SALU_CYCLE_1)
	s_add_nc_u64 s[34:35], s[20:21], s[34:35]
	v_lshl_add_u64 v[14:15], v[4:5], 1, s[34:35]
	s_delay_alu instid0(VALU_DEP_2)
	v_lshl_add_u64 v[12:13], s[14:15], 1, v[12:13]
	global_load_u16 v20, v[12:13], off
	global_load_u16 v21, v[14:15], off
	s_wait_loadcnt 0x0
	s_wait_xcnt 0x1
	v_mul_f16_e32 v12, v20, v21
	s_delay_alu instid0(VALU_DEP_1) | instskip(NEXT) | instid1(VALU_DEP_1)
	v_cvt_f32_f16_e32 v12, v12
	v_add_f32_e32 v19, v19, v12
	s_wait_xcnt 0x0
	s_or_b32 exec_lo, exec_lo, s33
	s_and_saveexec_b32 s33, s3
	s_cbranch_execnz .LBB501_16
	s_branch .LBB501_17
.LBB501_26:                             ;   in Loop: Header=BB501_4 Depth=1
	ds_load_b32 v19, v1
	s_or_b32 exec_lo, exec_lo, s33
	s_and_saveexec_b32 s33, s3
	s_cbranch_execz .LBB501_21
.LBB501_27:                             ;   in Loop: Header=BB501_4 Depth=1
	s_wait_dscnt 0x0
	ds_bpermute_b32 v20, v2, v19
	s_wait_dscnt 0x0
	v_add_f32_e32 v19, v19, v20
	ds_bpermute_b32 v12, v12, v19
	s_wait_dscnt 0x0
	v_add_f32_e32 v12, v19, v12
	;; [unrolled: 3-line block ×5, first 2 shown]
	s_or_b32 exec_lo, exec_lo, s33
                                        ; implicit-def: $vgpr12
	s_and_saveexec_b32 s33, s0
	s_cbranch_execz .LBB501_31
.LBB501_28:                             ;   in Loop: Header=BB501_4 Depth=1
	s_wait_dscnt 0x0
	v_mul_f32_e32 v12, v18, v19
	s_cmp_eq_f32 s5, 0
	s_cbranch_scc1 .LBB501_30
; %bb.29:                               ;   in Loop: Header=BB501_4 Depth=1
	s_add_nc_u64 s[34:35], s[28:29], s[26:27]
	global_load_b32 v13, v3, s[34:35]
	s_wait_loadcnt 0x0
	v_fmac_f32_e32 v12, s5, v13
.LBB501_30:                             ;   in Loop: Header=BB501_4 Depth=1
	s_or_b32 s31, s31, exec_lo
.LBB501_31:                             ;   in Loop: Header=BB501_4 Depth=1
	s_wait_xcnt 0x0
	s_or_b32 exec_lo, exec_lo, s33
.LBB501_32:                             ;   in Loop: Header=BB501_4 Depth=1
	s_wait_xcnt 0x0
	s_and_saveexec_b32 s5, s31
	s_cbranch_execz .LBB501_2
; %bb.33:                               ;   in Loop: Header=BB501_4 Depth=1
	s_add_nc_u64 s[28:29], s[28:29], s[26:27]
	global_store_b32 v3, v12, s[28:29]
	s_branch .LBB501_2
.LBB501_34:
	s_endpgm
	.section	.rodata,"a",@progbits
	.p2align	6, 0x0
	.amdhsa_kernel _ZL32rocblas_gemvt_warp_reduce_kernelILb1ELi1024ElDF16_PKffEviiT3_lPKT2_lT1_lS5_lS6_lS2_lPT4_lS6_li
		.amdhsa_group_segment_fixed_size 128
		.amdhsa_private_segment_fixed_size 0
		.amdhsa_kernarg_size 140
		.amdhsa_user_sgpr_count 2
		.amdhsa_user_sgpr_dispatch_ptr 0
		.amdhsa_user_sgpr_queue_ptr 0
		.amdhsa_user_sgpr_kernarg_segment_ptr 1
		.amdhsa_user_sgpr_dispatch_id 0
		.amdhsa_user_sgpr_kernarg_preload_length 0
		.amdhsa_user_sgpr_kernarg_preload_offset 0
		.amdhsa_user_sgpr_private_segment_size 0
		.amdhsa_wavefront_size32 1
		.amdhsa_uses_dynamic_stack 0
		.amdhsa_enable_private_segment 0
		.amdhsa_system_sgpr_workgroup_id_x 1
		.amdhsa_system_sgpr_workgroup_id_y 0
		.amdhsa_system_sgpr_workgroup_id_z 1
		.amdhsa_system_sgpr_workgroup_info 0
		.amdhsa_system_vgpr_workitem_id 0
		.amdhsa_next_free_vgpr 23
		.amdhsa_next_free_sgpr 52
		.amdhsa_named_barrier_count 0
		.amdhsa_reserve_vcc 1
		.amdhsa_float_round_mode_32 0
		.amdhsa_float_round_mode_16_64 0
		.amdhsa_float_denorm_mode_32 3
		.amdhsa_float_denorm_mode_16_64 3
		.amdhsa_fp16_overflow 0
		.amdhsa_memory_ordered 1
		.amdhsa_forward_progress 1
		.amdhsa_inst_pref_size 12
		.amdhsa_round_robin_scheduling 0
		.amdhsa_exception_fp_ieee_invalid_op 0
		.amdhsa_exception_fp_denorm_src 0
		.amdhsa_exception_fp_ieee_div_zero 0
		.amdhsa_exception_fp_ieee_overflow 0
		.amdhsa_exception_fp_ieee_underflow 0
		.amdhsa_exception_fp_ieee_inexact 0
		.amdhsa_exception_int_div_zero 0
	.end_amdhsa_kernel
	.section	.text._ZL32rocblas_gemvt_warp_reduce_kernelILb1ELi1024ElDF16_PKffEviiT3_lPKT2_lT1_lS5_lS6_lS2_lPT4_lS6_li,"axG",@progbits,_ZL32rocblas_gemvt_warp_reduce_kernelILb1ELi1024ElDF16_PKffEviiT3_lPKT2_lT1_lS5_lS6_lS2_lPT4_lS6_li,comdat
.Lfunc_end501:
	.size	_ZL32rocblas_gemvt_warp_reduce_kernelILb1ELi1024ElDF16_PKffEviiT3_lPKT2_lT1_lS5_lS6_lS2_lPT4_lS6_li, .Lfunc_end501-_ZL32rocblas_gemvt_warp_reduce_kernelILb1ELi1024ElDF16_PKffEviiT3_lPKT2_lT1_lS5_lS6_lS2_lPT4_lS6_li
                                        ; -- End function
	.set _ZL32rocblas_gemvt_warp_reduce_kernelILb1ELi1024ElDF16_PKffEviiT3_lPKT2_lT1_lS5_lS6_lS2_lPT4_lS6_li.num_vgpr, 23
	.set _ZL32rocblas_gemvt_warp_reduce_kernelILb1ELi1024ElDF16_PKffEviiT3_lPKT2_lT1_lS5_lS6_lS2_lPT4_lS6_li.num_agpr, 0
	.set _ZL32rocblas_gemvt_warp_reduce_kernelILb1ELi1024ElDF16_PKffEviiT3_lPKT2_lT1_lS5_lS6_lS2_lPT4_lS6_li.numbered_sgpr, 52
	.set _ZL32rocblas_gemvt_warp_reduce_kernelILb1ELi1024ElDF16_PKffEviiT3_lPKT2_lT1_lS5_lS6_lS2_lPT4_lS6_li.num_named_barrier, 0
	.set _ZL32rocblas_gemvt_warp_reduce_kernelILb1ELi1024ElDF16_PKffEviiT3_lPKT2_lT1_lS5_lS6_lS2_lPT4_lS6_li.private_seg_size, 0
	.set _ZL32rocblas_gemvt_warp_reduce_kernelILb1ELi1024ElDF16_PKffEviiT3_lPKT2_lT1_lS5_lS6_lS2_lPT4_lS6_li.uses_vcc, 1
	.set _ZL32rocblas_gemvt_warp_reduce_kernelILb1ELi1024ElDF16_PKffEviiT3_lPKT2_lT1_lS5_lS6_lS2_lPT4_lS6_li.uses_flat_scratch, 0
	.set _ZL32rocblas_gemvt_warp_reduce_kernelILb1ELi1024ElDF16_PKffEviiT3_lPKT2_lT1_lS5_lS6_lS2_lPT4_lS6_li.has_dyn_sized_stack, 0
	.set _ZL32rocblas_gemvt_warp_reduce_kernelILb1ELi1024ElDF16_PKffEviiT3_lPKT2_lT1_lS5_lS6_lS2_lPT4_lS6_li.has_recursion, 0
	.set _ZL32rocblas_gemvt_warp_reduce_kernelILb1ELi1024ElDF16_PKffEviiT3_lPKT2_lT1_lS5_lS6_lS2_lPT4_lS6_li.has_indirect_call, 0
	.section	.AMDGPU.csdata,"",@progbits
; Kernel info:
; codeLenInByte = 1420
; TotalNumSgprs: 54
; NumVgprs: 23
; ScratchSize: 0
; MemoryBound: 0
; FloatMode: 240
; IeeeMode: 1
; LDSByteSize: 128 bytes/workgroup (compile time only)
; SGPRBlocks: 0
; VGPRBlocks: 1
; NumSGPRsForWavesPerEU: 54
; NumVGPRsForWavesPerEU: 23
; NamedBarCnt: 0
; Occupancy: 16
; WaveLimiterHint : 0
; COMPUTE_PGM_RSRC2:SCRATCH_EN: 0
; COMPUTE_PGM_RSRC2:USER_SGPR: 2
; COMPUTE_PGM_RSRC2:TRAP_HANDLER: 0
; COMPUTE_PGM_RSRC2:TGID_X_EN: 1
; COMPUTE_PGM_RSRC2:TGID_Y_EN: 0
; COMPUTE_PGM_RSRC2:TGID_Z_EN: 1
; COMPUTE_PGM_RSRC2:TIDIG_COMP_CNT: 0
	.section	.text._ZL32rocblas_gemvt_warp_reduce_kernelILb1ELi1024EiDF16_ffEviiT3_lPKT2_lT1_lS3_lS4_lS0_lPT4_lS4_li,"axG",@progbits,_ZL32rocblas_gemvt_warp_reduce_kernelILb1ELi1024EiDF16_ffEviiT3_lPKT2_lT1_lS3_lS4_lS0_lPT4_lS4_li,comdat
	.globl	_ZL32rocblas_gemvt_warp_reduce_kernelILb1ELi1024EiDF16_ffEviiT3_lPKT2_lT1_lS3_lS4_lS0_lPT4_lS4_li ; -- Begin function _ZL32rocblas_gemvt_warp_reduce_kernelILb1ELi1024EiDF16_ffEviiT3_lPKT2_lT1_lS3_lS4_lS0_lPT4_lS4_li
	.p2align	8
	.type	_ZL32rocblas_gemvt_warp_reduce_kernelILb1ELi1024EiDF16_ffEviiT3_lPKT2_lT1_lS3_lS4_lS0_lPT4_lS4_li,@function
_ZL32rocblas_gemvt_warp_reduce_kernelILb1ELi1024EiDF16_ffEviiT3_lPKT2_lT1_lS3_lS4_lS0_lPT4_lS4_li: ; @_ZL32rocblas_gemvt_warp_reduce_kernelILb1ELi1024EiDF16_ffEviiT3_lPKT2_lT1_lS3_lS4_lS0_lPT4_lS4_li
; %bb.0:
	s_load_b32 s19, s[0:1], 0x88
	s_bfe_u32 s2, ttmp6, 0x40014
	s_lshr_b32 s4, ttmp7, 16
	s_add_co_i32 s2, s2, 1
	s_bfe_u32 s5, ttmp6, 0x40008
	s_mul_i32 s2, s4, s2
	s_getreg_b32 s3, hwreg(HW_REG_IB_STS2, 6, 4)
	s_add_co_i32 s5, s5, s2
	s_cmp_eq_u32 s3, 0
	s_mov_b32 s25, 0
	s_cselect_b32 s24, s4, s5
	s_wait_kmcnt 0x0
	s_cmp_ge_u32 s24, s19
	s_cbranch_scc1 .LBB502_34
; %bb.1:
	s_clause 0x7
	s_load_b96 s[20:22], s[0:1], 0x40
	s_load_b128 s[12:15], s[0:1], 0x68
	s_load_b128 s[4:7], s[0:1], 0x18
	s_load_b32 s30, s[0:1], 0x8
	s_load_b96 s[16:18], s[0:1], 0x50
	s_load_b128 s[8:11], s[0:1], 0x30
	s_load_b32 s23, s[0:1], 0x0
	s_load_b32 s28, s[0:1], 0x28
	v_dual_mov_b32 v3, 0 :: v_dual_bitop2_b32 v2, 31, v0 bitop3:0x40
	v_lshrrev_b32_e32 v4, 3, v0
	v_mbcnt_lo_u32_b32 v1, -1, 0
	s_delay_alu instid0(VALU_DEP_3) | instskip(SKIP_1) | instid1(VALU_DEP_4)
	v_lshlrev_b32_e32 v12, 2, v2
	v_cmp_eq_u32_e64 s2, 0, v2
	v_and_b32_e32 v13, 0x7c, v4
	s_wait_kmcnt 0x0
	s_lshl_b64 s[26:27], s[20:21], 1
	s_lshl_b64 s[14:15], s[14:15], 2
	;; [unrolled: 1-line block ×3, first 2 shown]
	s_cmp_eq_f32 s30, 0
	s_add_nc_u64 s[12:13], s[12:13], s[14:15]
	s_clause 0x1
	s_load_b32 s29, s[0:1], 0x78
	s_load_b64 s[6:7], s[0:1], 0x80
	v_cmp_gt_i32_e32 vcc_lo, s23, v0
	s_cselect_b32 s31, -1, 0
	s_cmp_neq_f32 s30, 0
	s_add_nc_u64 s[10:11], s[10:11], s[26:27]
	s_add_nc_u64 s[26:27], s[4:5], s[20:21]
	v_mul_lo_u32 v14, v0, s22
	s_cselect_b32 s33, -1, 0
	s_cmp_neq_f32 s18, 1.0
	s_wait_xcnt 0x0
	v_cmp_eq_u32_e64 s0, 0, v0
	v_cmp_gt_u32_e64 s1, 32, v0
	s_cselect_b32 s34, -1, 0
	s_delay_alu instid0(SALU_CYCLE_1)
	s_or_b32 s33, s33, s34
	s_cmp_neq_f32 s18, 0
	s_cselect_b32 s34, -1, 0
	s_bfe_u32 s35, ttmp6, 0x4000c
	s_and_b32 s36, ttmp6, 15
	s_add_co_i32 s35, s35, 1
	s_delay_alu instid0(SALU_CYCLE_1) | instskip(NEXT) | instid1(SALU_CYCLE_1)
	s_mul_i32 s35, ttmp9, s35
	s_add_co_i32 s36, s36, s35
	s_cmp_eq_u32 s3, 0
	s_cselect_b32 s3, ttmp9, s36
	s_ashr_i32 s14, s23, 31
	s_delay_alu instid0(SALU_CYCLE_1) | instskip(NEXT) | instid1(SALU_CYCLE_1)
	s_lshr_b32 s14, s14, 22
	s_add_co_i32 s14, s23, s14
	s_delay_alu instid0(SALU_CYCLE_1) | instskip(NEXT) | instid1(SALU_CYCLE_1)
	s_and_b32 s14, s14, 0xfffffc00
	v_dual_cndmask_b32 v2, 0, v0, vcc_lo :: v_dual_bitop2_b32 v5, s14, v0 bitop3:0x54
	s_ashr_i32 s15, s14, 31
	s_delay_alu instid0(VALU_DEP_1) | instskip(NEXT) | instid1(VALU_DEP_2)
	v_mul_lo_u32 v4, s22, v5
	v_lshlrev_b32_e32 v2, 1, v2
	s_delay_alu instid0(VALU_DEP_1)
	v_add_nc_u64_e32 v[6:7], s[26:27], v[2:3]
	s_mul_i32 s26, s28, s3
	s_wait_kmcnt 0x0
	s_mul_i32 s28, s29, s3
	s_ashr_i32 s27, s26, 31
	v_cmp_gt_i32_e64 s3, s14, v0
	s_lshl_b64 s[26:27], s[26:27], 1
	s_ashr_i32 s29, s28, 31
	s_add_nc_u64 s[20:21], s[20:21], s[26:27]
	v_add_nc_u64_e32 v[6:7], s[26:27], v[6:7]
	s_add_nc_u64 s[4:5], s[4:5], s[20:21]
	s_lshl_b64 s[20:21], s[8:9], 1
	v_add_nc_u64_e32 v[8:9], s[4:5], v[2:3]
	v_cmp_gt_i32_e64 s4, s23, v5
	v_ashrrev_i32_e32 v5, 31, v4
	v_lshl_or_b32 v2, v1, 2, 64
	s_lshl_b32 s5, s22, 10
	s_lshl_b64 s[22:23], s[28:29], 2
	s_branch .LBB502_4
.LBB502_2:                              ;   in Loop: Header=BB502_4 Depth=1
	s_wait_xcnt 0x0
	s_or_b32 exec_lo, exec_lo, s28
.LBB502_3:                              ;   in Loop: Header=BB502_4 Depth=1
	s_add_co_i32 s24, s24, 0x10000
	s_delay_alu instid0(SALU_CYCLE_1)
	s_cmp_lt_u32 s24, s19
	s_cbranch_scc0 .LBB502_34
.LBB502_4:                              ; =>This Loop Header: Depth=1
                                        ;     Child Loop BB502_23 Depth 2
	s_and_not1_b32 vcc_lo, exec_lo, s33
	s_cbranch_vccnz .LBB502_3
; %bb.5:                                ;   in Loop: Header=BB502_4 Depth=1
	s_mul_u64 s[26:27], s[6:7], s[24:25]
	s_and_not1_b32 vcc_lo, exec_lo, s31
	s_lshl_b64 s[26:27], s[26:27], 2
	s_delay_alu instid0(SALU_CYCLE_1)
	s_add_nc_u64 s[26:27], s[12:13], s[26:27]
	s_cbranch_vccnz .LBB502_9
; %bb.6:                                ;   in Loop: Header=BB502_4 Depth=1
	s_mov_b32 s28, 0
	s_mov_b32 s35, 0
                                        ; implicit-def: $vgpr10
	s_and_saveexec_b32 s29, s0
	s_cbranch_execz .LBB502_10
; %bb.7:                                ;   in Loop: Header=BB502_4 Depth=1
	s_and_not1_b32 vcc_lo, exec_lo, s34
	s_cbranch_vccnz .LBB502_11
; %bb.8:                                ;   in Loop: Header=BB502_4 Depth=1
	s_add_nc_u64 s[36:37], s[26:27], s[22:23]
	global_load_b32 v10, v3, s[36:37]
	s_wait_loadcnt 0x0
	v_mul_f32_e32 v10, s18, v10
	s_branch .LBB502_12
.LBB502_9:                              ;   in Loop: Header=BB502_4 Depth=1
	s_mov_b32 s35, 0
                                        ; implicit-def: $vgpr10
	s_cbranch_execnz .LBB502_13
	s_branch .LBB502_32
.LBB502_10:                             ;   in Loop: Header=BB502_4 Depth=1
	s_or_b32 exec_lo, exec_lo, s29
	s_delay_alu instid0(SALU_CYCLE_1)
	s_and_b32 vcc_lo, exec_lo, s28
	s_cbranch_vccnz .LBB502_13
	s_branch .LBB502_32
.LBB502_11:                             ;   in Loop: Header=BB502_4 Depth=1
	v_mov_b32_e32 v10, 0
.LBB502_12:                             ;   in Loop: Header=BB502_4 Depth=1
	s_mov_b32 s35, exec_lo
	s_wait_xcnt 0x0
	s_or_b32 exec_lo, exec_lo, s29
	s_delay_alu instid0(SALU_CYCLE_1)
	s_and_b32 vcc_lo, exec_lo, s28
	s_cbranch_vccz .LBB502_32
.LBB502_13:                             ;   in Loop: Header=BB502_4 Depth=1
	s_mul_u64 s[28:29], s[16:17], s[24:25]
	v_mov_b32_e32 v15, 0
	s_lshl_b64 s[28:29], s[28:29], 1
	s_delay_alu instid0(SALU_CYCLE_1)
	s_add_nc_u64 s[28:29], s[10:11], s[28:29]
	s_and_saveexec_b32 s36, s3
	s_cbranch_execnz .LBB502_22
; %bb.14:                               ;   in Loop: Header=BB502_4 Depth=1
	s_or_b32 exec_lo, exec_lo, s36
	s_and_saveexec_b32 s36, s4
	s_cbranch_execnz .LBB502_25
.LBB502_15:                             ;   in Loop: Header=BB502_4 Depth=1
	s_or_b32 exec_lo, exec_lo, s36
	s_and_saveexec_b32 s28, s1
.LBB502_16:                             ;   in Loop: Header=BB502_4 Depth=1
	ds_store_b32 v12, v3
.LBB502_17:                             ;   in Loop: Header=BB502_4 Depth=1
	s_or_b32 exec_lo, exec_lo, s28
	ds_bpermute_b32 v11, v2, v15
	v_cmp_gt_u32_e32 vcc_lo, 24, v1
	s_wait_dscnt 0x0
	s_barrier_signal -1
	s_barrier_wait -1
	v_cndmask_b32_e64 v10, 0, 8, vcc_lo
	v_cmp_gt_u32_e32 vcc_lo, 28, v1
	s_delay_alu instid0(VALU_DEP_2)
	v_add_lshl_u32 v10, v10, v1, 2
	v_add_f32_e32 v15, v15, v11
	v_cndmask_b32_e64 v11, 0, 4, vcc_lo
	v_cmp_gt_u32_e32 vcc_lo, 30, v1
	ds_bpermute_b32 v16, v10, v15
	v_add_lshl_u32 v11, v11, v1, 2
	s_wait_dscnt 0x0
	v_add_f32_e32 v16, v15, v16
	v_cndmask_b32_e64 v15, 0, 2, vcc_lo
	v_cmp_ne_u32_e32 vcc_lo, 31, v1
	ds_bpermute_b32 v17, v11, v16
	v_add_lshl_u32 v15, v15, v1, 2
	v_add_co_ci_u32_e64 v18, null, 0, v1, vcc_lo
	s_wait_dscnt 0x0
	v_add_f32_e32 v16, v16, v17
	ds_bpermute_b32 v17, v15, v16
	s_wait_dscnt 0x0
	v_dual_add_f32 v17, v16, v17 :: v_dual_lshlrev_b32 v16, 2, v18
	ds_bpermute_b32 v18, v16, v17
	s_and_saveexec_b32 s28, s2
	s_cbranch_execz .LBB502_19
; %bb.18:                               ;   in Loop: Header=BB502_4 Depth=1
	s_wait_dscnt 0x0
	v_add_f32_e32 v17, v17, v18
	ds_store_b32 v13, v17
.LBB502_19:                             ;   in Loop: Header=BB502_4 Depth=1
	s_or_b32 exec_lo, exec_lo, s28
	v_mov_b32_e32 v17, 0
	s_wait_dscnt 0x0
	s_barrier_signal -1
	s_barrier_wait -1
	s_and_saveexec_b32 s28, s1
	s_cbranch_execnz .LBB502_26
; %bb.20:                               ;   in Loop: Header=BB502_4 Depth=1
	s_or_b32 exec_lo, exec_lo, s28
	s_and_saveexec_b32 s28, s1
	s_cbranch_execnz .LBB502_27
.LBB502_21:                             ;   in Loop: Header=BB502_4 Depth=1
	s_or_b32 exec_lo, exec_lo, s28
                                        ; implicit-def: $vgpr10
	s_and_saveexec_b32 s28, s0
	s_cbranch_execnz .LBB502_28
	s_branch .LBB502_31
.LBB502_22:                             ;   in Loop: Header=BB502_4 Depth=1
	v_mad_nc_u64_u32 v[10:11], s20, s24, v[8:9]
	v_dual_mov_b32 v15, 0 :: v_dual_mov_b32 v16, v0
	s_wait_dscnt 0x0
	v_mov_b32_e32 v17, v14
	s_mov_b32 s37, 0
	s_delay_alu instid0(VALU_DEP_3)
	v_mad_u32 v11, s21, s24, v11
.LBB502_23:                             ;   Parent Loop BB502_4 Depth=1
                                        ; =>  This Inner Loop Header: Depth=2
	global_load_u16 v18, v[10:11], off
	global_load_u16 v19, v17, s[28:29] scale_offset
	s_wait_xcnt 0x1
	v_add_nc_u64_e32 v[10:11], 0x800, v[10:11]
	s_wait_xcnt 0x0
	v_add_nc_u32_e32 v17, s5, v17
	s_wait_loadcnt 0x0
	v_mul_f16_e32 v18, v18, v19
	s_delay_alu instid0(VALU_DEP_1) | instskip(NEXT) | instid1(VALU_DEP_1)
	v_cvt_f32_f16_e32 v18, v18
	v_dual_add_f32 v15, v15, v18 :: v_dual_add_nc_u32 v16, 0x400, v16
	s_delay_alu instid0(VALU_DEP_1) | instskip(SKIP_1) | instid1(SALU_CYCLE_1)
	v_cmp_le_i32_e32 vcc_lo, s14, v16
	s_or_b32 s37, vcc_lo, s37
	s_and_not1_b32 exec_lo, exec_lo, s37
	s_cbranch_execnz .LBB502_23
; %bb.24:                               ;   in Loop: Header=BB502_4 Depth=1
	s_or_b32 exec_lo, exec_lo, s37
	s_delay_alu instid0(SALU_CYCLE_1)
	s_or_b32 exec_lo, exec_lo, s36
	s_and_saveexec_b32 s36, s4
	s_cbranch_execz .LBB502_15
.LBB502_25:                             ;   in Loop: Header=BB502_4 Depth=1
	s_mul_u64 s[38:39], s[8:9], s[24:25]
	s_wait_dscnt 0x0
	v_lshl_add_u64 v[16:17], v[4:5], 1, s[28:29]
	v_lshl_add_u64 v[10:11], s[38:39], 1, v[6:7]
	s_delay_alu instid0(VALU_DEP_1)
	v_lshl_add_u64 v[10:11], s[14:15], 1, v[10:11]
	global_load_u16 v18, v[10:11], off
	global_load_u16 v19, v[16:17], off
	s_wait_loadcnt 0x0
	s_wait_xcnt 0x1
	v_mul_f16_e32 v10, v18, v19
	s_delay_alu instid0(VALU_DEP_1) | instskip(NEXT) | instid1(VALU_DEP_1)
	v_cvt_f32_f16_e32 v10, v10
	v_add_f32_e32 v15, v15, v10
	s_wait_xcnt 0x0
	s_or_b32 exec_lo, exec_lo, s36
	s_and_saveexec_b32 s28, s1
	s_cbranch_execnz .LBB502_16
	s_branch .LBB502_17
.LBB502_26:                             ;   in Loop: Header=BB502_4 Depth=1
	ds_load_b32 v17, v12
	s_or_b32 exec_lo, exec_lo, s28
	s_and_saveexec_b32 s28, s1
	s_cbranch_execz .LBB502_21
.LBB502_27:                             ;   in Loop: Header=BB502_4 Depth=1
	s_wait_dscnt 0x0
	ds_bpermute_b32 v18, v2, v17
	s_wait_dscnt 0x0
	v_add_f32_e32 v17, v17, v18
	ds_bpermute_b32 v10, v10, v17
	s_wait_dscnt 0x0
	v_add_f32_e32 v10, v17, v10
	;; [unrolled: 3-line block ×5, first 2 shown]
	s_or_b32 exec_lo, exec_lo, s28
                                        ; implicit-def: $vgpr10
	s_and_saveexec_b32 s28, s0
	s_cbranch_execz .LBB502_31
.LBB502_28:                             ;   in Loop: Header=BB502_4 Depth=1
	s_wait_dscnt 0x0
	v_mul_f32_e32 v10, s30, v17
	s_and_not1_b32 vcc_lo, exec_lo, s34
	s_cbranch_vccnz .LBB502_30
; %bb.29:                               ;   in Loop: Header=BB502_4 Depth=1
	s_add_nc_u64 s[36:37], s[26:27], s[22:23]
	global_load_b32 v11, v3, s[36:37]
	s_wait_loadcnt 0x0
	v_fmac_f32_e32 v10, s18, v11
.LBB502_30:                             ;   in Loop: Header=BB502_4 Depth=1
	s_or_b32 s35, s35, exec_lo
.LBB502_31:                             ;   in Loop: Header=BB502_4 Depth=1
	s_wait_xcnt 0x0
	s_or_b32 exec_lo, exec_lo, s28
.LBB502_32:                             ;   in Loop: Header=BB502_4 Depth=1
	s_and_saveexec_b32 s28, s35
	s_cbranch_execz .LBB502_2
; %bb.33:                               ;   in Loop: Header=BB502_4 Depth=1
	s_add_nc_u64 s[26:27], s[26:27], s[22:23]
	global_store_b32 v3, v10, s[26:27]
	s_branch .LBB502_2
.LBB502_34:
	s_endpgm
	.section	.rodata,"a",@progbits
	.p2align	6, 0x0
	.amdhsa_kernel _ZL32rocblas_gemvt_warp_reduce_kernelILb1ELi1024EiDF16_ffEviiT3_lPKT2_lT1_lS3_lS4_lS0_lPT4_lS4_li
		.amdhsa_group_segment_fixed_size 128
		.amdhsa_private_segment_fixed_size 0
		.amdhsa_kernarg_size 140
		.amdhsa_user_sgpr_count 2
		.amdhsa_user_sgpr_dispatch_ptr 0
		.amdhsa_user_sgpr_queue_ptr 0
		.amdhsa_user_sgpr_kernarg_segment_ptr 1
		.amdhsa_user_sgpr_dispatch_id 0
		.amdhsa_user_sgpr_kernarg_preload_length 0
		.amdhsa_user_sgpr_kernarg_preload_offset 0
		.amdhsa_user_sgpr_private_segment_size 0
		.amdhsa_wavefront_size32 1
		.amdhsa_uses_dynamic_stack 0
		.amdhsa_enable_private_segment 0
		.amdhsa_system_sgpr_workgroup_id_x 1
		.amdhsa_system_sgpr_workgroup_id_y 0
		.amdhsa_system_sgpr_workgroup_id_z 1
		.amdhsa_system_sgpr_workgroup_info 0
		.amdhsa_system_vgpr_workitem_id 0
		.amdhsa_next_free_vgpr 20
		.amdhsa_next_free_sgpr 40
		.amdhsa_named_barrier_count 0
		.amdhsa_reserve_vcc 1
		.amdhsa_float_round_mode_32 0
		.amdhsa_float_round_mode_16_64 0
		.amdhsa_float_denorm_mode_32 3
		.amdhsa_float_denorm_mode_16_64 3
		.amdhsa_fp16_overflow 0
		.amdhsa_memory_ordered 1
		.amdhsa_forward_progress 1
		.amdhsa_inst_pref_size 12
		.amdhsa_round_robin_scheduling 0
		.amdhsa_exception_fp_ieee_invalid_op 0
		.amdhsa_exception_fp_denorm_src 0
		.amdhsa_exception_fp_ieee_div_zero 0
		.amdhsa_exception_fp_ieee_overflow 0
		.amdhsa_exception_fp_ieee_underflow 0
		.amdhsa_exception_fp_ieee_inexact 0
		.amdhsa_exception_int_div_zero 0
	.end_amdhsa_kernel
	.section	.text._ZL32rocblas_gemvt_warp_reduce_kernelILb1ELi1024EiDF16_ffEviiT3_lPKT2_lT1_lS3_lS4_lS0_lPT4_lS4_li,"axG",@progbits,_ZL32rocblas_gemvt_warp_reduce_kernelILb1ELi1024EiDF16_ffEviiT3_lPKT2_lT1_lS3_lS4_lS0_lPT4_lS4_li,comdat
.Lfunc_end502:
	.size	_ZL32rocblas_gemvt_warp_reduce_kernelILb1ELi1024EiDF16_ffEviiT3_lPKT2_lT1_lS3_lS4_lS0_lPT4_lS4_li, .Lfunc_end502-_ZL32rocblas_gemvt_warp_reduce_kernelILb1ELi1024EiDF16_ffEviiT3_lPKT2_lT1_lS3_lS4_lS0_lPT4_lS4_li
                                        ; -- End function
	.set _ZL32rocblas_gemvt_warp_reduce_kernelILb1ELi1024EiDF16_ffEviiT3_lPKT2_lT1_lS3_lS4_lS0_lPT4_lS4_li.num_vgpr, 20
	.set _ZL32rocblas_gemvt_warp_reduce_kernelILb1ELi1024EiDF16_ffEviiT3_lPKT2_lT1_lS3_lS4_lS0_lPT4_lS4_li.num_agpr, 0
	.set _ZL32rocblas_gemvt_warp_reduce_kernelILb1ELi1024EiDF16_ffEviiT3_lPKT2_lT1_lS3_lS4_lS0_lPT4_lS4_li.numbered_sgpr, 40
	.set _ZL32rocblas_gemvt_warp_reduce_kernelILb1ELi1024EiDF16_ffEviiT3_lPKT2_lT1_lS3_lS4_lS0_lPT4_lS4_li.num_named_barrier, 0
	.set _ZL32rocblas_gemvt_warp_reduce_kernelILb1ELi1024EiDF16_ffEviiT3_lPKT2_lT1_lS3_lS4_lS0_lPT4_lS4_li.private_seg_size, 0
	.set _ZL32rocblas_gemvt_warp_reduce_kernelILb1ELi1024EiDF16_ffEviiT3_lPKT2_lT1_lS3_lS4_lS0_lPT4_lS4_li.uses_vcc, 1
	.set _ZL32rocblas_gemvt_warp_reduce_kernelILb1ELi1024EiDF16_ffEviiT3_lPKT2_lT1_lS3_lS4_lS0_lPT4_lS4_li.uses_flat_scratch, 0
	.set _ZL32rocblas_gemvt_warp_reduce_kernelILb1ELi1024EiDF16_ffEviiT3_lPKT2_lT1_lS3_lS4_lS0_lPT4_lS4_li.has_dyn_sized_stack, 0
	.set _ZL32rocblas_gemvt_warp_reduce_kernelILb1ELi1024EiDF16_ffEviiT3_lPKT2_lT1_lS3_lS4_lS0_lPT4_lS4_li.has_recursion, 0
	.set _ZL32rocblas_gemvt_warp_reduce_kernelILb1ELi1024EiDF16_ffEviiT3_lPKT2_lT1_lS3_lS4_lS0_lPT4_lS4_li.has_indirect_call, 0
	.section	.AMDGPU.csdata,"",@progbits
; Kernel info:
; codeLenInByte = 1420
; TotalNumSgprs: 42
; NumVgprs: 20
; ScratchSize: 0
; MemoryBound: 0
; FloatMode: 240
; IeeeMode: 1
; LDSByteSize: 128 bytes/workgroup (compile time only)
; SGPRBlocks: 0
; VGPRBlocks: 1
; NumSGPRsForWavesPerEU: 42
; NumVGPRsForWavesPerEU: 20
; NamedBarCnt: 0
; Occupancy: 16
; WaveLimiterHint : 0
; COMPUTE_PGM_RSRC2:SCRATCH_EN: 0
; COMPUTE_PGM_RSRC2:USER_SGPR: 2
; COMPUTE_PGM_RSRC2:TRAP_HANDLER: 0
; COMPUTE_PGM_RSRC2:TGID_X_EN: 1
; COMPUTE_PGM_RSRC2:TGID_Y_EN: 0
; COMPUTE_PGM_RSRC2:TGID_Z_EN: 1
; COMPUTE_PGM_RSRC2:TIDIG_COMP_CNT: 0
	.section	.text._ZL32rocblas_gemvt_warp_reduce_kernelILb1ELi1024ElDF16_ffEviiT3_lPKT2_lT1_lS3_lS4_lS0_lPT4_lS4_li,"axG",@progbits,_ZL32rocblas_gemvt_warp_reduce_kernelILb1ELi1024ElDF16_ffEviiT3_lPKT2_lT1_lS3_lS4_lS0_lPT4_lS4_li,comdat
	.globl	_ZL32rocblas_gemvt_warp_reduce_kernelILb1ELi1024ElDF16_ffEviiT3_lPKT2_lT1_lS3_lS4_lS0_lPT4_lS4_li ; -- Begin function _ZL32rocblas_gemvt_warp_reduce_kernelILb1ELi1024ElDF16_ffEviiT3_lPKT2_lT1_lS3_lS4_lS0_lPT4_lS4_li
	.p2align	8
	.type	_ZL32rocblas_gemvt_warp_reduce_kernelILb1ELi1024ElDF16_ffEviiT3_lPKT2_lT1_lS3_lS4_lS0_lPT4_lS4_li,@function
_ZL32rocblas_gemvt_warp_reduce_kernelILb1ELi1024ElDF16_ffEviiT3_lPKT2_lT1_lS3_lS4_lS0_lPT4_lS4_li: ; @_ZL32rocblas_gemvt_warp_reduce_kernelILb1ELi1024ElDF16_ffEviiT3_lPKT2_lT1_lS3_lS4_lS0_lPT4_lS4_li
; %bb.0:
	s_load_b32 s5, s[0:1], 0x88
	s_bfe_u32 s2, ttmp6, 0x40014
	s_lshr_b32 s3, ttmp7, 16
	s_add_co_i32 s2, s2, 1
	s_bfe_u32 s6, ttmp6, 0x40008
	s_mul_i32 s4, s3, s2
	s_getreg_b32 s2, hwreg(HW_REG_IB_STS2, 6, 4)
	s_add_co_i32 s6, s6, s4
	s_cmp_eq_u32 s2, 0
	s_mov_b32 s7, 0
	s_cselect_b32 s6, s3, s6
	s_wait_kmcnt 0x0
	s_cmp_ge_u32 s6, s5
	s_cbranch_scc1 .LBB503_34
; %bb.1:
	s_clause 0x4
	s_load_b512 s[8:23], s[0:1], 0x18
	s_load_b256 s[24:31], s[0:1], 0x68
	s_load_b32 s33, s[0:1], 0x8
	s_load_b32 s34, s[0:1], 0x58
	;; [unrolled: 1-line block ×3, first 2 shown]
	s_wait_kmcnt 0x0
	s_lshl_b64 s[18:19], s[18:19], 1
	s_lshl_b64 s[26:27], s[26:27], 2
	;; [unrolled: 1-line block ×3, first 2 shown]
	s_cmp_eq_f32 s33, 0
	v_cmp_gt_i32_e32 vcc_lo, s4, v0
	v_mov_b32_e32 v3, 0
	s_add_nc_u64 s[16:17], s[16:17], s[18:19]
	s_cselect_b32 s35, -1, 0
	s_cmp_neq_f32 s33, 0
	v_cndmask_b32_e32 v2, 0, v0, vcc_lo
	s_add_nc_u64 s[18:19], s[24:25], s[26:27]
	s_cselect_b32 s3, -1, 0
	s_cmp_neq_f32 s34, 1.0
	s_delay_alu instid0(VALU_DEP_1) | instskip(SKIP_1) | instid1(SALU_CYCLE_1)
	v_lshlrev_b32_e32 v2, 1, v2
	s_cselect_b32 s0, -1, 0
	s_or_b32 s36, s3, s0
	s_cmp_neq_f32 s34, 0
	s_cselect_b32 s37, -1, 0
	s_bfe_u32 s0, ttmp6, 0x4000c
	s_and_b32 s1, ttmp6, 15
	s_add_co_i32 s0, s0, 1
	s_delay_alu instid0(SALU_CYCLE_1) | instskip(NEXT) | instid1(SALU_CYCLE_1)
	s_mul_i32 s0, ttmp9, s0
	s_add_co_i32 s1, s1, s0
	s_cmp_eq_u32 s2, 0
	s_cselect_b32 s2, ttmp9, s1
	s_ashr_i32 s0, s4, 31
	s_ashr_i32 s3, s2, 31
	s_lshr_b32 s0, s0, 22
	s_mul_u64 s[12:13], s[12:13], s[2:3]
	s_add_co_i32 s0, s4, s0
	s_lshl_b64 s[12:13], s[12:13], 1
	s_and_b32 s10, s0, 0xfffffc00
	s_delay_alu instid0(SALU_CYCLE_1) | instskip(SKIP_3) | instid1(VALU_DEP_2)
	v_dual_mov_b32 v1, v3 :: v_dual_bitop2_b32 v8, s10, v0 bitop3:0x54
	s_add_nc_u64 s[0:1], s[8:9], s[38:39]
	s_mul_u64 s[24:25], s[28:29], s[2:3]
	v_cmp_gt_u32_e64 s3, 32, v0
	v_mul_u64_e32 v[10:11], s[20:21], v[0:1]
	v_ashrrev_i32_e32 v9, 31, v8
	v_add_nc_u64_e32 v[6:7], s[0:1], v[2:3]
	v_cmp_gt_i32_e64 s2, s4, v8
	v_cmp_eq_u32_e64 s0, 0, v0
	v_cmp_gt_i32_e64 s1, s10, v0
	v_mul_u64_e32 v[4:5], s[20:21], v[8:9]
	v_dual_lshrrev_b32 v8, 3, v0 :: v_dual_bitop2_b32 v9, 31, v0 bitop3:0x40
	v_add_nc_u64_e32 v[6:7], s[12:13], v[6:7]
	s_add_nc_u64 s[12:13], s[12:13], s[38:39]
	s_ashr_i32 s11, s10, 31
	s_add_nc_u64 s[8:9], s[8:9], s[12:13]
	v_lshlrev_b32_e32 v1, 2, v9
	v_cmp_eq_u32_e64 s4, 0, v9
	v_and_b32_e32 v16, 0x7c, v8
	v_add_nc_u64_e32 v[8:9], s[8:9], v[2:3]
	v_mbcnt_lo_u32_b32 v2, -1, 0
	s_lshl_b64 s[8:9], s[14:15], 1
	s_lshl_b64 s[12:13], s[22:23], 1
	;; [unrolled: 1-line block ×4, first 2 shown]
	v_lshl_or_b32 v17, v2, 2, 64
	v_lshl_add_u64 v[10:11], v[10:11], 1, s[16:17]
	s_branch .LBB503_4
.LBB503_2:                              ;   in Loop: Header=BB503_4 Depth=1
	s_wait_xcnt 0x0
	s_or_b32 exec_lo, exec_lo, s29
.LBB503_3:                              ;   in Loop: Header=BB503_4 Depth=1
	s_add_co_i32 s6, s6, 0x10000
	s_delay_alu instid0(SALU_CYCLE_1)
	s_cmp_lt_u32 s6, s5
	s_cbranch_scc0 .LBB503_34
.LBB503_4:                              ; =>This Loop Header: Depth=1
                                        ;     Child Loop BB503_23 Depth 2
	s_and_not1_b32 vcc_lo, exec_lo, s36
	s_cbranch_vccnz .LBB503_3
; %bb.5:                                ;   in Loop: Header=BB503_4 Depth=1
	s_mul_u64 s[26:27], s[30:31], s[6:7]
	s_and_not1_b32 vcc_lo, exec_lo, s35
	s_lshl_b64 s[26:27], s[26:27], 2
	s_delay_alu instid0(SALU_CYCLE_1)
	s_add_nc_u64 s[26:27], s[18:19], s[26:27]
	s_cbranch_vccnz .LBB503_9
; %bb.6:                                ;   in Loop: Header=BB503_4 Depth=1
	s_mov_b32 s29, 0
	s_mov_b32 s28, 0
                                        ; implicit-def: $vgpr12
	s_and_saveexec_b32 s38, s0
	s_cbranch_execz .LBB503_10
; %bb.7:                                ;   in Loop: Header=BB503_4 Depth=1
	s_and_not1_b32 vcc_lo, exec_lo, s37
	s_cbranch_vccnz .LBB503_11
; %bb.8:                                ;   in Loop: Header=BB503_4 Depth=1
	s_add_nc_u64 s[40:41], s[26:27], s[24:25]
	global_load_b32 v12, v3, s[40:41]
	s_wait_loadcnt 0x0
	v_mul_f32_e32 v12, s34, v12
	s_branch .LBB503_12
.LBB503_9:                              ;   in Loop: Header=BB503_4 Depth=1
	s_mov_b32 s28, 0
                                        ; implicit-def: $vgpr12
	s_cbranch_execnz .LBB503_13
	s_branch .LBB503_32
.LBB503_10:                             ;   in Loop: Header=BB503_4 Depth=1
	s_or_b32 exec_lo, exec_lo, s38
	s_delay_alu instid0(SALU_CYCLE_1)
	s_and_b32 vcc_lo, exec_lo, s29
	s_cbranch_vccnz .LBB503_13
	s_branch .LBB503_32
.LBB503_11:                             ;   in Loop: Header=BB503_4 Depth=1
	v_mov_b32_e32 v12, 0
.LBB503_12:                             ;   in Loop: Header=BB503_4 Depth=1
	s_mov_b32 s28, exec_lo
	s_wait_xcnt 0x0
	s_or_b32 exec_lo, exec_lo, s38
	s_delay_alu instid0(SALU_CYCLE_1)
	s_and_b32 vcc_lo, exec_lo, s29
	s_cbranch_vccz .LBB503_32
.LBB503_13:                             ;   in Loop: Header=BB503_4 Depth=1
	s_wait_dscnt 0x0
	v_mov_b32_e32 v18, 0
	s_and_saveexec_b32 s29, s1
	s_cbranch_execnz .LBB503_22
; %bb.14:                               ;   in Loop: Header=BB503_4 Depth=1
	s_or_b32 exec_lo, exec_lo, s29
	s_and_saveexec_b32 s29, s2
	s_cbranch_execnz .LBB503_25
.LBB503_15:                             ;   in Loop: Header=BB503_4 Depth=1
	s_or_b32 exec_lo, exec_lo, s29
	s_and_saveexec_b32 s29, s3
.LBB503_16:                             ;   in Loop: Header=BB503_4 Depth=1
	ds_store_b32 v1, v3
.LBB503_17:                             ;   in Loop: Header=BB503_4 Depth=1
	s_or_b32 exec_lo, exec_lo, s29
	ds_bpermute_b32 v13, v17, v18
	v_cmp_gt_u32_e32 vcc_lo, 24, v2
	s_wait_dscnt 0x0
	s_barrier_signal -1
	s_barrier_wait -1
	v_cndmask_b32_e64 v12, 0, 8, vcc_lo
	v_cmp_gt_u32_e32 vcc_lo, 28, v2
	s_delay_alu instid0(VALU_DEP_2)
	v_add_lshl_u32 v12, v12, v2, 2
	v_add_f32_e32 v14, v18, v13
	v_cndmask_b32_e64 v13, 0, 4, vcc_lo
	v_cmp_gt_u32_e32 vcc_lo, 30, v2
	ds_bpermute_b32 v15, v12, v14
	v_add_lshl_u32 v13, v13, v2, 2
	s_wait_dscnt 0x0
	v_add_f32_e32 v15, v14, v15
	v_cndmask_b32_e64 v14, 0, 2, vcc_lo
	v_cmp_ne_u32_e32 vcc_lo, 31, v2
	ds_bpermute_b32 v18, v13, v15
	v_add_lshl_u32 v14, v14, v2, 2
	v_add_co_ci_u32_e64 v19, null, 0, v2, vcc_lo
	s_wait_dscnt 0x0
	v_add_f32_e32 v15, v15, v18
	ds_bpermute_b32 v18, v14, v15
	s_wait_dscnt 0x0
	v_dual_add_f32 v18, v15, v18 :: v_dual_lshlrev_b32 v15, 2, v19
	ds_bpermute_b32 v19, v15, v18
	s_and_saveexec_b32 s29, s4
	s_cbranch_execz .LBB503_19
; %bb.18:                               ;   in Loop: Header=BB503_4 Depth=1
	s_wait_dscnt 0x0
	v_add_f32_e32 v18, v18, v19
	ds_store_b32 v16, v18
.LBB503_19:                             ;   in Loop: Header=BB503_4 Depth=1
	s_or_b32 exec_lo, exec_lo, s29
	v_mov_b32_e32 v18, 0
	s_wait_dscnt 0x0
	s_barrier_signal -1
	s_barrier_wait -1
	s_and_saveexec_b32 s29, s3
	s_cbranch_execnz .LBB503_26
; %bb.20:                               ;   in Loop: Header=BB503_4 Depth=1
	s_or_b32 exec_lo, exec_lo, s29
	s_and_saveexec_b32 s29, s3
	s_cbranch_execnz .LBB503_27
.LBB503_21:                             ;   in Loop: Header=BB503_4 Depth=1
	s_or_b32 exec_lo, exec_lo, s29
                                        ; implicit-def: $vgpr12
	s_and_saveexec_b32 s29, s0
	s_cbranch_execnz .LBB503_28
	s_branch .LBB503_31
.LBB503_22:                             ;   in Loop: Header=BB503_4 Depth=1
	v_mad_nc_u64_u32 v[12:13], s8, s6, v[8:9]
	v_mad_nc_u64_u32 v[14:15], s12, s6, v[10:11]
	v_dual_mov_b32 v18, 0 :: v_dual_mov_b32 v19, v0
	s_mov_b32 s38, 0
	s_delay_alu instid0(VALU_DEP_3) | instskip(NEXT) | instid1(VALU_DEP_3)
	v_mad_u32 v13, s9, s6, v13
	v_mad_u32 v15, s13, s6, v15
.LBB503_23:                             ;   Parent Loop BB503_4 Depth=1
                                        ; =>  This Inner Loop Header: Depth=2
	global_load_u16 v20, v[12:13], off
	global_load_u16 v21, v[14:15], off
	s_wait_xcnt 0x1
	v_add_nc_u64_e32 v[12:13], 0x800, v[12:13]
	s_wait_xcnt 0x0
	v_add_nc_u64_e32 v[14:15], s[20:21], v[14:15]
	s_wait_loadcnt 0x0
	v_mul_f16_e32 v20, v20, v21
	s_delay_alu instid0(VALU_DEP_1) | instskip(NEXT) | instid1(VALU_DEP_1)
	v_cvt_f32_f16_e32 v20, v20
	v_dual_add_f32 v18, v18, v20 :: v_dual_add_nc_u32 v19, 0x400, v19
	s_delay_alu instid0(VALU_DEP_1) | instskip(SKIP_1) | instid1(SALU_CYCLE_1)
	v_cmp_le_i32_e32 vcc_lo, s10, v19
	s_or_b32 s38, vcc_lo, s38
	s_and_not1_b32 exec_lo, exec_lo, s38
	s_cbranch_execnz .LBB503_23
; %bb.24:                               ;   in Loop: Header=BB503_4 Depth=1
	s_or_b32 exec_lo, exec_lo, s38
	s_delay_alu instid0(SALU_CYCLE_1)
	s_or_b32 exec_lo, exec_lo, s29
	s_and_saveexec_b32 s29, s2
	s_cbranch_execz .LBB503_15
.LBB503_25:                             ;   in Loop: Header=BB503_4 Depth=1
	s_mul_u64 s[38:39], s[14:15], s[6:7]
	s_mul_u64 s[40:41], s[22:23], s[6:7]
	v_lshl_add_u64 v[12:13], s[38:39], 1, v[6:7]
	s_lshl_b64 s[38:39], s[40:41], 1
	s_delay_alu instid0(SALU_CYCLE_1) | instskip(NEXT) | instid1(SALU_CYCLE_1)
	s_add_nc_u64 s[38:39], s[16:17], s[38:39]
	v_lshl_add_u64 v[14:15], v[4:5], 1, s[38:39]
	s_delay_alu instid0(VALU_DEP_2)
	v_lshl_add_u64 v[12:13], s[10:11], 1, v[12:13]
	global_load_u16 v19, v[12:13], off
	global_load_u16 v20, v[14:15], off
	s_wait_loadcnt 0x0
	s_wait_xcnt 0x1
	v_mul_f16_e32 v12, v19, v20
	s_delay_alu instid0(VALU_DEP_1) | instskip(NEXT) | instid1(VALU_DEP_1)
	v_cvt_f32_f16_e32 v12, v12
	v_add_f32_e32 v18, v18, v12
	s_wait_xcnt 0x0
	s_or_b32 exec_lo, exec_lo, s29
	s_and_saveexec_b32 s29, s3
	s_cbranch_execnz .LBB503_16
	s_branch .LBB503_17
.LBB503_26:                             ;   in Loop: Header=BB503_4 Depth=1
	ds_load_b32 v18, v1
	s_or_b32 exec_lo, exec_lo, s29
	s_and_saveexec_b32 s29, s3
	s_cbranch_execz .LBB503_21
.LBB503_27:                             ;   in Loop: Header=BB503_4 Depth=1
	s_wait_dscnt 0x0
	ds_bpermute_b32 v19, v17, v18
	s_wait_dscnt 0x0
	v_add_f32_e32 v18, v18, v19
	ds_bpermute_b32 v12, v12, v18
	s_wait_dscnt 0x0
	v_add_f32_e32 v12, v18, v12
	;; [unrolled: 3-line block ×5, first 2 shown]
	s_or_b32 exec_lo, exec_lo, s29
                                        ; implicit-def: $vgpr12
	s_and_saveexec_b32 s29, s0
	s_cbranch_execz .LBB503_31
.LBB503_28:                             ;   in Loop: Header=BB503_4 Depth=1
	s_wait_dscnt 0x0
	v_mul_f32_e32 v12, s33, v18
	s_and_not1_b32 vcc_lo, exec_lo, s37
	s_cbranch_vccnz .LBB503_30
; %bb.29:                               ;   in Loop: Header=BB503_4 Depth=1
	s_add_nc_u64 s[38:39], s[26:27], s[24:25]
	global_load_b32 v13, v3, s[38:39]
	s_wait_loadcnt 0x0
	v_fmac_f32_e32 v12, s34, v13
.LBB503_30:                             ;   in Loop: Header=BB503_4 Depth=1
	s_or_b32 s28, s28, exec_lo
.LBB503_31:                             ;   in Loop: Header=BB503_4 Depth=1
	s_wait_xcnt 0x0
	s_or_b32 exec_lo, exec_lo, s29
.LBB503_32:                             ;   in Loop: Header=BB503_4 Depth=1
	s_and_saveexec_b32 s29, s28
	s_cbranch_execz .LBB503_2
; %bb.33:                               ;   in Loop: Header=BB503_4 Depth=1
	s_add_nc_u64 s[26:27], s[26:27], s[24:25]
	global_store_b32 v3, v12, s[26:27]
	s_branch .LBB503_2
.LBB503_34:
	s_endpgm
	.section	.rodata,"a",@progbits
	.p2align	6, 0x0
	.amdhsa_kernel _ZL32rocblas_gemvt_warp_reduce_kernelILb1ELi1024ElDF16_ffEviiT3_lPKT2_lT1_lS3_lS4_lS0_lPT4_lS4_li
		.amdhsa_group_segment_fixed_size 128
		.amdhsa_private_segment_fixed_size 0
		.amdhsa_kernarg_size 140
		.amdhsa_user_sgpr_count 2
		.amdhsa_user_sgpr_dispatch_ptr 0
		.amdhsa_user_sgpr_queue_ptr 0
		.amdhsa_user_sgpr_kernarg_segment_ptr 1
		.amdhsa_user_sgpr_dispatch_id 0
		.amdhsa_user_sgpr_kernarg_preload_length 0
		.amdhsa_user_sgpr_kernarg_preload_offset 0
		.amdhsa_user_sgpr_private_segment_size 0
		.amdhsa_wavefront_size32 1
		.amdhsa_uses_dynamic_stack 0
		.amdhsa_enable_private_segment 0
		.amdhsa_system_sgpr_workgroup_id_x 1
		.amdhsa_system_sgpr_workgroup_id_y 0
		.amdhsa_system_sgpr_workgroup_id_z 1
		.amdhsa_system_sgpr_workgroup_info 0
		.amdhsa_system_vgpr_workitem_id 0
		.amdhsa_next_free_vgpr 22
		.amdhsa_next_free_sgpr 42
		.amdhsa_named_barrier_count 0
		.amdhsa_reserve_vcc 1
		.amdhsa_float_round_mode_32 0
		.amdhsa_float_round_mode_16_64 0
		.amdhsa_float_denorm_mode_32 3
		.amdhsa_float_denorm_mode_16_64 3
		.amdhsa_fp16_overflow 0
		.amdhsa_memory_ordered 1
		.amdhsa_forward_progress 1
		.amdhsa_inst_pref_size 11
		.amdhsa_round_robin_scheduling 0
		.amdhsa_exception_fp_ieee_invalid_op 0
		.amdhsa_exception_fp_denorm_src 0
		.amdhsa_exception_fp_ieee_div_zero 0
		.amdhsa_exception_fp_ieee_overflow 0
		.amdhsa_exception_fp_ieee_underflow 0
		.amdhsa_exception_fp_ieee_inexact 0
		.amdhsa_exception_int_div_zero 0
	.end_amdhsa_kernel
	.section	.text._ZL32rocblas_gemvt_warp_reduce_kernelILb1ELi1024ElDF16_ffEviiT3_lPKT2_lT1_lS3_lS4_lS0_lPT4_lS4_li,"axG",@progbits,_ZL32rocblas_gemvt_warp_reduce_kernelILb1ELi1024ElDF16_ffEviiT3_lPKT2_lT1_lS3_lS4_lS0_lPT4_lS4_li,comdat
.Lfunc_end503:
	.size	_ZL32rocblas_gemvt_warp_reduce_kernelILb1ELi1024ElDF16_ffEviiT3_lPKT2_lT1_lS3_lS4_lS0_lPT4_lS4_li, .Lfunc_end503-_ZL32rocblas_gemvt_warp_reduce_kernelILb1ELi1024ElDF16_ffEviiT3_lPKT2_lT1_lS3_lS4_lS0_lPT4_lS4_li
                                        ; -- End function
	.set _ZL32rocblas_gemvt_warp_reduce_kernelILb1ELi1024ElDF16_ffEviiT3_lPKT2_lT1_lS3_lS4_lS0_lPT4_lS4_li.num_vgpr, 22
	.set _ZL32rocblas_gemvt_warp_reduce_kernelILb1ELi1024ElDF16_ffEviiT3_lPKT2_lT1_lS3_lS4_lS0_lPT4_lS4_li.num_agpr, 0
	.set _ZL32rocblas_gemvt_warp_reduce_kernelILb1ELi1024ElDF16_ffEviiT3_lPKT2_lT1_lS3_lS4_lS0_lPT4_lS4_li.numbered_sgpr, 42
	.set _ZL32rocblas_gemvt_warp_reduce_kernelILb1ELi1024ElDF16_ffEviiT3_lPKT2_lT1_lS3_lS4_lS0_lPT4_lS4_li.num_named_barrier, 0
	.set _ZL32rocblas_gemvt_warp_reduce_kernelILb1ELi1024ElDF16_ffEviiT3_lPKT2_lT1_lS3_lS4_lS0_lPT4_lS4_li.private_seg_size, 0
	.set _ZL32rocblas_gemvt_warp_reduce_kernelILb1ELi1024ElDF16_ffEviiT3_lPKT2_lT1_lS3_lS4_lS0_lPT4_lS4_li.uses_vcc, 1
	.set _ZL32rocblas_gemvt_warp_reduce_kernelILb1ELi1024ElDF16_ffEviiT3_lPKT2_lT1_lS3_lS4_lS0_lPT4_lS4_li.uses_flat_scratch, 0
	.set _ZL32rocblas_gemvt_warp_reduce_kernelILb1ELi1024ElDF16_ffEviiT3_lPKT2_lT1_lS3_lS4_lS0_lPT4_lS4_li.has_dyn_sized_stack, 0
	.set _ZL32rocblas_gemvt_warp_reduce_kernelILb1ELi1024ElDF16_ffEviiT3_lPKT2_lT1_lS3_lS4_lS0_lPT4_lS4_li.has_recursion, 0
	.set _ZL32rocblas_gemvt_warp_reduce_kernelILb1ELi1024ElDF16_ffEviiT3_lPKT2_lT1_lS3_lS4_lS0_lPT4_lS4_li.has_indirect_call, 0
	.section	.AMDGPU.csdata,"",@progbits
; Kernel info:
; codeLenInByte = 1364
; TotalNumSgprs: 44
; NumVgprs: 22
; ScratchSize: 0
; MemoryBound: 0
; FloatMode: 240
; IeeeMode: 1
; LDSByteSize: 128 bytes/workgroup (compile time only)
; SGPRBlocks: 0
; VGPRBlocks: 1
; NumSGPRsForWavesPerEU: 44
; NumVGPRsForWavesPerEU: 22
; NamedBarCnt: 0
; Occupancy: 16
; WaveLimiterHint : 0
; COMPUTE_PGM_RSRC2:SCRATCH_EN: 0
; COMPUTE_PGM_RSRC2:USER_SGPR: 2
; COMPUTE_PGM_RSRC2:TRAP_HANDLER: 0
; COMPUTE_PGM_RSRC2:TGID_X_EN: 1
; COMPUTE_PGM_RSRC2:TGID_Y_EN: 0
; COMPUTE_PGM_RSRC2:TGID_Z_EN: 1
; COMPUTE_PGM_RSRC2:TIDIG_COMP_CNT: 0
	.section	.text._ZL34rocblas_gemvn_sm_mn_batched_kernelILi32ELi24EPKDF16_PKfKPfEviiT2_lPKT1_lilS9_lilS6_lPT3_lili,"axG",@progbits,_ZL34rocblas_gemvn_sm_mn_batched_kernelILi32ELi24EPKDF16_PKfKPfEviiT2_lPKT1_lilS9_lilS6_lPT3_lili,comdat
	.globl	_ZL34rocblas_gemvn_sm_mn_batched_kernelILi32ELi24EPKDF16_PKfKPfEviiT2_lPKT1_lilS9_lilS6_lPT3_lili ; -- Begin function _ZL34rocblas_gemvn_sm_mn_batched_kernelILi32ELi24EPKDF16_PKfKPfEviiT2_lPKT1_lilS9_lilS6_lPT3_lili
	.p2align	8
	.type	_ZL34rocblas_gemvn_sm_mn_batched_kernelILi32ELi24EPKDF16_PKfKPfEviiT2_lPKT1_lilS9_lilS6_lPT3_lili,@function
_ZL34rocblas_gemvn_sm_mn_batched_kernelILi32ELi24EPKDF16_PKfKPfEviiT2_lPKT1_lilS9_lilS6_lPT3_lili: ; @_ZL34rocblas_gemvn_sm_mn_batched_kernelILi32ELi24EPKDF16_PKfKPfEviiT2_lPKT1_lilS9_lilS6_lPT3_lili
; %bb.0:
	s_endpgm
	.section	.rodata,"a",@progbits
	.p2align	6, 0x0
	.amdhsa_kernel _ZL34rocblas_gemvn_sm_mn_batched_kernelILi32ELi24EPKDF16_PKfKPfEviiT2_lPKT1_lilS9_lilS6_lPT3_lili
		.amdhsa_group_segment_fixed_size 0
		.amdhsa_private_segment_fixed_size 0
		.amdhsa_kernarg_size 140
		.amdhsa_user_sgpr_count 2
		.amdhsa_user_sgpr_dispatch_ptr 0
		.amdhsa_user_sgpr_queue_ptr 0
		.amdhsa_user_sgpr_kernarg_segment_ptr 1
		.amdhsa_user_sgpr_dispatch_id 0
		.amdhsa_user_sgpr_kernarg_preload_length 0
		.amdhsa_user_sgpr_kernarg_preload_offset 0
		.amdhsa_user_sgpr_private_segment_size 0
		.amdhsa_wavefront_size32 1
		.amdhsa_uses_dynamic_stack 0
		.amdhsa_enable_private_segment 0
		.amdhsa_system_sgpr_workgroup_id_x 1
		.amdhsa_system_sgpr_workgroup_id_y 0
		.amdhsa_system_sgpr_workgroup_id_z 0
		.amdhsa_system_sgpr_workgroup_info 0
		.amdhsa_system_vgpr_workitem_id 0
		.amdhsa_next_free_vgpr 1
		.amdhsa_next_free_sgpr 1
		.amdhsa_named_barrier_count 0
		.amdhsa_reserve_vcc 0
		.amdhsa_float_round_mode_32 0
		.amdhsa_float_round_mode_16_64 0
		.amdhsa_float_denorm_mode_32 3
		.amdhsa_float_denorm_mode_16_64 3
		.amdhsa_fp16_overflow 0
		.amdhsa_memory_ordered 1
		.amdhsa_forward_progress 1
		.amdhsa_inst_pref_size 1
		.amdhsa_round_robin_scheduling 0
		.amdhsa_exception_fp_ieee_invalid_op 0
		.amdhsa_exception_fp_denorm_src 0
		.amdhsa_exception_fp_ieee_div_zero 0
		.amdhsa_exception_fp_ieee_overflow 0
		.amdhsa_exception_fp_ieee_underflow 0
		.amdhsa_exception_fp_ieee_inexact 0
		.amdhsa_exception_int_div_zero 0
	.end_amdhsa_kernel
	.section	.text._ZL34rocblas_gemvn_sm_mn_batched_kernelILi32ELi24EPKDF16_PKfKPfEviiT2_lPKT1_lilS9_lilS6_lPT3_lili,"axG",@progbits,_ZL34rocblas_gemvn_sm_mn_batched_kernelILi32ELi24EPKDF16_PKfKPfEviiT2_lPKT1_lilS9_lilS6_lPT3_lili,comdat
.Lfunc_end504:
	.size	_ZL34rocblas_gemvn_sm_mn_batched_kernelILi32ELi24EPKDF16_PKfKPfEviiT2_lPKT1_lilS9_lilS6_lPT3_lili, .Lfunc_end504-_ZL34rocblas_gemvn_sm_mn_batched_kernelILi32ELi24EPKDF16_PKfKPfEviiT2_lPKT1_lilS9_lilS6_lPT3_lili
                                        ; -- End function
	.set _ZL34rocblas_gemvn_sm_mn_batched_kernelILi32ELi24EPKDF16_PKfKPfEviiT2_lPKT1_lilS9_lilS6_lPT3_lili.num_vgpr, 0
	.set _ZL34rocblas_gemvn_sm_mn_batched_kernelILi32ELi24EPKDF16_PKfKPfEviiT2_lPKT1_lilS9_lilS6_lPT3_lili.num_agpr, 0
	.set _ZL34rocblas_gemvn_sm_mn_batched_kernelILi32ELi24EPKDF16_PKfKPfEviiT2_lPKT1_lilS9_lilS6_lPT3_lili.numbered_sgpr, 0
	.set _ZL34rocblas_gemvn_sm_mn_batched_kernelILi32ELi24EPKDF16_PKfKPfEviiT2_lPKT1_lilS9_lilS6_lPT3_lili.num_named_barrier, 0
	.set _ZL34rocblas_gemvn_sm_mn_batched_kernelILi32ELi24EPKDF16_PKfKPfEviiT2_lPKT1_lilS9_lilS6_lPT3_lili.private_seg_size, 0
	.set _ZL34rocblas_gemvn_sm_mn_batched_kernelILi32ELi24EPKDF16_PKfKPfEviiT2_lPKT1_lilS9_lilS6_lPT3_lili.uses_vcc, 0
	.set _ZL34rocblas_gemvn_sm_mn_batched_kernelILi32ELi24EPKDF16_PKfKPfEviiT2_lPKT1_lilS9_lilS6_lPT3_lili.uses_flat_scratch, 0
	.set _ZL34rocblas_gemvn_sm_mn_batched_kernelILi32ELi24EPKDF16_PKfKPfEviiT2_lPKT1_lilS9_lilS6_lPT3_lili.has_dyn_sized_stack, 0
	.set _ZL34rocblas_gemvn_sm_mn_batched_kernelILi32ELi24EPKDF16_PKfKPfEviiT2_lPKT1_lilS9_lilS6_lPT3_lili.has_recursion, 0
	.set _ZL34rocblas_gemvn_sm_mn_batched_kernelILi32ELi24EPKDF16_PKfKPfEviiT2_lPKT1_lilS9_lilS6_lPT3_lili.has_indirect_call, 0
	.section	.AMDGPU.csdata,"",@progbits
; Kernel info:
; codeLenInByte = 4
; TotalNumSgprs: 0
; NumVgprs: 0
; ScratchSize: 0
; MemoryBound: 0
; FloatMode: 240
; IeeeMode: 1
; LDSByteSize: 0 bytes/workgroup (compile time only)
; SGPRBlocks: 0
; VGPRBlocks: 0
; NumSGPRsForWavesPerEU: 1
; NumVGPRsForWavesPerEU: 1
; NamedBarCnt: 0
; Occupancy: 16
; WaveLimiterHint : 0
; COMPUTE_PGM_RSRC2:SCRATCH_EN: 0
; COMPUTE_PGM_RSRC2:USER_SGPR: 2
; COMPUTE_PGM_RSRC2:TRAP_HANDLER: 0
; COMPUTE_PGM_RSRC2:TGID_X_EN: 1
; COMPUTE_PGM_RSRC2:TGID_Y_EN: 0
; COMPUTE_PGM_RSRC2:TGID_Z_EN: 0
; COMPUTE_PGM_RSRC2:TIDIG_COMP_CNT: 0
	.section	.text._ZL34rocblas_gemvn_sm_mn_batched_kernelILi32ELi24EPKDF16_fKPfEviiT2_lPKT1_lilS7_lilS4_lPT3_lili,"axG",@progbits,_ZL34rocblas_gemvn_sm_mn_batched_kernelILi32ELi24EPKDF16_fKPfEviiT2_lPKT1_lilS7_lilS4_lPT3_lili,comdat
	.globl	_ZL34rocblas_gemvn_sm_mn_batched_kernelILi32ELi24EPKDF16_fKPfEviiT2_lPKT1_lilS7_lilS4_lPT3_lili ; -- Begin function _ZL34rocblas_gemvn_sm_mn_batched_kernelILi32ELi24EPKDF16_fKPfEviiT2_lPKT1_lilS7_lilS4_lPT3_lili
	.p2align	8
	.type	_ZL34rocblas_gemvn_sm_mn_batched_kernelILi32ELi24EPKDF16_fKPfEviiT2_lPKT1_lilS7_lilS4_lPT3_lili,@function
_ZL34rocblas_gemvn_sm_mn_batched_kernelILi32ELi24EPKDF16_fKPfEviiT2_lPKT1_lilS7_lilS4_lPT3_lili: ; @_ZL34rocblas_gemvn_sm_mn_batched_kernelILi32ELi24EPKDF16_fKPfEviiT2_lPKT1_lilS7_lilS4_lPT3_lili
; %bb.0:
	s_endpgm
	.section	.rodata,"a",@progbits
	.p2align	6, 0x0
	.amdhsa_kernel _ZL34rocblas_gemvn_sm_mn_batched_kernelILi32ELi24EPKDF16_fKPfEviiT2_lPKT1_lilS7_lilS4_lPT3_lili
		.amdhsa_group_segment_fixed_size 0
		.amdhsa_private_segment_fixed_size 0
		.amdhsa_kernarg_size 140
		.amdhsa_user_sgpr_count 2
		.amdhsa_user_sgpr_dispatch_ptr 0
		.amdhsa_user_sgpr_queue_ptr 0
		.amdhsa_user_sgpr_kernarg_segment_ptr 1
		.amdhsa_user_sgpr_dispatch_id 0
		.amdhsa_user_sgpr_kernarg_preload_length 0
		.amdhsa_user_sgpr_kernarg_preload_offset 0
		.amdhsa_user_sgpr_private_segment_size 0
		.amdhsa_wavefront_size32 1
		.amdhsa_uses_dynamic_stack 0
		.amdhsa_enable_private_segment 0
		.amdhsa_system_sgpr_workgroup_id_x 1
		.amdhsa_system_sgpr_workgroup_id_y 0
		.amdhsa_system_sgpr_workgroup_id_z 0
		.amdhsa_system_sgpr_workgroup_info 0
		.amdhsa_system_vgpr_workitem_id 0
		.amdhsa_next_free_vgpr 1
		.amdhsa_next_free_sgpr 1
		.amdhsa_named_barrier_count 0
		.amdhsa_reserve_vcc 0
		.amdhsa_float_round_mode_32 0
		.amdhsa_float_round_mode_16_64 0
		.amdhsa_float_denorm_mode_32 3
		.amdhsa_float_denorm_mode_16_64 3
		.amdhsa_fp16_overflow 0
		.amdhsa_memory_ordered 1
		.amdhsa_forward_progress 1
		.amdhsa_inst_pref_size 1
		.amdhsa_round_robin_scheduling 0
		.amdhsa_exception_fp_ieee_invalid_op 0
		.amdhsa_exception_fp_denorm_src 0
		.amdhsa_exception_fp_ieee_div_zero 0
		.amdhsa_exception_fp_ieee_overflow 0
		.amdhsa_exception_fp_ieee_underflow 0
		.amdhsa_exception_fp_ieee_inexact 0
		.amdhsa_exception_int_div_zero 0
	.end_amdhsa_kernel
	.section	.text._ZL34rocblas_gemvn_sm_mn_batched_kernelILi32ELi24EPKDF16_fKPfEviiT2_lPKT1_lilS7_lilS4_lPT3_lili,"axG",@progbits,_ZL34rocblas_gemvn_sm_mn_batched_kernelILi32ELi24EPKDF16_fKPfEviiT2_lPKT1_lilS7_lilS4_lPT3_lili,comdat
.Lfunc_end505:
	.size	_ZL34rocblas_gemvn_sm_mn_batched_kernelILi32ELi24EPKDF16_fKPfEviiT2_lPKT1_lilS7_lilS4_lPT3_lili, .Lfunc_end505-_ZL34rocblas_gemvn_sm_mn_batched_kernelILi32ELi24EPKDF16_fKPfEviiT2_lPKT1_lilS7_lilS4_lPT3_lili
                                        ; -- End function
	.set _ZL34rocblas_gemvn_sm_mn_batched_kernelILi32ELi24EPKDF16_fKPfEviiT2_lPKT1_lilS7_lilS4_lPT3_lili.num_vgpr, 0
	.set _ZL34rocblas_gemvn_sm_mn_batched_kernelILi32ELi24EPKDF16_fKPfEviiT2_lPKT1_lilS7_lilS4_lPT3_lili.num_agpr, 0
	.set _ZL34rocblas_gemvn_sm_mn_batched_kernelILi32ELi24EPKDF16_fKPfEviiT2_lPKT1_lilS7_lilS4_lPT3_lili.numbered_sgpr, 0
	.set _ZL34rocblas_gemvn_sm_mn_batched_kernelILi32ELi24EPKDF16_fKPfEviiT2_lPKT1_lilS7_lilS4_lPT3_lili.num_named_barrier, 0
	.set _ZL34rocblas_gemvn_sm_mn_batched_kernelILi32ELi24EPKDF16_fKPfEviiT2_lPKT1_lilS7_lilS4_lPT3_lili.private_seg_size, 0
	.set _ZL34rocblas_gemvn_sm_mn_batched_kernelILi32ELi24EPKDF16_fKPfEviiT2_lPKT1_lilS7_lilS4_lPT3_lili.uses_vcc, 0
	.set _ZL34rocblas_gemvn_sm_mn_batched_kernelILi32ELi24EPKDF16_fKPfEviiT2_lPKT1_lilS7_lilS4_lPT3_lili.uses_flat_scratch, 0
	.set _ZL34rocblas_gemvn_sm_mn_batched_kernelILi32ELi24EPKDF16_fKPfEviiT2_lPKT1_lilS7_lilS4_lPT3_lili.has_dyn_sized_stack, 0
	.set _ZL34rocblas_gemvn_sm_mn_batched_kernelILi32ELi24EPKDF16_fKPfEviiT2_lPKT1_lilS7_lilS4_lPT3_lili.has_recursion, 0
	.set _ZL34rocblas_gemvn_sm_mn_batched_kernelILi32ELi24EPKDF16_fKPfEviiT2_lPKT1_lilS7_lilS4_lPT3_lili.has_indirect_call, 0
	.section	.AMDGPU.csdata,"",@progbits
; Kernel info:
; codeLenInByte = 4
; TotalNumSgprs: 0
; NumVgprs: 0
; ScratchSize: 0
; MemoryBound: 0
; FloatMode: 240
; IeeeMode: 1
; LDSByteSize: 0 bytes/workgroup (compile time only)
; SGPRBlocks: 0
; VGPRBlocks: 0
; NumSGPRsForWavesPerEU: 1
; NumVGPRsForWavesPerEU: 1
; NamedBarCnt: 0
; Occupancy: 16
; WaveLimiterHint : 0
; COMPUTE_PGM_RSRC2:SCRATCH_EN: 0
; COMPUTE_PGM_RSRC2:USER_SGPR: 2
; COMPUTE_PGM_RSRC2:TRAP_HANDLER: 0
; COMPUTE_PGM_RSRC2:TGID_X_EN: 1
; COMPUTE_PGM_RSRC2:TGID_Y_EN: 0
; COMPUTE_PGM_RSRC2:TGID_Z_EN: 0
; COMPUTE_PGM_RSRC2:TIDIG_COMP_CNT: 0
	.section	.text._ZL20rocblas_gemvn_kernelILi64ELi4EiPKDF16_PKfKPfEviiT3_lPKT2_lT1_lS9_lSA_lS6_lPT4_lSA_li,"axG",@progbits,_ZL20rocblas_gemvn_kernelILi64ELi4EiPKDF16_PKfKPfEviiT3_lPKT2_lT1_lS9_lSA_lS6_lPT4_lSA_li,comdat
	.globl	_ZL20rocblas_gemvn_kernelILi64ELi4EiPKDF16_PKfKPfEviiT3_lPKT2_lT1_lS9_lSA_lS6_lPT4_lSA_li ; -- Begin function _ZL20rocblas_gemvn_kernelILi64ELi4EiPKDF16_PKfKPfEviiT3_lPKT2_lT1_lS9_lSA_lS6_lPT4_lSA_li
	.p2align	8
	.type	_ZL20rocblas_gemvn_kernelILi64ELi4EiPKDF16_PKfKPfEviiT3_lPKT2_lT1_lS9_lSA_lS6_lPT4_lSA_li,@function
_ZL20rocblas_gemvn_kernelILi64ELi4EiPKDF16_PKfKPfEviiT3_lPKT2_lT1_lS9_lSA_lS6_lPT4_lSA_li: ; @_ZL20rocblas_gemvn_kernelILi64ELi4EiPKDF16_PKfKPfEviiT3_lPKT2_lT1_lS9_lSA_lS6_lPT4_lSA_li
; %bb.0:
	s_clause 0x1
	s_load_b64 s[4:5], s[0:1], 0x9c
	s_load_b32 s33, s[0:1], 0x88
	s_bfe_u32 s2, ttmp6, 0x40014
	s_lshr_b32 s3, ttmp7, 16
	s_add_co_i32 s2, s2, 1
	s_bfe_u32 s6, ttmp6, 0x40008
	s_mul_i32 s7, s3, s2
	s_getreg_b32 s2, hwreg(HW_REG_IB_STS2, 6, 4)
	s_add_co_i32 s6, s6, s7
	s_mov_b32 s11, 0
	s_wait_kmcnt 0x0
	s_lshr_b32 s7, s4, 16
	s_and_b32 s4, s4, 0xffff
	s_and_b32 s5, s5, 0xffff
	s_mul_i32 s4, s7, s4
	s_cmp_eq_u32 s2, 0
	s_mul_i32 s4, s4, s5
	s_cselect_b32 s10, s3, s6
	s_cmp_lg_u32 s4, 0x100
	s_cselect_b32 s3, -1, 0
	s_cmp_ge_u32 s10, s33
	s_cselect_b32 s4, -1, 0
	s_delay_alu instid0(SALU_CYCLE_1) | instskip(NEXT) | instid1(SALU_CYCLE_1)
	s_or_b32 s3, s3, s4
	s_and_b32 vcc_lo, exec_lo, s3
	s_cbranch_vccnz .LBB506_56
; %bb.1:
	s_clause 0x6
	s_load_b32 s4, s[0:1], 0x78
	s_load_b64 s[8:9], s[0:1], 0x0
	s_load_b256 s[12:19], s[0:1], 0x8
	s_load_b32 s34, s[0:1], 0x28
	s_load_b128 s[28:31], s[0:1], 0x38
	s_load_b32 s35, s[0:1], 0x48
	s_load_b256 s[20:27], s[0:1], 0x58
	s_wait_xcnt 0x0
	s_bfe_u32 s0, ttmp6, 0x4000c
	v_and_b32_e32 v6, 0x3ff, v0
	s_add_co_i32 s0, s0, 1
	v_bfe_u32 v7, v0, 10, 10
	s_and_b32 s1, ttmp6, 15
	s_mul_i32 s0, ttmp9, s0
	v_mov_b32_e32 v1, 0
	s_add_co_i32 s1, s1, s0
	v_lshl_add_u32 v5, v7, 6, v6
	v_lshlrev_b32_e32 v22, 2, v7
	s_wait_kmcnt 0x0
	s_ashr_i32 s5, s4, 31
	s_cmp_eq_u32 s2, 0
	s_mov_b32 s2, s8
	s_cselect_b32 s0, ttmp9, s1
	s_ashr_i32 s3, s8, 31
	s_lshl_b32 s36, s0, 8
	s_ashr_i32 s1, s9, 31
	v_dual_add_nc_u32 v0, s36, v5 :: v_dual_bitop2_b32 v23, s36, v6 bitop3:0x54
	v_or_b32_e32 v8, s36, v5
	s_lshr_b32 s0, s1, 28
	v_mul_lo_u32 v11, v7, s34
	s_delay_alu instid0(VALU_DEP_3)
	v_cmp_gt_i64_e32 vcc_lo, s[2:3], v[0:1]
	v_add_nc_u32_e32 v4, 64, v23
	v_add_nc_u32_e32 v9, 0x80, v23
	v_mul_u64_e32 v[2:3], s[4:5], v[0:1]
	v_add_nc_u32_e32 v0, 0xc0, v23
	s_add_co_i32 s0, s9, s0
	v_cmp_gt_i32_e64 s2, s8, v4
	v_mul_lo_u32 v4, s4, v8
	v_cmp_gt_i32_e64 s3, s8, v9
	v_lshlrev_b32_e32 v9, 2, v6
	v_cmp_gt_i32_e64 s4, s8, v0
	v_cmp_gt_u32_e64 s5, 0x100, v5
	s_and_b32 s37, s0, -16
	v_or_b32_e32 v10, 3, v22
	s_sub_co_i32 s6, s9, s37
	v_mad_u32 v27, s35, v22, s35
	s_cmp_gt_i32 s6, 0
	v_cmp_gt_i32_e64 s6, s8, v8
	v_ashrrev_i32_e32 v5, 31, v4
	v_lshl_add_u32 v0, v7, 10, v9
	v_lshl_add_u32 v24, v7, 8, v9
	v_mul_lo_u32 v7, v7, s35
	v_mul_lo_u32 v8, s34, v22
	v_or_b32_e32 v9, 2, v22
	v_mad_u32 v26, s34, v10, v6
	v_mul_lo_u32 v29, s35, v10
	v_cmp_gt_i32_e64 s0, s37, v22
	v_cmp_gt_i32_e64 s1, s8, v23
	v_lshl_add_u32 v31, v11, 2, v6
	s_cselect_b32 s38, -1, 0
	s_and_b32 s39, s5, vcc_lo
	s_lshl_b32 s40, s34, 4
	v_lshlrev_b32_e32 v32, 2, v7
	v_mad_u32 v25, s34, v9, v6
	v_mul_lo_u32 v28, s35, v9
	v_add3_u32 v30, v8, s34, v6
	s_lshl_b32 s41, s35, 4
	s_lshl_b64 s[18:19], s[18:19], 1
	s_lshl_b64 s[30:31], s[30:31], 1
	s_lshl_b64 s[26:27], s[26:27], 2
	s_branch .LBB506_4
.LBB506_2:                              ;   in Loop: Header=BB506_4 Depth=1
	s_wait_xcnt 0x0
	s_or_b32 exec_lo, exec_lo, s7
.LBB506_3:                              ;   in Loop: Header=BB506_4 Depth=1
	s_add_co_i32 s10, s10, 0x10000
	s_delay_alu instid0(SALU_CYCLE_1)
	s_cmp_lt_u32 s10, s33
	s_cbranch_scc0 .LBB506_56
.LBB506_4:                              ; =>This Loop Header: Depth=1
                                        ;     Child Loop BB506_24 Depth 2
	s_mul_u64 s[42:43], s[14:15], s[10:11]
	s_wait_xcnt 0x0
	s_mul_u64 s[44:45], s[22:23], s[10:11]
	s_lshl_b64 s[42:43], s[42:43], 2
	s_lshl_b64 s[44:45], s[44:45], 2
	s_add_nc_u64 s[42:43], s[12:13], s[42:43]
	s_add_nc_u64 s[44:45], s[20:21], s[44:45]
	s_clause 0x1
	global_load_b32 v33, v1, s[42:43]
	global_load_b32 v6, v1, s[44:45]
	s_wait_loadcnt 0x1
	v_cmp_eq_f32_e64 s7, 0, v33
	s_wait_loadcnt 0x0
	v_cmp_eq_f32_e32 vcc_lo, 1.0, v6
	s_wait_xcnt 0x1
	v_readfirstlane_b32 s42, v6
	s_and_b32 s8, s7, vcc_lo
	s_delay_alu instid0(SALU_CYCLE_1)
	s_and_b32 vcc_lo, exec_lo, s8
	s_cbranch_vccnz .LBB506_3
; %bb.5:                                ;   in Loop: Header=BB506_4 Depth=1
	v_mov_b64_e32 v[10:11], 0
	v_mov_b64_e32 v[8:9], 0
	v_cmp_neq_f32_e64 s8, 0, v33
	s_and_b32 vcc_lo, exec_lo, s7
	s_cbranch_vccnz .LBB506_7
; %bb.6:                                ;   in Loop: Header=BB506_4 Depth=1
	s_wait_xcnt 0x0
	s_lshl_b64 s[44:45], s[10:11], 3
	s_delay_alu instid0(SALU_CYCLE_1)
	s_add_nc_u64 s[44:45], s[16:17], s[44:45]
	global_load_b64 v[6:7], v1, s[44:45]
	s_wait_loadcnt 0x0
	v_add_nc_u64_e32 v[8:9], s[18:19], v[6:7]
.LBB506_7:                              ;   in Loop: Header=BB506_4 Depth=1
	s_and_not1_b32 vcc_lo, exec_lo, s8
	s_cbranch_vccnz .LBB506_9
; %bb.8:                                ;   in Loop: Header=BB506_4 Depth=1
	s_wait_xcnt 0x0
	s_lshl_b64 s[44:45], s[10:11], 3
	s_delay_alu instid0(SALU_CYCLE_1)
	s_add_nc_u64 s[44:45], s[28:29], s[44:45]
	global_load_b64 v[6:7], v1, s[44:45]
	s_wait_loadcnt 0x0
	v_add_nc_u64_e32 v[10:11], s[30:31], v[6:7]
.LBB506_9:                              ;   in Loop: Header=BB506_4 Depth=1
	s_wait_xcnt 0x0
	s_lshl_b64 s[44:45], s[10:11], 3
	s_and_not1_b32 vcc_lo, exec_lo, s7
	s_add_nc_u64 s[44:45], s[24:25], s[44:45]
	global_load_b64 v[6:7], v1, s[44:45]
	s_wait_loadcnt 0x0
	v_add_nc_u64_e32 v[6:7], s[26:27], v[6:7]
	s_cbranch_vccnz .LBB506_13
; %bb.10:                               ;   in Loop: Header=BB506_4 Depth=1
	s_mov_b32 s7, 0
	s_mov_b32 s8, 0
                                        ; implicit-def: $vgpr12
	s_wait_xcnt 0x0
	s_and_saveexec_b32 s43, s39
	s_cbranch_execz .LBB506_14
; %bb.11:                               ;   in Loop: Header=BB506_4 Depth=1
	s_cmp_eq_f32 s42, 0
	s_cbranch_scc1 .LBB506_16
; %bb.12:                               ;   in Loop: Header=BB506_4 Depth=1
	v_lshl_add_u64 v[12:13], v[2:3], 2, v[6:7]
	flat_load_b32 v12, v[12:13]
	s_wait_loadcnt_dscnt 0x0
	s_wait_xcnt 0x0
	v_mul_f32_e32 v12, s42, v12
	s_branch .LBB506_17
.LBB506_13:                             ;   in Loop: Header=BB506_4 Depth=1
	s_mov_b32 s8, 0
                                        ; implicit-def: $vgpr12
	s_cbranch_execz .LBB506_15
	s_branch .LBB506_18
.LBB506_14:                             ;   in Loop: Header=BB506_4 Depth=1
	s_or_b32 exec_lo, exec_lo, s43
	s_delay_alu instid0(SALU_CYCLE_1)
	s_and_b32 vcc_lo, exec_lo, s7
	s_cbranch_vccnz .LBB506_18
.LBB506_15:                             ;   in Loop: Header=BB506_4 Depth=1
	v_mov_b64_e32 v[8:9], v[2:3]
	s_wait_xcnt 0x0
	s_and_saveexec_b32 s7, s8
	s_cbranch_execz .LBB506_2
	s_branch .LBB506_55
.LBB506_16:                             ;   in Loop: Header=BB506_4 Depth=1
	v_mov_b32_e32 v12, 0
.LBB506_17:                             ;   in Loop: Header=BB506_4 Depth=1
	s_mov_b32 s8, exec_lo
	s_or_b32 exec_lo, exec_lo, s43
	s_delay_alu instid0(SALU_CYCLE_1)
	s_and_b32 vcc_lo, exec_lo, s7
	s_cbranch_vccz .LBB506_15
.LBB506_18:                             ;   in Loop: Header=BB506_4 Depth=1
	v_dual_mov_b32 v34, 0 :: v_dual_mov_b32 v38, v22
	v_dual_mov_b32 v35, 0 :: v_dual_mov_b32 v36, 0
	v_mov_b32_e32 v37, 0
	s_wait_xcnt 0x0
	s_and_saveexec_b32 s7, s0
	s_cbranch_execz .LBB506_30
; %bb.19:                               ;   in Loop: Header=BB506_4 Depth=1
	v_dual_mov_b32 v34, 0 :: v_dual_mov_b32 v39, v31
	v_dual_mov_b32 v40, v26 :: v_dual_mov_b32 v41, v25
	;; [unrolled: 1-line block ×4, first 2 shown]
	v_mov_b32_e32 v37, 0
	s_mov_b32 s43, 0
	s_mov_b32 s44, 0
	s_branch .LBB506_24
.LBB506_20:                             ;   in Loop: Header=BB506_24 Depth=2
	s_wait_xcnt 0x0
	s_or_b32 exec_lo, exec_lo, s48
	s_wait_loadcnt_dscnt 0x303
	v_fma_mix_f32 v12, v53, v57, v36 op_sel_hi:[0,1,0]
	s_wait_loadcnt_dscnt 0x202
	s_delay_alu instid0(VALU_DEP_1) | instskip(SKIP_1) | instid1(VALU_DEP_1)
	v_fma_mix_f32 v12, v54, v58, v12 op_sel_hi:[0,1,0]
	s_wait_loadcnt_dscnt 0x101
	v_fma_mix_f32 v12, v55, v59, v12 op_sel_hi:[0,1,0]
	s_wait_loadcnt_dscnt 0x0
	s_delay_alu instid0(VALU_DEP_1)
	v_fma_mix_f32 v36, v56, v60, v12 op_sel_hi:[0,1,0]
.LBB506_21:                             ;   in Loop: Header=BB506_24 Depth=2
	s_or_b32 exec_lo, exec_lo, s47
	s_wait_loadcnt_dscnt 0x303
	v_fma_mix_f32 v12, v53, v18, v35 op_sel_hi:[0,1,0]
	s_wait_loadcnt_dscnt 0x202
	s_delay_alu instid0(VALU_DEP_1) | instskip(SKIP_1) | instid1(VALU_DEP_1)
	v_fma_mix_f32 v12, v54, v19, v12 op_sel_hi:[0,1,0]
	s_wait_loadcnt_dscnt 0x101
	v_fma_mix_f32 v12, v55, v51, v12 op_sel_hi:[0,1,0]
	s_wait_loadcnt_dscnt 0x0
	s_delay_alu instid0(VALU_DEP_1)
	v_fma_mix_f32 v35, v56, v52, v12 op_sel_hi:[0,1,0]
.LBB506_22:                             ;   in Loop: Header=BB506_24 Depth=2
	s_or_b32 exec_lo, exec_lo, s46
	s_wait_loadcnt_dscnt 0x303
	v_fma_mix_f32 v12, v43, v47, v34 op_sel_hi:[1,1,0]
	s_wait_loadcnt_dscnt 0x202
	s_delay_alu instid0(VALU_DEP_1) | instskip(SKIP_1) | instid1(VALU_DEP_1)
	v_fma_mix_f32 v12, v44, v48, v12 op_sel_hi:[1,1,0]
	s_wait_loadcnt_dscnt 0x101
	v_fma_mix_f32 v12, v45, v49, v12 op_sel_hi:[1,1,0]
	s_wait_loadcnt_dscnt 0x0
	s_delay_alu instid0(VALU_DEP_1)
	v_fma_mix_f32 v34, v46, v50, v12 op_sel_hi:[1,1,0]
.LBB506_23:                             ;   in Loop: Header=BB506_24 Depth=2
	s_or_b32 exec_lo, exec_lo, s45
	v_dual_add_nc_u32 v38, 16, v38 :: v_dual_add_nc_u32 v41, s40, v41
	v_dual_add_nc_u32 v42, s40, v42 :: v_dual_add_nc_u32 v40, s40, v40
	v_add_nc_u32_e32 v39, s40, v39
	s_delay_alu instid0(VALU_DEP_3) | instskip(SKIP_2) | instid1(SALU_CYCLE_1)
	v_cmp_le_i32_e32 vcc_lo, s37, v38
	s_add_co_i32 s44, s44, s41
	s_or_b32 s43, vcc_lo, s43
	s_and_not1_b32 exec_lo, exec_lo, s43
	s_cbranch_execz .LBB506_29
.LBB506_24:                             ;   Parent Loop BB506_4 Depth=1
                                        ; =>  This Inner Loop Header: Depth=2
	s_and_saveexec_b32 s45, s1
	s_cbranch_execz .LBB506_23
; %bb.25:                               ;   in Loop: Header=BB506_24 Depth=2
	v_dual_add_nc_u32 v13, s44, v32 :: v_dual_add_nc_u32 v15, s44, v27
	v_readfirstlane_b32 s46, v10
	v_readfirstlane_b32 s47, v11
	v_dual_add_nc_u32 v17, s44, v28 :: v_dual_add_nc_u32 v19, s44, v29
	v_dual_add_nc_u32 v12, s36, v39 :: v_dual_add_nc_u32 v14, s36, v42
	v_readfirstlane_b32 s48, v8
	v_readfirstlane_b32 s49, v9
	v_dual_add_nc_u32 v18, s36, v41 :: v_dual_add_nc_u32 v16, s36, v40
	s_clause 0x3
	flat_load_u16 v43, v13, s[46:47] scale_offset
	flat_load_u16 v44, v15, s[46:47] scale_offset
	;; [unrolled: 1-line block ×4, first 2 shown]
	s_clause 0x3
	flat_load_u16 v47, v12, s[48:49] scale_offset
	flat_load_u16 v48, v14, s[48:49] scale_offset
	;; [unrolled: 1-line block ×4, first 2 shown]
	s_wait_xcnt 0x0
	s_and_saveexec_b32 s46, s2
	s_cbranch_execz .LBB506_22
; %bb.26:                               ;   in Loop: Header=BB506_24 Depth=2
	v_dual_ashrrev_i32 v13, 31, v12 :: v_dual_ashrrev_i32 v15, 31, v14
	v_dual_ashrrev_i32 v19, 31, v18 :: v_dual_ashrrev_i32 v17, 31, v16
	s_wait_loadcnt_dscnt 0x707
	v_cvt_f32_f16_e32 v53, v43
	s_delay_alu instid0(VALU_DEP_3)
	v_lshl_add_u64 v[20:21], v[12:13], 1, v[8:9]
	v_lshl_add_u64 v[12:13], v[14:15], 1, v[8:9]
	;; [unrolled: 1-line block ×4, first 2 shown]
	s_wait_loadcnt_dscnt 0x606
	v_cvt_f32_f16_e32 v54, v44
	s_clause 0x3
	flat_load_u16 v18, v[20:21] offset:128
	flat_load_u16 v19, v[12:13] offset:128
	;; [unrolled: 1-line block ×4, first 2 shown]
	s_wait_loadcnt_dscnt 0x909
	v_cvt_f32_f16_e32 v55, v45
	s_wait_loadcnt_dscnt 0x808
	v_cvt_f32_f16_e32 v56, v46
	s_wait_xcnt 0x0
	s_and_saveexec_b32 s47, s3
	s_cbranch_execz .LBB506_21
; %bb.27:                               ;   in Loop: Header=BB506_24 Depth=2
	s_clause 0x3
	flat_load_u16 v57, v[20:21] offset:256
	flat_load_u16 v58, v[12:13] offset:256
	;; [unrolled: 1-line block ×4, first 2 shown]
	s_wait_xcnt 0x0
	s_and_saveexec_b32 s48, s4
	s_cbranch_execz .LBB506_20
; %bb.28:                               ;   in Loop: Header=BB506_24 Depth=2
	s_clause 0x3
	flat_load_u16 v61, v[20:21] offset:384
	flat_load_u16 v62, v[12:13] offset:384
	;; [unrolled: 1-line block ×4, first 2 shown]
	s_wait_loadcnt_dscnt 0x303
	s_wait_xcnt 0x2
	v_fma_mix_f32 v12, v53, v61, v37 op_sel_hi:[0,1,0]
	s_wait_loadcnt_dscnt 0x202
	s_delay_alu instid0(VALU_DEP_1) | instskip(SKIP_1) | instid1(VALU_DEP_1)
	v_fma_mix_f32 v12, v54, v62, v12 op_sel_hi:[0,1,0]
	s_wait_loadcnt_dscnt 0x101
	v_fma_mix_f32 v12, v55, v63, v12 op_sel_hi:[0,1,0]
	s_wait_loadcnt_dscnt 0x0
	s_delay_alu instid0(VALU_DEP_1)
	v_fma_mix_f32 v37, v56, v64, v12 op_sel_hi:[0,1,0]
	s_branch .LBB506_20
.LBB506_29:                             ;   in Loop: Header=BB506_4 Depth=1
	s_or_b32 exec_lo, exec_lo, s43
.LBB506_30:                             ;   in Loop: Header=BB506_4 Depth=1
	s_delay_alu instid0(SALU_CYCLE_1) | instskip(NEXT) | instid1(SALU_CYCLE_1)
	s_or_b32 exec_lo, exec_lo, s7
	s_and_not1_b32 vcc_lo, exec_lo, s38
	s_cbranch_vccnz .LBB506_48
; %bb.31:                               ;   in Loop: Header=BB506_4 Depth=1
	v_cmp_gt_i32_e32 vcc_lo, s9, v38
	v_dual_mov_b32 v20, 0 :: v_dual_bitop2_b32 v12, 1, v38 bitop3:0x54
	v_dual_mov_b32 v21, 0 :: v_dual_mov_b32 v39, 0
	v_mov_b32_e32 v40, 0
	s_and_saveexec_b32 s43, vcc_lo
	s_cbranch_execz .LBB506_39
; %bb.32:                               ;   in Loop: Header=BB506_4 Depth=1
	v_mul_lo_u32 v13, v38, s35
	v_readfirstlane_b32 s44, v10
	v_readfirstlane_b32 s45, v11
	v_dual_mov_b32 v39, 0 :: v_dual_mov_b32 v21, 0
	v_mov_b32_e32 v20, 0
	flat_load_u16 v13, v13, s[44:45] scale_offset
	s_wait_xcnt 0x0
	s_mov_b32 s44, exec_lo
	v_cmpx_gt_i32_e64 s9, v12
	s_cbranch_execz .LBB506_38
; %bb.33:                               ;   in Loop: Header=BB506_4 Depth=1
	v_mul_lo_u32 v14, v12, s35
	v_readfirstlane_b32 s46, v10
	v_readfirstlane_b32 s47, v11
	v_dual_mov_b32 v21, 0 :: v_dual_bitop2_b32 v15, 2, v38 bitop3:0x54
	v_mov_b32_e32 v20, 0
	s_mov_b32 s45, exec_lo
	flat_load_u16 v14, v14, s[46:47] scale_offset
	s_wait_xcnt 0x0
	v_cmpx_gt_i32_e64 s9, v15
	s_cbranch_execz .LBB506_37
; %bb.34:                               ;   in Loop: Header=BB506_4 Depth=1
	v_mul_lo_u32 v15, v15, s35
	v_readfirstlane_b32 s46, v10
	v_readfirstlane_b32 s47, v11
	v_dual_mov_b32 v20, 0 :: v_dual_bitop2_b32 v16, 3, v38 bitop3:0x54
	flat_load_u16 v15, v15, s[46:47] scale_offset
	s_wait_xcnt 0x0
	s_mov_b32 s46, exec_lo
	v_cmpx_gt_i32_e64 s9, v16
	s_cbranch_execz .LBB506_36
; %bb.35:                               ;   in Loop: Header=BB506_4 Depth=1
	v_mul_lo_u32 v16, v16, s35
	v_readfirstlane_b32 s48, v10
	v_readfirstlane_b32 s49, v11
	flat_load_u16 v10, v16, s[48:49] scale_offset
	s_wait_loadcnt_dscnt 0x0
	v_cvt_f32_f16_e32 v20, v10
.LBB506_36:                             ;   in Loop: Header=BB506_4 Depth=1
	s_wait_xcnt 0x0
	s_or_b32 exec_lo, exec_lo, s46
	s_wait_loadcnt_dscnt 0x0
	v_cvt_f32_f16_e32 v21, v15
.LBB506_37:                             ;   in Loop: Header=BB506_4 Depth=1
	s_or_b32 exec_lo, exec_lo, s45
	s_wait_loadcnt_dscnt 0x0
	v_cvt_f32_f16_e32 v39, v14
.LBB506_38:                             ;   in Loop: Header=BB506_4 Depth=1
	s_or_b32 exec_lo, exec_lo, s44
	s_wait_loadcnt_dscnt 0x0
	v_cvt_f32_f16_e32 v40, v13
.LBB506_39:                             ;   in Loop: Header=BB506_4 Depth=1
	s_or_b32 exec_lo, exec_lo, s43
	s_and_saveexec_b32 s7, s1
	s_cbranch_execz .LBB506_47
; %bb.40:                               ;   in Loop: Header=BB506_4 Depth=1
	v_mul_lo_u32 v11, v38, s34
	v_or_b32_e32 v10, 2, v38
	v_mul_lo_u32 v14, v12, s34
	v_readfirstlane_b32 s44, v8
	v_readfirstlane_b32 s45, v9
	v_cndmask_b32_e32 v11, 0, v11, vcc_lo
	v_mul_lo_u32 v15, v10, s34
	v_cmp_gt_i32_e32 vcc_lo, s9, v12
	v_cndmask_b32_e32 v12, 0, v14, vcc_lo
	v_cmp_gt_i32_e32 vcc_lo, s9, v10
	s_delay_alu instid0(VALU_DEP_4) | instskip(NEXT) | instid1(VALU_DEP_1)
	v_dual_cndmask_b32 v15, 0, v15, vcc_lo :: v_dual_bitop2_b32 v13, 3, v38 bitop3:0x54
	v_mul_lo_u32 v16, v13, s34
	v_cmp_gt_i32_e32 vcc_lo, s9, v13
	s_delay_alu instid0(VALU_DEP_2) | instskip(NEXT) | instid1(VALU_DEP_4)
	v_dual_cndmask_b32 v13, 0, v16 :: v_dual_add_nc_u32 v10, v11, v23
	v_dual_add_nc_u32 v14, v12, v23 :: v_dual_add_nc_u32 v18, v15, v23
	s_delay_alu instid0(VALU_DEP_2)
	v_add_nc_u32_e32 v16, v13, v23
	s_clause 0x3
	flat_load_u16 v38, v10, s[44:45] scale_offset
	flat_load_u16 v41, v14, s[44:45] scale_offset
	;; [unrolled: 1-line block ×4, first 2 shown]
	s_wait_xcnt 0x0
	s_and_saveexec_b32 s43, s2
	s_cbranch_execz .LBB506_46
; %bb.41:                               ;   in Loop: Header=BB506_4 Depth=1
	v_dual_ashrrev_i32 v11, 31, v10 :: v_dual_ashrrev_i32 v17, 31, v16
	v_ashrrev_i32_e32 v15, 31, v14
	v_ashrrev_i32_e32 v19, 31, v18
	s_delay_alu instid0(VALU_DEP_3) | instskip(NEXT) | instid1(VALU_DEP_3)
	v_lshl_add_u64 v[12:13], v[10:11], 1, v[8:9]
	v_lshl_add_u64 v[10:11], v[14:15], 1, v[8:9]
	s_delay_alu instid0(VALU_DEP_3)
	v_lshl_add_u64 v[14:15], v[18:19], 1, v[8:9]
	v_lshl_add_u64 v[8:9], v[16:17], 1, v[8:9]
	s_clause 0x3
	flat_load_u16 v16, v[12:13] offset:128
	flat_load_u16 v17, v[10:11] offset:128
	;; [unrolled: 1-line block ×4, first 2 shown]
	s_wait_xcnt 0x0
	s_and_saveexec_b32 s44, s3
	s_cbranch_execz .LBB506_45
; %bb.42:                               ;   in Loop: Header=BB506_4 Depth=1
	s_clause 0x3
	flat_load_u16 v44, v[12:13] offset:256
	flat_load_u16 v45, v[10:11] offset:256
	;; [unrolled: 1-line block ×4, first 2 shown]
	s_wait_xcnt 0x0
	s_and_saveexec_b32 s45, s4
	s_cbranch_execz .LBB506_44
; %bb.43:                               ;   in Loop: Header=BB506_4 Depth=1
	s_clause 0x3
	flat_load_u16 v48, v[12:13] offset:384
	flat_load_u16 v49, v[10:11] offset:384
	flat_load_u16 v50, v[14:15] offset:384
	flat_load_u16 v51, v[8:9] offset:384
	s_wait_loadcnt_dscnt 0x303
	s_wait_xcnt 0x0
	v_fma_mix_f32 v8, v40, v48, v37 op_sel_hi:[0,1,0]
	s_wait_loadcnt_dscnt 0x202
	s_delay_alu instid0(VALU_DEP_1) | instskip(SKIP_1) | instid1(VALU_DEP_1)
	v_fma_mix_f32 v8, v39, v49, v8 op_sel_hi:[0,1,0]
	s_wait_loadcnt_dscnt 0x101
	v_fma_mix_f32 v8, v21, v50, v8 op_sel_hi:[0,1,0]
	s_wait_loadcnt_dscnt 0x0
	s_delay_alu instid0(VALU_DEP_1)
	v_fma_mix_f32 v37, v20, v51, v8 op_sel_hi:[0,1,0]
.LBB506_44:                             ;   in Loop: Header=BB506_4 Depth=1
	s_or_b32 exec_lo, exec_lo, s45
	s_wait_loadcnt_dscnt 0x303
	v_fma_mix_f32 v8, v40, v44, v36 op_sel_hi:[0,1,0]
	s_wait_loadcnt_dscnt 0x202
	s_delay_alu instid0(VALU_DEP_1) | instskip(SKIP_1) | instid1(VALU_DEP_1)
	v_fma_mix_f32 v8, v39, v45, v8 op_sel_hi:[0,1,0]
	s_wait_loadcnt_dscnt 0x101
	v_fma_mix_f32 v8, v21, v46, v8 op_sel_hi:[0,1,0]
	s_wait_loadcnt_dscnt 0x0
	s_delay_alu instid0(VALU_DEP_1)
	v_fma_mix_f32 v36, v20, v47, v8 op_sel_hi:[0,1,0]
.LBB506_45:                             ;   in Loop: Header=BB506_4 Depth=1
	s_or_b32 exec_lo, exec_lo, s44
	s_wait_loadcnt_dscnt 0x303
	v_fma_mix_f32 v8, v40, v16, v35 op_sel_hi:[0,1,0]
	s_wait_loadcnt_dscnt 0x202
	s_delay_alu instid0(VALU_DEP_1) | instskip(SKIP_1) | instid1(VALU_DEP_1)
	v_fma_mix_f32 v8, v39, v17, v8 op_sel_hi:[0,1,0]
	s_wait_loadcnt_dscnt 0x101
	v_fma_mix_f32 v8, v21, v18, v8 op_sel_hi:[0,1,0]
	s_wait_loadcnt_dscnt 0x0
	s_delay_alu instid0(VALU_DEP_1)
	v_fma_mix_f32 v35, v20, v19, v8 op_sel_hi:[0,1,0]
.LBB506_46:                             ;   in Loop: Header=BB506_4 Depth=1
	s_or_b32 exec_lo, exec_lo, s43
	s_wait_loadcnt_dscnt 0x303
	v_fma_mix_f32 v8, v40, v38, v34 op_sel_hi:[0,1,0]
	s_wait_loadcnt_dscnt 0x202
	s_delay_alu instid0(VALU_DEP_1) | instskip(SKIP_1) | instid1(VALU_DEP_1)
	v_fma_mix_f32 v8, v39, v41, v8 op_sel_hi:[0,1,0]
	s_wait_loadcnt_dscnt 0x101
	v_fma_mix_f32 v8, v21, v42, v8 op_sel_hi:[0,1,0]
	s_wait_loadcnt_dscnt 0x0
	s_delay_alu instid0(VALU_DEP_1)
	v_fma_mix_f32 v34, v20, v43, v8 op_sel_hi:[0,1,0]
.LBB506_47:                             ;   in Loop: Header=BB506_4 Depth=1
	s_or_b32 exec_lo, exec_lo, s7
.LBB506_48:                             ;   in Loop: Header=BB506_4 Depth=1
	ds_store_2addr_stride64_b32 v0, v34, v35 offset1:1
	ds_store_2addr_stride64_b32 v0, v36, v37 offset0:2 offset1:3
	s_wait_dscnt 0x0
	s_barrier_signal -1
	s_barrier_wait -1
                                        ; implicit-def: $vgpr12
	s_and_saveexec_b32 s7, s5
	s_cbranch_execz .LBB506_54
; %bb.49:                               ;   in Loop: Header=BB506_4 Depth=1
	ds_load_2addr_stride64_b32 v[8:9], v24 offset1:4
	ds_load_2addr_stride64_b32 v[10:11], v24 offset0:8 offset1:12
	s_mov_b32 s44, s8
                                        ; implicit-def: $vgpr12
	s_wait_dscnt 0x1
	v_add_f32_e32 v8, v8, v9
	s_wait_dscnt 0x0
	s_delay_alu instid0(VALU_DEP_1) | instskip(NEXT) | instid1(VALU_DEP_1)
	v_add_f32_e32 v8, v10, v8
	v_add_f32_e32 v8, v11, v8
	ds_store_b32 v24, v8
	s_and_saveexec_b32 s43, s6
	s_cbranch_execz .LBB506_53
; %bb.50:                               ;   in Loop: Header=BB506_4 Depth=1
	v_mul_f32_e32 v12, v33, v8
	s_cmp_eq_f32 s42, 0
	s_cbranch_scc1 .LBB506_52
; %bb.51:                               ;   in Loop: Header=BB506_4 Depth=1
	v_lshl_add_u64 v[8:9], v[4:5], 2, v[6:7]
	flat_load_b32 v8, v[8:9]
	s_wait_loadcnt_dscnt 0x0
	v_fmac_f32_e32 v12, s42, v8
.LBB506_52:                             ;   in Loop: Header=BB506_4 Depth=1
	s_or_b32 s44, s8, exec_lo
.LBB506_53:                             ;   in Loop: Header=BB506_4 Depth=1
	s_wait_xcnt 0x0
	s_or_b32 exec_lo, exec_lo, s43
	s_delay_alu instid0(SALU_CYCLE_1) | instskip(SKIP_1) | instid1(SALU_CYCLE_1)
	s_and_not1_b32 s8, s8, exec_lo
	s_and_b32 s42, s44, exec_lo
	s_or_b32 s8, s8, s42
.LBB506_54:                             ;   in Loop: Header=BB506_4 Depth=1
	s_or_b32 exec_lo, exec_lo, s7
	v_mov_b64_e32 v[8:9], v[4:5]
	s_and_saveexec_b32 s7, s8
	s_cbranch_execz .LBB506_2
.LBB506_55:                             ;   in Loop: Header=BB506_4 Depth=1
	s_delay_alu instid0(VALU_DEP_1)
	v_lshl_add_u64 v[6:7], v[8:9], 2, v[6:7]
	flat_store_b32 v[6:7], v12
	s_branch .LBB506_2
.LBB506_56:
	s_sendmsg sendmsg(MSG_DEALLOC_VGPRS)
	s_endpgm
	.section	.rodata,"a",@progbits
	.p2align	6, 0x0
	.amdhsa_kernel _ZL20rocblas_gemvn_kernelILi64ELi4EiPKDF16_PKfKPfEviiT3_lPKT2_lT1_lS9_lSA_lS6_lPT4_lSA_li
		.amdhsa_group_segment_fixed_size 4096
		.amdhsa_private_segment_fixed_size 0
		.amdhsa_kernarg_size 400
		.amdhsa_user_sgpr_count 2
		.amdhsa_user_sgpr_dispatch_ptr 0
		.amdhsa_user_sgpr_queue_ptr 0
		.amdhsa_user_sgpr_kernarg_segment_ptr 1
		.amdhsa_user_sgpr_dispatch_id 0
		.amdhsa_user_sgpr_kernarg_preload_length 0
		.amdhsa_user_sgpr_kernarg_preload_offset 0
		.amdhsa_user_sgpr_private_segment_size 0
		.amdhsa_wavefront_size32 1
		.amdhsa_uses_dynamic_stack 0
		.amdhsa_enable_private_segment 0
		.amdhsa_system_sgpr_workgroup_id_x 1
		.amdhsa_system_sgpr_workgroup_id_y 0
		.amdhsa_system_sgpr_workgroup_id_z 1
		.amdhsa_system_sgpr_workgroup_info 0
		.amdhsa_system_vgpr_workitem_id 1
		.amdhsa_next_free_vgpr 65
		.amdhsa_next_free_sgpr 50
		.amdhsa_named_barrier_count 0
		.amdhsa_reserve_vcc 1
		.amdhsa_float_round_mode_32 0
		.amdhsa_float_round_mode_16_64 0
		.amdhsa_float_denorm_mode_32 3
		.amdhsa_float_denorm_mode_16_64 3
		.amdhsa_fp16_overflow 0
		.amdhsa_memory_ordered 1
		.amdhsa_forward_progress 1
		.amdhsa_inst_pref_size 24
		.amdhsa_round_robin_scheduling 0
		.amdhsa_exception_fp_ieee_invalid_op 0
		.amdhsa_exception_fp_denorm_src 0
		.amdhsa_exception_fp_ieee_div_zero 0
		.amdhsa_exception_fp_ieee_overflow 0
		.amdhsa_exception_fp_ieee_underflow 0
		.amdhsa_exception_fp_ieee_inexact 0
		.amdhsa_exception_int_div_zero 0
	.end_amdhsa_kernel
	.section	.text._ZL20rocblas_gemvn_kernelILi64ELi4EiPKDF16_PKfKPfEviiT3_lPKT2_lT1_lS9_lSA_lS6_lPT4_lSA_li,"axG",@progbits,_ZL20rocblas_gemvn_kernelILi64ELi4EiPKDF16_PKfKPfEviiT3_lPKT2_lT1_lS9_lSA_lS6_lPT4_lSA_li,comdat
.Lfunc_end506:
	.size	_ZL20rocblas_gemvn_kernelILi64ELi4EiPKDF16_PKfKPfEviiT3_lPKT2_lT1_lS9_lSA_lS6_lPT4_lSA_li, .Lfunc_end506-_ZL20rocblas_gemvn_kernelILi64ELi4EiPKDF16_PKfKPfEviiT3_lPKT2_lT1_lS9_lSA_lS6_lPT4_lSA_li
                                        ; -- End function
	.set _ZL20rocblas_gemvn_kernelILi64ELi4EiPKDF16_PKfKPfEviiT3_lPKT2_lT1_lS9_lSA_lS6_lPT4_lSA_li.num_vgpr, 65
	.set _ZL20rocblas_gemvn_kernelILi64ELi4EiPKDF16_PKfKPfEviiT3_lPKT2_lT1_lS9_lSA_lS6_lPT4_lSA_li.num_agpr, 0
	.set _ZL20rocblas_gemvn_kernelILi64ELi4EiPKDF16_PKfKPfEviiT3_lPKT2_lT1_lS9_lSA_lS6_lPT4_lSA_li.numbered_sgpr, 50
	.set _ZL20rocblas_gemvn_kernelILi64ELi4EiPKDF16_PKfKPfEviiT3_lPKT2_lT1_lS9_lSA_lS6_lPT4_lSA_li.num_named_barrier, 0
	.set _ZL20rocblas_gemvn_kernelILi64ELi4EiPKDF16_PKfKPfEviiT3_lPKT2_lT1_lS9_lSA_lS6_lPT4_lSA_li.private_seg_size, 0
	.set _ZL20rocblas_gemvn_kernelILi64ELi4EiPKDF16_PKfKPfEviiT3_lPKT2_lT1_lS9_lSA_lS6_lPT4_lSA_li.uses_vcc, 1
	.set _ZL20rocblas_gemvn_kernelILi64ELi4EiPKDF16_PKfKPfEviiT3_lPKT2_lT1_lS9_lSA_lS6_lPT4_lSA_li.uses_flat_scratch, 1
	.set _ZL20rocblas_gemvn_kernelILi64ELi4EiPKDF16_PKfKPfEviiT3_lPKT2_lT1_lS9_lSA_lS6_lPT4_lSA_li.has_dyn_sized_stack, 0
	.set _ZL20rocblas_gemvn_kernelILi64ELi4EiPKDF16_PKfKPfEviiT3_lPKT2_lT1_lS9_lSA_lS6_lPT4_lSA_li.has_recursion, 0
	.set _ZL20rocblas_gemvn_kernelILi64ELi4EiPKDF16_PKfKPfEviiT3_lPKT2_lT1_lS9_lSA_lS6_lPT4_lSA_li.has_indirect_call, 0
	.section	.AMDGPU.csdata,"",@progbits
; Kernel info:
; codeLenInByte = 3044
; TotalNumSgprs: 52
; NumVgprs: 65
; ScratchSize: 0
; MemoryBound: 0
; FloatMode: 240
; IeeeMode: 1
; LDSByteSize: 4096 bytes/workgroup (compile time only)
; SGPRBlocks: 0
; VGPRBlocks: 4
; NumSGPRsForWavesPerEU: 52
; NumVGPRsForWavesPerEU: 65
; NamedBarCnt: 0
; Occupancy: 12
; WaveLimiterHint : 1
; COMPUTE_PGM_RSRC2:SCRATCH_EN: 0
; COMPUTE_PGM_RSRC2:USER_SGPR: 2
; COMPUTE_PGM_RSRC2:TRAP_HANDLER: 0
; COMPUTE_PGM_RSRC2:TGID_X_EN: 1
; COMPUTE_PGM_RSRC2:TGID_Y_EN: 0
; COMPUTE_PGM_RSRC2:TGID_Z_EN: 1
; COMPUTE_PGM_RSRC2:TIDIG_COMP_CNT: 1
	.section	.text._ZL20rocblas_gemvn_kernelILi64ELi4ElPKDF16_PKfKPfEviiT3_lPKT2_lT1_lS9_lSA_lS6_lPT4_lSA_li,"axG",@progbits,_ZL20rocblas_gemvn_kernelILi64ELi4ElPKDF16_PKfKPfEviiT3_lPKT2_lT1_lS9_lSA_lS6_lPT4_lSA_li,comdat
	.globl	_ZL20rocblas_gemvn_kernelILi64ELi4ElPKDF16_PKfKPfEviiT3_lPKT2_lT1_lS9_lSA_lS6_lPT4_lSA_li ; -- Begin function _ZL20rocblas_gemvn_kernelILi64ELi4ElPKDF16_PKfKPfEviiT3_lPKT2_lT1_lS9_lSA_lS6_lPT4_lSA_li
	.p2align	8
	.type	_ZL20rocblas_gemvn_kernelILi64ELi4ElPKDF16_PKfKPfEviiT3_lPKT2_lT1_lS9_lSA_lS6_lPT4_lSA_li,@function
_ZL20rocblas_gemvn_kernelILi64ELi4ElPKDF16_PKfKPfEviiT3_lPKT2_lT1_lS9_lSA_lS6_lPT4_lSA_li: ; @_ZL20rocblas_gemvn_kernelILi64ELi4ElPKDF16_PKfKPfEviiT3_lPKT2_lT1_lS9_lSA_lS6_lPT4_lSA_li
; %bb.0:
	s_clause 0x1
	s_load_b64 s[2:3], s[0:1], 0x9c
	s_load_b32 s33, s[0:1], 0x88
	s_bfe_u32 s4, ttmp6, 0x40014
	s_lshr_b32 s5, ttmp7, 16
	s_add_co_i32 s4, s4, 1
	s_bfe_u32 s6, ttmp6, 0x40008
	s_mul_i32 s7, s5, s4
	s_getreg_b32 s4, hwreg(HW_REG_IB_STS2, 6, 4)
	s_add_co_i32 s6, s6, s7
	s_mov_b32 s11, 0
	s_wait_kmcnt 0x0
	s_lshr_b32 s7, s2, 16
	s_and_b32 s2, s2, 0xffff
	s_and_b32 s3, s3, 0xffff
	s_mul_i32 s2, s7, s2
	s_cmp_eq_u32 s4, 0
	s_mul_i32 s2, s2, s3
	s_cselect_b32 s10, s5, s6
	s_cmp_lg_u32 s2, 0x100
	s_cselect_b32 s2, -1, 0
	s_cmp_ge_u32 s10, s33
	s_cselect_b32 s3, -1, 0
	s_delay_alu instid0(SALU_CYCLE_1) | instskip(NEXT) | instid1(SALU_CYCLE_1)
	s_or_b32 s2, s2, s3
	s_and_b32 vcc_lo, exec_lo, s2
	s_cbranch_vccnz .LBB507_56
; %bb.1:
	s_clause 0x2
	s_load_b64 s[34:35], s[0:1], 0x0
	s_load_b64 s[36:37], s[0:1], 0x28
	;; [unrolled: 1-line block ×3, first 2 shown]
	s_bfe_u32 s5, ttmp6, 0x4000c
	v_and_b32_e32 v28, 0x3ff, v0
	s_add_co_i32 s5, s5, 1
	v_bfe_u32 v6, v0, 10, 10
	s_clause 0x1
	s_load_b64 s[38:39], s[0:1], 0x48
	s_load_b128 s[28:31], s[0:1], 0x38
	s_and_b32 s6, ttmp6, 15
	s_mul_i32 s5, ttmp9, s5
	v_lshl_add_u32 v29, v6, 6, v28
	s_add_co_i32 s6, s6, s5
	s_cmp_eq_u32 s4, 0
	s_load_b256 s[12:19], s[0:1], 0x8
	s_cselect_b32 s4, ttmp9, s6
	s_load_b256 s[20:27], s[0:1], 0x58
	s_lshl_b32 s6, s4, 8
	s_delay_alu instid0(SALU_CYCLE_1)
	v_dual_mov_b32 v1, 0 :: v_dual_add_nc_u32 v0, s6, v29
	v_lshlrev_b32_e32 v48, 2, v6
	s_wait_kmcnt 0x0
	s_ashr_i32 s5, s34, 31
	s_mov_b32 s4, s34
	v_mov_b32_e32 v7, v1
	v_mul_u64_e32 v[2:3], s[2:3], v[0:1]
	v_cmp_gt_i64_e32 vcc_lo, s[4:5], v[0:1]
	v_or_b32_e32 v14, s6, v28
	v_or_b32_e32 v0, 3, v48
	;; [unrolled: 1-line block ×3, first 2 shown]
	v_mul_u64_e32 v[8:9], s[38:39], v[6:7]
	v_mul_u64_e32 v[18:19], s[36:37], v[6:7]
	v_ashrrev_i32_e32 v15, 31, v14
	v_mul_u64_e32 v[10:11], s[36:37], v[0:1]
	v_mul_u64_e32 v[12:13], s[38:39], v[0:1]
	v_or_b32_e32 v0, 2, v48
	v_mad_nc_u64_u32 v[24:25], s38, v48, s[38:39]
	v_mad_nc_u64_u32 v[26:27], s36, v48, s[36:37]
	s_ashr_i32 s4, s35, 31
	v_cmp_gt_u32_e64 s5, 0x100, v29
	v_mul_u64_e32 v[20:21], s[36:37], v[0:1]
	v_mul_u64_e32 v[22:23], s[38:39], v[0:1]
	v_dual_add_nc_u32 v0, 64, v14 :: v_dual_ashrrev_i32 v17, 31, v16
	s_lshr_b32 s4, s4, 28
	v_cmp_gt_i32_e64 s6, s34, v16
	s_add_co_i32 s4, s35, s4
	v_mad_u32 v25, s39, v48, v25
	v_mul_u64_e32 v[4:5], s[2:3], v[16:17]
	v_mad_u32 v27, s37, v48, v27
	v_cmp_gt_i32_e64 s2, s34, v0
	v_lshlrev_b32_e32 v0, 2, v28
	v_add_nc_u32_e32 v7, 0x80, v14
	v_add_nc_u32_e32 v17, 0xc0, v14
	s_and_b32 s44, s4, -16
	v_cmp_gt_i32_e64 s1, s34, v14
	s_sub_co_i32 s4, s35, s44
	v_cmp_gt_i32_e64 s3, s34, v7
	s_cmp_gt_i32 s4, 0
	v_cmp_gt_i32_e64 s4, s34, v17
	v_lshl_add_u32 v49, v6, 10, v0
	v_lshl_add_u32 v50, v6, 8, v0
	v_lshlrev_b64_e32 v[6:7], 3, v[8:9]
	v_lshlrev_b64_e32 v[8:9], 1, v[14:15]
	;; [unrolled: 1-line block ×5, first 2 shown]
	v_cmp_gt_i32_e64 s0, s44, v48
	s_cselect_b32 s45, -1, 0
	s_and_b32 s34, s5, vcc_lo
	s_lshl_b64 s[40:41], s[38:39], 5
	s_lshl_b64 s[42:43], s[36:37], 5
	v_lshlrev_b64_e32 v[16:17], 1, v[20:21]
	v_lshlrev_b64_e32 v[18:19], 1, v[22:23]
	;; [unrolled: 1-line block ×4, first 2 shown]
	s_lshl_b64 s[18:19], s[18:19], 1
	s_lshl_b64 s[30:31], s[30:31], 1
	;; [unrolled: 1-line block ×3, first 2 shown]
	s_branch .LBB507_4
.LBB507_2:                              ;   in Loop: Header=BB507_4 Depth=1
	s_wait_xcnt 0x0
	s_or_b32 exec_lo, exec_lo, s7
.LBB507_3:                              ;   in Loop: Header=BB507_4 Depth=1
	s_add_co_i32 s10, s10, 0x10000
	s_delay_alu instid0(SALU_CYCLE_1)
	s_cmp_lt_u32 s10, s33
	s_cbranch_scc0 .LBB507_56
.LBB507_4:                              ; =>This Loop Header: Depth=1
                                        ;     Child Loop BB507_24 Depth 2
	s_mul_u64 s[8:9], s[14:15], s[10:11]
	s_mul_u64 s[46:47], s[22:23], s[10:11]
	s_lshl_b64 s[8:9], s[8:9], 2
	s_lshl_b64 s[46:47], s[46:47], 2
	s_add_nc_u64 s[8:9], s[12:13], s[8:9]
	s_add_nc_u64 s[46:47], s[20:21], s[46:47]
	s_clause 0x1
	global_load_b32 v51, v1, s[8:9]
	global_load_b32 v0, v1, s[46:47]
	s_wait_loadcnt 0x1
	v_cmp_eq_f32_e64 s7, 0, v51
	s_wait_loadcnt 0x0
	v_cmp_eq_f32_e32 vcc_lo, 1.0, v0
	s_wait_xcnt 0x0
	v_readfirstlane_b32 s46, v0
	s_and_b32 s8, s7, vcc_lo
	s_delay_alu instid0(SALU_CYCLE_1)
	s_and_b32 vcc_lo, exec_lo, s8
	s_cbranch_vccnz .LBB507_3
; %bb.5:                                ;   in Loop: Header=BB507_4 Depth=1
	v_mov_b64_e32 v[28:29], 0
	v_mov_b64_e32 v[26:27], 0
	v_cmp_neq_f32_e64 s8, 0, v51
	s_and_b32 vcc_lo, exec_lo, s7
	s_cbranch_vccnz .LBB507_7
; %bb.6:                                ;   in Loop: Header=BB507_4 Depth=1
	s_lshl_b64 s[48:49], s[10:11], 3
	s_delay_alu instid0(SALU_CYCLE_1)
	s_add_nc_u64 s[48:49], s[16:17], s[48:49]
	global_load_b64 v[24:25], v1, s[48:49]
	s_wait_loadcnt 0x0
	v_add_nc_u64_e32 v[26:27], s[18:19], v[24:25]
.LBB507_7:                              ;   in Loop: Header=BB507_4 Depth=1
	s_and_not1_b32 vcc_lo, exec_lo, s8
	s_cbranch_vccnz .LBB507_9
; %bb.8:                                ;   in Loop: Header=BB507_4 Depth=1
	s_lshl_b64 s[8:9], s[10:11], 3
	s_delay_alu instid0(SALU_CYCLE_1)
	s_add_nc_u64 s[8:9], s[28:29], s[8:9]
	global_load_b64 v[24:25], v1, s[8:9]
	s_wait_loadcnt 0x0
	v_add_nc_u64_e32 v[28:29], s[30:31], v[24:25]
.LBB507_9:                              ;   in Loop: Header=BB507_4 Depth=1
	s_wait_xcnt 0x0
	s_lshl_b64 s[8:9], s[10:11], 3
	s_and_not1_b32 vcc_lo, exec_lo, s7
	s_add_nc_u64 s[8:9], s[24:25], s[8:9]
	global_load_b64 v[24:25], v1, s[8:9]
	s_wait_loadcnt 0x0
	v_add_nc_u64_e32 v[24:25], s[26:27], v[24:25]
	s_cbranch_vccnz .LBB507_13
; %bb.10:                               ;   in Loop: Header=BB507_4 Depth=1
	s_mov_b32 s7, 0
	s_mov_b32 s47, 0
                                        ; implicit-def: $vgpr0
	s_wait_xcnt 0x0
	s_and_saveexec_b32 s8, s34
	s_cbranch_execz .LBB507_14
; %bb.11:                               ;   in Loop: Header=BB507_4 Depth=1
	s_cmp_eq_f32 s46, 0
	s_cbranch_scc1 .LBB507_16
; %bb.12:                               ;   in Loop: Header=BB507_4 Depth=1
	v_lshl_add_u64 v[30:31], v[2:3], 2, v[24:25]
	flat_load_b32 v0, v[30:31]
	s_wait_loadcnt_dscnt 0x0
	v_mul_f32_e32 v0, s46, v0
	s_branch .LBB507_17
.LBB507_13:                             ;   in Loop: Header=BB507_4 Depth=1
	s_mov_b32 s47, 0
                                        ; implicit-def: $vgpr0
	s_cbranch_execz .LBB507_15
	s_branch .LBB507_18
.LBB507_14:                             ;   in Loop: Header=BB507_4 Depth=1
	s_or_b32 exec_lo, exec_lo, s8
	s_delay_alu instid0(SALU_CYCLE_1)
	s_and_b32 vcc_lo, exec_lo, s7
	s_cbranch_vccnz .LBB507_18
.LBB507_15:                             ;   in Loop: Header=BB507_4 Depth=1
	v_mov_b64_e32 v[26:27], v[2:3]
	s_wait_xcnt 0x0
	s_and_saveexec_b32 s7, s47
	s_cbranch_execz .LBB507_2
	s_branch .LBB507_55
.LBB507_16:                             ;   in Loop: Header=BB507_4 Depth=1
	v_mov_b32_e32 v0, 0
.LBB507_17:                             ;   in Loop: Header=BB507_4 Depth=1
	s_mov_b32 s47, exec_lo
	s_wait_xcnt 0x0
	s_or_b32 exec_lo, exec_lo, s8
	s_delay_alu instid0(SALU_CYCLE_1)
	s_and_b32 vcc_lo, exec_lo, s7
	s_cbranch_vccz .LBB507_15
.LBB507_18:                             ;   in Loop: Header=BB507_4 Depth=1
	v_dual_mov_b32 v52, 0 :: v_dual_mov_b32 v0, v48
	v_dual_mov_b32 v53, 0 :: v_dual_mov_b32 v54, 0
	v_mov_b32_e32 v55, 0
	s_wait_xcnt 0x0
	s_and_saveexec_b32 s7, s0
	s_cbranch_execz .LBB507_30
; %bb.19:                               ;   in Loop: Header=BB507_4 Depth=1
	v_add_nc_u64_e32 v[30:31], v[26:27], v[10:11]
	v_add_nc_u64_e32 v[32:33], v[26:27], v[14:15]
	;; [unrolled: 1-line block ×4, first 2 shown]
	v_mov_b64_e32 v[38:39], v[28:29]
	v_dual_mov_b32 v52, 0 :: v_dual_mov_b32 v0, v48
	v_dual_mov_b32 v53, 0 :: v_dual_mov_b32 v54, 0
	v_mov_b32_e32 v55, 0
	s_mov_b32 s8, 0
	s_branch .LBB507_24
.LBB507_20:                             ;   in Loop: Header=BB507_24 Depth=2
	s_wait_xcnt 0x0
	s_or_b32 exec_lo, exec_lo, s50
	s_wait_loadcnt_dscnt 0x303
	v_fma_mix_f32 v40, v68, v72, v54 op_sel_hi:[0,1,0]
	s_wait_loadcnt_dscnt 0x202
	s_delay_alu instid0(VALU_DEP_1) | instskip(SKIP_1) | instid1(VALU_DEP_1)
	v_fma_mix_f32 v40, v69, v73, v40 op_sel_hi:[0,1,0]
	s_wait_loadcnt_dscnt 0x101
	v_fma_mix_f32 v40, v70, v74, v40 op_sel_hi:[0,1,0]
	s_wait_loadcnt_dscnt 0x0
	s_delay_alu instid0(VALU_DEP_1)
	v_fma_mix_f32 v54, v71, v75, v40 op_sel_hi:[0,1,0]
.LBB507_21:                             ;   in Loop: Header=BB507_24 Depth=2
	s_or_b32 exec_lo, exec_lo, s49
	s_wait_loadcnt_dscnt 0x303
	v_fma_mix_f32 v40, v68, v64, v53 op_sel_hi:[0,1,0]
	s_wait_loadcnt_dscnt 0x202
	s_delay_alu instid0(VALU_DEP_1) | instskip(SKIP_1) | instid1(VALU_DEP_1)
	v_fma_mix_f32 v40, v69, v65, v40 op_sel_hi:[0,1,0]
	s_wait_loadcnt_dscnt 0x101
	v_fma_mix_f32 v40, v70, v66, v40 op_sel_hi:[0,1,0]
	s_wait_loadcnt_dscnt 0x0
	s_delay_alu instid0(VALU_DEP_1)
	v_fma_mix_f32 v53, v71, v67, v40 op_sel_hi:[0,1,0]
.LBB507_22:                             ;   in Loop: Header=BB507_24 Depth=2
	s_or_b32 exec_lo, exec_lo, s48
	s_wait_loadcnt_dscnt 0x303
	v_fma_mix_f32 v40, v56, v60, v52 op_sel_hi:[1,1,0]
	s_wait_loadcnt_dscnt 0x202
	s_delay_alu instid0(VALU_DEP_1) | instskip(SKIP_1) | instid1(VALU_DEP_1)
	v_fma_mix_f32 v40, v57, v61, v40 op_sel_hi:[1,1,0]
	s_wait_loadcnt_dscnt 0x101
	v_fma_mix_f32 v40, v58, v62, v40 op_sel_hi:[1,1,0]
	s_wait_loadcnt_dscnt 0x0
	s_delay_alu instid0(VALU_DEP_1)
	v_fma_mix_f32 v52, v59, v63, v40 op_sel_hi:[1,1,0]
.LBB507_23:                             ;   in Loop: Header=BB507_24 Depth=2
	s_or_b32 exec_lo, exec_lo, s9
	v_add_nc_u32_e32 v0, 16, v0
	v_add_nc_u64_e32 v[38:39], s[40:41], v[38:39]
	v_add_nc_u64_e32 v[30:31], s[42:43], v[30:31]
	;; [unrolled: 1-line block ×4, first 2 shown]
	v_cmp_le_i32_e32 vcc_lo, s44, v0
	v_add_nc_u64_e32 v[36:37], s[42:43], v[36:37]
	s_or_b32 s8, vcc_lo, s8
	s_delay_alu instid0(SALU_CYCLE_1)
	s_and_not1_b32 exec_lo, exec_lo, s8
	s_cbranch_execz .LBB507_29
.LBB507_24:                             ;   Parent Loop BB507_4 Depth=1
                                        ; =>  This Inner Loop Header: Depth=2
	s_and_saveexec_b32 s9, s1
	s_cbranch_execz .LBB507_23
; %bb.25:                               ;   in Loop: Header=BB507_24 Depth=2
	v_add_nc_u64_e32 v[64:65], v[38:39], v[6:7]
	v_add_nc_u64_e32 v[66:67], v[38:39], v[20:21]
	;; [unrolled: 1-line block ×8, first 2 shown]
	s_clause 0x3
	flat_load_u16 v56, v[64:65]
	flat_load_u16 v57, v[66:67]
	;; [unrolled: 1-line block ×8, first 2 shown]
	s_wait_xcnt 0x0
	s_and_saveexec_b32 s48, s2
	s_cbranch_execz .LBB507_22
; %bb.26:                               ;   in Loop: Header=BB507_24 Depth=2
	flat_load_u16 v64, v[40:41] offset:128
	flat_load_u16 v65, v[42:43] offset:128
	;; [unrolled: 1-line block ×4, first 2 shown]
	s_wait_loadcnt_dscnt 0xb0b
	v_cvt_f32_f16_e32 v68, v56
	s_wait_loadcnt_dscnt 0xa0a
	v_cvt_f32_f16_e32 v69, v57
	;; [unrolled: 2-line block ×4, first 2 shown]
	s_wait_xcnt 0x0
	s_and_saveexec_b32 s49, s3
	s_cbranch_execz .LBB507_21
; %bb.27:                               ;   in Loop: Header=BB507_24 Depth=2
	flat_load_u16 v72, v[40:41] offset:256
	flat_load_u16 v73, v[42:43] offset:256
	;; [unrolled: 1-line block ×4, first 2 shown]
	s_wait_xcnt 0x0
	s_and_saveexec_b32 s50, s4
	s_cbranch_execz .LBB507_20
; %bb.28:                               ;   in Loop: Header=BB507_24 Depth=2
	flat_load_u16 v76, v[40:41] offset:384
	flat_load_u16 v77, v[42:43] offset:384
	;; [unrolled: 1-line block ×4, first 2 shown]
	s_wait_loadcnt_dscnt 0x303
	s_wait_xcnt 0x3
	v_fma_mix_f32 v40, v68, v76, v55 op_sel_hi:[0,1,0]
	s_wait_loadcnt_dscnt 0x202
	s_delay_alu instid0(VALU_DEP_1) | instskip(SKIP_1) | instid1(VALU_DEP_1)
	v_fma_mix_f32 v40, v69, v77, v40 op_sel_hi:[0,1,0]
	s_wait_loadcnt_dscnt 0x101
	v_fma_mix_f32 v40, v70, v78, v40 op_sel_hi:[0,1,0]
	s_wait_loadcnt_dscnt 0x0
	s_delay_alu instid0(VALU_DEP_1)
	v_fma_mix_f32 v55, v71, v79, v40 op_sel_hi:[0,1,0]
	s_branch .LBB507_20
.LBB507_29:                             ;   in Loop: Header=BB507_4 Depth=1
	s_or_b32 exec_lo, exec_lo, s8
.LBB507_30:                             ;   in Loop: Header=BB507_4 Depth=1
	s_delay_alu instid0(SALU_CYCLE_1) | instskip(NEXT) | instid1(SALU_CYCLE_1)
	s_or_b32 exec_lo, exec_lo, s7
	s_and_not1_b32 vcc_lo, exec_lo, s45
	s_cbranch_vccnz .LBB507_48
; %bb.31:                               ;   in Loop: Header=BB507_4 Depth=1
	v_cmp_gt_i32_e32 vcc_lo, s35, v0
	v_dual_mov_b32 v34, 0 :: v_dual_bitop2_b32 v30, 1, v0 bitop3:0x54
	v_dual_mov_b32 v35, 0 :: v_dual_mov_b32 v36, 0
	v_mov_b32_e32 v37, 0
	s_and_saveexec_b32 s8, vcc_lo
	s_cbranch_execz .LBB507_39
; %bb.32:                               ;   in Loop: Header=BB507_4 Depth=1
	v_mul_u64_e32 v[32:33], s[38:39], v[0:1]
	v_dual_mov_b32 v36, 0 :: v_dual_mov_b32 v35, 0
	v_mov_b32_e32 v34, 0
	s_mov_b32 s9, exec_lo
	s_delay_alu instid0(VALU_DEP_3)
	v_lshl_add_u64 v[32:33], v[32:33], 1, v[28:29]
	flat_load_u16 v37, v[32:33]
	s_wait_xcnt 0x0
	v_cmpx_gt_i32_e64 s35, v30
	s_cbranch_execz .LBB507_38
; %bb.33:                               ;   in Loop: Header=BB507_4 Depth=1
	v_dual_mov_b32 v31, v1 :: v_dual_mov_b32 v35, 0
	v_mov_b32_e32 v34, 0
	s_mov_b32 s48, exec_lo
	s_delay_alu instid0(VALU_DEP_2) | instskip(NEXT) | instid1(VALU_DEP_1)
	v_mul_u64_e32 v[32:33], s[38:39], v[30:31]
	v_lshl_add_u64 v[32:33], v[32:33], 1, v[28:29]
	flat_load_u16 v31, v[32:33]
	s_wait_xcnt 0x0
	v_or_b32_e32 v32, 2, v0
	s_delay_alu instid0(VALU_DEP_1)
	v_cmpx_gt_i32_e64 s35, v32
	s_cbranch_execz .LBB507_37
; %bb.34:                               ;   in Loop: Header=BB507_4 Depth=1
	v_dual_mov_b32 v33, v1 :: v_dual_mov_b32 v34, 0
	s_mov_b32 s49, exec_lo
	s_delay_alu instid0(VALU_DEP_1) | instskip(NEXT) | instid1(VALU_DEP_1)
	v_mul_u64_e32 v[32:33], s[38:39], v[32:33]
	v_lshl_add_u64 v[32:33], v[32:33], 1, v[28:29]
	flat_load_u16 v35, v[32:33]
	s_wait_xcnt 0x0
	v_or_b32_e32 v32, 3, v0
	s_delay_alu instid0(VALU_DEP_1)
	v_cmpx_gt_i32_e64 s35, v32
	s_cbranch_execz .LBB507_36
; %bb.35:                               ;   in Loop: Header=BB507_4 Depth=1
	v_mov_b32_e32 v33, v1
	s_delay_alu instid0(VALU_DEP_1) | instskip(NEXT) | instid1(VALU_DEP_1)
	v_mul_u64_e32 v[32:33], s[38:39], v[32:33]
	v_lshl_add_u64 v[28:29], v[32:33], 1, v[28:29]
	flat_load_u16 v28, v[28:29]
	s_wait_loadcnt_dscnt 0x0
	v_cvt_f32_f16_e32 v34, v28
.LBB507_36:                             ;   in Loop: Header=BB507_4 Depth=1
	s_wait_xcnt 0x0
	s_or_b32 exec_lo, exec_lo, s49
	s_wait_loadcnt_dscnt 0x0
	v_cvt_f32_f16_e32 v35, v35
.LBB507_37:                             ;   in Loop: Header=BB507_4 Depth=1
	s_or_b32 exec_lo, exec_lo, s48
	s_wait_loadcnt_dscnt 0x0
	v_cvt_f32_f16_e32 v36, v31
.LBB507_38:                             ;   in Loop: Header=BB507_4 Depth=1
	s_or_b32 exec_lo, exec_lo, s9
	s_wait_loadcnt_dscnt 0x0
	v_cvt_f32_f16_e32 v37, v37
.LBB507_39:                             ;   in Loop: Header=BB507_4 Depth=1
	s_or_b32 exec_lo, exec_lo, s8
	s_and_saveexec_b32 s48, s1
	s_cbranch_execz .LBB507_47
; %bb.40:                               ;   in Loop: Header=BB507_4 Depth=1
	v_dual_mov_b32 v31, v1 :: v_dual_bitop2_b32 v28, 2, v0 bitop3:0x54
	v_mov_b32_e32 v29, v1
	v_mul_u64_e32 v[32:33], s[36:37], v[0:1]
	v_or_b32_e32 v0, 3, v0
	s_delay_alu instid0(VALU_DEP_4)
	v_mul_u64_e32 v[38:39], s[36:37], v[30:31]
	v_cmp_gt_i32_e64 s7, s35, v30
	v_mul_u64_e32 v[40:41], s[36:37], v[28:29]
	v_cmp_gt_i32_e64 s8, s35, v28
	;; [unrolled: 2-line block ×3, first 2 shown]
	v_dual_cndmask_b32 v29, 0, v33 :: v_dual_cndmask_b32 v28, 0, v32
	v_dual_cndmask_b32 v31, 0, v39, s7 :: v_dual_cndmask_b32 v30, 0, v38, s7
	v_dual_cndmask_b32 v33, 0, v41, s8 :: v_dual_cndmask_b32 v32, 0, v40, s8
	s_delay_alu instid0(VALU_DEP_4) | instskip(NEXT) | instid1(VALU_DEP_4)
	v_dual_cndmask_b32 v39, 0, v43, s9 :: v_dual_cndmask_b32 v38, 0, v42, s9
	v_lshl_add_u64 v[28:29], v[28:29], 1, v[26:27]
	s_delay_alu instid0(VALU_DEP_4) | instskip(NEXT) | instid1(VALU_DEP_4)
	v_lshl_add_u64 v[40:41], v[30:31], 1, v[26:27]
	v_lshl_add_u64 v[32:33], v[32:33], 1, v[26:27]
	s_delay_alu instid0(VALU_DEP_4) | instskip(NEXT) | instid1(VALU_DEP_4)
	v_lshl_add_u64 v[38:39], v[38:39], 1, v[26:27]
	v_add_nc_u64_e32 v[30:31], v[28:29], v[8:9]
	s_delay_alu instid0(VALU_DEP_4) | instskip(NEXT) | instid1(VALU_DEP_4)
	v_add_nc_u64_e32 v[26:27], v[40:41], v[8:9]
	v_add_nc_u64_e32 v[28:29], v[32:33], v[8:9]
	s_delay_alu instid0(VALU_DEP_4)
	v_add_nc_u64_e32 v[32:33], v[38:39], v[8:9]
	s_clause 0x3
	flat_load_u16 v0, v[30:31]
	flat_load_u16 v38, v[26:27]
	;; [unrolled: 1-line block ×4, first 2 shown]
	s_wait_xcnt 0x0
	s_and_saveexec_b32 s7, s2
	s_cbranch_execz .LBB507_46
; %bb.41:                               ;   in Loop: Header=BB507_4 Depth=1
	s_clause 0x3
	flat_load_u16 v41, v[30:31] offset:128
	flat_load_u16 v42, v[26:27] offset:128
	flat_load_u16 v43, v[28:29] offset:128
	flat_load_u16 v44, v[32:33] offset:128
	s_wait_xcnt 0x0
	s_and_saveexec_b32 s8, s3
	s_cbranch_execz .LBB507_45
; %bb.42:                               ;   in Loop: Header=BB507_4 Depth=1
	s_clause 0x3
	flat_load_u16 v45, v[30:31] offset:256
	flat_load_u16 v46, v[26:27] offset:256
	flat_load_u16 v47, v[28:29] offset:256
	flat_load_u16 v56, v[32:33] offset:256
	;; [unrolled: 9-line block ×3, first 2 shown]
	s_wait_loadcnt_dscnt 0x303
	s_wait_xcnt 0x2
	v_fma_mix_f32 v26, v37, v57, v55 op_sel_hi:[0,1,0]
	s_wait_loadcnt_dscnt 0x202
	s_delay_alu instid0(VALU_DEP_1) | instskip(SKIP_1) | instid1(VALU_DEP_1)
	v_fma_mix_f32 v26, v36, v58, v26 op_sel_hi:[0,1,0]
	s_wait_loadcnt_dscnt 0x101
	v_fma_mix_f32 v26, v35, v59, v26 op_sel_hi:[0,1,0]
	s_wait_loadcnt_dscnt 0x0
	s_delay_alu instid0(VALU_DEP_1)
	v_fma_mix_f32 v55, v34, v60, v26 op_sel_hi:[0,1,0]
.LBB507_44:                             ;   in Loop: Header=BB507_4 Depth=1
	s_wait_xcnt 0x0
	s_or_b32 exec_lo, exec_lo, s9
	s_wait_loadcnt_dscnt 0x303
	v_fma_mix_f32 v26, v37, v45, v54 op_sel_hi:[0,1,0]
	s_wait_loadcnt_dscnt 0x202
	s_delay_alu instid0(VALU_DEP_1) | instskip(SKIP_1) | instid1(VALU_DEP_1)
	v_fma_mix_f32 v26, v36, v46, v26 op_sel_hi:[0,1,0]
	s_wait_loadcnt_dscnt 0x101
	v_fma_mix_f32 v26, v35, v47, v26 op_sel_hi:[0,1,0]
	s_wait_loadcnt_dscnt 0x0
	s_delay_alu instid0(VALU_DEP_1)
	v_fma_mix_f32 v54, v34, v56, v26 op_sel_hi:[0,1,0]
.LBB507_45:                             ;   in Loop: Header=BB507_4 Depth=1
	s_or_b32 exec_lo, exec_lo, s8
	s_wait_loadcnt_dscnt 0x303
	v_fma_mix_f32 v26, v37, v41, v53 op_sel_hi:[0,1,0]
	s_wait_loadcnt_dscnt 0x202
	s_delay_alu instid0(VALU_DEP_1) | instskip(SKIP_1) | instid1(VALU_DEP_1)
	v_fma_mix_f32 v26, v36, v42, v26 op_sel_hi:[0,1,0]
	s_wait_loadcnt_dscnt 0x101
	v_fma_mix_f32 v26, v35, v43, v26 op_sel_hi:[0,1,0]
	s_wait_loadcnt_dscnt 0x0
	s_delay_alu instid0(VALU_DEP_1)
	v_fma_mix_f32 v53, v34, v44, v26 op_sel_hi:[0,1,0]
.LBB507_46:                             ;   in Loop: Header=BB507_4 Depth=1
	s_or_b32 exec_lo, exec_lo, s7
	s_wait_loadcnt_dscnt 0x303
	v_fma_mix_f32 v0, v37, v0, v52 op_sel_hi:[0,1,0]
	s_wait_loadcnt_dscnt 0x202
	s_delay_alu instid0(VALU_DEP_1) | instskip(SKIP_1) | instid1(VALU_DEP_1)
	v_fma_mix_f32 v0, v36, v38, v0 op_sel_hi:[0,1,0]
	s_wait_loadcnt_dscnt 0x101
	v_fma_mix_f32 v0, v35, v39, v0 op_sel_hi:[0,1,0]
	s_wait_loadcnt_dscnt 0x0
	s_delay_alu instid0(VALU_DEP_1)
	v_fma_mix_f32 v52, v34, v40, v0 op_sel_hi:[0,1,0]
.LBB507_47:                             ;   in Loop: Header=BB507_4 Depth=1
	s_or_b32 exec_lo, exec_lo, s48
.LBB507_48:                             ;   in Loop: Header=BB507_4 Depth=1
	ds_store_2addr_stride64_b32 v49, v52, v53 offset1:1
	ds_store_2addr_stride64_b32 v49, v54, v55 offset0:2 offset1:3
	s_wait_dscnt 0x0
	s_barrier_signal -1
	s_barrier_wait -1
                                        ; implicit-def: $vgpr0
	s_and_saveexec_b32 s7, s5
	s_cbranch_execz .LBB507_54
; %bb.49:                               ;   in Loop: Header=BB507_4 Depth=1
	ds_load_2addr_stride64_b32 v[26:27], v50 offset1:4
	ds_load_2addr_stride64_b32 v[28:29], v50 offset0:8 offset1:12
	s_mov_b32 s9, s47
	s_wait_dscnt 0x1
	v_add_f32_e32 v0, v26, v27
	s_wait_dscnt 0x0
	s_delay_alu instid0(VALU_DEP_1) | instskip(NEXT) | instid1(VALU_DEP_1)
	v_add_f32_e32 v0, v28, v0
	v_add_f32_e32 v26, v29, v0
                                        ; implicit-def: $vgpr0
	ds_store_b32 v50, v26
	s_and_saveexec_b32 s8, s6
	s_cbranch_execz .LBB507_53
; %bb.50:                               ;   in Loop: Header=BB507_4 Depth=1
	v_mul_f32_e32 v0, v51, v26
	s_cmp_eq_f32 s46, 0
	s_cbranch_scc1 .LBB507_52
; %bb.51:                               ;   in Loop: Header=BB507_4 Depth=1
	v_lshl_add_u64 v[26:27], v[4:5], 2, v[24:25]
	flat_load_b32 v26, v[26:27]
	s_wait_loadcnt_dscnt 0x0
	v_fmac_f32_e32 v0, s46, v26
.LBB507_52:                             ;   in Loop: Header=BB507_4 Depth=1
	s_or_b32 s9, s47, exec_lo
.LBB507_53:                             ;   in Loop: Header=BB507_4 Depth=1
	s_wait_xcnt 0x0
	s_or_b32 exec_lo, exec_lo, s8
	s_delay_alu instid0(SALU_CYCLE_1) | instskip(SKIP_1) | instid1(SALU_CYCLE_1)
	s_and_not1_b32 s8, s47, exec_lo
	s_and_b32 s9, s9, exec_lo
	s_or_b32 s47, s8, s9
.LBB507_54:                             ;   in Loop: Header=BB507_4 Depth=1
	s_or_b32 exec_lo, exec_lo, s7
	v_mov_b64_e32 v[26:27], v[4:5]
	s_and_saveexec_b32 s7, s47
	s_cbranch_execz .LBB507_2
.LBB507_55:                             ;   in Loop: Header=BB507_4 Depth=1
	s_delay_alu instid0(VALU_DEP_1)
	v_lshl_add_u64 v[24:25], v[26:27], 2, v[24:25]
	flat_store_b32 v[24:25], v0
	s_branch .LBB507_2
.LBB507_56:
	s_sendmsg sendmsg(MSG_DEALLOC_VGPRS)
	s_endpgm
	.section	.rodata,"a",@progbits
	.p2align	6, 0x0
	.amdhsa_kernel _ZL20rocblas_gemvn_kernelILi64ELi4ElPKDF16_PKfKPfEviiT3_lPKT2_lT1_lS9_lSA_lS6_lPT4_lSA_li
		.amdhsa_group_segment_fixed_size 4096
		.amdhsa_private_segment_fixed_size 0
		.amdhsa_kernarg_size 400
		.amdhsa_user_sgpr_count 2
		.amdhsa_user_sgpr_dispatch_ptr 0
		.amdhsa_user_sgpr_queue_ptr 0
		.amdhsa_user_sgpr_kernarg_segment_ptr 1
		.amdhsa_user_sgpr_dispatch_id 0
		.amdhsa_user_sgpr_kernarg_preload_length 0
		.amdhsa_user_sgpr_kernarg_preload_offset 0
		.amdhsa_user_sgpr_private_segment_size 0
		.amdhsa_wavefront_size32 1
		.amdhsa_uses_dynamic_stack 0
		.amdhsa_enable_private_segment 0
		.amdhsa_system_sgpr_workgroup_id_x 1
		.amdhsa_system_sgpr_workgroup_id_y 0
		.amdhsa_system_sgpr_workgroup_id_z 1
		.amdhsa_system_sgpr_workgroup_info 0
		.amdhsa_system_vgpr_workitem_id 1
		.amdhsa_next_free_vgpr 80
		.amdhsa_next_free_sgpr 51
		.amdhsa_named_barrier_count 0
		.amdhsa_reserve_vcc 1
		.amdhsa_float_round_mode_32 0
		.amdhsa_float_round_mode_16_64 0
		.amdhsa_float_denorm_mode_32 3
		.amdhsa_float_denorm_mode_16_64 3
		.amdhsa_fp16_overflow 0
		.amdhsa_memory_ordered 1
		.amdhsa_forward_progress 1
		.amdhsa_inst_pref_size 23
		.amdhsa_round_robin_scheduling 0
		.amdhsa_exception_fp_ieee_invalid_op 0
		.amdhsa_exception_fp_denorm_src 0
		.amdhsa_exception_fp_ieee_div_zero 0
		.amdhsa_exception_fp_ieee_overflow 0
		.amdhsa_exception_fp_ieee_underflow 0
		.amdhsa_exception_fp_ieee_inexact 0
		.amdhsa_exception_int_div_zero 0
	.end_amdhsa_kernel
	.section	.text._ZL20rocblas_gemvn_kernelILi64ELi4ElPKDF16_PKfKPfEviiT3_lPKT2_lT1_lS9_lSA_lS6_lPT4_lSA_li,"axG",@progbits,_ZL20rocblas_gemvn_kernelILi64ELi4ElPKDF16_PKfKPfEviiT3_lPKT2_lT1_lS9_lSA_lS6_lPT4_lSA_li,comdat
.Lfunc_end507:
	.size	_ZL20rocblas_gemvn_kernelILi64ELi4ElPKDF16_PKfKPfEviiT3_lPKT2_lT1_lS9_lSA_lS6_lPT4_lSA_li, .Lfunc_end507-_ZL20rocblas_gemvn_kernelILi64ELi4ElPKDF16_PKfKPfEviiT3_lPKT2_lT1_lS9_lSA_lS6_lPT4_lSA_li
                                        ; -- End function
	.set _ZL20rocblas_gemvn_kernelILi64ELi4ElPKDF16_PKfKPfEviiT3_lPKT2_lT1_lS9_lSA_lS6_lPT4_lSA_li.num_vgpr, 80
	.set _ZL20rocblas_gemvn_kernelILi64ELi4ElPKDF16_PKfKPfEviiT3_lPKT2_lT1_lS9_lSA_lS6_lPT4_lSA_li.num_agpr, 0
	.set _ZL20rocblas_gemvn_kernelILi64ELi4ElPKDF16_PKfKPfEviiT3_lPKT2_lT1_lS9_lSA_lS6_lPT4_lSA_li.numbered_sgpr, 51
	.set _ZL20rocblas_gemvn_kernelILi64ELi4ElPKDF16_PKfKPfEviiT3_lPKT2_lT1_lS9_lSA_lS6_lPT4_lSA_li.num_named_barrier, 0
	.set _ZL20rocblas_gemvn_kernelILi64ELi4ElPKDF16_PKfKPfEviiT3_lPKT2_lT1_lS9_lSA_lS6_lPT4_lSA_li.private_seg_size, 0
	.set _ZL20rocblas_gemvn_kernelILi64ELi4ElPKDF16_PKfKPfEviiT3_lPKT2_lT1_lS9_lSA_lS6_lPT4_lSA_li.uses_vcc, 1
	.set _ZL20rocblas_gemvn_kernelILi64ELi4ElPKDF16_PKfKPfEviiT3_lPKT2_lT1_lS9_lSA_lS6_lPT4_lSA_li.uses_flat_scratch, 1
	.set _ZL20rocblas_gemvn_kernelILi64ELi4ElPKDF16_PKfKPfEviiT3_lPKT2_lT1_lS9_lSA_lS6_lPT4_lSA_li.has_dyn_sized_stack, 0
	.set _ZL20rocblas_gemvn_kernelILi64ELi4ElPKDF16_PKfKPfEviiT3_lPKT2_lT1_lS9_lSA_lS6_lPT4_lSA_li.has_recursion, 0
	.set _ZL20rocblas_gemvn_kernelILi64ELi4ElPKDF16_PKfKPfEviiT3_lPKT2_lT1_lS9_lSA_lS6_lPT4_lSA_li.has_indirect_call, 0
	.section	.AMDGPU.csdata,"",@progbits
; Kernel info:
; codeLenInByte = 2940
; TotalNumSgprs: 53
; NumVgprs: 80
; ScratchSize: 0
; MemoryBound: 0
; FloatMode: 240
; IeeeMode: 1
; LDSByteSize: 4096 bytes/workgroup (compile time only)
; SGPRBlocks: 0
; VGPRBlocks: 4
; NumSGPRsForWavesPerEU: 53
; NumVGPRsForWavesPerEU: 80
; NamedBarCnt: 0
; Occupancy: 12
; WaveLimiterHint : 1
; COMPUTE_PGM_RSRC2:SCRATCH_EN: 0
; COMPUTE_PGM_RSRC2:USER_SGPR: 2
; COMPUTE_PGM_RSRC2:TRAP_HANDLER: 0
; COMPUTE_PGM_RSRC2:TGID_X_EN: 1
; COMPUTE_PGM_RSRC2:TGID_Y_EN: 0
; COMPUTE_PGM_RSRC2:TGID_Z_EN: 1
; COMPUTE_PGM_RSRC2:TIDIG_COMP_CNT: 1
	.section	.text._ZL20rocblas_gemvn_kernelILi64ELi4EiPKDF16_fKPfEviiT3_lPKT2_lT1_lS7_lS8_lS4_lPT4_lS8_li,"axG",@progbits,_ZL20rocblas_gemvn_kernelILi64ELi4EiPKDF16_fKPfEviiT3_lPKT2_lT1_lS7_lS8_lS4_lPT4_lS8_li,comdat
	.globl	_ZL20rocblas_gemvn_kernelILi64ELi4EiPKDF16_fKPfEviiT3_lPKT2_lT1_lS7_lS8_lS4_lPT4_lS8_li ; -- Begin function _ZL20rocblas_gemvn_kernelILi64ELi4EiPKDF16_fKPfEviiT3_lPKT2_lT1_lS7_lS8_lS4_lPT4_lS8_li
	.p2align	8
	.type	_ZL20rocblas_gemvn_kernelILi64ELi4EiPKDF16_fKPfEviiT3_lPKT2_lT1_lS7_lS8_lS4_lPT4_lS8_li,@function
_ZL20rocblas_gemvn_kernelILi64ELi4EiPKDF16_fKPfEviiT3_lPKT2_lT1_lS7_lS8_lS4_lPT4_lS8_li: ; @_ZL20rocblas_gemvn_kernelILi64ELi4EiPKDF16_fKPfEviiT3_lPKT2_lT1_lS7_lS8_lS4_lPT4_lS8_li
; %bb.0:
	s_clause 0x1
	s_load_b64 s[2:3], s[0:1], 0x9c
	s_load_b32 s23, s[0:1], 0x88
	s_bfe_u32 s4, ttmp6, 0x40014
	s_lshr_b32 s5, ttmp7, 16
	s_add_co_i32 s4, s4, 1
	s_bfe_u32 s6, ttmp6, 0x40008
	s_mul_i32 s7, s5, s4
	s_getreg_b32 s4, hwreg(HW_REG_IB_STS2, 6, 4)
	s_add_co_i32 s6, s6, s7
	s_mov_b32 s25, 0
	s_wait_kmcnt 0x0
	s_lshr_b32 s7, s2, 16
	s_and_b32 s2, s2, 0xffff
	s_and_b32 s3, s3, 0xffff
	s_mul_i32 s2, s7, s2
	s_cmp_eq_u32 s4, 0
	s_mul_i32 s2, s2, s3
	s_cselect_b32 s24, s5, s6
	s_cmp_lg_u32 s2, 0x100
	s_cselect_b32 s2, -1, 0
	s_cmp_ge_u32 s24, s23
	s_cselect_b32 s3, -1, 0
	s_delay_alu instid0(SALU_CYCLE_1) | instskip(NEXT) | instid1(SALU_CYCLE_1)
	s_or_b32 s2, s2, s3
	s_and_b32 vcc_lo, exec_lo, s2
	s_cbranch_vccnz .LBB508_58
; %bb.1:
	s_clause 0x7
	s_load_b32 s2, s[0:1], 0x78
	s_load_b96 s[20:22], s[0:1], 0x0
	s_load_b32 s26, s[0:1], 0x58
	s_load_b128 s[8:11], s[0:1], 0x68
	s_load_b32 s27, s[0:1], 0x28
	s_load_b128 s[12:15], s[0:1], 0x38
	;; [unrolled: 2-line block ×3, first 2 shown]
	v_and_b32_e32 v6, 0x3ff, v0
	v_bfe_u32 v7, v0, 10, 10
	s_delay_alu instid0(VALU_DEP_2) | instskip(NEXT) | instid1(VALU_DEP_2)
	v_dual_mov_b32 v1, 0 :: v_dual_lshlrev_b32 v0, 2, v6
	v_lshl_add_u32 v2, v7, 6, v6
	s_delay_alu instid0(VALU_DEP_2)
	v_lshl_add_u32 v23, v7, 10, v0
	v_lshl_add_u32 v24, v7, 8, v0
	s_wait_kmcnt 0x0
	s_ashr_i32 s3, s2, 31
	s_cmp_eq_f32 s22, 0
	v_cmp_gt_u32_e64 s0, 0x100, v2
	s_mov_b32 s6, s20
	s_cselect_b32 s29, -1, 0
	s_cmp_neq_f32 s26, 1.0
	s_cselect_b32 s1, -1, 0
	s_cmp_neq_f32 s22, 0
	s_cselect_b32 s5, -1, 0
	s_bfe_u32 s7, ttmp6, 0x4000c
	s_and_b32 s31, ttmp6, 15
	s_add_co_i32 s7, s7, 1
	s_or_b32 s30, s5, s1
	s_mul_i32 s7, ttmp9, s7
	v_cndmask_b32_e64 v25, 0, 1, s5
	s_add_co_i32 s31, s31, s7
	s_cmp_eq_u32 s4, 0
	s_cselect_b32 s1, ttmp9, s31
	s_ashr_i32 s7, s20, 31
	s_lshl_b32 s31, s1, 8
	s_delay_alu instid0(SALU_CYCLE_1) | instskip(SKIP_3) | instid1(VALU_DEP_3)
	v_dual_lshlrev_b32 v22, 2, v7 :: v_dual_add_nc_u32 v0, s31, v2
	v_or_b32_e32 v26, s31, v6
	v_or_b32_e32 v5, s31, v2
	s_cmp_neq_f32 s26, 0
	v_mul_lo_u32 v9, s27, v22
	v_mul_u64_e32 v[2:3], s[2:3], v[0:1]
	v_add_nc_u32_e32 v10, 0x80, v26
	v_mul_lo_u32 v4, s2, v5
	v_or_b32_e32 v8, 2, v22
	s_cselect_b32 s33, -1, 0
	s_ashr_i32 s1, s21, 31
	v_cmp_gt_i32_e64 s4, s20, v10
	v_mul_lo_u32 v10, v7, s27
	v_mul_lo_u32 v7, v7, s28
	s_lshr_b32 s3, s1, 28
	v_cmp_gt_i32_e64 s2, s20, v5
	s_add_co_i32 s3, s21, s3
	v_cmp_gt_i64_e32 vcc_lo, s[6:7], v[0:1]
	v_ashrrev_i32_e32 v5, 31, v4
	v_mad_u32 v27, s27, v8, v6
	v_mul_lo_u32 v29, s28, v8
	s_and_b32 s34, s3, -16
	s_delay_alu instid0(SALU_CYCLE_1)
	s_sub_co_i32 s6, s21, s34
	v_lshlrev_b32_e32 v32, 2, v7
	v_add_nc_u32_e32 v11, 0xc0, v26
	v_add_nc_u32_e32 v0, 64, v26
	v_cmp_gt_i32_e64 s1, s20, v26
	s_cmp_gt_i32 s6, 0
	v_cmp_gt_i32_e64 s6, s34, v22
	v_cmp_gt_i32_e64 s5, s20, v11
	v_or_b32_e32 v11, 3, v22
	v_cmp_gt_i32_e64 s3, s20, v0
	v_add3_u32 v0, v9, s27, v6
	v_lshl_add_u32 v31, v10, 2, v6
	s_cselect_b32 s20, -1, 0
	v_mad_u32 v28, s27, v11, v6
	v_mul_lo_u32 v30, s28, v11
	s_and_b32 s35, s0, vcc_lo
	s_lshl_b32 s36, s27, 4
	s_lshl_b32 s37, s28, 4
	s_lshl_b64 s[18:19], s[18:19], 1
	s_lshl_b64 s[14:15], s[14:15], 1
	;; [unrolled: 1-line block ×3, first 2 shown]
	s_branch .LBB508_4
.LBB508_2:                              ;   in Loop: Header=BB508_4 Depth=1
	s_wait_xcnt 0x0
	s_or_b32 exec_lo, exec_lo, s7
.LBB508_3:                              ;   in Loop: Header=BB508_4 Depth=1
	s_add_co_i32 s24, s24, 0x10000
	s_delay_alu instid0(SALU_CYCLE_1)
	s_cmp_lt_u32 s24, s23
	s_cbranch_scc0 .LBB508_58
.LBB508_4:                              ; =>This Loop Header: Depth=1
                                        ;     Child Loop BB508_26 Depth 2
	s_and_not1_b32 vcc_lo, exec_lo, s30
	s_cbranch_vccnz .LBB508_3
; %bb.5:                                ;   in Loop: Header=BB508_4 Depth=1
	s_and_not1_b32 vcc_lo, exec_lo, s29
	s_cbranch_vccnz .LBB508_7
; %bb.6:                                ;   in Loop: Header=BB508_4 Depth=1
	v_mov_b64_e32 v[10:11], 0
	v_mov_b64_e32 v[8:9], 0
	s_cbranch_execz .LBB508_8
	s_branch .LBB508_9
.LBB508_7:                              ;   in Loop: Header=BB508_4 Depth=1
	v_mov_b64_e32 v[10:11], 0
	v_mov_b64_e32 v[8:9], 0
.LBB508_8:                              ;   in Loop: Header=BB508_4 Depth=1
	s_lshl_b64 s[38:39], s[24:25], 3
	s_delay_alu instid0(SALU_CYCLE_1)
	s_add_nc_u64 s[38:39], s[16:17], s[38:39]
	global_load_b64 v[6:7], v1, s[38:39]
	s_wait_loadcnt 0x0
	v_add_nc_u64_e32 v[8:9], s[18:19], v[6:7]
.LBB508_9:                              ;   in Loop: Header=BB508_4 Depth=1
	v_cmp_ne_u32_e32 vcc_lo, 1, v25
	s_cbranch_vccnz .LBB508_11
; %bb.10:                               ;   in Loop: Header=BB508_4 Depth=1
	s_wait_xcnt 0x0
	s_lshl_b64 s[38:39], s[24:25], 3
	s_delay_alu instid0(SALU_CYCLE_1)
	s_add_nc_u64 s[38:39], s[12:13], s[38:39]
	global_load_b64 v[6:7], v1, s[38:39]
	s_wait_loadcnt 0x0
	v_add_nc_u64_e32 v[10:11], s[14:15], v[6:7]
.LBB508_11:                             ;   in Loop: Header=BB508_4 Depth=1
	s_wait_xcnt 0x0
	s_lshl_b64 s[38:39], s[24:25], 3
	s_and_not1_b32 vcc_lo, exec_lo, s29
	s_add_nc_u64 s[38:39], s[8:9], s[38:39]
	global_load_b64 v[6:7], v1, s[38:39]
	s_wait_loadcnt 0x0
	v_add_nc_u64_e32 v[6:7], s[10:11], v[6:7]
	s_cbranch_vccnz .LBB508_15
; %bb.12:                               ;   in Loop: Header=BB508_4 Depth=1
	s_mov_b32 s7, 0
	s_wait_xcnt 0x0
	s_mov_b32 s38, 0
                                        ; implicit-def: $vgpr12
	s_and_saveexec_b32 s39, s35
	s_cbranch_execz .LBB508_16
; %bb.13:                               ;   in Loop: Header=BB508_4 Depth=1
	s_and_not1_b32 vcc_lo, exec_lo, s33
	s_cbranch_vccnz .LBB508_18
; %bb.14:                               ;   in Loop: Header=BB508_4 Depth=1
	v_lshl_add_u64 v[12:13], v[2:3], 2, v[6:7]
	flat_load_b32 v12, v[12:13]
	s_wait_loadcnt_dscnt 0x0
	s_wait_xcnt 0x0
	v_mul_f32_e32 v12, s26, v12
	s_branch .LBB508_19
.LBB508_15:                             ;   in Loop: Header=BB508_4 Depth=1
	s_wait_xcnt 0x0
	s_mov_b32 s38, 0
                                        ; implicit-def: $vgpr12
	s_cbranch_execz .LBB508_17
	s_branch .LBB508_20
.LBB508_16:                             ;   in Loop: Header=BB508_4 Depth=1
	s_or_b32 exec_lo, exec_lo, s39
	s_delay_alu instid0(SALU_CYCLE_1)
	s_and_b32 vcc_lo, exec_lo, s7
	s_cbranch_vccnz .LBB508_20
.LBB508_17:                             ;   in Loop: Header=BB508_4 Depth=1
	v_mov_b64_e32 v[8:9], v[2:3]
	s_and_saveexec_b32 s7, s38
	s_cbranch_execz .LBB508_2
	s_branch .LBB508_57
.LBB508_18:                             ;   in Loop: Header=BB508_4 Depth=1
	v_mov_b32_e32 v12, 0
.LBB508_19:                             ;   in Loop: Header=BB508_4 Depth=1
	s_mov_b32 s38, exec_lo
	s_or_b32 exec_lo, exec_lo, s39
	s_delay_alu instid0(SALU_CYCLE_1)
	s_and_b32 vcc_lo, exec_lo, s7
	s_cbranch_vccz .LBB508_17
.LBB508_20:                             ;   in Loop: Header=BB508_4 Depth=1
	v_dual_mov_b32 v33, 0 :: v_dual_mov_b32 v37, v22
	v_dual_mov_b32 v34, 0 :: v_dual_mov_b32 v35, 0
	v_mov_b32_e32 v36, 0
	s_and_saveexec_b32 s7, s6
	s_cbranch_execz .LBB508_32
; %bb.21:                               ;   in Loop: Header=BB508_4 Depth=1
	v_dual_mov_b32 v33, 0 :: v_dual_mov_b32 v38, v31
	v_dual_mov_b32 v39, v28 :: v_dual_mov_b32 v40, v27
	;; [unrolled: 1-line block ×4, first 2 shown]
	v_mov_b32_e32 v36, 0
	s_mov_b32 s39, 0
	s_mov_b32 s40, 0
	s_branch .LBB508_26
.LBB508_22:                             ;   in Loop: Header=BB508_26 Depth=2
	s_wait_xcnt 0x0
	s_or_b32 exec_lo, exec_lo, s44
	s_wait_loadcnt_dscnt 0x303
	v_fma_mix_f32 v12, v52, v56, v35 op_sel_hi:[0,1,0]
	s_wait_loadcnt_dscnt 0x202
	s_delay_alu instid0(VALU_DEP_1) | instskip(SKIP_1) | instid1(VALU_DEP_1)
	v_fma_mix_f32 v12, v53, v57, v12 op_sel_hi:[0,1,0]
	s_wait_loadcnt_dscnt 0x101
	v_fma_mix_f32 v12, v54, v58, v12 op_sel_hi:[0,1,0]
	s_wait_loadcnt_dscnt 0x0
	s_delay_alu instid0(VALU_DEP_1)
	v_fma_mix_f32 v35, v55, v59, v12 op_sel_hi:[0,1,0]
.LBB508_23:                             ;   in Loop: Header=BB508_26 Depth=2
	s_or_b32 exec_lo, exec_lo, s43
	s_wait_loadcnt_dscnt 0x303
	v_fma_mix_f32 v12, v52, v18, v34 op_sel_hi:[0,1,0]
	s_wait_loadcnt_dscnt 0x202
	s_delay_alu instid0(VALU_DEP_1) | instskip(SKIP_1) | instid1(VALU_DEP_1)
	v_fma_mix_f32 v12, v53, v19, v12 op_sel_hi:[0,1,0]
	s_wait_loadcnt_dscnt 0x101
	v_fma_mix_f32 v12, v54, v50, v12 op_sel_hi:[0,1,0]
	s_wait_loadcnt_dscnt 0x0
	s_delay_alu instid0(VALU_DEP_1)
	v_fma_mix_f32 v34, v55, v51, v12 op_sel_hi:[0,1,0]
.LBB508_24:                             ;   in Loop: Header=BB508_26 Depth=2
	s_or_b32 exec_lo, exec_lo, s42
	s_wait_loadcnt_dscnt 0x303
	v_fma_mix_f32 v12, v42, v46, v33 op_sel_hi:[1,1,0]
	s_wait_loadcnt_dscnt 0x202
	s_delay_alu instid0(VALU_DEP_1) | instskip(SKIP_1) | instid1(VALU_DEP_1)
	v_fma_mix_f32 v12, v43, v47, v12 op_sel_hi:[1,1,0]
	s_wait_loadcnt_dscnt 0x101
	v_fma_mix_f32 v12, v44, v48, v12 op_sel_hi:[1,1,0]
	s_wait_loadcnt_dscnt 0x0
	s_delay_alu instid0(VALU_DEP_1)
	v_fma_mix_f32 v33, v45, v49, v12 op_sel_hi:[1,1,0]
.LBB508_25:                             ;   in Loop: Header=BB508_26 Depth=2
	s_or_b32 exec_lo, exec_lo, s41
	v_dual_add_nc_u32 v37, 16, v37 :: v_dual_add_nc_u32 v40, s36, v40
	v_dual_add_nc_u32 v41, s36, v41 :: v_dual_add_nc_u32 v39, s36, v39
	v_add_nc_u32_e32 v38, s36, v38
	s_delay_alu instid0(VALU_DEP_3) | instskip(SKIP_2) | instid1(SALU_CYCLE_1)
	v_cmp_le_i32_e32 vcc_lo, s34, v37
	s_add_co_i32 s40, s40, s37
	s_or_b32 s39, vcc_lo, s39
	s_and_not1_b32 exec_lo, exec_lo, s39
	s_cbranch_execz .LBB508_31
.LBB508_26:                             ;   Parent Loop BB508_4 Depth=1
                                        ; =>  This Inner Loop Header: Depth=2
	s_and_saveexec_b32 s41, s1
	s_cbranch_execz .LBB508_25
; %bb.27:                               ;   in Loop: Header=BB508_26 Depth=2
	v_mad_u32 v13, s28, v22, s28
	v_dual_add_nc_u32 v15, s40, v32 :: v_dual_add_nc_u32 v17, s40, v29
	v_readfirstlane_b32 s42, v10
	v_readfirstlane_b32 s43, v11
	v_add_nc_u32_e32 v19, s40, v30
	v_dual_add_nc_u32 v12, s31, v38 :: v_dual_add_nc_u32 v14, s31, v41
	v_readfirstlane_b32 s44, v8
	v_readfirstlane_b32 s45, v9
	v_dual_add_nc_u32 v18, s31, v40 :: v_dual_add_nc_u32 v16, s31, v39
	v_add_nc_u32_e32 v13, s40, v13
	s_clause 0x3
	flat_load_u16 v42, v15, s[42:43] scale_offset
	flat_load_u16 v43, v13, s[42:43] scale_offset
	;; [unrolled: 1-line block ×4, first 2 shown]
	s_clause 0x3
	flat_load_u16 v46, v12, s[44:45] scale_offset
	flat_load_u16 v47, v14, s[44:45] scale_offset
	;; [unrolled: 1-line block ×4, first 2 shown]
	s_wait_xcnt 0x0
	s_and_saveexec_b32 s42, s3
	s_cbranch_execz .LBB508_24
; %bb.28:                               ;   in Loop: Header=BB508_26 Depth=2
	v_dual_ashrrev_i32 v13, 31, v12 :: v_dual_ashrrev_i32 v15, 31, v14
	v_dual_ashrrev_i32 v19, 31, v18 :: v_dual_ashrrev_i32 v17, 31, v16
	s_wait_loadcnt_dscnt 0x707
	v_cvt_f32_f16_e32 v52, v42
	s_delay_alu instid0(VALU_DEP_3)
	v_lshl_add_u64 v[20:21], v[12:13], 1, v[8:9]
	v_lshl_add_u64 v[12:13], v[14:15], 1, v[8:9]
	;; [unrolled: 1-line block ×4, first 2 shown]
	s_wait_loadcnt_dscnt 0x606
	v_cvt_f32_f16_e32 v53, v43
	s_clause 0x3
	flat_load_u16 v18, v[20:21] offset:128
	flat_load_u16 v19, v[12:13] offset:128
	;; [unrolled: 1-line block ×4, first 2 shown]
	s_wait_loadcnt_dscnt 0x909
	v_cvt_f32_f16_e32 v54, v44
	s_wait_loadcnt_dscnt 0x808
	v_cvt_f32_f16_e32 v55, v45
	s_wait_xcnt 0x0
	s_and_saveexec_b32 s43, s4
	s_cbranch_execz .LBB508_23
; %bb.29:                               ;   in Loop: Header=BB508_26 Depth=2
	s_clause 0x3
	flat_load_u16 v56, v[20:21] offset:256
	flat_load_u16 v57, v[12:13] offset:256
	;; [unrolled: 1-line block ×4, first 2 shown]
	s_wait_xcnt 0x0
	s_and_saveexec_b32 s44, s5
	s_cbranch_execz .LBB508_22
; %bb.30:                               ;   in Loop: Header=BB508_26 Depth=2
	s_clause 0x3
	flat_load_u16 v60, v[20:21] offset:384
	flat_load_u16 v61, v[12:13] offset:384
	;; [unrolled: 1-line block ×4, first 2 shown]
	s_wait_loadcnt_dscnt 0x303
	s_wait_xcnt 0x2
	v_fma_mix_f32 v12, v52, v60, v36 op_sel_hi:[0,1,0]
	s_wait_loadcnt_dscnt 0x202
	s_delay_alu instid0(VALU_DEP_1) | instskip(SKIP_1) | instid1(VALU_DEP_1)
	v_fma_mix_f32 v12, v53, v61, v12 op_sel_hi:[0,1,0]
	s_wait_loadcnt_dscnt 0x101
	v_fma_mix_f32 v12, v54, v62, v12 op_sel_hi:[0,1,0]
	s_wait_loadcnt_dscnt 0x0
	s_delay_alu instid0(VALU_DEP_1)
	v_fma_mix_f32 v36, v55, v63, v12 op_sel_hi:[0,1,0]
	s_branch .LBB508_22
.LBB508_31:                             ;   in Loop: Header=BB508_4 Depth=1
	s_or_b32 exec_lo, exec_lo, s39
.LBB508_32:                             ;   in Loop: Header=BB508_4 Depth=1
	s_delay_alu instid0(SALU_CYCLE_1) | instskip(NEXT) | instid1(SALU_CYCLE_1)
	s_or_b32 exec_lo, exec_lo, s7
	s_and_not1_b32 vcc_lo, exec_lo, s20
	s_cbranch_vccnz .LBB508_50
; %bb.33:                               ;   in Loop: Header=BB508_4 Depth=1
	v_cmp_gt_i32_e32 vcc_lo, s21, v37
	v_dual_mov_b32 v18, 0 :: v_dual_bitop2_b32 v12, 1, v37 bitop3:0x54
	v_dual_mov_b32 v19, 0 :: v_dual_mov_b32 v20, 0
	v_mov_b32_e32 v21, 0
	s_and_saveexec_b32 s39, vcc_lo
	s_cbranch_execz .LBB508_41
; %bb.34:                               ;   in Loop: Header=BB508_4 Depth=1
	v_mul_lo_u32 v13, v37, s28
	v_readfirstlane_b32 s40, v10
	v_readfirstlane_b32 s41, v11
	v_dual_mov_b32 v20, 0 :: v_dual_mov_b32 v19, 0
	v_mov_b32_e32 v18, 0
	flat_load_u16 v13, v13, s[40:41] scale_offset
	s_wait_xcnt 0x0
	s_mov_b32 s40, exec_lo
	v_cmpx_gt_i32_e64 s21, v12
	s_cbranch_execz .LBB508_40
; %bb.35:                               ;   in Loop: Header=BB508_4 Depth=1
	v_mul_lo_u32 v14, v12, s28
	v_readfirstlane_b32 s42, v10
	v_readfirstlane_b32 s43, v11
	v_dual_mov_b32 v19, 0 :: v_dual_bitop2_b32 v15, 2, v37 bitop3:0x54
	v_mov_b32_e32 v18, 0
	s_mov_b32 s41, exec_lo
	flat_load_u16 v14, v14, s[42:43] scale_offset
	s_wait_xcnt 0x0
	v_cmpx_gt_i32_e64 s21, v15
	s_cbranch_execz .LBB508_39
; %bb.36:                               ;   in Loop: Header=BB508_4 Depth=1
	v_mul_lo_u32 v15, v15, s28
	v_readfirstlane_b32 s42, v10
	v_readfirstlane_b32 s43, v11
	v_dual_mov_b32 v18, 0 :: v_dual_bitop2_b32 v16, 3, v37 bitop3:0x54
	flat_load_u16 v15, v15, s[42:43] scale_offset
	s_wait_xcnt 0x0
	s_mov_b32 s42, exec_lo
	v_cmpx_gt_i32_e64 s21, v16
	s_cbranch_execz .LBB508_38
; %bb.37:                               ;   in Loop: Header=BB508_4 Depth=1
	v_mul_lo_u32 v16, v16, s28
	v_readfirstlane_b32 s44, v10
	v_readfirstlane_b32 s45, v11
	flat_load_u16 v10, v16, s[44:45] scale_offset
	s_wait_loadcnt_dscnt 0x0
	v_cvt_f32_f16_e32 v18, v10
.LBB508_38:                             ;   in Loop: Header=BB508_4 Depth=1
	s_wait_xcnt 0x0
	s_or_b32 exec_lo, exec_lo, s42
	s_wait_loadcnt_dscnt 0x0
	v_cvt_f32_f16_e32 v19, v15
.LBB508_39:                             ;   in Loop: Header=BB508_4 Depth=1
	s_or_b32 exec_lo, exec_lo, s41
	s_wait_loadcnt_dscnt 0x0
	v_cvt_f32_f16_e32 v20, v14
.LBB508_40:                             ;   in Loop: Header=BB508_4 Depth=1
	s_or_b32 exec_lo, exec_lo, s40
	s_wait_loadcnt_dscnt 0x0
	v_cvt_f32_f16_e32 v21, v13
.LBB508_41:                             ;   in Loop: Header=BB508_4 Depth=1
	s_or_b32 exec_lo, exec_lo, s39
	s_and_saveexec_b32 s7, s1
	s_cbranch_execz .LBB508_49
; %bb.42:                               ;   in Loop: Header=BB508_4 Depth=1
	v_mul_lo_u32 v11, v37, s27
	v_mul_lo_u32 v14, v12, s27
	v_or_b32_e32 v10, 2, v37
	v_readfirstlane_b32 s40, v8
	v_readfirstlane_b32 s41, v9
	v_cndmask_b32_e32 v11, 0, v11, vcc_lo
	s_delay_alu instid0(VALU_DEP_4) | instskip(SKIP_2) | instid1(VALU_DEP_1)
	v_mul_lo_u32 v15, v10, s27
	v_cmp_gt_i32_e32 vcc_lo, s21, v12
	v_dual_cndmask_b32 v12, 0, v14, vcc_lo :: v_dual_bitop2_b32 v13, 3, v37 bitop3:0x54
	v_mul_lo_u32 v16, v13, s27
	v_cmp_gt_i32_e32 vcc_lo, s21, v10
	s_delay_alu instid0(VALU_DEP_3) | instskip(SKIP_2) | instid1(VALU_DEP_2)
	v_dual_add_nc_u32 v10, v11, v26 :: v_dual_add_nc_u32 v12, v12, v26
	v_cndmask_b32_e32 v14, 0, v15, vcc_lo
	v_cmp_gt_i32_e32 vcc_lo, s21, v13
	v_dual_cndmask_b32 v13, 0, v16 :: v_dual_add_nc_u32 v14, v14, v26
	s_delay_alu instid0(VALU_DEP_1)
	v_add_nc_u32_e32 v16, v13, v26
	s_clause 0x3
	flat_load_u16 v37, v10, s[40:41] scale_offset
	flat_load_u16 v38, v12, s[40:41] scale_offset
	flat_load_u16 v39, v14, s[40:41] scale_offset
	flat_load_u16 v40, v16, s[40:41] scale_offset
	s_wait_xcnt 0x0
	s_and_saveexec_b32 s39, s3
	s_cbranch_execz .LBB508_48
; %bb.43:                               ;   in Loop: Header=BB508_4 Depth=1
	v_dual_ashrrev_i32 v11, 31, v10 :: v_dual_ashrrev_i32 v13, 31, v12
	v_dual_ashrrev_i32 v15, 31, v14 :: v_dual_ashrrev_i32 v17, 31, v16
	s_delay_alu instid0(VALU_DEP_2) | instskip(NEXT) | instid1(VALU_DEP_3)
	v_lshl_add_u64 v[10:11], v[10:11], 1, v[8:9]
	v_lshl_add_u64 v[12:13], v[12:13], 1, v[8:9]
	s_delay_alu instid0(VALU_DEP_3) | instskip(NEXT) | instid1(VALU_DEP_4)
	v_lshl_add_u64 v[14:15], v[14:15], 1, v[8:9]
	v_lshl_add_u64 v[8:9], v[16:17], 1, v[8:9]
	s_clause 0x3
	flat_load_u16 v16, v[10:11] offset:128
	flat_load_u16 v17, v[12:13] offset:128
	;; [unrolled: 1-line block ×4, first 2 shown]
	s_wait_xcnt 0x0
	s_and_saveexec_b32 s40, s4
	s_cbranch_execz .LBB508_47
; %bb.44:                               ;   in Loop: Header=BB508_4 Depth=1
	s_clause 0x3
	flat_load_u16 v43, v[10:11] offset:256
	flat_load_u16 v44, v[12:13] offset:256
	flat_load_u16 v45, v[14:15] offset:256
	flat_load_u16 v46, v[8:9] offset:256
	s_wait_xcnt 0x0
	s_and_saveexec_b32 s41, s5
	s_cbranch_execz .LBB508_46
; %bb.45:                               ;   in Loop: Header=BB508_4 Depth=1
	s_clause 0x3
	flat_load_u16 v47, v[10:11] offset:384
	flat_load_u16 v48, v[12:13] offset:384
	;; [unrolled: 1-line block ×4, first 2 shown]
	s_wait_loadcnt_dscnt 0x303
	s_wait_xcnt 0x0
	v_fma_mix_f32 v8, v21, v47, v36 op_sel_hi:[0,1,0]
	s_wait_loadcnt_dscnt 0x202
	s_delay_alu instid0(VALU_DEP_1) | instskip(SKIP_1) | instid1(VALU_DEP_1)
	v_fma_mix_f32 v8, v20, v48, v8 op_sel_hi:[0,1,0]
	s_wait_loadcnt_dscnt 0x101
	v_fma_mix_f32 v8, v19, v49, v8 op_sel_hi:[0,1,0]
	s_wait_loadcnt_dscnt 0x0
	s_delay_alu instid0(VALU_DEP_1)
	v_fma_mix_f32 v36, v18, v50, v8 op_sel_hi:[0,1,0]
.LBB508_46:                             ;   in Loop: Header=BB508_4 Depth=1
	s_or_b32 exec_lo, exec_lo, s41
	s_wait_loadcnt_dscnt 0x303
	v_fma_mix_f32 v8, v21, v43, v35 op_sel_hi:[0,1,0]
	s_wait_loadcnt_dscnt 0x202
	s_delay_alu instid0(VALU_DEP_1) | instskip(SKIP_1) | instid1(VALU_DEP_1)
	v_fma_mix_f32 v8, v20, v44, v8 op_sel_hi:[0,1,0]
	s_wait_loadcnt_dscnt 0x101
	v_fma_mix_f32 v8, v19, v45, v8 op_sel_hi:[0,1,0]
	s_wait_loadcnt_dscnt 0x0
	s_delay_alu instid0(VALU_DEP_1)
	v_fma_mix_f32 v35, v18, v46, v8 op_sel_hi:[0,1,0]
.LBB508_47:                             ;   in Loop: Header=BB508_4 Depth=1
	s_or_b32 exec_lo, exec_lo, s40
	s_wait_loadcnt_dscnt 0x303
	v_fma_mix_f32 v8, v21, v16, v34 op_sel_hi:[0,1,0]
	s_wait_loadcnt_dscnt 0x202
	s_delay_alu instid0(VALU_DEP_1) | instskip(SKIP_1) | instid1(VALU_DEP_1)
	v_fma_mix_f32 v8, v20, v17, v8 op_sel_hi:[0,1,0]
	s_wait_loadcnt_dscnt 0x101
	v_fma_mix_f32 v8, v19, v41, v8 op_sel_hi:[0,1,0]
	s_wait_loadcnt_dscnt 0x0
	s_delay_alu instid0(VALU_DEP_1)
	v_fma_mix_f32 v34, v18, v42, v8 op_sel_hi:[0,1,0]
.LBB508_48:                             ;   in Loop: Header=BB508_4 Depth=1
	s_or_b32 exec_lo, exec_lo, s39
	s_wait_loadcnt_dscnt 0x303
	v_fma_mix_f32 v8, v21, v37, v33 op_sel_hi:[0,1,0]
	s_wait_loadcnt_dscnt 0x202
	s_delay_alu instid0(VALU_DEP_1) | instskip(SKIP_1) | instid1(VALU_DEP_1)
	v_fma_mix_f32 v8, v20, v38, v8 op_sel_hi:[0,1,0]
	s_wait_loadcnt_dscnt 0x101
	v_fma_mix_f32 v8, v19, v39, v8 op_sel_hi:[0,1,0]
	s_wait_loadcnt_dscnt 0x0
	s_delay_alu instid0(VALU_DEP_1)
	v_fma_mix_f32 v33, v18, v40, v8 op_sel_hi:[0,1,0]
.LBB508_49:                             ;   in Loop: Header=BB508_4 Depth=1
	s_or_b32 exec_lo, exec_lo, s7
.LBB508_50:                             ;   in Loop: Header=BB508_4 Depth=1
	ds_store_2addr_stride64_b32 v23, v33, v34 offset1:1
	ds_store_2addr_stride64_b32 v23, v35, v36 offset0:2 offset1:3
	s_wait_dscnt 0x0
	s_barrier_signal -1
	s_barrier_wait -1
                                        ; implicit-def: $vgpr12
	s_and_saveexec_b32 s7, s0
	s_cbranch_execz .LBB508_56
; %bb.51:                               ;   in Loop: Header=BB508_4 Depth=1
	ds_load_2addr_stride64_b32 v[8:9], v24 offset1:4
	ds_load_2addr_stride64_b32 v[10:11], v24 offset0:8 offset1:12
	s_mov_b32 s40, s38
                                        ; implicit-def: $vgpr12
	s_wait_dscnt 0x1
	v_add_f32_e32 v8, v8, v9
	s_wait_dscnt 0x0
	s_delay_alu instid0(VALU_DEP_1) | instskip(NEXT) | instid1(VALU_DEP_1)
	v_add_f32_e32 v8, v10, v8
	v_add_f32_e32 v8, v11, v8
	ds_store_b32 v24, v8
	s_and_saveexec_b32 s39, s2
	s_cbranch_execz .LBB508_55
; %bb.52:                               ;   in Loop: Header=BB508_4 Depth=1
	v_mul_f32_e32 v12, s22, v8
	s_and_not1_b32 vcc_lo, exec_lo, s33
	s_cbranch_vccnz .LBB508_54
; %bb.53:                               ;   in Loop: Header=BB508_4 Depth=1
	v_lshl_add_u64 v[8:9], v[4:5], 2, v[6:7]
	flat_load_b32 v8, v[8:9]
	s_wait_loadcnt_dscnt 0x0
	v_fmac_f32_e32 v12, s26, v8
.LBB508_54:                             ;   in Loop: Header=BB508_4 Depth=1
	s_or_b32 s40, s38, exec_lo
.LBB508_55:                             ;   in Loop: Header=BB508_4 Depth=1
	s_wait_xcnt 0x0
	s_or_b32 exec_lo, exec_lo, s39
	s_delay_alu instid0(SALU_CYCLE_1) | instskip(SKIP_1) | instid1(SALU_CYCLE_1)
	s_and_not1_b32 s38, s38, exec_lo
	s_and_b32 s39, s40, exec_lo
	s_or_b32 s38, s38, s39
.LBB508_56:                             ;   in Loop: Header=BB508_4 Depth=1
	s_or_b32 exec_lo, exec_lo, s7
	v_mov_b64_e32 v[8:9], v[4:5]
	s_and_saveexec_b32 s7, s38
	s_cbranch_execz .LBB508_2
.LBB508_57:                             ;   in Loop: Header=BB508_4 Depth=1
	s_delay_alu instid0(VALU_DEP_1)
	v_lshl_add_u64 v[6:7], v[8:9], 2, v[6:7]
	flat_store_b32 v[6:7], v12
	s_branch .LBB508_2
.LBB508_58:
	s_endpgm
	.section	.rodata,"a",@progbits
	.p2align	6, 0x0
	.amdhsa_kernel _ZL20rocblas_gemvn_kernelILi64ELi4EiPKDF16_fKPfEviiT3_lPKT2_lT1_lS7_lS8_lS4_lPT4_lS8_li
		.amdhsa_group_segment_fixed_size 4096
		.amdhsa_private_segment_fixed_size 0
		.amdhsa_kernarg_size 400
		.amdhsa_user_sgpr_count 2
		.amdhsa_user_sgpr_dispatch_ptr 0
		.amdhsa_user_sgpr_queue_ptr 0
		.amdhsa_user_sgpr_kernarg_segment_ptr 1
		.amdhsa_user_sgpr_dispatch_id 0
		.amdhsa_user_sgpr_kernarg_preload_length 0
		.amdhsa_user_sgpr_kernarg_preload_offset 0
		.amdhsa_user_sgpr_private_segment_size 0
		.amdhsa_wavefront_size32 1
		.amdhsa_uses_dynamic_stack 0
		.amdhsa_enable_private_segment 0
		.amdhsa_system_sgpr_workgroup_id_x 1
		.amdhsa_system_sgpr_workgroup_id_y 0
		.amdhsa_system_sgpr_workgroup_id_z 1
		.amdhsa_system_sgpr_workgroup_info 0
		.amdhsa_system_vgpr_workitem_id 1
		.amdhsa_next_free_vgpr 64
		.amdhsa_next_free_sgpr 46
		.amdhsa_named_barrier_count 0
		.amdhsa_reserve_vcc 1
		.amdhsa_float_round_mode_32 0
		.amdhsa_float_round_mode_16_64 0
		.amdhsa_float_denorm_mode_32 3
		.amdhsa_float_denorm_mode_16_64 3
		.amdhsa_fp16_overflow 0
		.amdhsa_memory_ordered 1
		.amdhsa_forward_progress 1
		.amdhsa_inst_pref_size 24
		.amdhsa_round_robin_scheduling 0
		.amdhsa_exception_fp_ieee_invalid_op 0
		.amdhsa_exception_fp_denorm_src 0
		.amdhsa_exception_fp_ieee_div_zero 0
		.amdhsa_exception_fp_ieee_overflow 0
		.amdhsa_exception_fp_ieee_underflow 0
		.amdhsa_exception_fp_ieee_inexact 0
		.amdhsa_exception_int_div_zero 0
	.end_amdhsa_kernel
	.section	.text._ZL20rocblas_gemvn_kernelILi64ELi4EiPKDF16_fKPfEviiT3_lPKT2_lT1_lS7_lS8_lS4_lPT4_lS8_li,"axG",@progbits,_ZL20rocblas_gemvn_kernelILi64ELi4EiPKDF16_fKPfEviiT3_lPKT2_lT1_lS7_lS8_lS4_lPT4_lS8_li,comdat
.Lfunc_end508:
	.size	_ZL20rocblas_gemvn_kernelILi64ELi4EiPKDF16_fKPfEviiT3_lPKT2_lT1_lS7_lS8_lS4_lPT4_lS8_li, .Lfunc_end508-_ZL20rocblas_gemvn_kernelILi64ELi4EiPKDF16_fKPfEviiT3_lPKT2_lT1_lS7_lS8_lS4_lPT4_lS8_li
                                        ; -- End function
	.set _ZL20rocblas_gemvn_kernelILi64ELi4EiPKDF16_fKPfEviiT3_lPKT2_lT1_lS7_lS8_lS4_lPT4_lS8_li.num_vgpr, 64
	.set _ZL20rocblas_gemvn_kernelILi64ELi4EiPKDF16_fKPfEviiT3_lPKT2_lT1_lS7_lS8_lS4_lPT4_lS8_li.num_agpr, 0
	.set _ZL20rocblas_gemvn_kernelILi64ELi4EiPKDF16_fKPfEviiT3_lPKT2_lT1_lS7_lS8_lS4_lPT4_lS8_li.numbered_sgpr, 46
	.set _ZL20rocblas_gemvn_kernelILi64ELi4EiPKDF16_fKPfEviiT3_lPKT2_lT1_lS7_lS8_lS4_lPT4_lS8_li.num_named_barrier, 0
	.set _ZL20rocblas_gemvn_kernelILi64ELi4EiPKDF16_fKPfEviiT3_lPKT2_lT1_lS7_lS8_lS4_lPT4_lS8_li.private_seg_size, 0
	.set _ZL20rocblas_gemvn_kernelILi64ELi4EiPKDF16_fKPfEviiT3_lPKT2_lT1_lS7_lS8_lS4_lPT4_lS8_li.uses_vcc, 1
	.set _ZL20rocblas_gemvn_kernelILi64ELi4EiPKDF16_fKPfEviiT3_lPKT2_lT1_lS7_lS8_lS4_lPT4_lS8_li.uses_flat_scratch, 1
	.set _ZL20rocblas_gemvn_kernelILi64ELi4EiPKDF16_fKPfEviiT3_lPKT2_lT1_lS7_lS8_lS4_lPT4_lS8_li.has_dyn_sized_stack, 0
	.set _ZL20rocblas_gemvn_kernelILi64ELi4EiPKDF16_fKPfEviiT3_lPKT2_lT1_lS7_lS8_lS4_lPT4_lS8_li.has_recursion, 0
	.set _ZL20rocblas_gemvn_kernelILi64ELi4EiPKDF16_fKPfEviiT3_lPKT2_lT1_lS7_lS8_lS4_lPT4_lS8_li.has_indirect_call, 0
	.section	.AMDGPU.csdata,"",@progbits
; Kernel info:
; codeLenInByte = 3000
; TotalNumSgprs: 48
; NumVgprs: 64
; ScratchSize: 0
; MemoryBound: 0
; FloatMode: 240
; IeeeMode: 1
; LDSByteSize: 4096 bytes/workgroup (compile time only)
; SGPRBlocks: 0
; VGPRBlocks: 3
; NumSGPRsForWavesPerEU: 48
; NumVGPRsForWavesPerEU: 64
; NamedBarCnt: 0
; Occupancy: 16
; WaveLimiterHint : 1
; COMPUTE_PGM_RSRC2:SCRATCH_EN: 0
; COMPUTE_PGM_RSRC2:USER_SGPR: 2
; COMPUTE_PGM_RSRC2:TRAP_HANDLER: 0
; COMPUTE_PGM_RSRC2:TGID_X_EN: 1
; COMPUTE_PGM_RSRC2:TGID_Y_EN: 0
; COMPUTE_PGM_RSRC2:TGID_Z_EN: 1
; COMPUTE_PGM_RSRC2:TIDIG_COMP_CNT: 1
	.section	.text._ZL20rocblas_gemvn_kernelILi64ELi4ElPKDF16_fKPfEviiT3_lPKT2_lT1_lS7_lS8_lS4_lPT4_lS8_li,"axG",@progbits,_ZL20rocblas_gemvn_kernelILi64ELi4ElPKDF16_fKPfEviiT3_lPKT2_lT1_lS7_lS8_lS4_lPT4_lS8_li,comdat
	.globl	_ZL20rocblas_gemvn_kernelILi64ELi4ElPKDF16_fKPfEviiT3_lPKT2_lT1_lS7_lS8_lS4_lPT4_lS8_li ; -- Begin function _ZL20rocblas_gemvn_kernelILi64ELi4ElPKDF16_fKPfEviiT3_lPKT2_lT1_lS7_lS8_lS4_lPT4_lS8_li
	.p2align	8
	.type	_ZL20rocblas_gemvn_kernelILi64ELi4ElPKDF16_fKPfEviiT3_lPKT2_lT1_lS7_lS8_lS4_lPT4_lS8_li,@function
_ZL20rocblas_gemvn_kernelILi64ELi4ElPKDF16_fKPfEviiT3_lPKT2_lT1_lS7_lS8_lS4_lPT4_lS8_li: ; @_ZL20rocblas_gemvn_kernelILi64ELi4ElPKDF16_fKPfEviiT3_lPKT2_lT1_lS7_lS8_lS4_lPT4_lS8_li
; %bb.0:
	s_clause 0x1
	s_load_b64 s[2:3], s[0:1], 0x9c
	s_load_b32 s27, s[0:1], 0x88
	s_bfe_u32 s4, ttmp6, 0x40014
	s_lshr_b32 s5, ttmp7, 16
	s_add_co_i32 s4, s4, 1
	s_bfe_u32 s6, ttmp6, 0x40008
	s_mul_i32 s7, s5, s4
	s_getreg_b32 s4, hwreg(HW_REG_IB_STS2, 6, 4)
	s_add_co_i32 s6, s6, s7
	s_mov_b32 s11, 0
	s_wait_kmcnt 0x0
	s_lshr_b32 s7, s2, 16
	s_and_b32 s2, s2, 0xffff
	s_and_b32 s3, s3, 0xffff
	s_mul_i32 s2, s7, s2
	s_cmp_eq_u32 s4, 0
	s_mul_i32 s2, s2, s3
	s_cselect_b32 s10, s5, s6
	s_cmp_lg_u32 s2, 0x100
	s_cselect_b32 s2, -1, 0
	s_cmp_ge_u32 s10, s27
	s_cselect_b32 s3, -1, 0
	s_delay_alu instid0(SALU_CYCLE_1) | instskip(NEXT) | instid1(SALU_CYCLE_1)
	s_or_b32 s2, s2, s3
	s_and_b32 vcc_lo, exec_lo, s2
	s_cbranch_vccnz .LBB509_58
; %bb.1:
	s_clause 0x7
	s_load_b96 s[24:26], s[0:1], 0x0
	s_load_b32 s33, s[0:1], 0x58
	s_load_b64 s[28:29], s[0:1], 0x48
	s_load_b128 s[12:15], s[0:1], 0x18
	s_load_b64 s[30:31], s[0:1], 0x28
	s_load_b128 s[16:19], s[0:1], 0x38
	;; [unrolled: 2-line block ×3, first 2 shown]
	v_bfe_u32 v4, v0, 10, 10
	v_and_b32_e32 v15, 0x3ff, v0
	s_delay_alu instid0(VALU_DEP_2) | instskip(NEXT) | instid1(VALU_DEP_2)
	v_dual_mov_b32 v1, 0 :: v_dual_lshlrev_b32 v48, 2, v4
	v_lshl_add_u32 v14, v4, 6, v15
	s_delay_alu instid0(VALU_DEP_2) | instskip(NEXT) | instid1(VALU_DEP_1)
	v_dual_mov_b32 v5, v1 :: v_dual_lshlrev_b32 v20, 2, v15
	v_lshl_add_u32 v50, v4, 10, v20
	s_wait_kmcnt 0x0
	s_cmp_eq_f32 s26, 0
	v_lshl_add_u32 v51, v4, 8, v20
	v_mad_nc_u64_u32 v[6:7], s28, v48, s[28:29]
	v_mul_u64_e32 v[10:11], s[28:29], v[4:5]
	s_cselect_b32 s38, -1, 0
	s_cmp_neq_f32 s33, 1.0
	v_mad_nc_u64_u32 v[8:9], s30, v48, s[30:31]
	v_mul_u64_e32 v[12:13], s[30:31], v[4:5]
	s_cselect_b32 s0, -1, 0
	s_cmp_neq_f32 s26, 0
	s_delay_alu instid0(VALU_DEP_4)
	v_mad_u32 v7, s29, v48, v7
	s_cselect_b32 s1, -1, 0
	s_bfe_u32 s5, ttmp6, 0x4000c
	s_and_b32 s6, ttmp6, 15
	s_add_co_i32 s5, s5, 1
	s_or_b32 s39, s1, s0
	s_mul_i32 s5, ttmp9, s5
	v_cndmask_b32_e64 v49, 0, 1, s1
	s_add_co_i32 s6, s6, s5
	s_cmp_eq_u32 s4, 0
	s_mov_b32 s0, s24
	s_cselect_b32 s1, ttmp9, s6
	v_mad_u32 v9, s31, v48, v9
	s_lshl_b32 s4, s1, 8
	s_ashr_i32 s1, s24, 31
	v_dual_add_nc_u32 v0, s4, v14 :: v_dual_bitop2_b32 v24, s4, v15 bitop3:0x54
	v_lshlrev_b64_e32 v[4:5], 1, v[6:7]
	s_cmp_neq_f32 s33, 0
	s_delay_alu instid0(VALU_DEP_2)
	v_cmp_gt_i64_e32 vcc_lo, s[0:1], v[0:1]
	v_cmp_gt_u32_e64 s0, 0x100, v14
	v_or_b32_e32 v14, s4, v14
	v_mul_u64_e32 v[2:3], s[2:3], v[0:1]
	v_or_b32_e32 v0, 3, v48
	v_lshlrev_b64_e32 v[6:7], 1, v[8:9]
	s_cselect_b32 s40, -1, 0
	v_ashrrev_i32_e32 v15, 31, v14
	s_ashr_i32 s1, s25, 31
	v_mul_u64_e32 v[16:17], s[30:31], v[0:1]
	v_mul_u64_e32 v[18:19], s[28:29], v[0:1]
	v_or_b32_e32 v0, 2, v48
	v_mul_u64_e32 v[8:9], s[2:3], v[14:15]
	s_lshr_b32 s4, s1, 28
	v_ashrrev_i32_e32 v25, 31, v24
	v_add_nc_u32_e32 v15, 0x80, v24
	v_mul_u64_e32 v[20:21], s[30:31], v[0:1]
	v_mul_u64_e32 v[22:23], s[28:29], v[0:1]
	s_add_co_i32 s3, s25, s4
	v_add_nc_u32_e32 v0, 64, v24
	v_add_nc_u32_e32 v26, 0xc0, v24
	s_and_b32 s41, s3, -16
	v_cmp_gt_i32_e64 s2, s24, v14
	v_lshlrev_b64_e32 v[10:11], 3, v[10:11]
	v_lshlrev_b64_e32 v[12:13], 3, v[12:13]
	v_cmp_gt_i32_e64 s4, s24, v15
	s_sub_co_i32 s6, s25, s41
	v_lshlrev_b64_e32 v[14:15], 1, v[24:25]
	v_cmp_gt_i32_e64 s1, s24, v24
	v_cmp_gt_i32_e64 s3, s24, v0
	v_cmp_gt_i32_e64 s5, s24, v26
	s_cmp_gt_i32 s6, 0
	v_cmp_gt_i32_e64 s6, s41, v48
	s_cselect_b32 s24, -1, 0
	s_and_b32 s42, s0, vcc_lo
	s_lshl_b64 s[34:35], s[28:29], 5
	s_lshl_b64 s[36:37], s[30:31], 5
	;; [unrolled: 1-line block ×5, first 2 shown]
	v_lshlrev_b64_e32 v[16:17], 1, v[16:17]
	v_lshlrev_b64_e32 v[18:19], 1, v[18:19]
	;; [unrolled: 1-line block ×4, first 2 shown]
	s_branch .LBB509_4
.LBB509_2:                              ;   in Loop: Header=BB509_4 Depth=1
	s_wait_xcnt 0x0
	s_or_b32 exec_lo, exec_lo, s7
.LBB509_3:                              ;   in Loop: Header=BB509_4 Depth=1
	s_add_co_i32 s10, s10, 0x10000
	s_delay_alu instid0(SALU_CYCLE_1)
	s_cmp_lt_u32 s10, s27
	s_cbranch_scc0 .LBB509_58
.LBB509_4:                              ; =>This Loop Header: Depth=1
                                        ;     Child Loop BB509_26 Depth 2
	s_and_not1_b32 vcc_lo, exec_lo, s39
	s_cbranch_vccnz .LBB509_3
; %bb.5:                                ;   in Loop: Header=BB509_4 Depth=1
	s_and_not1_b32 vcc_lo, exec_lo, s38
	s_cbranch_vccnz .LBB509_7
; %bb.6:                                ;   in Loop: Header=BB509_4 Depth=1
	v_mov_b64_e32 v[28:29], 0
	v_mov_b64_e32 v[26:27], 0
	s_cbranch_execz .LBB509_8
	s_branch .LBB509_9
.LBB509_7:                              ;   in Loop: Header=BB509_4 Depth=1
	v_mov_b64_e32 v[28:29], 0
	v_mov_b64_e32 v[26:27], 0
.LBB509_8:                              ;   in Loop: Header=BB509_4 Depth=1
	s_lshl_b64 s[8:9], s[10:11], 3
	s_delay_alu instid0(SALU_CYCLE_1)
	s_add_nc_u64 s[8:9], s[12:13], s[8:9]
	global_load_b64 v[24:25], v1, s[8:9]
	s_wait_loadcnt 0x0
	v_add_nc_u64_e32 v[26:27], s[14:15], v[24:25]
.LBB509_9:                              ;   in Loop: Header=BB509_4 Depth=1
	v_cmp_ne_u32_e32 vcc_lo, 1, v49
	s_cbranch_vccnz .LBB509_11
; %bb.10:                               ;   in Loop: Header=BB509_4 Depth=1
	s_wait_xcnt 0x0
	s_lshl_b64 s[8:9], s[10:11], 3
	s_delay_alu instid0(SALU_CYCLE_1)
	s_add_nc_u64 s[8:9], s[16:17], s[8:9]
	global_load_b64 v[24:25], v1, s[8:9]
	s_wait_loadcnt 0x0
	v_add_nc_u64_e32 v[28:29], s[18:19], v[24:25]
.LBB509_11:                             ;   in Loop: Header=BB509_4 Depth=1
	s_wait_xcnt 0x0
	s_lshl_b64 s[8:9], s[10:11], 3
	s_and_not1_b32 vcc_lo, exec_lo, s38
	s_add_nc_u64 s[8:9], s[20:21], s[8:9]
	global_load_b64 v[24:25], v1, s[8:9]
	s_wait_loadcnt 0x0
	v_add_nc_u64_e32 v[24:25], s[22:23], v[24:25]
	s_cbranch_vccnz .LBB509_15
; %bb.12:                               ;   in Loop: Header=BB509_4 Depth=1
	s_mov_b32 s7, 0
	s_mov_b32 s43, 0
                                        ; implicit-def: $vgpr0
	s_wait_xcnt 0x0
	s_and_saveexec_b32 s8, s42
	s_cbranch_execz .LBB509_16
; %bb.13:                               ;   in Loop: Header=BB509_4 Depth=1
	s_and_not1_b32 vcc_lo, exec_lo, s40
	s_cbranch_vccnz .LBB509_18
; %bb.14:                               ;   in Loop: Header=BB509_4 Depth=1
	v_lshl_add_u64 v[30:31], v[2:3], 2, v[24:25]
	flat_load_b32 v0, v[30:31]
	s_wait_loadcnt_dscnt 0x0
	v_mul_f32_e32 v0, s33, v0
	s_branch .LBB509_19
.LBB509_15:                             ;   in Loop: Header=BB509_4 Depth=1
	s_mov_b32 s43, 0
                                        ; implicit-def: $vgpr0
	s_cbranch_execz .LBB509_17
	s_branch .LBB509_20
.LBB509_16:                             ;   in Loop: Header=BB509_4 Depth=1
	s_or_b32 exec_lo, exec_lo, s8
	s_delay_alu instid0(SALU_CYCLE_1)
	s_and_b32 vcc_lo, exec_lo, s7
	s_cbranch_vccnz .LBB509_20
.LBB509_17:                             ;   in Loop: Header=BB509_4 Depth=1
	v_mov_b64_e32 v[26:27], v[2:3]
	s_wait_xcnt 0x0
	s_and_saveexec_b32 s7, s43
	s_cbranch_execz .LBB509_2
	s_branch .LBB509_57
.LBB509_18:                             ;   in Loop: Header=BB509_4 Depth=1
	v_mov_b32_e32 v0, 0
.LBB509_19:                             ;   in Loop: Header=BB509_4 Depth=1
	s_mov_b32 s43, exec_lo
	s_wait_xcnt 0x0
	s_or_b32 exec_lo, exec_lo, s8
	s_delay_alu instid0(SALU_CYCLE_1)
	s_and_b32 vcc_lo, exec_lo, s7
	s_cbranch_vccz .LBB509_17
.LBB509_20:                             ;   in Loop: Header=BB509_4 Depth=1
	v_dual_mov_b32 v52, 0 :: v_dual_mov_b32 v0, v48
	v_dual_mov_b32 v53, 0 :: v_dual_mov_b32 v54, 0
	v_mov_b32_e32 v55, 0
	s_wait_xcnt 0x0
	s_and_saveexec_b32 s7, s6
	s_cbranch_execz .LBB509_32
; %bb.21:                               ;   in Loop: Header=BB509_4 Depth=1
	v_add_nc_u64_e32 v[30:31], v[26:27], v[16:17]
	v_add_nc_u64_e32 v[32:33], v[26:27], v[12:13]
	;; [unrolled: 1-line block ×4, first 2 shown]
	v_mov_b64_e32 v[38:39], v[28:29]
	v_dual_mov_b32 v52, 0 :: v_dual_mov_b32 v0, v48
	v_dual_mov_b32 v53, 0 :: v_dual_mov_b32 v54, 0
	v_mov_b32_e32 v55, 0
	s_mov_b32 s8, 0
	s_branch .LBB509_26
.LBB509_22:                             ;   in Loop: Header=BB509_26 Depth=2
	s_wait_xcnt 0x0
	s_or_b32 exec_lo, exec_lo, s46
	s_wait_loadcnt_dscnt 0x303
	v_fma_mix_f32 v40, v68, v72, v54 op_sel_hi:[0,1,0]
	s_wait_loadcnt_dscnt 0x202
	s_delay_alu instid0(VALU_DEP_1) | instskip(SKIP_1) | instid1(VALU_DEP_1)
	v_fma_mix_f32 v40, v69, v73, v40 op_sel_hi:[0,1,0]
	s_wait_loadcnt_dscnt 0x101
	v_fma_mix_f32 v40, v70, v74, v40 op_sel_hi:[0,1,0]
	s_wait_loadcnt_dscnt 0x0
	s_delay_alu instid0(VALU_DEP_1)
	v_fma_mix_f32 v54, v71, v75, v40 op_sel_hi:[0,1,0]
.LBB509_23:                             ;   in Loop: Header=BB509_26 Depth=2
	s_or_b32 exec_lo, exec_lo, s45
	s_wait_loadcnt_dscnt 0x303
	v_fma_mix_f32 v40, v68, v64, v53 op_sel_hi:[0,1,0]
	s_wait_loadcnt_dscnt 0x202
	s_delay_alu instid0(VALU_DEP_1) | instskip(SKIP_1) | instid1(VALU_DEP_1)
	v_fma_mix_f32 v40, v69, v65, v40 op_sel_hi:[0,1,0]
	s_wait_loadcnt_dscnt 0x101
	v_fma_mix_f32 v40, v70, v66, v40 op_sel_hi:[0,1,0]
	s_wait_loadcnt_dscnt 0x0
	s_delay_alu instid0(VALU_DEP_1)
	v_fma_mix_f32 v53, v71, v67, v40 op_sel_hi:[0,1,0]
.LBB509_24:                             ;   in Loop: Header=BB509_26 Depth=2
	s_or_b32 exec_lo, exec_lo, s44
	s_wait_loadcnt_dscnt 0x303
	v_fma_mix_f32 v40, v56, v60, v52 op_sel_hi:[1,1,0]
	s_wait_loadcnt_dscnt 0x202
	s_delay_alu instid0(VALU_DEP_1) | instskip(SKIP_1) | instid1(VALU_DEP_1)
	v_fma_mix_f32 v40, v57, v61, v40 op_sel_hi:[1,1,0]
	s_wait_loadcnt_dscnt 0x101
	v_fma_mix_f32 v40, v58, v62, v40 op_sel_hi:[1,1,0]
	s_wait_loadcnt_dscnt 0x0
	s_delay_alu instid0(VALU_DEP_1)
	v_fma_mix_f32 v52, v59, v63, v40 op_sel_hi:[1,1,0]
.LBB509_25:                             ;   in Loop: Header=BB509_26 Depth=2
	s_or_b32 exec_lo, exec_lo, s9
	v_add_nc_u32_e32 v0, 16, v0
	v_add_nc_u64_e32 v[38:39], s[34:35], v[38:39]
	v_add_nc_u64_e32 v[30:31], s[36:37], v[30:31]
	;; [unrolled: 1-line block ×4, first 2 shown]
	v_cmp_le_i32_e32 vcc_lo, s41, v0
	v_add_nc_u64_e32 v[36:37], s[36:37], v[36:37]
	s_or_b32 s8, vcc_lo, s8
	s_delay_alu instid0(SALU_CYCLE_1)
	s_and_not1_b32 exec_lo, exec_lo, s8
	s_cbranch_execz .LBB509_31
.LBB509_26:                             ;   Parent Loop BB509_4 Depth=1
                                        ; =>  This Inner Loop Header: Depth=2
	s_and_saveexec_b32 s9, s1
	s_cbranch_execz .LBB509_25
; %bb.27:                               ;   in Loop: Header=BB509_26 Depth=2
	v_add_nc_u64_e32 v[64:65], v[38:39], v[10:11]
	v_add_nc_u64_e32 v[66:67], v[38:39], v[4:5]
	;; [unrolled: 1-line block ×8, first 2 shown]
	s_clause 0x3
	flat_load_u16 v56, v[64:65]
	flat_load_u16 v57, v[66:67]
	;; [unrolled: 1-line block ×8, first 2 shown]
	s_wait_xcnt 0x0
	s_and_saveexec_b32 s44, s3
	s_cbranch_execz .LBB509_24
; %bb.28:                               ;   in Loop: Header=BB509_26 Depth=2
	flat_load_u16 v64, v[40:41] offset:128
	flat_load_u16 v65, v[42:43] offset:128
	;; [unrolled: 1-line block ×4, first 2 shown]
	s_wait_loadcnt_dscnt 0xb0b
	v_cvt_f32_f16_e32 v68, v56
	s_wait_loadcnt_dscnt 0xa0a
	v_cvt_f32_f16_e32 v69, v57
	;; [unrolled: 2-line block ×4, first 2 shown]
	s_wait_xcnt 0x0
	s_and_saveexec_b32 s45, s4
	s_cbranch_execz .LBB509_23
; %bb.29:                               ;   in Loop: Header=BB509_26 Depth=2
	flat_load_u16 v72, v[40:41] offset:256
	flat_load_u16 v73, v[42:43] offset:256
	flat_load_u16 v74, v[44:45] offset:256
	flat_load_u16 v75, v[46:47] offset:256
	s_wait_xcnt 0x0
	s_and_saveexec_b32 s46, s5
	s_cbranch_execz .LBB509_22
; %bb.30:                               ;   in Loop: Header=BB509_26 Depth=2
	flat_load_u16 v76, v[40:41] offset:384
	flat_load_u16 v77, v[42:43] offset:384
	;; [unrolled: 1-line block ×4, first 2 shown]
	s_wait_loadcnt_dscnt 0x303
	s_wait_xcnt 0x3
	v_fma_mix_f32 v40, v68, v76, v55 op_sel_hi:[0,1,0]
	s_wait_loadcnt_dscnt 0x202
	s_delay_alu instid0(VALU_DEP_1) | instskip(SKIP_1) | instid1(VALU_DEP_1)
	v_fma_mix_f32 v40, v69, v77, v40 op_sel_hi:[0,1,0]
	s_wait_loadcnt_dscnt 0x101
	v_fma_mix_f32 v40, v70, v78, v40 op_sel_hi:[0,1,0]
	s_wait_loadcnt_dscnt 0x0
	s_delay_alu instid0(VALU_DEP_1)
	v_fma_mix_f32 v55, v71, v79, v40 op_sel_hi:[0,1,0]
	s_branch .LBB509_22
.LBB509_31:                             ;   in Loop: Header=BB509_4 Depth=1
	s_or_b32 exec_lo, exec_lo, s8
.LBB509_32:                             ;   in Loop: Header=BB509_4 Depth=1
	s_delay_alu instid0(SALU_CYCLE_1) | instskip(NEXT) | instid1(SALU_CYCLE_1)
	s_or_b32 exec_lo, exec_lo, s7
	s_and_not1_b32 vcc_lo, exec_lo, s24
	s_cbranch_vccnz .LBB509_50
; %bb.33:                               ;   in Loop: Header=BB509_4 Depth=1
	v_cmp_gt_i32_e32 vcc_lo, s25, v0
	v_dual_mov_b32 v34, 0 :: v_dual_bitop2_b32 v30, 1, v0 bitop3:0x54
	v_dual_mov_b32 v35, 0 :: v_dual_mov_b32 v36, 0
	v_mov_b32_e32 v37, 0
	s_and_saveexec_b32 s8, vcc_lo
	s_cbranch_execz .LBB509_41
; %bb.34:                               ;   in Loop: Header=BB509_4 Depth=1
	v_mul_u64_e32 v[32:33], s[28:29], v[0:1]
	v_dual_mov_b32 v36, 0 :: v_dual_mov_b32 v35, 0
	v_mov_b32_e32 v34, 0
	s_mov_b32 s9, exec_lo
	s_delay_alu instid0(VALU_DEP_3)
	v_lshl_add_u64 v[32:33], v[32:33], 1, v[28:29]
	flat_load_u16 v37, v[32:33]
	s_wait_xcnt 0x0
	v_cmpx_gt_i32_e64 s25, v30
	s_cbranch_execz .LBB509_40
; %bb.35:                               ;   in Loop: Header=BB509_4 Depth=1
	v_dual_mov_b32 v31, v1 :: v_dual_mov_b32 v35, 0
	v_mov_b32_e32 v34, 0
	s_mov_b32 s44, exec_lo
	s_delay_alu instid0(VALU_DEP_2) | instskip(NEXT) | instid1(VALU_DEP_1)
	v_mul_u64_e32 v[32:33], s[28:29], v[30:31]
	v_lshl_add_u64 v[32:33], v[32:33], 1, v[28:29]
	flat_load_u16 v31, v[32:33]
	s_wait_xcnt 0x0
	v_or_b32_e32 v32, 2, v0
	s_delay_alu instid0(VALU_DEP_1)
	v_cmpx_gt_i32_e64 s25, v32
	s_cbranch_execz .LBB509_39
; %bb.36:                               ;   in Loop: Header=BB509_4 Depth=1
	v_dual_mov_b32 v33, v1 :: v_dual_mov_b32 v34, 0
	s_mov_b32 s45, exec_lo
	s_delay_alu instid0(VALU_DEP_1) | instskip(NEXT) | instid1(VALU_DEP_1)
	v_mul_u64_e32 v[32:33], s[28:29], v[32:33]
	v_lshl_add_u64 v[32:33], v[32:33], 1, v[28:29]
	flat_load_u16 v35, v[32:33]
	s_wait_xcnt 0x0
	v_or_b32_e32 v32, 3, v0
	s_delay_alu instid0(VALU_DEP_1)
	v_cmpx_gt_i32_e64 s25, v32
	s_cbranch_execz .LBB509_38
; %bb.37:                               ;   in Loop: Header=BB509_4 Depth=1
	v_mov_b32_e32 v33, v1
	s_delay_alu instid0(VALU_DEP_1) | instskip(NEXT) | instid1(VALU_DEP_1)
	v_mul_u64_e32 v[32:33], s[28:29], v[32:33]
	v_lshl_add_u64 v[28:29], v[32:33], 1, v[28:29]
	flat_load_u16 v28, v[28:29]
	s_wait_loadcnt_dscnt 0x0
	v_cvt_f32_f16_e32 v34, v28
.LBB509_38:                             ;   in Loop: Header=BB509_4 Depth=1
	s_wait_xcnt 0x0
	s_or_b32 exec_lo, exec_lo, s45
	s_wait_loadcnt_dscnt 0x0
	v_cvt_f32_f16_e32 v35, v35
.LBB509_39:                             ;   in Loop: Header=BB509_4 Depth=1
	s_or_b32 exec_lo, exec_lo, s44
	s_wait_loadcnt_dscnt 0x0
	v_cvt_f32_f16_e32 v36, v31
.LBB509_40:                             ;   in Loop: Header=BB509_4 Depth=1
	s_or_b32 exec_lo, exec_lo, s9
	s_wait_loadcnt_dscnt 0x0
	v_cvt_f32_f16_e32 v37, v37
.LBB509_41:                             ;   in Loop: Header=BB509_4 Depth=1
	s_or_b32 exec_lo, exec_lo, s8
	s_and_saveexec_b32 s44, s1
	s_cbranch_execz .LBB509_49
; %bb.42:                               ;   in Loop: Header=BB509_4 Depth=1
	v_dual_mov_b32 v31, v1 :: v_dual_bitop2_b32 v28, 2, v0 bitop3:0x54
	v_mov_b32_e32 v29, v1
	v_mul_u64_e32 v[32:33], s[30:31], v[0:1]
	v_or_b32_e32 v0, 3, v0
	s_delay_alu instid0(VALU_DEP_4)
	v_mul_u64_e32 v[38:39], s[30:31], v[30:31]
	v_cmp_gt_i32_e64 s7, s25, v30
	v_mul_u64_e32 v[40:41], s[30:31], v[28:29]
	v_cmp_gt_i32_e64 s8, s25, v28
	;; [unrolled: 2-line block ×3, first 2 shown]
	v_dual_cndmask_b32 v29, 0, v33 :: v_dual_cndmask_b32 v28, 0, v32
	v_dual_cndmask_b32 v31, 0, v39, s7 :: v_dual_cndmask_b32 v30, 0, v38, s7
	v_dual_cndmask_b32 v33, 0, v41, s8 :: v_dual_cndmask_b32 v32, 0, v40, s8
	s_delay_alu instid0(VALU_DEP_4) | instskip(NEXT) | instid1(VALU_DEP_4)
	v_dual_cndmask_b32 v39, 0, v43, s9 :: v_dual_cndmask_b32 v38, 0, v42, s9
	v_lshl_add_u64 v[28:29], v[28:29], 1, v[26:27]
	s_delay_alu instid0(VALU_DEP_4) | instskip(NEXT) | instid1(VALU_DEP_4)
	v_lshl_add_u64 v[30:31], v[30:31], 1, v[26:27]
	v_lshl_add_u64 v[32:33], v[32:33], 1, v[26:27]
	s_delay_alu instid0(VALU_DEP_4) | instskip(NEXT) | instid1(VALU_DEP_4)
	v_lshl_add_u64 v[38:39], v[38:39], 1, v[26:27]
	v_add_nc_u64_e32 v[28:29], v[28:29], v[14:15]
	s_delay_alu instid0(VALU_DEP_4) | instskip(NEXT) | instid1(VALU_DEP_4)
	v_add_nc_u64_e32 v[26:27], v[30:31], v[14:15]
	v_add_nc_u64_e32 v[32:33], v[32:33], v[14:15]
	s_delay_alu instid0(VALU_DEP_4)
	v_add_nc_u64_e32 v[30:31], v[38:39], v[14:15]
	s_clause 0x3
	flat_load_u16 v0, v[28:29]
	flat_load_u16 v38, v[26:27]
	;; [unrolled: 1-line block ×4, first 2 shown]
	s_wait_xcnt 0x0
	s_and_saveexec_b32 s7, s3
	s_cbranch_execz .LBB509_48
; %bb.43:                               ;   in Loop: Header=BB509_4 Depth=1
	s_clause 0x3
	flat_load_u16 v41, v[28:29] offset:128
	flat_load_u16 v42, v[26:27] offset:128
	flat_load_u16 v43, v[32:33] offset:128
	flat_load_u16 v44, v[30:31] offset:128
	s_wait_xcnt 0x0
	s_and_saveexec_b32 s8, s4
	s_cbranch_execz .LBB509_47
; %bb.44:                               ;   in Loop: Header=BB509_4 Depth=1
	s_clause 0x3
	flat_load_u16 v45, v[28:29] offset:256
	flat_load_u16 v46, v[26:27] offset:256
	flat_load_u16 v47, v[32:33] offset:256
	flat_load_u16 v56, v[30:31] offset:256
	;; [unrolled: 9-line block ×3, first 2 shown]
	s_wait_loadcnt_dscnt 0x303
	s_wait_xcnt 0x2
	v_fma_mix_f32 v26, v37, v57, v55 op_sel_hi:[0,1,0]
	s_wait_loadcnt_dscnt 0x202
	s_delay_alu instid0(VALU_DEP_1) | instskip(SKIP_1) | instid1(VALU_DEP_1)
	v_fma_mix_f32 v26, v36, v58, v26 op_sel_hi:[0,1,0]
	s_wait_loadcnt_dscnt 0x101
	v_fma_mix_f32 v26, v35, v59, v26 op_sel_hi:[0,1,0]
	s_wait_loadcnt_dscnt 0x0
	s_delay_alu instid0(VALU_DEP_1)
	v_fma_mix_f32 v55, v34, v60, v26 op_sel_hi:[0,1,0]
.LBB509_46:                             ;   in Loop: Header=BB509_4 Depth=1
	s_wait_xcnt 0x0
	s_or_b32 exec_lo, exec_lo, s9
	s_wait_loadcnt_dscnt 0x303
	v_fma_mix_f32 v26, v37, v45, v54 op_sel_hi:[0,1,0]
	s_wait_loadcnt_dscnt 0x202
	s_delay_alu instid0(VALU_DEP_1) | instskip(SKIP_1) | instid1(VALU_DEP_1)
	v_fma_mix_f32 v26, v36, v46, v26 op_sel_hi:[0,1,0]
	s_wait_loadcnt_dscnt 0x101
	v_fma_mix_f32 v26, v35, v47, v26 op_sel_hi:[0,1,0]
	s_wait_loadcnt_dscnt 0x0
	s_delay_alu instid0(VALU_DEP_1)
	v_fma_mix_f32 v54, v34, v56, v26 op_sel_hi:[0,1,0]
.LBB509_47:                             ;   in Loop: Header=BB509_4 Depth=1
	s_or_b32 exec_lo, exec_lo, s8
	s_wait_loadcnt_dscnt 0x303
	v_fma_mix_f32 v26, v37, v41, v53 op_sel_hi:[0,1,0]
	s_wait_loadcnt_dscnt 0x202
	s_delay_alu instid0(VALU_DEP_1) | instskip(SKIP_1) | instid1(VALU_DEP_1)
	v_fma_mix_f32 v26, v36, v42, v26 op_sel_hi:[0,1,0]
	s_wait_loadcnt_dscnt 0x101
	v_fma_mix_f32 v26, v35, v43, v26 op_sel_hi:[0,1,0]
	s_wait_loadcnt_dscnt 0x0
	s_delay_alu instid0(VALU_DEP_1)
	v_fma_mix_f32 v53, v34, v44, v26 op_sel_hi:[0,1,0]
.LBB509_48:                             ;   in Loop: Header=BB509_4 Depth=1
	s_or_b32 exec_lo, exec_lo, s7
	s_wait_loadcnt_dscnt 0x303
	v_fma_mix_f32 v0, v37, v0, v52 op_sel_hi:[0,1,0]
	s_wait_loadcnt_dscnt 0x202
	s_delay_alu instid0(VALU_DEP_1) | instskip(SKIP_1) | instid1(VALU_DEP_1)
	v_fma_mix_f32 v0, v36, v38, v0 op_sel_hi:[0,1,0]
	s_wait_loadcnt_dscnt 0x101
	v_fma_mix_f32 v0, v35, v39, v0 op_sel_hi:[0,1,0]
	s_wait_loadcnt_dscnt 0x0
	s_delay_alu instid0(VALU_DEP_1)
	v_fma_mix_f32 v52, v34, v40, v0 op_sel_hi:[0,1,0]
.LBB509_49:                             ;   in Loop: Header=BB509_4 Depth=1
	s_or_b32 exec_lo, exec_lo, s44
.LBB509_50:                             ;   in Loop: Header=BB509_4 Depth=1
	ds_store_2addr_stride64_b32 v50, v52, v53 offset1:1
	ds_store_2addr_stride64_b32 v50, v54, v55 offset0:2 offset1:3
	s_wait_dscnt 0x0
	s_barrier_signal -1
	s_barrier_wait -1
                                        ; implicit-def: $vgpr0
	s_and_saveexec_b32 s7, s0
	s_cbranch_execz .LBB509_56
; %bb.51:                               ;   in Loop: Header=BB509_4 Depth=1
	ds_load_2addr_stride64_b32 v[26:27], v51 offset1:4
	ds_load_2addr_stride64_b32 v[28:29], v51 offset0:8 offset1:12
	s_mov_b32 s9, s43
	s_wait_dscnt 0x1
	v_add_f32_e32 v0, v26, v27
	s_wait_dscnt 0x0
	s_delay_alu instid0(VALU_DEP_1) | instskip(NEXT) | instid1(VALU_DEP_1)
	v_add_f32_e32 v0, v28, v0
	v_add_f32_e32 v26, v29, v0
                                        ; implicit-def: $vgpr0
	ds_store_b32 v51, v26
	s_and_saveexec_b32 s8, s2
	s_cbranch_execz .LBB509_55
; %bb.52:                               ;   in Loop: Header=BB509_4 Depth=1
	v_mul_f32_e32 v0, s26, v26
	s_and_not1_b32 vcc_lo, exec_lo, s40
	s_cbranch_vccnz .LBB509_54
; %bb.53:                               ;   in Loop: Header=BB509_4 Depth=1
	v_lshl_add_u64 v[26:27], v[8:9], 2, v[24:25]
	flat_load_b32 v26, v[26:27]
	s_wait_loadcnt_dscnt 0x0
	v_fmac_f32_e32 v0, s33, v26
.LBB509_54:                             ;   in Loop: Header=BB509_4 Depth=1
	s_or_b32 s9, s43, exec_lo
.LBB509_55:                             ;   in Loop: Header=BB509_4 Depth=1
	s_wait_xcnt 0x0
	s_or_b32 exec_lo, exec_lo, s8
	s_delay_alu instid0(SALU_CYCLE_1) | instskip(SKIP_1) | instid1(SALU_CYCLE_1)
	s_and_not1_b32 s8, s43, exec_lo
	s_and_b32 s9, s9, exec_lo
	s_or_b32 s43, s8, s9
.LBB509_56:                             ;   in Loop: Header=BB509_4 Depth=1
	s_or_b32 exec_lo, exec_lo, s7
	v_mov_b64_e32 v[26:27], v[8:9]
	s_and_saveexec_b32 s7, s43
	s_cbranch_execz .LBB509_2
.LBB509_57:                             ;   in Loop: Header=BB509_4 Depth=1
	s_delay_alu instid0(VALU_DEP_1)
	v_lshl_add_u64 v[24:25], v[26:27], 2, v[24:25]
	flat_store_b32 v[24:25], v0
	s_branch .LBB509_2
.LBB509_58:
	s_sendmsg sendmsg(MSG_DEALLOC_VGPRS)
	s_endpgm
	.section	.rodata,"a",@progbits
	.p2align	6, 0x0
	.amdhsa_kernel _ZL20rocblas_gemvn_kernelILi64ELi4ElPKDF16_fKPfEviiT3_lPKT2_lT1_lS7_lS8_lS4_lPT4_lS8_li
		.amdhsa_group_segment_fixed_size 4096
		.amdhsa_private_segment_fixed_size 0
		.amdhsa_kernarg_size 400
		.amdhsa_user_sgpr_count 2
		.amdhsa_user_sgpr_dispatch_ptr 0
		.amdhsa_user_sgpr_queue_ptr 0
		.amdhsa_user_sgpr_kernarg_segment_ptr 1
		.amdhsa_user_sgpr_dispatch_id 0
		.amdhsa_user_sgpr_kernarg_preload_length 0
		.amdhsa_user_sgpr_kernarg_preload_offset 0
		.amdhsa_user_sgpr_private_segment_size 0
		.amdhsa_wavefront_size32 1
		.amdhsa_uses_dynamic_stack 0
		.amdhsa_enable_private_segment 0
		.amdhsa_system_sgpr_workgroup_id_x 1
		.amdhsa_system_sgpr_workgroup_id_y 0
		.amdhsa_system_sgpr_workgroup_id_z 1
		.amdhsa_system_sgpr_workgroup_info 0
		.amdhsa_system_vgpr_workitem_id 1
		.amdhsa_next_free_vgpr 80
		.amdhsa_next_free_sgpr 47
		.amdhsa_named_barrier_count 0
		.amdhsa_reserve_vcc 1
		.amdhsa_float_round_mode_32 0
		.amdhsa_float_round_mode_16_64 0
		.amdhsa_float_denorm_mode_32 3
		.amdhsa_float_denorm_mode_16_64 3
		.amdhsa_fp16_overflow 0
		.amdhsa_memory_ordered 1
		.amdhsa_forward_progress 1
		.amdhsa_inst_pref_size 23
		.amdhsa_round_robin_scheduling 0
		.amdhsa_exception_fp_ieee_invalid_op 0
		.amdhsa_exception_fp_denorm_src 0
		.amdhsa_exception_fp_ieee_div_zero 0
		.amdhsa_exception_fp_ieee_overflow 0
		.amdhsa_exception_fp_ieee_underflow 0
		.amdhsa_exception_fp_ieee_inexact 0
		.amdhsa_exception_int_div_zero 0
	.end_amdhsa_kernel
	.section	.text._ZL20rocblas_gemvn_kernelILi64ELi4ElPKDF16_fKPfEviiT3_lPKT2_lT1_lS7_lS8_lS4_lPT4_lS8_li,"axG",@progbits,_ZL20rocblas_gemvn_kernelILi64ELi4ElPKDF16_fKPfEviiT3_lPKT2_lT1_lS7_lS8_lS4_lPT4_lS8_li,comdat
.Lfunc_end509:
	.size	_ZL20rocblas_gemvn_kernelILi64ELi4ElPKDF16_fKPfEviiT3_lPKT2_lT1_lS7_lS8_lS4_lPT4_lS8_li, .Lfunc_end509-_ZL20rocblas_gemvn_kernelILi64ELi4ElPKDF16_fKPfEviiT3_lPKT2_lT1_lS7_lS8_lS4_lPT4_lS8_li
                                        ; -- End function
	.set _ZL20rocblas_gemvn_kernelILi64ELi4ElPKDF16_fKPfEviiT3_lPKT2_lT1_lS7_lS8_lS4_lPT4_lS8_li.num_vgpr, 80
	.set _ZL20rocblas_gemvn_kernelILi64ELi4ElPKDF16_fKPfEviiT3_lPKT2_lT1_lS7_lS8_lS4_lPT4_lS8_li.num_agpr, 0
	.set _ZL20rocblas_gemvn_kernelILi64ELi4ElPKDF16_fKPfEviiT3_lPKT2_lT1_lS7_lS8_lS4_lPT4_lS8_li.numbered_sgpr, 47
	.set _ZL20rocblas_gemvn_kernelILi64ELi4ElPKDF16_fKPfEviiT3_lPKT2_lT1_lS7_lS8_lS4_lPT4_lS8_li.num_named_barrier, 0
	.set _ZL20rocblas_gemvn_kernelILi64ELi4ElPKDF16_fKPfEviiT3_lPKT2_lT1_lS7_lS8_lS4_lPT4_lS8_li.private_seg_size, 0
	.set _ZL20rocblas_gemvn_kernelILi64ELi4ElPKDF16_fKPfEviiT3_lPKT2_lT1_lS7_lS8_lS4_lPT4_lS8_li.uses_vcc, 1
	.set _ZL20rocblas_gemvn_kernelILi64ELi4ElPKDF16_fKPfEviiT3_lPKT2_lT1_lS7_lS8_lS4_lPT4_lS8_li.uses_flat_scratch, 1
	.set _ZL20rocblas_gemvn_kernelILi64ELi4ElPKDF16_fKPfEviiT3_lPKT2_lT1_lS7_lS8_lS4_lPT4_lS8_li.has_dyn_sized_stack, 0
	.set _ZL20rocblas_gemvn_kernelILi64ELi4ElPKDF16_fKPfEviiT3_lPKT2_lT1_lS7_lS8_lS4_lPT4_lS8_li.has_recursion, 0
	.set _ZL20rocblas_gemvn_kernelILi64ELi4ElPKDF16_fKPfEviiT3_lPKT2_lT1_lS7_lS8_lS4_lPT4_lS8_li.has_indirect_call, 0
	.section	.AMDGPU.csdata,"",@progbits
; Kernel info:
; codeLenInByte = 2924
; TotalNumSgprs: 49
; NumVgprs: 80
; ScratchSize: 0
; MemoryBound: 0
; FloatMode: 240
; IeeeMode: 1
; LDSByteSize: 4096 bytes/workgroup (compile time only)
; SGPRBlocks: 0
; VGPRBlocks: 4
; NumSGPRsForWavesPerEU: 49
; NumVGPRsForWavesPerEU: 80
; NamedBarCnt: 0
; Occupancy: 12
; WaveLimiterHint : 1
; COMPUTE_PGM_RSRC2:SCRATCH_EN: 0
; COMPUTE_PGM_RSRC2:USER_SGPR: 2
; COMPUTE_PGM_RSRC2:TRAP_HANDLER: 0
; COMPUTE_PGM_RSRC2:TGID_X_EN: 1
; COMPUTE_PGM_RSRC2:TGID_Y_EN: 0
; COMPUTE_PGM_RSRC2:TGID_Z_EN: 1
; COMPUTE_PGM_RSRC2:TIDIG_COMP_CNT: 1
	.section	.text._ZL20rocblas_gemvn_kernelILi32ELi16EiPKDF16_PKfKPfEviiT3_lPKT2_lT1_lS9_lSA_lS6_lPT4_lSA_li,"axG",@progbits,_ZL20rocblas_gemvn_kernelILi32ELi16EiPKDF16_PKfKPfEviiT3_lPKT2_lT1_lS9_lSA_lS6_lPT4_lSA_li,comdat
	.globl	_ZL20rocblas_gemvn_kernelILi32ELi16EiPKDF16_PKfKPfEviiT3_lPKT2_lT1_lS9_lSA_lS6_lPT4_lSA_li ; -- Begin function _ZL20rocblas_gemvn_kernelILi32ELi16EiPKDF16_PKfKPfEviiT3_lPKT2_lT1_lS9_lSA_lS6_lPT4_lSA_li
	.p2align	8
	.type	_ZL20rocblas_gemvn_kernelILi32ELi16EiPKDF16_PKfKPfEviiT3_lPKT2_lT1_lS9_lSA_lS6_lPT4_lSA_li,@function
_ZL20rocblas_gemvn_kernelILi32ELi16EiPKDF16_PKfKPfEviiT3_lPKT2_lT1_lS9_lSA_lS6_lPT4_lSA_li: ; @_ZL20rocblas_gemvn_kernelILi32ELi16EiPKDF16_PKfKPfEviiT3_lPKT2_lT1_lS9_lSA_lS6_lPT4_lSA_li
; %bb.0:
	s_clause 0x1
	s_load_b64 s[4:5], s[0:1], 0x9c
	s_load_b32 s33, s[0:1], 0x88
	s_bfe_u32 s2, ttmp6, 0x40014
	s_lshr_b32 s3, ttmp7, 16
	s_add_co_i32 s2, s2, 1
	s_bfe_u32 s6, ttmp6, 0x40008
	s_mul_i32 s7, s3, s2
	s_getreg_b32 s2, hwreg(HW_REG_IB_STS2, 6, 4)
	s_add_co_i32 s6, s6, s7
	s_mov_b32 s11, 0
	s_wait_kmcnt 0x0
	s_lshr_b32 s7, s4, 16
	s_and_b32 s4, s4, 0xffff
	s_and_b32 s5, s5, 0xffff
	s_mul_i32 s4, s7, s4
	s_cmp_eq_u32 s2, 0
	s_mul_i32 s4, s4, s5
	s_cselect_b32 s10, s3, s6
	s_cmp_lg_u32 s4, 0x200
	s_cselect_b32 s3, -1, 0
	s_cmp_ge_u32 s10, s33
	s_cselect_b32 s4, -1, 0
	s_delay_alu instid0(SALU_CYCLE_1) | instskip(NEXT) | instid1(SALU_CYCLE_1)
	s_or_b32 s3, s3, s4
	s_and_b32 vcc_lo, exec_lo, s3
	s_cbranch_vccnz .LBB510_56
; %bb.1:
	s_clause 0x6
	s_load_b32 s4, s[0:1], 0x78
	s_load_b64 s[8:9], s[0:1], 0x0
	s_load_b256 s[12:19], s[0:1], 0x8
	s_load_b32 s34, s[0:1], 0x28
	s_load_b128 s[28:31], s[0:1], 0x38
	s_load_b32 s35, s[0:1], 0x48
	s_load_b256 s[20:27], s[0:1], 0x58
	s_wait_xcnt 0x0
	s_bfe_u32 s0, ttmp6, 0x4000c
	v_and_b32_e32 v6, 0x3ff, v0
	s_add_co_i32 s0, s0, 1
	v_bfe_u32 v7, v0, 10, 10
	s_and_b32 s1, ttmp6, 15
	s_mul_i32 s0, ttmp9, s0
	v_mov_b32_e32 v1, 0
	s_add_co_i32 s1, s1, s0
	v_lshl_add_u32 v5, v7, 5, v6
	v_lshlrev_b32_e32 v22, 2, v7
	s_wait_kmcnt 0x0
	s_ashr_i32 s5, s4, 31
	s_cmp_eq_u32 s2, 0
	s_mov_b32 s2, s8
	s_cselect_b32 s0, ttmp9, s1
	s_ashr_i32 s3, s8, 31
	s_lshl_b32 s36, s0, 7
	s_ashr_i32 s1, s9, 31
	v_dual_add_nc_u32 v0, s36, v5 :: v_dual_add_nc_u32 v23, s36, v6
	v_or_b32_e32 v8, s36, v5
	s_lshr_b32 s0, s1, 26
	v_mul_lo_u32 v11, v7, s34
	s_delay_alu instid0(VALU_DEP_3) | instskip(SKIP_4) | instid1(VALU_DEP_4)
	v_cmp_gt_i64_e32 vcc_lo, s[2:3], v[0:1]
	v_dual_add_nc_u32 v4, 32, v23 :: v_dual_add_nc_u32 v9, 64, v23
	v_or_b32_e32 v10, 3, v22
	v_mul_u64_e32 v[2:3], s[4:5], v[0:1]
	v_add_nc_u32_e32 v0, 0x60, v23
	v_cmp_gt_i32_e64 s2, s8, v4
	v_mul_lo_u32 v4, s4, v8
	v_cmp_gt_i32_e64 s3, s8, v9
	v_lshlrev_b32_e32 v9, 2, v6
	s_add_co_i32 s37, s9, s0
	v_cmp_gt_i32_e64 s4, s8, v0
	v_cmp_gt_u32_e64 s5, 0x80, v5
	s_and_not1_b32 s37, s37, 63
	v_mad_u32 v26, s34, v10, v6
	s_sub_co_i32 s6, s9, s37
	v_mad_u32 v27, s35, v22, s35
	s_cmp_gt_i32 s6, 0
	v_ashrrev_i32_e32 v5, 31, v4
	v_lshl_add_u32 v0, v7, 9, v9
	v_lshl_add_u32 v24, v7, 7, v9
	v_mul_lo_u32 v7, v7, s35
	v_cmp_gt_i32_e64 s6, s8, v8
	v_mul_lo_u32 v8, s34, v22
	v_or_b32_e32 v9, 2, v22
	v_mul_lo_u32 v29, s35, v10
	v_cmp_gt_i32_e64 s0, s37, v22
	v_cmp_gt_i32_e64 s1, s8, v23
	v_lshl_add_u32 v31, v11, 2, v6
	s_cselect_b32 s38, -1, 0
	s_and_b32 s39, s5, vcc_lo
	s_lshl_b32 s40, s34, 6
	v_lshlrev_b32_e32 v32, 2, v7
	v_mad_u32 v25, s34, v9, v6
	v_mul_lo_u32 v28, s35, v9
	v_add3_u32 v30, v8, s34, v6
	s_lshl_b32 s41, s35, 6
	s_lshl_b64 s[18:19], s[18:19], 1
	s_lshl_b64 s[30:31], s[30:31], 1
	;; [unrolled: 1-line block ×3, first 2 shown]
	s_branch .LBB510_4
.LBB510_2:                              ;   in Loop: Header=BB510_4 Depth=1
	s_wait_xcnt 0x0
	s_or_b32 exec_lo, exec_lo, s7
.LBB510_3:                              ;   in Loop: Header=BB510_4 Depth=1
	s_add_co_i32 s10, s10, 0x10000
	s_delay_alu instid0(SALU_CYCLE_1)
	s_cmp_lt_u32 s10, s33
	s_cbranch_scc0 .LBB510_56
.LBB510_4:                              ; =>This Loop Header: Depth=1
                                        ;     Child Loop BB510_24 Depth 2
	s_mul_u64 s[42:43], s[14:15], s[10:11]
	s_wait_xcnt 0x0
	s_mul_u64 s[44:45], s[22:23], s[10:11]
	s_lshl_b64 s[42:43], s[42:43], 2
	s_lshl_b64 s[44:45], s[44:45], 2
	s_add_nc_u64 s[42:43], s[12:13], s[42:43]
	s_add_nc_u64 s[44:45], s[20:21], s[44:45]
	s_clause 0x1
	global_load_b32 v33, v1, s[42:43]
	global_load_b32 v6, v1, s[44:45]
	s_wait_loadcnt 0x1
	v_cmp_eq_f32_e64 s7, 0, v33
	s_wait_loadcnt 0x0
	v_cmp_eq_f32_e32 vcc_lo, 1.0, v6
	s_wait_xcnt 0x1
	v_readfirstlane_b32 s42, v6
	s_and_b32 s8, s7, vcc_lo
	s_delay_alu instid0(SALU_CYCLE_1)
	s_and_b32 vcc_lo, exec_lo, s8
	s_cbranch_vccnz .LBB510_3
; %bb.5:                                ;   in Loop: Header=BB510_4 Depth=1
	v_mov_b64_e32 v[10:11], 0
	v_mov_b64_e32 v[8:9], 0
	v_cmp_neq_f32_e64 s8, 0, v33
	s_and_b32 vcc_lo, exec_lo, s7
	s_cbranch_vccnz .LBB510_7
; %bb.6:                                ;   in Loop: Header=BB510_4 Depth=1
	s_wait_xcnt 0x0
	s_lshl_b64 s[44:45], s[10:11], 3
	s_delay_alu instid0(SALU_CYCLE_1)
	s_add_nc_u64 s[44:45], s[16:17], s[44:45]
	global_load_b64 v[6:7], v1, s[44:45]
	s_wait_loadcnt 0x0
	v_add_nc_u64_e32 v[8:9], s[18:19], v[6:7]
.LBB510_7:                              ;   in Loop: Header=BB510_4 Depth=1
	s_and_not1_b32 vcc_lo, exec_lo, s8
	s_cbranch_vccnz .LBB510_9
; %bb.8:                                ;   in Loop: Header=BB510_4 Depth=1
	s_wait_xcnt 0x0
	s_lshl_b64 s[44:45], s[10:11], 3
	s_delay_alu instid0(SALU_CYCLE_1)
	s_add_nc_u64 s[44:45], s[28:29], s[44:45]
	global_load_b64 v[6:7], v1, s[44:45]
	s_wait_loadcnt 0x0
	v_add_nc_u64_e32 v[10:11], s[30:31], v[6:7]
.LBB510_9:                              ;   in Loop: Header=BB510_4 Depth=1
	s_wait_xcnt 0x0
	s_lshl_b64 s[44:45], s[10:11], 3
	s_and_not1_b32 vcc_lo, exec_lo, s7
	s_add_nc_u64 s[44:45], s[24:25], s[44:45]
	global_load_b64 v[6:7], v1, s[44:45]
	s_wait_loadcnt 0x0
	v_add_nc_u64_e32 v[6:7], s[26:27], v[6:7]
	s_cbranch_vccnz .LBB510_13
; %bb.10:                               ;   in Loop: Header=BB510_4 Depth=1
	s_mov_b32 s7, 0
	s_mov_b32 s8, 0
                                        ; implicit-def: $vgpr12
	s_wait_xcnt 0x0
	s_and_saveexec_b32 s43, s39
	s_cbranch_execz .LBB510_14
; %bb.11:                               ;   in Loop: Header=BB510_4 Depth=1
	s_cmp_eq_f32 s42, 0
	s_cbranch_scc1 .LBB510_16
; %bb.12:                               ;   in Loop: Header=BB510_4 Depth=1
	v_lshl_add_u64 v[12:13], v[2:3], 2, v[6:7]
	flat_load_b32 v12, v[12:13]
	s_wait_loadcnt_dscnt 0x0
	s_wait_xcnt 0x0
	v_mul_f32_e32 v12, s42, v12
	s_branch .LBB510_17
.LBB510_13:                             ;   in Loop: Header=BB510_4 Depth=1
	s_mov_b32 s8, 0
                                        ; implicit-def: $vgpr12
	s_cbranch_execz .LBB510_15
	s_branch .LBB510_18
.LBB510_14:                             ;   in Loop: Header=BB510_4 Depth=1
	s_or_b32 exec_lo, exec_lo, s43
	s_delay_alu instid0(SALU_CYCLE_1)
	s_and_b32 vcc_lo, exec_lo, s7
	s_cbranch_vccnz .LBB510_18
.LBB510_15:                             ;   in Loop: Header=BB510_4 Depth=1
	v_mov_b64_e32 v[8:9], v[2:3]
	s_wait_xcnt 0x0
	s_and_saveexec_b32 s7, s8
	s_cbranch_execz .LBB510_2
	s_branch .LBB510_55
.LBB510_16:                             ;   in Loop: Header=BB510_4 Depth=1
	v_mov_b32_e32 v12, 0
.LBB510_17:                             ;   in Loop: Header=BB510_4 Depth=1
	s_mov_b32 s8, exec_lo
	s_or_b32 exec_lo, exec_lo, s43
	s_delay_alu instid0(SALU_CYCLE_1)
	s_and_b32 vcc_lo, exec_lo, s7
	s_cbranch_vccz .LBB510_15
.LBB510_18:                             ;   in Loop: Header=BB510_4 Depth=1
	v_dual_mov_b32 v34, 0 :: v_dual_mov_b32 v38, v22
	v_dual_mov_b32 v35, 0 :: v_dual_mov_b32 v36, 0
	v_mov_b32_e32 v37, 0
	s_wait_xcnt 0x0
	s_and_saveexec_b32 s7, s0
	s_cbranch_execz .LBB510_30
; %bb.19:                               ;   in Loop: Header=BB510_4 Depth=1
	v_dual_mov_b32 v34, 0 :: v_dual_mov_b32 v39, v31
	v_dual_mov_b32 v40, v26 :: v_dual_mov_b32 v41, v25
	;; [unrolled: 1-line block ×4, first 2 shown]
	v_mov_b32_e32 v37, 0
	s_mov_b32 s43, 0
	s_mov_b32 s44, 0
	s_branch .LBB510_24
.LBB510_20:                             ;   in Loop: Header=BB510_24 Depth=2
	s_wait_xcnt 0x0
	s_or_b32 exec_lo, exec_lo, s48
	s_wait_loadcnt_dscnt 0x303
	v_fma_mix_f32 v12, v53, v57, v36 op_sel_hi:[0,1,0]
	s_wait_loadcnt_dscnt 0x202
	s_delay_alu instid0(VALU_DEP_1) | instskip(SKIP_1) | instid1(VALU_DEP_1)
	v_fma_mix_f32 v12, v54, v58, v12 op_sel_hi:[0,1,0]
	s_wait_loadcnt_dscnt 0x101
	v_fma_mix_f32 v12, v55, v59, v12 op_sel_hi:[0,1,0]
	s_wait_loadcnt_dscnt 0x0
	s_delay_alu instid0(VALU_DEP_1)
	v_fma_mix_f32 v36, v56, v60, v12 op_sel_hi:[0,1,0]
.LBB510_21:                             ;   in Loop: Header=BB510_24 Depth=2
	s_or_b32 exec_lo, exec_lo, s47
	s_wait_loadcnt_dscnt 0x303
	v_fma_mix_f32 v12, v53, v18, v35 op_sel_hi:[0,1,0]
	s_wait_loadcnt_dscnt 0x202
	s_delay_alu instid0(VALU_DEP_1) | instskip(SKIP_1) | instid1(VALU_DEP_1)
	v_fma_mix_f32 v12, v54, v19, v12 op_sel_hi:[0,1,0]
	s_wait_loadcnt_dscnt 0x101
	v_fma_mix_f32 v12, v55, v51, v12 op_sel_hi:[0,1,0]
	s_wait_loadcnt_dscnt 0x0
	s_delay_alu instid0(VALU_DEP_1)
	v_fma_mix_f32 v35, v56, v52, v12 op_sel_hi:[0,1,0]
.LBB510_22:                             ;   in Loop: Header=BB510_24 Depth=2
	s_or_b32 exec_lo, exec_lo, s46
	s_wait_loadcnt_dscnt 0x303
	v_fma_mix_f32 v12, v43, v47, v34 op_sel_hi:[1,1,0]
	s_wait_loadcnt_dscnt 0x202
	s_delay_alu instid0(VALU_DEP_1) | instskip(SKIP_1) | instid1(VALU_DEP_1)
	v_fma_mix_f32 v12, v44, v48, v12 op_sel_hi:[1,1,0]
	s_wait_loadcnt_dscnt 0x101
	v_fma_mix_f32 v12, v45, v49, v12 op_sel_hi:[1,1,0]
	s_wait_loadcnt_dscnt 0x0
	s_delay_alu instid0(VALU_DEP_1)
	v_fma_mix_f32 v34, v46, v50, v12 op_sel_hi:[1,1,0]
.LBB510_23:                             ;   in Loop: Header=BB510_24 Depth=2
	s_or_b32 exec_lo, exec_lo, s45
	v_dual_add_nc_u32 v38, 64, v38 :: v_dual_add_nc_u32 v41, s40, v41
	v_dual_add_nc_u32 v42, s40, v42 :: v_dual_add_nc_u32 v40, s40, v40
	v_add_nc_u32_e32 v39, s40, v39
	s_delay_alu instid0(VALU_DEP_3) | instskip(SKIP_2) | instid1(SALU_CYCLE_1)
	v_cmp_le_i32_e32 vcc_lo, s37, v38
	s_add_co_i32 s44, s44, s41
	s_or_b32 s43, vcc_lo, s43
	s_and_not1_b32 exec_lo, exec_lo, s43
	s_cbranch_execz .LBB510_29
.LBB510_24:                             ;   Parent Loop BB510_4 Depth=1
                                        ; =>  This Inner Loop Header: Depth=2
	s_and_saveexec_b32 s45, s1
	s_cbranch_execz .LBB510_23
; %bb.25:                               ;   in Loop: Header=BB510_24 Depth=2
	v_dual_add_nc_u32 v13, s44, v32 :: v_dual_add_nc_u32 v15, s44, v27
	v_readfirstlane_b32 s46, v10
	v_readfirstlane_b32 s47, v11
	v_dual_add_nc_u32 v17, s44, v28 :: v_dual_add_nc_u32 v19, s44, v29
	v_dual_add_nc_u32 v12, s36, v39 :: v_dual_add_nc_u32 v14, s36, v42
	v_readfirstlane_b32 s48, v8
	v_readfirstlane_b32 s49, v9
	v_dual_add_nc_u32 v18, s36, v41 :: v_dual_add_nc_u32 v16, s36, v40
	s_clause 0x3
	flat_load_u16 v43, v13, s[46:47] scale_offset
	flat_load_u16 v44, v15, s[46:47] scale_offset
	flat_load_u16 v45, v17, s[46:47] scale_offset
	flat_load_u16 v46, v19, s[46:47] scale_offset
	s_clause 0x3
	flat_load_u16 v47, v12, s[48:49] scale_offset
	flat_load_u16 v48, v14, s[48:49] scale_offset
	;; [unrolled: 1-line block ×4, first 2 shown]
	s_wait_xcnt 0x0
	s_and_saveexec_b32 s46, s2
	s_cbranch_execz .LBB510_22
; %bb.26:                               ;   in Loop: Header=BB510_24 Depth=2
	v_dual_ashrrev_i32 v13, 31, v12 :: v_dual_ashrrev_i32 v15, 31, v14
	v_dual_ashrrev_i32 v19, 31, v18 :: v_dual_ashrrev_i32 v17, 31, v16
	s_wait_loadcnt_dscnt 0x707
	v_cvt_f32_f16_e32 v53, v43
	s_delay_alu instid0(VALU_DEP_3)
	v_lshl_add_u64 v[20:21], v[12:13], 1, v[8:9]
	v_lshl_add_u64 v[12:13], v[14:15], 1, v[8:9]
	;; [unrolled: 1-line block ×4, first 2 shown]
	s_wait_loadcnt_dscnt 0x606
	v_cvt_f32_f16_e32 v54, v44
	s_clause 0x3
	flat_load_u16 v18, v[20:21] offset:64
	flat_load_u16 v19, v[12:13] offset:64
	;; [unrolled: 1-line block ×4, first 2 shown]
	s_wait_loadcnt_dscnt 0x909
	v_cvt_f32_f16_e32 v55, v45
	s_wait_loadcnt_dscnt 0x808
	v_cvt_f32_f16_e32 v56, v46
	s_wait_xcnt 0x0
	s_and_saveexec_b32 s47, s3
	s_cbranch_execz .LBB510_21
; %bb.27:                               ;   in Loop: Header=BB510_24 Depth=2
	s_clause 0x3
	flat_load_u16 v57, v[20:21] offset:128
	flat_load_u16 v58, v[12:13] offset:128
	;; [unrolled: 1-line block ×4, first 2 shown]
	s_wait_xcnt 0x0
	s_and_saveexec_b32 s48, s4
	s_cbranch_execz .LBB510_20
; %bb.28:                               ;   in Loop: Header=BB510_24 Depth=2
	s_clause 0x3
	flat_load_u16 v61, v[20:21] offset:192
	flat_load_u16 v62, v[12:13] offset:192
	;; [unrolled: 1-line block ×4, first 2 shown]
	s_wait_loadcnt_dscnt 0x303
	s_wait_xcnt 0x2
	v_fma_mix_f32 v12, v53, v61, v37 op_sel_hi:[0,1,0]
	s_wait_loadcnt_dscnt 0x202
	s_delay_alu instid0(VALU_DEP_1) | instskip(SKIP_1) | instid1(VALU_DEP_1)
	v_fma_mix_f32 v12, v54, v62, v12 op_sel_hi:[0,1,0]
	s_wait_loadcnt_dscnt 0x101
	v_fma_mix_f32 v12, v55, v63, v12 op_sel_hi:[0,1,0]
	s_wait_loadcnt_dscnt 0x0
	s_delay_alu instid0(VALU_DEP_1)
	v_fma_mix_f32 v37, v56, v64, v12 op_sel_hi:[0,1,0]
	s_branch .LBB510_20
.LBB510_29:                             ;   in Loop: Header=BB510_4 Depth=1
	s_or_b32 exec_lo, exec_lo, s43
.LBB510_30:                             ;   in Loop: Header=BB510_4 Depth=1
	s_delay_alu instid0(SALU_CYCLE_1) | instskip(NEXT) | instid1(SALU_CYCLE_1)
	s_or_b32 exec_lo, exec_lo, s7
	s_and_not1_b32 vcc_lo, exec_lo, s38
	s_cbranch_vccnz .LBB510_48
; %bb.31:                               ;   in Loop: Header=BB510_4 Depth=1
	v_cmp_gt_i32_e32 vcc_lo, s9, v38
	v_dual_mov_b32 v20, 0 :: v_dual_bitop2_b32 v12, 1, v38 bitop3:0x54
	v_dual_mov_b32 v21, 0 :: v_dual_mov_b32 v39, 0
	v_mov_b32_e32 v40, 0
	s_and_saveexec_b32 s43, vcc_lo
	s_cbranch_execz .LBB510_39
; %bb.32:                               ;   in Loop: Header=BB510_4 Depth=1
	v_mul_lo_u32 v13, v38, s35
	v_readfirstlane_b32 s44, v10
	v_readfirstlane_b32 s45, v11
	v_dual_mov_b32 v39, 0 :: v_dual_mov_b32 v21, 0
	v_mov_b32_e32 v20, 0
	flat_load_u16 v13, v13, s[44:45] scale_offset
	s_wait_xcnt 0x0
	s_mov_b32 s44, exec_lo
	v_cmpx_gt_i32_e64 s9, v12
	s_cbranch_execz .LBB510_38
; %bb.33:                               ;   in Loop: Header=BB510_4 Depth=1
	v_mul_lo_u32 v14, v12, s35
	v_readfirstlane_b32 s46, v10
	v_readfirstlane_b32 s47, v11
	v_dual_mov_b32 v21, 0 :: v_dual_bitop2_b32 v15, 2, v38 bitop3:0x54
	v_mov_b32_e32 v20, 0
	s_mov_b32 s45, exec_lo
	flat_load_u16 v14, v14, s[46:47] scale_offset
	s_wait_xcnt 0x0
	v_cmpx_gt_i32_e64 s9, v15
	s_cbranch_execz .LBB510_37
; %bb.34:                               ;   in Loop: Header=BB510_4 Depth=1
	v_mul_lo_u32 v15, v15, s35
	v_readfirstlane_b32 s46, v10
	v_readfirstlane_b32 s47, v11
	v_dual_mov_b32 v20, 0 :: v_dual_bitop2_b32 v16, 3, v38 bitop3:0x54
	flat_load_u16 v15, v15, s[46:47] scale_offset
	s_wait_xcnt 0x0
	s_mov_b32 s46, exec_lo
	v_cmpx_gt_i32_e64 s9, v16
	s_cbranch_execz .LBB510_36
; %bb.35:                               ;   in Loop: Header=BB510_4 Depth=1
	v_mul_lo_u32 v16, v16, s35
	v_readfirstlane_b32 s48, v10
	v_readfirstlane_b32 s49, v11
	flat_load_u16 v10, v16, s[48:49] scale_offset
	s_wait_loadcnt_dscnt 0x0
	v_cvt_f32_f16_e32 v20, v10
.LBB510_36:                             ;   in Loop: Header=BB510_4 Depth=1
	s_wait_xcnt 0x0
	s_or_b32 exec_lo, exec_lo, s46
	s_wait_loadcnt_dscnt 0x0
	v_cvt_f32_f16_e32 v21, v15
.LBB510_37:                             ;   in Loop: Header=BB510_4 Depth=1
	s_or_b32 exec_lo, exec_lo, s45
	s_wait_loadcnt_dscnt 0x0
	v_cvt_f32_f16_e32 v39, v14
.LBB510_38:                             ;   in Loop: Header=BB510_4 Depth=1
	s_or_b32 exec_lo, exec_lo, s44
	s_wait_loadcnt_dscnt 0x0
	v_cvt_f32_f16_e32 v40, v13
.LBB510_39:                             ;   in Loop: Header=BB510_4 Depth=1
	s_or_b32 exec_lo, exec_lo, s43
	s_and_saveexec_b32 s7, s1
	s_cbranch_execz .LBB510_47
; %bb.40:                               ;   in Loop: Header=BB510_4 Depth=1
	v_mul_lo_u32 v11, v38, s34
	v_or_b32_e32 v10, 2, v38
	v_mul_lo_u32 v14, v12, s34
	v_readfirstlane_b32 s44, v8
	v_readfirstlane_b32 s45, v9
	v_cndmask_b32_e32 v11, 0, v11, vcc_lo
	v_mul_lo_u32 v15, v10, s34
	v_cmp_gt_i32_e32 vcc_lo, s9, v12
	v_cndmask_b32_e32 v12, 0, v14, vcc_lo
	v_cmp_gt_i32_e32 vcc_lo, s9, v10
	s_delay_alu instid0(VALU_DEP_4) | instskip(NEXT) | instid1(VALU_DEP_1)
	v_dual_cndmask_b32 v15, 0, v15, vcc_lo :: v_dual_bitop2_b32 v13, 3, v38 bitop3:0x54
	v_mul_lo_u32 v16, v13, s34
	v_cmp_gt_i32_e32 vcc_lo, s9, v13
	s_delay_alu instid0(VALU_DEP_2) | instskip(NEXT) | instid1(VALU_DEP_4)
	v_dual_cndmask_b32 v13, 0, v16 :: v_dual_add_nc_u32 v10, v11, v23
	v_dual_add_nc_u32 v14, v12, v23 :: v_dual_add_nc_u32 v18, v15, v23
	s_delay_alu instid0(VALU_DEP_2)
	v_add_nc_u32_e32 v16, v13, v23
	s_clause 0x3
	flat_load_u16 v38, v10, s[44:45] scale_offset
	flat_load_u16 v41, v14, s[44:45] scale_offset
	;; [unrolled: 1-line block ×4, first 2 shown]
	s_wait_xcnt 0x0
	s_and_saveexec_b32 s43, s2
	s_cbranch_execz .LBB510_46
; %bb.41:                               ;   in Loop: Header=BB510_4 Depth=1
	v_dual_ashrrev_i32 v11, 31, v10 :: v_dual_ashrrev_i32 v17, 31, v16
	v_ashrrev_i32_e32 v15, 31, v14
	v_ashrrev_i32_e32 v19, 31, v18
	s_delay_alu instid0(VALU_DEP_3) | instskip(NEXT) | instid1(VALU_DEP_3)
	v_lshl_add_u64 v[12:13], v[10:11], 1, v[8:9]
	v_lshl_add_u64 v[10:11], v[14:15], 1, v[8:9]
	s_delay_alu instid0(VALU_DEP_3)
	v_lshl_add_u64 v[14:15], v[18:19], 1, v[8:9]
	v_lshl_add_u64 v[8:9], v[16:17], 1, v[8:9]
	s_clause 0x3
	flat_load_u16 v16, v[12:13] offset:64
	flat_load_u16 v17, v[10:11] offset:64
	;; [unrolled: 1-line block ×4, first 2 shown]
	s_wait_xcnt 0x0
	s_and_saveexec_b32 s44, s3
	s_cbranch_execz .LBB510_45
; %bb.42:                               ;   in Loop: Header=BB510_4 Depth=1
	s_clause 0x3
	flat_load_u16 v44, v[12:13] offset:128
	flat_load_u16 v45, v[10:11] offset:128
	;; [unrolled: 1-line block ×4, first 2 shown]
	s_wait_xcnt 0x0
	s_and_saveexec_b32 s45, s4
	s_cbranch_execz .LBB510_44
; %bb.43:                               ;   in Loop: Header=BB510_4 Depth=1
	s_clause 0x3
	flat_load_u16 v48, v[12:13] offset:192
	flat_load_u16 v49, v[10:11] offset:192
	;; [unrolled: 1-line block ×4, first 2 shown]
	s_wait_loadcnt_dscnt 0x303
	s_wait_xcnt 0x0
	v_fma_mix_f32 v8, v40, v48, v37 op_sel_hi:[0,1,0]
	s_wait_loadcnt_dscnt 0x202
	s_delay_alu instid0(VALU_DEP_1) | instskip(SKIP_1) | instid1(VALU_DEP_1)
	v_fma_mix_f32 v8, v39, v49, v8 op_sel_hi:[0,1,0]
	s_wait_loadcnt_dscnt 0x101
	v_fma_mix_f32 v8, v21, v50, v8 op_sel_hi:[0,1,0]
	s_wait_loadcnt_dscnt 0x0
	s_delay_alu instid0(VALU_DEP_1)
	v_fma_mix_f32 v37, v20, v51, v8 op_sel_hi:[0,1,0]
.LBB510_44:                             ;   in Loop: Header=BB510_4 Depth=1
	s_or_b32 exec_lo, exec_lo, s45
	s_wait_loadcnt_dscnt 0x303
	v_fma_mix_f32 v8, v40, v44, v36 op_sel_hi:[0,1,0]
	s_wait_loadcnt_dscnt 0x202
	s_delay_alu instid0(VALU_DEP_1) | instskip(SKIP_1) | instid1(VALU_DEP_1)
	v_fma_mix_f32 v8, v39, v45, v8 op_sel_hi:[0,1,0]
	s_wait_loadcnt_dscnt 0x101
	v_fma_mix_f32 v8, v21, v46, v8 op_sel_hi:[0,1,0]
	s_wait_loadcnt_dscnt 0x0
	s_delay_alu instid0(VALU_DEP_1)
	v_fma_mix_f32 v36, v20, v47, v8 op_sel_hi:[0,1,0]
.LBB510_45:                             ;   in Loop: Header=BB510_4 Depth=1
	s_or_b32 exec_lo, exec_lo, s44
	s_wait_loadcnt_dscnt 0x303
	v_fma_mix_f32 v8, v40, v16, v35 op_sel_hi:[0,1,0]
	s_wait_loadcnt_dscnt 0x202
	s_delay_alu instid0(VALU_DEP_1) | instskip(SKIP_1) | instid1(VALU_DEP_1)
	v_fma_mix_f32 v8, v39, v17, v8 op_sel_hi:[0,1,0]
	s_wait_loadcnt_dscnt 0x101
	v_fma_mix_f32 v8, v21, v18, v8 op_sel_hi:[0,1,0]
	s_wait_loadcnt_dscnt 0x0
	s_delay_alu instid0(VALU_DEP_1)
	v_fma_mix_f32 v35, v20, v19, v8 op_sel_hi:[0,1,0]
.LBB510_46:                             ;   in Loop: Header=BB510_4 Depth=1
	s_or_b32 exec_lo, exec_lo, s43
	s_wait_loadcnt_dscnt 0x303
	v_fma_mix_f32 v8, v40, v38, v34 op_sel_hi:[0,1,0]
	s_wait_loadcnt_dscnt 0x202
	s_delay_alu instid0(VALU_DEP_1) | instskip(SKIP_1) | instid1(VALU_DEP_1)
	v_fma_mix_f32 v8, v39, v41, v8 op_sel_hi:[0,1,0]
	s_wait_loadcnt_dscnt 0x101
	v_fma_mix_f32 v8, v21, v42, v8 op_sel_hi:[0,1,0]
	s_wait_loadcnt_dscnt 0x0
	s_delay_alu instid0(VALU_DEP_1)
	v_fma_mix_f32 v34, v20, v43, v8 op_sel_hi:[0,1,0]
.LBB510_47:                             ;   in Loop: Header=BB510_4 Depth=1
	s_or_b32 exec_lo, exec_lo, s7
.LBB510_48:                             ;   in Loop: Header=BB510_4 Depth=1
	ds_store_2addr_b32 v0, v34, v35 offset1:32
	ds_store_2addr_b32 v0, v36, v37 offset0:64 offset1:96
	s_wait_dscnt 0x0
	s_barrier_signal -1
	s_barrier_wait -1
                                        ; implicit-def: $vgpr12
	s_and_saveexec_b32 s7, s5
	s_cbranch_execz .LBB510_54
; %bb.49:                               ;   in Loop: Header=BB510_4 Depth=1
	ds_load_2addr_stride64_b32 v[8:9], v24 offset1:2
	ds_load_2addr_stride64_b32 v[10:11], v24 offset0:4 offset1:6
	ds_load_2addr_stride64_b32 v[12:13], v24 offset0:8 offset1:10
	s_mov_b32 s44, s8
	s_wait_dscnt 0x2
	v_add_f32_e32 v14, v8, v9
	ds_load_2addr_stride64_b32 v[8:9], v24 offset0:12 offset1:14
	s_wait_dscnt 0x2
	v_add_f32_e32 v10, v10, v14
	s_delay_alu instid0(VALU_DEP_1) | instskip(SKIP_3) | instid1(VALU_DEP_1)
	v_add_f32_e32 v14, v11, v10
	ds_load_2addr_stride64_b32 v[10:11], v24 offset0:16 offset1:18
	s_wait_dscnt 0x2
	v_add_f32_e32 v12, v12, v14
	v_add_f32_e32 v14, v13, v12
	ds_load_2addr_stride64_b32 v[12:13], v24 offset0:20 offset1:22
	s_wait_dscnt 0x2
	v_add_f32_e32 v8, v8, v14
	s_delay_alu instid0(VALU_DEP_1) | instskip(SKIP_1) | instid1(VALU_DEP_1)
	v_add_f32_e32 v8, v9, v8
	s_wait_dscnt 0x1
	v_add_f32_e32 v10, v10, v8
	ds_load_2addr_stride64_b32 v[8:9], v24 offset0:24 offset1:26
	v_add_f32_e32 v10, v11, v10
	s_wait_dscnt 0x1
	s_delay_alu instid0(VALU_DEP_1) | instskip(SKIP_3) | instid1(VALU_DEP_1)
	v_add_f32_e32 v12, v12, v10
	ds_load_2addr_stride64_b32 v[10:11], v24 offset0:28 offset1:30
	v_add_f32_e32 v12, v13, v12
	s_wait_dscnt 0x1
	v_add_f32_e32 v8, v8, v12
                                        ; implicit-def: $vgpr12
	s_delay_alu instid0(VALU_DEP_1) | instskip(SKIP_1) | instid1(VALU_DEP_1)
	v_add_f32_e32 v8, v9, v8
	s_wait_dscnt 0x0
	v_add_f32_e32 v8, v10, v8
	s_delay_alu instid0(VALU_DEP_1)
	v_add_f32_e32 v8, v11, v8
	ds_store_b32 v24, v8
	s_and_saveexec_b32 s43, s6
	s_cbranch_execz .LBB510_53
; %bb.50:                               ;   in Loop: Header=BB510_4 Depth=1
	v_mul_f32_e32 v12, v33, v8
	s_cmp_eq_f32 s42, 0
	s_cbranch_scc1 .LBB510_52
; %bb.51:                               ;   in Loop: Header=BB510_4 Depth=1
	v_lshl_add_u64 v[8:9], v[4:5], 2, v[6:7]
	flat_load_b32 v8, v[8:9]
	s_wait_loadcnt_dscnt 0x0
	v_fmac_f32_e32 v12, s42, v8
.LBB510_52:                             ;   in Loop: Header=BB510_4 Depth=1
	s_or_b32 s44, s8, exec_lo
.LBB510_53:                             ;   in Loop: Header=BB510_4 Depth=1
	s_wait_xcnt 0x0
	s_or_b32 exec_lo, exec_lo, s43
	s_delay_alu instid0(SALU_CYCLE_1) | instskip(SKIP_1) | instid1(SALU_CYCLE_1)
	s_and_not1_b32 s8, s8, exec_lo
	s_and_b32 s42, s44, exec_lo
	s_or_b32 s8, s8, s42
.LBB510_54:                             ;   in Loop: Header=BB510_4 Depth=1
	s_or_b32 exec_lo, exec_lo, s7
	v_mov_b64_e32 v[8:9], v[4:5]
	s_and_saveexec_b32 s7, s8
	s_cbranch_execz .LBB510_2
.LBB510_55:                             ;   in Loop: Header=BB510_4 Depth=1
	s_delay_alu instid0(VALU_DEP_1)
	v_lshl_add_u64 v[6:7], v[8:9], 2, v[6:7]
	flat_store_b32 v[6:7], v12
	s_branch .LBB510_2
.LBB510_56:
	s_sendmsg sendmsg(MSG_DEALLOC_VGPRS)
	s_endpgm
	.section	.rodata,"a",@progbits
	.p2align	6, 0x0
	.amdhsa_kernel _ZL20rocblas_gemvn_kernelILi32ELi16EiPKDF16_PKfKPfEviiT3_lPKT2_lT1_lS9_lSA_lS6_lPT4_lSA_li
		.amdhsa_group_segment_fixed_size 8192
		.amdhsa_private_segment_fixed_size 0
		.amdhsa_kernarg_size 400
		.amdhsa_user_sgpr_count 2
		.amdhsa_user_sgpr_dispatch_ptr 0
		.amdhsa_user_sgpr_queue_ptr 0
		.amdhsa_user_sgpr_kernarg_segment_ptr 1
		.amdhsa_user_sgpr_dispatch_id 0
		.amdhsa_user_sgpr_kernarg_preload_length 0
		.amdhsa_user_sgpr_kernarg_preload_offset 0
		.amdhsa_user_sgpr_private_segment_size 0
		.amdhsa_wavefront_size32 1
		.amdhsa_uses_dynamic_stack 0
		.amdhsa_enable_private_segment 0
		.amdhsa_system_sgpr_workgroup_id_x 1
		.amdhsa_system_sgpr_workgroup_id_y 0
		.amdhsa_system_sgpr_workgroup_id_z 1
		.amdhsa_system_sgpr_workgroup_info 0
		.amdhsa_system_vgpr_workitem_id 1
		.amdhsa_next_free_vgpr 65
		.amdhsa_next_free_sgpr 50
		.amdhsa_named_barrier_count 0
		.amdhsa_reserve_vcc 1
		.amdhsa_float_round_mode_32 0
		.amdhsa_float_round_mode_16_64 0
		.amdhsa_float_denorm_mode_32 3
		.amdhsa_float_denorm_mode_16_64 3
		.amdhsa_fp16_overflow 0
		.amdhsa_memory_ordered 1
		.amdhsa_forward_progress 1
		.amdhsa_inst_pref_size 25
		.amdhsa_round_robin_scheduling 0
		.amdhsa_exception_fp_ieee_invalid_op 0
		.amdhsa_exception_fp_denorm_src 0
		.amdhsa_exception_fp_ieee_div_zero 0
		.amdhsa_exception_fp_ieee_overflow 0
		.amdhsa_exception_fp_ieee_underflow 0
		.amdhsa_exception_fp_ieee_inexact 0
		.amdhsa_exception_int_div_zero 0
	.end_amdhsa_kernel
	.section	.text._ZL20rocblas_gemvn_kernelILi32ELi16EiPKDF16_PKfKPfEviiT3_lPKT2_lT1_lS9_lSA_lS6_lPT4_lSA_li,"axG",@progbits,_ZL20rocblas_gemvn_kernelILi32ELi16EiPKDF16_PKfKPfEviiT3_lPKT2_lT1_lS9_lSA_lS6_lPT4_lSA_li,comdat
.Lfunc_end510:
	.size	_ZL20rocblas_gemvn_kernelILi32ELi16EiPKDF16_PKfKPfEviiT3_lPKT2_lT1_lS9_lSA_lS6_lPT4_lSA_li, .Lfunc_end510-_ZL20rocblas_gemvn_kernelILi32ELi16EiPKDF16_PKfKPfEviiT3_lPKT2_lT1_lS9_lSA_lS6_lPT4_lSA_li
                                        ; -- End function
	.set _ZL20rocblas_gemvn_kernelILi32ELi16EiPKDF16_PKfKPfEviiT3_lPKT2_lT1_lS9_lSA_lS6_lPT4_lSA_li.num_vgpr, 65
	.set _ZL20rocblas_gemvn_kernelILi32ELi16EiPKDF16_PKfKPfEviiT3_lPKT2_lT1_lS9_lSA_lS6_lPT4_lSA_li.num_agpr, 0
	.set _ZL20rocblas_gemvn_kernelILi32ELi16EiPKDF16_PKfKPfEviiT3_lPKT2_lT1_lS9_lSA_lS6_lPT4_lSA_li.numbered_sgpr, 50
	.set _ZL20rocblas_gemvn_kernelILi32ELi16EiPKDF16_PKfKPfEviiT3_lPKT2_lT1_lS9_lSA_lS6_lPT4_lSA_li.num_named_barrier, 0
	.set _ZL20rocblas_gemvn_kernelILi32ELi16EiPKDF16_PKfKPfEviiT3_lPKT2_lT1_lS9_lSA_lS6_lPT4_lSA_li.private_seg_size, 0
	.set _ZL20rocblas_gemvn_kernelILi32ELi16EiPKDF16_PKfKPfEviiT3_lPKT2_lT1_lS9_lSA_lS6_lPT4_lSA_li.uses_vcc, 1
	.set _ZL20rocblas_gemvn_kernelILi32ELi16EiPKDF16_PKfKPfEviiT3_lPKT2_lT1_lS9_lSA_lS6_lPT4_lSA_li.uses_flat_scratch, 1
	.set _ZL20rocblas_gemvn_kernelILi32ELi16EiPKDF16_PKfKPfEviiT3_lPKT2_lT1_lS9_lSA_lS6_lPT4_lSA_li.has_dyn_sized_stack, 0
	.set _ZL20rocblas_gemvn_kernelILi32ELi16EiPKDF16_PKfKPfEviiT3_lPKT2_lT1_lS9_lSA_lS6_lPT4_lSA_li.has_recursion, 0
	.set _ZL20rocblas_gemvn_kernelILi32ELi16EiPKDF16_PKfKPfEviiT3_lPKT2_lT1_lS9_lSA_lS6_lPT4_lSA_li.has_indirect_call, 0
	.section	.AMDGPU.csdata,"",@progbits
; Kernel info:
; codeLenInByte = 3180
; TotalNumSgprs: 52
; NumVgprs: 65
; ScratchSize: 0
; MemoryBound: 0
; FloatMode: 240
; IeeeMode: 1
; LDSByteSize: 8192 bytes/workgroup (compile time only)
; SGPRBlocks: 0
; VGPRBlocks: 4
; NumSGPRsForWavesPerEU: 52
; NumVGPRsForWavesPerEU: 65
; NamedBarCnt: 0
; Occupancy: 12
; WaveLimiterHint : 1
; COMPUTE_PGM_RSRC2:SCRATCH_EN: 0
; COMPUTE_PGM_RSRC2:USER_SGPR: 2
; COMPUTE_PGM_RSRC2:TRAP_HANDLER: 0
; COMPUTE_PGM_RSRC2:TGID_X_EN: 1
; COMPUTE_PGM_RSRC2:TGID_Y_EN: 0
; COMPUTE_PGM_RSRC2:TGID_Z_EN: 1
; COMPUTE_PGM_RSRC2:TIDIG_COMP_CNT: 1
	.section	.text._ZL20rocblas_gemvn_kernelILi32ELi16ElPKDF16_PKfKPfEviiT3_lPKT2_lT1_lS9_lSA_lS6_lPT4_lSA_li,"axG",@progbits,_ZL20rocblas_gemvn_kernelILi32ELi16ElPKDF16_PKfKPfEviiT3_lPKT2_lT1_lS9_lSA_lS6_lPT4_lSA_li,comdat
	.globl	_ZL20rocblas_gemvn_kernelILi32ELi16ElPKDF16_PKfKPfEviiT3_lPKT2_lT1_lS9_lSA_lS6_lPT4_lSA_li ; -- Begin function _ZL20rocblas_gemvn_kernelILi32ELi16ElPKDF16_PKfKPfEviiT3_lPKT2_lT1_lS9_lSA_lS6_lPT4_lSA_li
	.p2align	8
	.type	_ZL20rocblas_gemvn_kernelILi32ELi16ElPKDF16_PKfKPfEviiT3_lPKT2_lT1_lS9_lSA_lS6_lPT4_lSA_li,@function
_ZL20rocblas_gemvn_kernelILi32ELi16ElPKDF16_PKfKPfEviiT3_lPKT2_lT1_lS9_lSA_lS6_lPT4_lSA_li: ; @_ZL20rocblas_gemvn_kernelILi32ELi16ElPKDF16_PKfKPfEviiT3_lPKT2_lT1_lS9_lSA_lS6_lPT4_lSA_li
; %bb.0:
	s_clause 0x1
	s_load_b64 s[2:3], s[0:1], 0x9c
	s_load_b32 s33, s[0:1], 0x88
	s_bfe_u32 s4, ttmp6, 0x40014
	s_lshr_b32 s5, ttmp7, 16
	s_add_co_i32 s4, s4, 1
	s_bfe_u32 s6, ttmp6, 0x40008
	s_mul_i32 s7, s5, s4
	s_getreg_b32 s4, hwreg(HW_REG_IB_STS2, 6, 4)
	s_add_co_i32 s6, s6, s7
	s_mov_b32 s11, 0
	s_wait_kmcnt 0x0
	s_lshr_b32 s7, s2, 16
	s_and_b32 s2, s2, 0xffff
	s_and_b32 s3, s3, 0xffff
	s_mul_i32 s2, s7, s2
	s_cmp_eq_u32 s4, 0
	s_mul_i32 s2, s2, s3
	s_cselect_b32 s10, s5, s6
	s_cmp_lg_u32 s2, 0x200
	s_cselect_b32 s2, -1, 0
	s_cmp_ge_u32 s10, s33
	s_cselect_b32 s3, -1, 0
	s_delay_alu instid0(SALU_CYCLE_1) | instskip(NEXT) | instid1(SALU_CYCLE_1)
	s_or_b32 s2, s2, s3
	s_and_b32 vcc_lo, exec_lo, s2
	s_cbranch_vccnz .LBB511_56
; %bb.1:
	s_clause 0x2
	s_load_b64 s[34:35], s[0:1], 0x0
	s_load_b64 s[36:37], s[0:1], 0x28
	;; [unrolled: 1-line block ×3, first 2 shown]
	s_bfe_u32 s5, ttmp6, 0x4000c
	v_and_b32_e32 v28, 0x3ff, v0
	s_add_co_i32 s5, s5, 1
	v_bfe_u32 v6, v0, 10, 10
	s_clause 0x1
	s_load_b64 s[38:39], s[0:1], 0x48
	s_load_b128 s[28:31], s[0:1], 0x38
	s_and_b32 s6, ttmp6, 15
	s_mul_i32 s5, ttmp9, s5
	v_lshl_add_u32 v29, v6, 5, v28
	s_add_co_i32 s6, s6, s5
	s_cmp_eq_u32 s4, 0
	s_load_b256 s[12:19], s[0:1], 0x8
	s_cselect_b32 s4, ttmp9, s6
	s_load_b256 s[20:27], s[0:1], 0x58
	s_lshl_b32 s6, s4, 7
	s_delay_alu instid0(SALU_CYCLE_1)
	v_dual_mov_b32 v1, 0 :: v_dual_add_nc_u32 v0, s6, v29
	v_lshlrev_b32_e32 v48, 2, v6
	s_wait_kmcnt 0x0
	s_ashr_i32 s5, s34, 31
	s_mov_b32 s4, s34
	v_mov_b32_e32 v7, v1
	v_mul_u64_e32 v[2:3], s[2:3], v[0:1]
	v_cmp_gt_i64_e32 vcc_lo, s[4:5], v[0:1]
	v_dual_add_nc_u32 v14, s6, v28 :: v_dual_bitop2_b32 v16, s6, v29 bitop3:0x54
	v_or_b32_e32 v0, 3, v48
	v_mul_u64_e32 v[8:9], s[38:39], v[6:7]
	v_mul_u64_e32 v[18:19], s[36:37], v[6:7]
	s_delay_alu instid0(VALU_DEP_4) | instskip(NEXT) | instid1(VALU_DEP_4)
	v_dual_ashrrev_i32 v15, 31, v14 :: v_dual_add_nc_u32 v7, 64, v14
	v_mul_u64_e32 v[10:11], s[36:37], v[0:1]
	v_mul_u64_e32 v[12:13], s[38:39], v[0:1]
	v_or_b32_e32 v0, 2, v48
	v_ashrrev_i32_e32 v17, 31, v16
	v_mad_nc_u64_u32 v[24:25], s38, v48, s[38:39]
	v_mad_nc_u64_u32 v[26:27], s36, v48, s[36:37]
	s_ashr_i32 s4, s35, 31
	v_mul_u64_e32 v[20:21], s[36:37], v[0:1]
	v_mul_u64_e32 v[22:23], s[38:39], v[0:1]
	v_add_nc_u32_e32 v0, 32, v14
	v_mul_u64_e32 v[4:5], s[2:3], v[16:17]
	s_lshr_b32 s4, s4, 26
	v_add_nc_u32_e32 v17, 0x60, v14
	s_add_co_i32 s44, s35, s4
	v_cmp_gt_i32_e64 s2, s34, v0
	v_mad_u32 v25, s39, v48, v25
	v_mad_u32 v27, s37, v48, v27
	v_lshlrev_b32_e32 v0, 2, v28
	s_and_not1_b32 s44, s44, 63
	v_cmp_gt_i32_e64 s1, s34, v14
	s_sub_co_i32 s4, s35, s44
	v_cmp_gt_i32_e64 s3, s34, v7
	s_cmp_gt_i32 s4, 0
	v_cmp_gt_i32_e64 s4, s34, v17
	v_lshl_add_u32 v49, v6, 9, v0
	v_cmp_gt_u32_e64 s5, 0x80, v29
	v_lshl_add_u32 v50, v6, 7, v0
	v_cmp_gt_i32_e64 s6, s34, v16
	v_lshlrev_b64_e32 v[6:7], 3, v[8:9]
	v_lshlrev_b64_e32 v[8:9], 1, v[14:15]
	;; [unrolled: 1-line block ×3, first 2 shown]
	v_cmp_gt_i32_e64 s0, s44, v48
	v_lshlrev_b64_e32 v[10:11], 1, v[10:11]
	v_lshlrev_b64_e32 v[12:13], 1, v[12:13]
	s_cselect_b32 s45, -1, 0
	s_and_b32 s34, s5, vcc_lo
	s_lshl_b64 s[40:41], s[38:39], 7
	s_lshl_b64 s[42:43], s[36:37], 7
	;; [unrolled: 1-line block ×3, first 2 shown]
	v_lshlrev_b64_e32 v[16:17], 1, v[20:21]
	v_lshlrev_b64_e32 v[18:19], 1, v[22:23]
	;; [unrolled: 1-line block ×4, first 2 shown]
	s_lshl_b64 s[30:31], s[30:31], 1
	s_lshl_b64 s[26:27], s[26:27], 2
	s_branch .LBB511_4
.LBB511_2:                              ;   in Loop: Header=BB511_4 Depth=1
	s_wait_xcnt 0x0
	s_or_b32 exec_lo, exec_lo, s7
.LBB511_3:                              ;   in Loop: Header=BB511_4 Depth=1
	s_add_co_i32 s10, s10, 0x10000
	s_delay_alu instid0(SALU_CYCLE_1)
	s_cmp_lt_u32 s10, s33
	s_cbranch_scc0 .LBB511_56
.LBB511_4:                              ; =>This Loop Header: Depth=1
                                        ;     Child Loop BB511_24 Depth 2
	s_mul_u64 s[8:9], s[14:15], s[10:11]
	s_mul_u64 s[46:47], s[22:23], s[10:11]
	s_lshl_b64 s[8:9], s[8:9], 2
	s_lshl_b64 s[46:47], s[46:47], 2
	s_add_nc_u64 s[8:9], s[12:13], s[8:9]
	s_add_nc_u64 s[46:47], s[20:21], s[46:47]
	s_clause 0x1
	global_load_b32 v51, v1, s[8:9]
	global_load_b32 v0, v1, s[46:47]
	s_wait_loadcnt 0x1
	v_cmp_eq_f32_e64 s7, 0, v51
	s_wait_loadcnt 0x0
	v_cmp_eq_f32_e32 vcc_lo, 1.0, v0
	s_wait_xcnt 0x0
	v_readfirstlane_b32 s46, v0
	s_and_b32 s8, s7, vcc_lo
	s_delay_alu instid0(SALU_CYCLE_1)
	s_and_b32 vcc_lo, exec_lo, s8
	s_cbranch_vccnz .LBB511_3
; %bb.5:                                ;   in Loop: Header=BB511_4 Depth=1
	v_mov_b64_e32 v[28:29], 0
	v_mov_b64_e32 v[26:27], 0
	v_cmp_neq_f32_e64 s8, 0, v51
	s_and_b32 vcc_lo, exec_lo, s7
	s_cbranch_vccnz .LBB511_7
; %bb.6:                                ;   in Loop: Header=BB511_4 Depth=1
	s_lshl_b64 s[48:49], s[10:11], 3
	s_delay_alu instid0(SALU_CYCLE_1)
	s_add_nc_u64 s[48:49], s[16:17], s[48:49]
	global_load_b64 v[24:25], v1, s[48:49]
	s_wait_loadcnt 0x0
	v_add_nc_u64_e32 v[26:27], s[18:19], v[24:25]
.LBB511_7:                              ;   in Loop: Header=BB511_4 Depth=1
	s_and_not1_b32 vcc_lo, exec_lo, s8
	s_cbranch_vccnz .LBB511_9
; %bb.8:                                ;   in Loop: Header=BB511_4 Depth=1
	s_lshl_b64 s[8:9], s[10:11], 3
	s_delay_alu instid0(SALU_CYCLE_1)
	s_add_nc_u64 s[8:9], s[28:29], s[8:9]
	global_load_b64 v[24:25], v1, s[8:9]
	s_wait_loadcnt 0x0
	v_add_nc_u64_e32 v[28:29], s[30:31], v[24:25]
.LBB511_9:                              ;   in Loop: Header=BB511_4 Depth=1
	s_wait_xcnt 0x0
	s_lshl_b64 s[8:9], s[10:11], 3
	s_and_not1_b32 vcc_lo, exec_lo, s7
	s_add_nc_u64 s[8:9], s[24:25], s[8:9]
	global_load_b64 v[24:25], v1, s[8:9]
	s_wait_loadcnt 0x0
	v_add_nc_u64_e32 v[24:25], s[26:27], v[24:25]
	s_cbranch_vccnz .LBB511_13
; %bb.10:                               ;   in Loop: Header=BB511_4 Depth=1
	s_mov_b32 s7, 0
	s_mov_b32 s47, 0
                                        ; implicit-def: $vgpr0
	s_wait_xcnt 0x0
	s_and_saveexec_b32 s8, s34
	s_cbranch_execz .LBB511_14
; %bb.11:                               ;   in Loop: Header=BB511_4 Depth=1
	s_cmp_eq_f32 s46, 0
	s_cbranch_scc1 .LBB511_16
; %bb.12:                               ;   in Loop: Header=BB511_4 Depth=1
	v_lshl_add_u64 v[30:31], v[2:3], 2, v[24:25]
	flat_load_b32 v0, v[30:31]
	s_wait_loadcnt_dscnt 0x0
	v_mul_f32_e32 v0, s46, v0
	s_branch .LBB511_17
.LBB511_13:                             ;   in Loop: Header=BB511_4 Depth=1
	s_mov_b32 s47, 0
                                        ; implicit-def: $vgpr0
	s_cbranch_execz .LBB511_15
	s_branch .LBB511_18
.LBB511_14:                             ;   in Loop: Header=BB511_4 Depth=1
	s_or_b32 exec_lo, exec_lo, s8
	s_delay_alu instid0(SALU_CYCLE_1)
	s_and_b32 vcc_lo, exec_lo, s7
	s_cbranch_vccnz .LBB511_18
.LBB511_15:                             ;   in Loop: Header=BB511_4 Depth=1
	v_mov_b64_e32 v[26:27], v[2:3]
	s_wait_xcnt 0x0
	s_and_saveexec_b32 s7, s47
	s_cbranch_execz .LBB511_2
	s_branch .LBB511_55
.LBB511_16:                             ;   in Loop: Header=BB511_4 Depth=1
	v_mov_b32_e32 v0, 0
.LBB511_17:                             ;   in Loop: Header=BB511_4 Depth=1
	s_mov_b32 s47, exec_lo
	s_wait_xcnt 0x0
	s_or_b32 exec_lo, exec_lo, s8
	s_delay_alu instid0(SALU_CYCLE_1)
	s_and_b32 vcc_lo, exec_lo, s7
	s_cbranch_vccz .LBB511_15
.LBB511_18:                             ;   in Loop: Header=BB511_4 Depth=1
	v_dual_mov_b32 v52, 0 :: v_dual_mov_b32 v0, v48
	v_dual_mov_b32 v53, 0 :: v_dual_mov_b32 v54, 0
	v_mov_b32_e32 v55, 0
	s_wait_xcnt 0x0
	s_and_saveexec_b32 s7, s0
	s_cbranch_execz .LBB511_30
; %bb.19:                               ;   in Loop: Header=BB511_4 Depth=1
	v_add_nc_u64_e32 v[30:31], v[26:27], v[10:11]
	v_add_nc_u64_e32 v[32:33], v[26:27], v[14:15]
	;; [unrolled: 1-line block ×4, first 2 shown]
	v_mov_b64_e32 v[38:39], v[28:29]
	v_dual_mov_b32 v52, 0 :: v_dual_mov_b32 v0, v48
	v_dual_mov_b32 v53, 0 :: v_dual_mov_b32 v54, 0
	v_mov_b32_e32 v55, 0
	s_mov_b32 s8, 0
	s_branch .LBB511_24
.LBB511_20:                             ;   in Loop: Header=BB511_24 Depth=2
	s_wait_xcnt 0x0
	s_or_b32 exec_lo, exec_lo, s50
	s_wait_loadcnt_dscnt 0x303
	v_fma_mix_f32 v40, v68, v72, v54 op_sel_hi:[0,1,0]
	s_wait_loadcnt_dscnt 0x202
	s_delay_alu instid0(VALU_DEP_1) | instskip(SKIP_1) | instid1(VALU_DEP_1)
	v_fma_mix_f32 v40, v69, v73, v40 op_sel_hi:[0,1,0]
	s_wait_loadcnt_dscnt 0x101
	v_fma_mix_f32 v40, v70, v74, v40 op_sel_hi:[0,1,0]
	s_wait_loadcnt_dscnt 0x0
	s_delay_alu instid0(VALU_DEP_1)
	v_fma_mix_f32 v54, v71, v75, v40 op_sel_hi:[0,1,0]
.LBB511_21:                             ;   in Loop: Header=BB511_24 Depth=2
	s_or_b32 exec_lo, exec_lo, s49
	s_wait_loadcnt_dscnt 0x303
	v_fma_mix_f32 v40, v68, v64, v53 op_sel_hi:[0,1,0]
	s_wait_loadcnt_dscnt 0x202
	s_delay_alu instid0(VALU_DEP_1) | instskip(SKIP_1) | instid1(VALU_DEP_1)
	v_fma_mix_f32 v40, v69, v65, v40 op_sel_hi:[0,1,0]
	s_wait_loadcnt_dscnt 0x101
	v_fma_mix_f32 v40, v70, v66, v40 op_sel_hi:[0,1,0]
	s_wait_loadcnt_dscnt 0x0
	s_delay_alu instid0(VALU_DEP_1)
	v_fma_mix_f32 v53, v71, v67, v40 op_sel_hi:[0,1,0]
.LBB511_22:                             ;   in Loop: Header=BB511_24 Depth=2
	s_or_b32 exec_lo, exec_lo, s48
	s_wait_loadcnt_dscnt 0x303
	v_fma_mix_f32 v40, v56, v60, v52 op_sel_hi:[1,1,0]
	s_wait_loadcnt_dscnt 0x202
	s_delay_alu instid0(VALU_DEP_1) | instskip(SKIP_1) | instid1(VALU_DEP_1)
	v_fma_mix_f32 v40, v57, v61, v40 op_sel_hi:[1,1,0]
	s_wait_loadcnt_dscnt 0x101
	v_fma_mix_f32 v40, v58, v62, v40 op_sel_hi:[1,1,0]
	s_wait_loadcnt_dscnt 0x0
	s_delay_alu instid0(VALU_DEP_1)
	v_fma_mix_f32 v52, v59, v63, v40 op_sel_hi:[1,1,0]
.LBB511_23:                             ;   in Loop: Header=BB511_24 Depth=2
	s_or_b32 exec_lo, exec_lo, s9
	v_add_nc_u32_e32 v0, 64, v0
	v_add_nc_u64_e32 v[38:39], s[40:41], v[38:39]
	v_add_nc_u64_e32 v[30:31], s[42:43], v[30:31]
	;; [unrolled: 1-line block ×4, first 2 shown]
	v_cmp_le_i32_e32 vcc_lo, s44, v0
	v_add_nc_u64_e32 v[36:37], s[42:43], v[36:37]
	s_or_b32 s8, vcc_lo, s8
	s_delay_alu instid0(SALU_CYCLE_1)
	s_and_not1_b32 exec_lo, exec_lo, s8
	s_cbranch_execz .LBB511_29
.LBB511_24:                             ;   Parent Loop BB511_4 Depth=1
                                        ; =>  This Inner Loop Header: Depth=2
	s_and_saveexec_b32 s9, s1
	s_cbranch_execz .LBB511_23
; %bb.25:                               ;   in Loop: Header=BB511_24 Depth=2
	v_add_nc_u64_e32 v[64:65], v[38:39], v[6:7]
	v_add_nc_u64_e32 v[66:67], v[38:39], v[20:21]
	;; [unrolled: 1-line block ×8, first 2 shown]
	s_clause 0x3
	flat_load_u16 v56, v[64:65]
	flat_load_u16 v57, v[66:67]
	;; [unrolled: 1-line block ×8, first 2 shown]
	s_wait_xcnt 0x0
	s_and_saveexec_b32 s48, s2
	s_cbranch_execz .LBB511_22
; %bb.26:                               ;   in Loop: Header=BB511_24 Depth=2
	flat_load_u16 v64, v[40:41] offset:64
	flat_load_u16 v65, v[42:43] offset:64
	;; [unrolled: 1-line block ×4, first 2 shown]
	s_wait_loadcnt_dscnt 0xb0b
	v_cvt_f32_f16_e32 v68, v56
	s_wait_loadcnt_dscnt 0xa0a
	v_cvt_f32_f16_e32 v69, v57
	;; [unrolled: 2-line block ×4, first 2 shown]
	s_wait_xcnt 0x0
	s_and_saveexec_b32 s49, s3
	s_cbranch_execz .LBB511_21
; %bb.27:                               ;   in Loop: Header=BB511_24 Depth=2
	flat_load_u16 v72, v[40:41] offset:128
	flat_load_u16 v73, v[42:43] offset:128
	;; [unrolled: 1-line block ×4, first 2 shown]
	s_wait_xcnt 0x0
	s_and_saveexec_b32 s50, s4
	s_cbranch_execz .LBB511_20
; %bb.28:                               ;   in Loop: Header=BB511_24 Depth=2
	flat_load_u16 v76, v[40:41] offset:192
	flat_load_u16 v77, v[42:43] offset:192
	;; [unrolled: 1-line block ×4, first 2 shown]
	s_wait_loadcnt_dscnt 0x303
	s_wait_xcnt 0x3
	v_fma_mix_f32 v40, v68, v76, v55 op_sel_hi:[0,1,0]
	s_wait_loadcnt_dscnt 0x202
	s_delay_alu instid0(VALU_DEP_1) | instskip(SKIP_1) | instid1(VALU_DEP_1)
	v_fma_mix_f32 v40, v69, v77, v40 op_sel_hi:[0,1,0]
	s_wait_loadcnt_dscnt 0x101
	v_fma_mix_f32 v40, v70, v78, v40 op_sel_hi:[0,1,0]
	s_wait_loadcnt_dscnt 0x0
	s_delay_alu instid0(VALU_DEP_1)
	v_fma_mix_f32 v55, v71, v79, v40 op_sel_hi:[0,1,0]
	s_branch .LBB511_20
.LBB511_29:                             ;   in Loop: Header=BB511_4 Depth=1
	s_or_b32 exec_lo, exec_lo, s8
.LBB511_30:                             ;   in Loop: Header=BB511_4 Depth=1
	s_delay_alu instid0(SALU_CYCLE_1) | instskip(NEXT) | instid1(SALU_CYCLE_1)
	s_or_b32 exec_lo, exec_lo, s7
	s_and_not1_b32 vcc_lo, exec_lo, s45
	s_cbranch_vccnz .LBB511_48
; %bb.31:                               ;   in Loop: Header=BB511_4 Depth=1
	v_cmp_gt_i32_e32 vcc_lo, s35, v0
	v_dual_mov_b32 v34, 0 :: v_dual_bitop2_b32 v30, 1, v0 bitop3:0x54
	v_dual_mov_b32 v35, 0 :: v_dual_mov_b32 v36, 0
	v_mov_b32_e32 v37, 0
	s_and_saveexec_b32 s8, vcc_lo
	s_cbranch_execz .LBB511_39
; %bb.32:                               ;   in Loop: Header=BB511_4 Depth=1
	v_mul_u64_e32 v[32:33], s[38:39], v[0:1]
	v_dual_mov_b32 v36, 0 :: v_dual_mov_b32 v35, 0
	v_mov_b32_e32 v34, 0
	s_mov_b32 s9, exec_lo
	s_delay_alu instid0(VALU_DEP_3)
	v_lshl_add_u64 v[32:33], v[32:33], 1, v[28:29]
	flat_load_u16 v37, v[32:33]
	s_wait_xcnt 0x0
	v_cmpx_gt_i32_e64 s35, v30
	s_cbranch_execz .LBB511_38
; %bb.33:                               ;   in Loop: Header=BB511_4 Depth=1
	v_dual_mov_b32 v31, v1 :: v_dual_mov_b32 v35, 0
	v_mov_b32_e32 v34, 0
	s_mov_b32 s48, exec_lo
	s_delay_alu instid0(VALU_DEP_2) | instskip(NEXT) | instid1(VALU_DEP_1)
	v_mul_u64_e32 v[32:33], s[38:39], v[30:31]
	v_lshl_add_u64 v[32:33], v[32:33], 1, v[28:29]
	flat_load_u16 v31, v[32:33]
	s_wait_xcnt 0x0
	v_or_b32_e32 v32, 2, v0
	s_delay_alu instid0(VALU_DEP_1)
	v_cmpx_gt_i32_e64 s35, v32
	s_cbranch_execz .LBB511_37
; %bb.34:                               ;   in Loop: Header=BB511_4 Depth=1
	v_dual_mov_b32 v33, v1 :: v_dual_mov_b32 v34, 0
	s_mov_b32 s49, exec_lo
	s_delay_alu instid0(VALU_DEP_1) | instskip(NEXT) | instid1(VALU_DEP_1)
	v_mul_u64_e32 v[32:33], s[38:39], v[32:33]
	v_lshl_add_u64 v[32:33], v[32:33], 1, v[28:29]
	flat_load_u16 v35, v[32:33]
	s_wait_xcnt 0x0
	v_or_b32_e32 v32, 3, v0
	s_delay_alu instid0(VALU_DEP_1)
	v_cmpx_gt_i32_e64 s35, v32
	s_cbranch_execz .LBB511_36
; %bb.35:                               ;   in Loop: Header=BB511_4 Depth=1
	v_mov_b32_e32 v33, v1
	s_delay_alu instid0(VALU_DEP_1) | instskip(NEXT) | instid1(VALU_DEP_1)
	v_mul_u64_e32 v[32:33], s[38:39], v[32:33]
	v_lshl_add_u64 v[28:29], v[32:33], 1, v[28:29]
	flat_load_u16 v28, v[28:29]
	s_wait_loadcnt_dscnt 0x0
	v_cvt_f32_f16_e32 v34, v28
.LBB511_36:                             ;   in Loop: Header=BB511_4 Depth=1
	s_wait_xcnt 0x0
	s_or_b32 exec_lo, exec_lo, s49
	s_wait_loadcnt_dscnt 0x0
	v_cvt_f32_f16_e32 v35, v35
.LBB511_37:                             ;   in Loop: Header=BB511_4 Depth=1
	s_or_b32 exec_lo, exec_lo, s48
	s_wait_loadcnt_dscnt 0x0
	v_cvt_f32_f16_e32 v36, v31
.LBB511_38:                             ;   in Loop: Header=BB511_4 Depth=1
	s_or_b32 exec_lo, exec_lo, s9
	s_wait_loadcnt_dscnt 0x0
	v_cvt_f32_f16_e32 v37, v37
.LBB511_39:                             ;   in Loop: Header=BB511_4 Depth=1
	s_or_b32 exec_lo, exec_lo, s8
	s_and_saveexec_b32 s48, s1
	s_cbranch_execz .LBB511_47
; %bb.40:                               ;   in Loop: Header=BB511_4 Depth=1
	v_dual_mov_b32 v31, v1 :: v_dual_bitop2_b32 v28, 2, v0 bitop3:0x54
	v_mov_b32_e32 v29, v1
	v_mul_u64_e32 v[32:33], s[36:37], v[0:1]
	v_or_b32_e32 v0, 3, v0
	s_delay_alu instid0(VALU_DEP_4)
	v_mul_u64_e32 v[38:39], s[36:37], v[30:31]
	v_cmp_gt_i32_e64 s7, s35, v30
	v_mul_u64_e32 v[40:41], s[36:37], v[28:29]
	v_cmp_gt_i32_e64 s8, s35, v28
	;; [unrolled: 2-line block ×3, first 2 shown]
	v_dual_cndmask_b32 v29, 0, v33 :: v_dual_cndmask_b32 v28, 0, v32
	v_dual_cndmask_b32 v31, 0, v39, s7 :: v_dual_cndmask_b32 v30, 0, v38, s7
	v_dual_cndmask_b32 v33, 0, v41, s8 :: v_dual_cndmask_b32 v32, 0, v40, s8
	s_delay_alu instid0(VALU_DEP_4) | instskip(NEXT) | instid1(VALU_DEP_4)
	v_dual_cndmask_b32 v39, 0, v43, s9 :: v_dual_cndmask_b32 v38, 0, v42, s9
	v_lshl_add_u64 v[28:29], v[28:29], 1, v[26:27]
	s_delay_alu instid0(VALU_DEP_4) | instskip(NEXT) | instid1(VALU_DEP_4)
	v_lshl_add_u64 v[40:41], v[30:31], 1, v[26:27]
	v_lshl_add_u64 v[32:33], v[32:33], 1, v[26:27]
	s_delay_alu instid0(VALU_DEP_4) | instskip(NEXT) | instid1(VALU_DEP_4)
	v_lshl_add_u64 v[38:39], v[38:39], 1, v[26:27]
	v_add_nc_u64_e32 v[30:31], v[28:29], v[8:9]
	s_delay_alu instid0(VALU_DEP_4) | instskip(NEXT) | instid1(VALU_DEP_4)
	v_add_nc_u64_e32 v[26:27], v[40:41], v[8:9]
	v_add_nc_u64_e32 v[28:29], v[32:33], v[8:9]
	s_delay_alu instid0(VALU_DEP_4)
	v_add_nc_u64_e32 v[32:33], v[38:39], v[8:9]
	s_clause 0x3
	flat_load_u16 v0, v[30:31]
	flat_load_u16 v38, v[26:27]
	;; [unrolled: 1-line block ×4, first 2 shown]
	s_wait_xcnt 0x0
	s_and_saveexec_b32 s7, s2
	s_cbranch_execz .LBB511_46
; %bb.41:                               ;   in Loop: Header=BB511_4 Depth=1
	s_clause 0x3
	flat_load_u16 v41, v[30:31] offset:64
	flat_load_u16 v42, v[26:27] offset:64
	flat_load_u16 v43, v[28:29] offset:64
	flat_load_u16 v44, v[32:33] offset:64
	s_wait_xcnt 0x0
	s_and_saveexec_b32 s8, s3
	s_cbranch_execz .LBB511_45
; %bb.42:                               ;   in Loop: Header=BB511_4 Depth=1
	s_clause 0x3
	flat_load_u16 v45, v[30:31] offset:128
	flat_load_u16 v46, v[26:27] offset:128
	flat_load_u16 v47, v[28:29] offset:128
	flat_load_u16 v56, v[32:33] offset:128
	;; [unrolled: 9-line block ×3, first 2 shown]
	s_wait_loadcnt_dscnt 0x303
	s_wait_xcnt 0x2
	v_fma_mix_f32 v26, v37, v57, v55 op_sel_hi:[0,1,0]
	s_wait_loadcnt_dscnt 0x202
	s_delay_alu instid0(VALU_DEP_1) | instskip(SKIP_1) | instid1(VALU_DEP_1)
	v_fma_mix_f32 v26, v36, v58, v26 op_sel_hi:[0,1,0]
	s_wait_loadcnt_dscnt 0x101
	v_fma_mix_f32 v26, v35, v59, v26 op_sel_hi:[0,1,0]
	s_wait_loadcnt_dscnt 0x0
	s_delay_alu instid0(VALU_DEP_1)
	v_fma_mix_f32 v55, v34, v60, v26 op_sel_hi:[0,1,0]
.LBB511_44:                             ;   in Loop: Header=BB511_4 Depth=1
	s_wait_xcnt 0x0
	s_or_b32 exec_lo, exec_lo, s9
	s_wait_loadcnt_dscnt 0x303
	v_fma_mix_f32 v26, v37, v45, v54 op_sel_hi:[0,1,0]
	s_wait_loadcnt_dscnt 0x202
	s_delay_alu instid0(VALU_DEP_1) | instskip(SKIP_1) | instid1(VALU_DEP_1)
	v_fma_mix_f32 v26, v36, v46, v26 op_sel_hi:[0,1,0]
	s_wait_loadcnt_dscnt 0x101
	v_fma_mix_f32 v26, v35, v47, v26 op_sel_hi:[0,1,0]
	s_wait_loadcnt_dscnt 0x0
	s_delay_alu instid0(VALU_DEP_1)
	v_fma_mix_f32 v54, v34, v56, v26 op_sel_hi:[0,1,0]
.LBB511_45:                             ;   in Loop: Header=BB511_4 Depth=1
	s_or_b32 exec_lo, exec_lo, s8
	s_wait_loadcnt_dscnt 0x303
	v_fma_mix_f32 v26, v37, v41, v53 op_sel_hi:[0,1,0]
	s_wait_loadcnt_dscnt 0x202
	s_delay_alu instid0(VALU_DEP_1) | instskip(SKIP_1) | instid1(VALU_DEP_1)
	v_fma_mix_f32 v26, v36, v42, v26 op_sel_hi:[0,1,0]
	s_wait_loadcnt_dscnt 0x101
	v_fma_mix_f32 v26, v35, v43, v26 op_sel_hi:[0,1,0]
	s_wait_loadcnt_dscnt 0x0
	s_delay_alu instid0(VALU_DEP_1)
	v_fma_mix_f32 v53, v34, v44, v26 op_sel_hi:[0,1,0]
.LBB511_46:                             ;   in Loop: Header=BB511_4 Depth=1
	s_or_b32 exec_lo, exec_lo, s7
	s_wait_loadcnt_dscnt 0x303
	v_fma_mix_f32 v0, v37, v0, v52 op_sel_hi:[0,1,0]
	s_wait_loadcnt_dscnt 0x202
	s_delay_alu instid0(VALU_DEP_1) | instskip(SKIP_1) | instid1(VALU_DEP_1)
	v_fma_mix_f32 v0, v36, v38, v0 op_sel_hi:[0,1,0]
	s_wait_loadcnt_dscnt 0x101
	v_fma_mix_f32 v0, v35, v39, v0 op_sel_hi:[0,1,0]
	s_wait_loadcnt_dscnt 0x0
	s_delay_alu instid0(VALU_DEP_1)
	v_fma_mix_f32 v52, v34, v40, v0 op_sel_hi:[0,1,0]
.LBB511_47:                             ;   in Loop: Header=BB511_4 Depth=1
	s_or_b32 exec_lo, exec_lo, s48
.LBB511_48:                             ;   in Loop: Header=BB511_4 Depth=1
	ds_store_2addr_b32 v49, v52, v53 offset1:32
	ds_store_2addr_b32 v49, v54, v55 offset0:64 offset1:96
	s_wait_dscnt 0x0
	s_barrier_signal -1
	s_barrier_wait -1
                                        ; implicit-def: $vgpr0
	s_and_saveexec_b32 s7, s5
	s_cbranch_execz .LBB511_54
; %bb.49:                               ;   in Loop: Header=BB511_4 Depth=1
	ds_load_2addr_stride64_b32 v[26:27], v50 offset1:2
	ds_load_2addr_stride64_b32 v[28:29], v50 offset0:4 offset1:6
	ds_load_2addr_stride64_b32 v[30:31], v50 offset0:8 offset1:10
	s_mov_b32 s9, s47
	s_wait_dscnt 0x2
	v_add_f32_e32 v0, v26, v27
	ds_load_2addr_stride64_b32 v[26:27], v50 offset0:12 offset1:14
	s_wait_dscnt 0x2
	v_add_f32_e32 v0, v28, v0
	s_delay_alu instid0(VALU_DEP_1) | instskip(SKIP_3) | instid1(VALU_DEP_1)
	v_add_f32_e32 v0, v29, v0
	ds_load_2addr_stride64_b32 v[28:29], v50 offset0:16 offset1:18
	s_wait_dscnt 0x2
	v_add_f32_e32 v0, v30, v0
	v_add_f32_e32 v0, v31, v0
	ds_load_2addr_stride64_b32 v[30:31], v50 offset0:20 offset1:22
	s_wait_dscnt 0x2
	v_add_f32_e32 v0, v26, v0
	s_delay_alu instid0(VALU_DEP_1) | instskip(SKIP_3) | instid1(VALU_DEP_1)
	v_add_f32_e32 v0, v27, v0
	ds_load_2addr_stride64_b32 v[26:27], v50 offset0:24 offset1:26
	s_wait_dscnt 0x2
	v_add_f32_e32 v0, v28, v0
	v_add_f32_e32 v0, v29, v0
	ds_load_2addr_stride64_b32 v[28:29], v50 offset0:28 offset1:30
	s_wait_dscnt 0x2
	v_add_f32_e32 v0, v30, v0
	s_delay_alu instid0(VALU_DEP_1) | instskip(SKIP_1) | instid1(VALU_DEP_1)
	v_add_f32_e32 v0, v31, v0
	s_wait_dscnt 0x1
	v_add_f32_e32 v0, v26, v0
	s_delay_alu instid0(VALU_DEP_1) | instskip(SKIP_1) | instid1(VALU_DEP_1)
	v_add_f32_e32 v0, v27, v0
	s_wait_dscnt 0x0
	v_add_f32_e32 v0, v28, v0
	s_delay_alu instid0(VALU_DEP_1)
	v_add_f32_e32 v26, v29, v0
                                        ; implicit-def: $vgpr0
	ds_store_b32 v50, v26
	s_and_saveexec_b32 s8, s6
	s_cbranch_execz .LBB511_53
; %bb.50:                               ;   in Loop: Header=BB511_4 Depth=1
	v_mul_f32_e32 v0, v51, v26
	s_cmp_eq_f32 s46, 0
	s_cbranch_scc1 .LBB511_52
; %bb.51:                               ;   in Loop: Header=BB511_4 Depth=1
	v_lshl_add_u64 v[26:27], v[4:5], 2, v[24:25]
	flat_load_b32 v26, v[26:27]
	s_wait_loadcnt_dscnt 0x0
	v_fmac_f32_e32 v0, s46, v26
.LBB511_52:                             ;   in Loop: Header=BB511_4 Depth=1
	s_or_b32 s9, s47, exec_lo
.LBB511_53:                             ;   in Loop: Header=BB511_4 Depth=1
	s_wait_xcnt 0x0
	s_or_b32 exec_lo, exec_lo, s8
	s_delay_alu instid0(SALU_CYCLE_1) | instskip(SKIP_1) | instid1(SALU_CYCLE_1)
	s_and_not1_b32 s8, s47, exec_lo
	s_and_b32 s9, s9, exec_lo
	s_or_b32 s47, s8, s9
.LBB511_54:                             ;   in Loop: Header=BB511_4 Depth=1
	s_or_b32 exec_lo, exec_lo, s7
	v_mov_b64_e32 v[26:27], v[4:5]
	s_and_saveexec_b32 s7, s47
	s_cbranch_execz .LBB511_2
.LBB511_55:                             ;   in Loop: Header=BB511_4 Depth=1
	s_delay_alu instid0(VALU_DEP_1)
	v_lshl_add_u64 v[24:25], v[26:27], 2, v[24:25]
	flat_store_b32 v[24:25], v0
	s_branch .LBB511_2
.LBB511_56:
	s_sendmsg sendmsg(MSG_DEALLOC_VGPRS)
	s_endpgm
	.section	.rodata,"a",@progbits
	.p2align	6, 0x0
	.amdhsa_kernel _ZL20rocblas_gemvn_kernelILi32ELi16ElPKDF16_PKfKPfEviiT3_lPKT2_lT1_lS9_lSA_lS6_lPT4_lSA_li
		.amdhsa_group_segment_fixed_size 8192
		.amdhsa_private_segment_fixed_size 0
		.amdhsa_kernarg_size 400
		.amdhsa_user_sgpr_count 2
		.amdhsa_user_sgpr_dispatch_ptr 0
		.amdhsa_user_sgpr_queue_ptr 0
		.amdhsa_user_sgpr_kernarg_segment_ptr 1
		.amdhsa_user_sgpr_dispatch_id 0
		.amdhsa_user_sgpr_kernarg_preload_length 0
		.amdhsa_user_sgpr_kernarg_preload_offset 0
		.amdhsa_user_sgpr_private_segment_size 0
		.amdhsa_wavefront_size32 1
		.amdhsa_uses_dynamic_stack 0
		.amdhsa_enable_private_segment 0
		.amdhsa_system_sgpr_workgroup_id_x 1
		.amdhsa_system_sgpr_workgroup_id_y 0
		.amdhsa_system_sgpr_workgroup_id_z 1
		.amdhsa_system_sgpr_workgroup_info 0
		.amdhsa_system_vgpr_workitem_id 1
		.amdhsa_next_free_vgpr 80
		.amdhsa_next_free_sgpr 51
		.amdhsa_named_barrier_count 0
		.amdhsa_reserve_vcc 1
		.amdhsa_float_round_mode_32 0
		.amdhsa_float_round_mode_16_64 0
		.amdhsa_float_denorm_mode_32 3
		.amdhsa_float_denorm_mode_16_64 3
		.amdhsa_fp16_overflow 0
		.amdhsa_memory_ordered 1
		.amdhsa_forward_progress 1
		.amdhsa_inst_pref_size 25
		.amdhsa_round_robin_scheduling 0
		.amdhsa_exception_fp_ieee_invalid_op 0
		.amdhsa_exception_fp_denorm_src 0
		.amdhsa_exception_fp_ieee_div_zero 0
		.amdhsa_exception_fp_ieee_overflow 0
		.amdhsa_exception_fp_ieee_underflow 0
		.amdhsa_exception_fp_ieee_inexact 0
		.amdhsa_exception_int_div_zero 0
	.end_amdhsa_kernel
	.section	.text._ZL20rocblas_gemvn_kernelILi32ELi16ElPKDF16_PKfKPfEviiT3_lPKT2_lT1_lS9_lSA_lS6_lPT4_lSA_li,"axG",@progbits,_ZL20rocblas_gemvn_kernelILi32ELi16ElPKDF16_PKfKPfEviiT3_lPKT2_lT1_lS9_lSA_lS6_lPT4_lSA_li,comdat
.Lfunc_end511:
	.size	_ZL20rocblas_gemvn_kernelILi32ELi16ElPKDF16_PKfKPfEviiT3_lPKT2_lT1_lS9_lSA_lS6_lPT4_lSA_li, .Lfunc_end511-_ZL20rocblas_gemvn_kernelILi32ELi16ElPKDF16_PKfKPfEviiT3_lPKT2_lT1_lS9_lSA_lS6_lPT4_lSA_li
                                        ; -- End function
	.set _ZL20rocblas_gemvn_kernelILi32ELi16ElPKDF16_PKfKPfEviiT3_lPKT2_lT1_lS9_lSA_lS6_lPT4_lSA_li.num_vgpr, 80
	.set _ZL20rocblas_gemvn_kernelILi32ELi16ElPKDF16_PKfKPfEviiT3_lPKT2_lT1_lS9_lSA_lS6_lPT4_lSA_li.num_agpr, 0
	.set _ZL20rocblas_gemvn_kernelILi32ELi16ElPKDF16_PKfKPfEviiT3_lPKT2_lT1_lS9_lSA_lS6_lPT4_lSA_li.numbered_sgpr, 51
	.set _ZL20rocblas_gemvn_kernelILi32ELi16ElPKDF16_PKfKPfEviiT3_lPKT2_lT1_lS9_lSA_lS6_lPT4_lSA_li.num_named_barrier, 0
	.set _ZL20rocblas_gemvn_kernelILi32ELi16ElPKDF16_PKfKPfEviiT3_lPKT2_lT1_lS9_lSA_lS6_lPT4_lSA_li.private_seg_size, 0
	.set _ZL20rocblas_gemvn_kernelILi32ELi16ElPKDF16_PKfKPfEviiT3_lPKT2_lT1_lS9_lSA_lS6_lPT4_lSA_li.uses_vcc, 1
	.set _ZL20rocblas_gemvn_kernelILi32ELi16ElPKDF16_PKfKPfEviiT3_lPKT2_lT1_lS9_lSA_lS6_lPT4_lSA_li.uses_flat_scratch, 1
	.set _ZL20rocblas_gemvn_kernelILi32ELi16ElPKDF16_PKfKPfEviiT3_lPKT2_lT1_lS9_lSA_lS6_lPT4_lSA_li.has_dyn_sized_stack, 0
	.set _ZL20rocblas_gemvn_kernelILi32ELi16ElPKDF16_PKfKPfEviiT3_lPKT2_lT1_lS9_lSA_lS6_lPT4_lSA_li.has_recursion, 0
	.set _ZL20rocblas_gemvn_kernelILi32ELi16ElPKDF16_PKfKPfEviiT3_lPKT2_lT1_lS9_lSA_lS6_lPT4_lSA_li.has_indirect_call, 0
	.section	.AMDGPU.csdata,"",@progbits
; Kernel info:
; codeLenInByte = 3080
; TotalNumSgprs: 53
; NumVgprs: 80
; ScratchSize: 0
; MemoryBound: 0
; FloatMode: 240
; IeeeMode: 1
; LDSByteSize: 8192 bytes/workgroup (compile time only)
; SGPRBlocks: 0
; VGPRBlocks: 4
; NumSGPRsForWavesPerEU: 53
; NumVGPRsForWavesPerEU: 80
; NamedBarCnt: 0
; Occupancy: 12
; WaveLimiterHint : 1
; COMPUTE_PGM_RSRC2:SCRATCH_EN: 0
; COMPUTE_PGM_RSRC2:USER_SGPR: 2
; COMPUTE_PGM_RSRC2:TRAP_HANDLER: 0
; COMPUTE_PGM_RSRC2:TGID_X_EN: 1
; COMPUTE_PGM_RSRC2:TGID_Y_EN: 0
; COMPUTE_PGM_RSRC2:TGID_Z_EN: 1
; COMPUTE_PGM_RSRC2:TIDIG_COMP_CNT: 1
	.section	.text._ZL20rocblas_gemvn_kernelILi32ELi16EiPKDF16_fKPfEviiT3_lPKT2_lT1_lS7_lS8_lS4_lPT4_lS8_li,"axG",@progbits,_ZL20rocblas_gemvn_kernelILi32ELi16EiPKDF16_fKPfEviiT3_lPKT2_lT1_lS7_lS8_lS4_lPT4_lS8_li,comdat
	.globl	_ZL20rocblas_gemvn_kernelILi32ELi16EiPKDF16_fKPfEviiT3_lPKT2_lT1_lS7_lS8_lS4_lPT4_lS8_li ; -- Begin function _ZL20rocblas_gemvn_kernelILi32ELi16EiPKDF16_fKPfEviiT3_lPKT2_lT1_lS7_lS8_lS4_lPT4_lS8_li
	.p2align	8
	.type	_ZL20rocblas_gemvn_kernelILi32ELi16EiPKDF16_fKPfEviiT3_lPKT2_lT1_lS7_lS8_lS4_lPT4_lS8_li,@function
_ZL20rocblas_gemvn_kernelILi32ELi16EiPKDF16_fKPfEviiT3_lPKT2_lT1_lS7_lS8_lS4_lPT4_lS8_li: ; @_ZL20rocblas_gemvn_kernelILi32ELi16EiPKDF16_fKPfEviiT3_lPKT2_lT1_lS7_lS8_lS4_lPT4_lS8_li
; %bb.0:
	s_clause 0x1
	s_load_b64 s[2:3], s[0:1], 0x9c
	s_load_b32 s23, s[0:1], 0x88
	s_bfe_u32 s4, ttmp6, 0x40014
	s_lshr_b32 s5, ttmp7, 16
	s_add_co_i32 s4, s4, 1
	s_bfe_u32 s6, ttmp6, 0x40008
	s_mul_i32 s7, s5, s4
	s_getreg_b32 s4, hwreg(HW_REG_IB_STS2, 6, 4)
	s_add_co_i32 s6, s6, s7
	s_mov_b32 s25, 0
	s_wait_kmcnt 0x0
	s_lshr_b32 s7, s2, 16
	s_and_b32 s2, s2, 0xffff
	s_and_b32 s3, s3, 0xffff
	s_mul_i32 s2, s7, s2
	s_cmp_eq_u32 s4, 0
	s_mul_i32 s2, s2, s3
	s_cselect_b32 s24, s5, s6
	s_cmp_lg_u32 s2, 0x200
	s_cselect_b32 s2, -1, 0
	s_cmp_ge_u32 s24, s23
	s_cselect_b32 s3, -1, 0
	s_delay_alu instid0(SALU_CYCLE_1) | instskip(NEXT) | instid1(SALU_CYCLE_1)
	s_or_b32 s2, s2, s3
	s_and_b32 vcc_lo, exec_lo, s2
	s_cbranch_vccnz .LBB512_58
; %bb.1:
	s_clause 0x7
	s_load_b32 s2, s[0:1], 0x78
	s_load_b96 s[20:22], s[0:1], 0x0
	s_load_b32 s26, s[0:1], 0x58
	s_load_b128 s[8:11], s[0:1], 0x68
	s_load_b32 s27, s[0:1], 0x28
	s_load_b128 s[12:15], s[0:1], 0x38
	;; [unrolled: 2-line block ×3, first 2 shown]
	v_and_b32_e32 v6, 0x3ff, v0
	v_bfe_u32 v7, v0, 10, 10
	s_delay_alu instid0(VALU_DEP_2) | instskip(NEXT) | instid1(VALU_DEP_2)
	v_dual_mov_b32 v1, 0 :: v_dual_lshlrev_b32 v0, 2, v6
	v_lshl_add_u32 v2, v7, 5, v6
	s_delay_alu instid0(VALU_DEP_2)
	v_lshl_add_u32 v23, v7, 9, v0
	v_lshl_add_u32 v24, v7, 7, v0
	s_wait_kmcnt 0x0
	s_ashr_i32 s3, s2, 31
	s_cmp_eq_f32 s22, 0
	v_cmp_gt_u32_e64 s0, 0x80, v2
	s_mov_b32 s6, s20
	s_cselect_b32 s29, -1, 0
	s_cmp_neq_f32 s26, 1.0
	s_cselect_b32 s1, -1, 0
	s_cmp_neq_f32 s22, 0
	s_cselect_b32 s5, -1, 0
	s_bfe_u32 s7, ttmp6, 0x4000c
	s_and_b32 s31, ttmp6, 15
	s_add_co_i32 s7, s7, 1
	s_or_b32 s30, s5, s1
	s_mul_i32 s7, ttmp9, s7
	v_cndmask_b32_e64 v25, 0, 1, s5
	s_add_co_i32 s31, s31, s7
	s_cmp_eq_u32 s4, 0
	s_cselect_b32 s1, ttmp9, s31
	s_ashr_i32 s7, s20, 31
	s_lshl_b32 s31, s1, 7
	s_delay_alu instid0(SALU_CYCLE_1) | instskip(SKIP_3) | instid1(VALU_DEP_3)
	v_dual_lshlrev_b32 v22, 2, v7 :: v_dual_add_nc_u32 v0, s31, v2
	v_add_nc_u32_e32 v26, s31, v6
	v_or_b32_e32 v5, s31, v2
	s_cmp_neq_f32 s26, 0
	v_mul_lo_u32 v9, s27, v22
	v_mul_u64_e32 v[2:3], s[2:3], v[0:1]
	v_add_nc_u32_e32 v10, 64, v26
	v_mul_lo_u32 v4, s2, v5
	v_or_b32_e32 v8, 2, v22
	s_cselect_b32 s33, -1, 0
	s_ashr_i32 s1, s21, 31
	v_cmp_gt_i32_e64 s4, s20, v10
	v_mul_lo_u32 v10, v7, s27
	v_mul_lo_u32 v7, v7, s28
	s_lshr_b32 s3, s1, 26
	v_cmp_gt_i32_e64 s2, s20, v5
	s_add_co_i32 s34, s21, s3
	v_cmp_gt_i64_e32 vcc_lo, s[6:7], v[0:1]
	v_ashrrev_i32_e32 v5, 31, v4
	v_mad_u32 v27, s27, v8, v6
	v_mul_lo_u32 v29, s28, v8
	s_and_not1_b32 s34, s34, 63
	s_delay_alu instid0(SALU_CYCLE_1)
	s_sub_co_i32 s6, s21, s34
	v_lshlrev_b32_e32 v32, 2, v7
	v_add_nc_u32_e32 v11, 0x60, v26
	v_add_nc_u32_e32 v0, 32, v26
	v_cmp_gt_i32_e64 s1, s20, v26
	s_cmp_gt_i32 s6, 0
	v_cmp_gt_i32_e64 s6, s34, v22
	v_cmp_gt_i32_e64 s5, s20, v11
	v_or_b32_e32 v11, 3, v22
	v_cmp_gt_i32_e64 s3, s20, v0
	v_add3_u32 v0, v9, s27, v6
	v_lshl_add_u32 v31, v10, 2, v6
	s_cselect_b32 s20, -1, 0
	v_mad_u32 v28, s27, v11, v6
	v_mul_lo_u32 v30, s28, v11
	s_and_b32 s35, s0, vcc_lo
	s_lshl_b32 s36, s27, 6
	s_lshl_b32 s37, s28, 6
	s_lshl_b64 s[18:19], s[18:19], 1
	s_lshl_b64 s[14:15], s[14:15], 1
	;; [unrolled: 1-line block ×3, first 2 shown]
	s_branch .LBB512_4
.LBB512_2:                              ;   in Loop: Header=BB512_4 Depth=1
	s_wait_xcnt 0x0
	s_or_b32 exec_lo, exec_lo, s7
.LBB512_3:                              ;   in Loop: Header=BB512_4 Depth=1
	s_add_co_i32 s24, s24, 0x10000
	s_delay_alu instid0(SALU_CYCLE_1)
	s_cmp_lt_u32 s24, s23
	s_cbranch_scc0 .LBB512_58
.LBB512_4:                              ; =>This Loop Header: Depth=1
                                        ;     Child Loop BB512_26 Depth 2
	s_and_not1_b32 vcc_lo, exec_lo, s30
	s_cbranch_vccnz .LBB512_3
; %bb.5:                                ;   in Loop: Header=BB512_4 Depth=1
	s_and_not1_b32 vcc_lo, exec_lo, s29
	s_cbranch_vccnz .LBB512_7
; %bb.6:                                ;   in Loop: Header=BB512_4 Depth=1
	v_mov_b64_e32 v[10:11], 0
	v_mov_b64_e32 v[8:9], 0
	s_cbranch_execz .LBB512_8
	s_branch .LBB512_9
.LBB512_7:                              ;   in Loop: Header=BB512_4 Depth=1
	v_mov_b64_e32 v[10:11], 0
	v_mov_b64_e32 v[8:9], 0
.LBB512_8:                              ;   in Loop: Header=BB512_4 Depth=1
	s_lshl_b64 s[38:39], s[24:25], 3
	s_delay_alu instid0(SALU_CYCLE_1)
	s_add_nc_u64 s[38:39], s[16:17], s[38:39]
	global_load_b64 v[6:7], v1, s[38:39]
	s_wait_loadcnt 0x0
	v_add_nc_u64_e32 v[8:9], s[18:19], v[6:7]
.LBB512_9:                              ;   in Loop: Header=BB512_4 Depth=1
	v_cmp_ne_u32_e32 vcc_lo, 1, v25
	s_cbranch_vccnz .LBB512_11
; %bb.10:                               ;   in Loop: Header=BB512_4 Depth=1
	s_wait_xcnt 0x0
	s_lshl_b64 s[38:39], s[24:25], 3
	s_delay_alu instid0(SALU_CYCLE_1)
	s_add_nc_u64 s[38:39], s[12:13], s[38:39]
	global_load_b64 v[6:7], v1, s[38:39]
	s_wait_loadcnt 0x0
	v_add_nc_u64_e32 v[10:11], s[14:15], v[6:7]
.LBB512_11:                             ;   in Loop: Header=BB512_4 Depth=1
	s_wait_xcnt 0x0
	s_lshl_b64 s[38:39], s[24:25], 3
	s_and_not1_b32 vcc_lo, exec_lo, s29
	s_add_nc_u64 s[38:39], s[8:9], s[38:39]
	global_load_b64 v[6:7], v1, s[38:39]
	s_wait_loadcnt 0x0
	v_add_nc_u64_e32 v[6:7], s[10:11], v[6:7]
	s_cbranch_vccnz .LBB512_15
; %bb.12:                               ;   in Loop: Header=BB512_4 Depth=1
	s_mov_b32 s7, 0
	s_wait_xcnt 0x0
	s_mov_b32 s38, 0
                                        ; implicit-def: $vgpr12
	s_and_saveexec_b32 s39, s35
	s_cbranch_execz .LBB512_16
; %bb.13:                               ;   in Loop: Header=BB512_4 Depth=1
	s_and_not1_b32 vcc_lo, exec_lo, s33
	s_cbranch_vccnz .LBB512_18
; %bb.14:                               ;   in Loop: Header=BB512_4 Depth=1
	v_lshl_add_u64 v[12:13], v[2:3], 2, v[6:7]
	flat_load_b32 v12, v[12:13]
	s_wait_loadcnt_dscnt 0x0
	s_wait_xcnt 0x0
	v_mul_f32_e32 v12, s26, v12
	s_branch .LBB512_19
.LBB512_15:                             ;   in Loop: Header=BB512_4 Depth=1
	s_wait_xcnt 0x0
	s_mov_b32 s38, 0
                                        ; implicit-def: $vgpr12
	s_cbranch_execz .LBB512_17
	s_branch .LBB512_20
.LBB512_16:                             ;   in Loop: Header=BB512_4 Depth=1
	s_or_b32 exec_lo, exec_lo, s39
	s_delay_alu instid0(SALU_CYCLE_1)
	s_and_b32 vcc_lo, exec_lo, s7
	s_cbranch_vccnz .LBB512_20
.LBB512_17:                             ;   in Loop: Header=BB512_4 Depth=1
	v_mov_b64_e32 v[8:9], v[2:3]
	s_and_saveexec_b32 s7, s38
	s_cbranch_execz .LBB512_2
	s_branch .LBB512_57
.LBB512_18:                             ;   in Loop: Header=BB512_4 Depth=1
	v_mov_b32_e32 v12, 0
.LBB512_19:                             ;   in Loop: Header=BB512_4 Depth=1
	s_mov_b32 s38, exec_lo
	s_or_b32 exec_lo, exec_lo, s39
	s_delay_alu instid0(SALU_CYCLE_1)
	s_and_b32 vcc_lo, exec_lo, s7
	s_cbranch_vccz .LBB512_17
.LBB512_20:                             ;   in Loop: Header=BB512_4 Depth=1
	v_dual_mov_b32 v33, 0 :: v_dual_mov_b32 v37, v22
	v_dual_mov_b32 v34, 0 :: v_dual_mov_b32 v35, 0
	v_mov_b32_e32 v36, 0
	s_and_saveexec_b32 s7, s6
	s_cbranch_execz .LBB512_32
; %bb.21:                               ;   in Loop: Header=BB512_4 Depth=1
	v_dual_mov_b32 v33, 0 :: v_dual_mov_b32 v38, v31
	v_dual_mov_b32 v39, v28 :: v_dual_mov_b32 v40, v27
	;; [unrolled: 1-line block ×4, first 2 shown]
	v_mov_b32_e32 v36, 0
	s_mov_b32 s39, 0
	s_mov_b32 s40, 0
	s_branch .LBB512_26
.LBB512_22:                             ;   in Loop: Header=BB512_26 Depth=2
	s_wait_xcnt 0x0
	s_or_b32 exec_lo, exec_lo, s44
	s_wait_loadcnt_dscnt 0x303
	v_fma_mix_f32 v12, v52, v56, v35 op_sel_hi:[0,1,0]
	s_wait_loadcnt_dscnt 0x202
	s_delay_alu instid0(VALU_DEP_1) | instskip(SKIP_1) | instid1(VALU_DEP_1)
	v_fma_mix_f32 v12, v53, v57, v12 op_sel_hi:[0,1,0]
	s_wait_loadcnt_dscnt 0x101
	v_fma_mix_f32 v12, v54, v58, v12 op_sel_hi:[0,1,0]
	s_wait_loadcnt_dscnt 0x0
	s_delay_alu instid0(VALU_DEP_1)
	v_fma_mix_f32 v35, v55, v59, v12 op_sel_hi:[0,1,0]
.LBB512_23:                             ;   in Loop: Header=BB512_26 Depth=2
	s_or_b32 exec_lo, exec_lo, s43
	s_wait_loadcnt_dscnt 0x303
	v_fma_mix_f32 v12, v52, v18, v34 op_sel_hi:[0,1,0]
	s_wait_loadcnt_dscnt 0x202
	s_delay_alu instid0(VALU_DEP_1) | instskip(SKIP_1) | instid1(VALU_DEP_1)
	v_fma_mix_f32 v12, v53, v19, v12 op_sel_hi:[0,1,0]
	s_wait_loadcnt_dscnt 0x101
	v_fma_mix_f32 v12, v54, v50, v12 op_sel_hi:[0,1,0]
	s_wait_loadcnt_dscnt 0x0
	s_delay_alu instid0(VALU_DEP_1)
	v_fma_mix_f32 v34, v55, v51, v12 op_sel_hi:[0,1,0]
.LBB512_24:                             ;   in Loop: Header=BB512_26 Depth=2
	s_or_b32 exec_lo, exec_lo, s42
	s_wait_loadcnt_dscnt 0x303
	v_fma_mix_f32 v12, v42, v46, v33 op_sel_hi:[1,1,0]
	s_wait_loadcnt_dscnt 0x202
	s_delay_alu instid0(VALU_DEP_1) | instskip(SKIP_1) | instid1(VALU_DEP_1)
	v_fma_mix_f32 v12, v43, v47, v12 op_sel_hi:[1,1,0]
	s_wait_loadcnt_dscnt 0x101
	v_fma_mix_f32 v12, v44, v48, v12 op_sel_hi:[1,1,0]
	s_wait_loadcnt_dscnt 0x0
	s_delay_alu instid0(VALU_DEP_1)
	v_fma_mix_f32 v33, v45, v49, v12 op_sel_hi:[1,1,0]
.LBB512_25:                             ;   in Loop: Header=BB512_26 Depth=2
	s_or_b32 exec_lo, exec_lo, s41
	v_dual_add_nc_u32 v37, 64, v37 :: v_dual_add_nc_u32 v40, s36, v40
	v_dual_add_nc_u32 v41, s36, v41 :: v_dual_add_nc_u32 v39, s36, v39
	v_add_nc_u32_e32 v38, s36, v38
	s_delay_alu instid0(VALU_DEP_3) | instskip(SKIP_2) | instid1(SALU_CYCLE_1)
	v_cmp_le_i32_e32 vcc_lo, s34, v37
	s_add_co_i32 s40, s40, s37
	s_or_b32 s39, vcc_lo, s39
	s_and_not1_b32 exec_lo, exec_lo, s39
	s_cbranch_execz .LBB512_31
.LBB512_26:                             ;   Parent Loop BB512_4 Depth=1
                                        ; =>  This Inner Loop Header: Depth=2
	s_and_saveexec_b32 s41, s1
	s_cbranch_execz .LBB512_25
; %bb.27:                               ;   in Loop: Header=BB512_26 Depth=2
	v_mad_u32 v13, s28, v22, s28
	v_dual_add_nc_u32 v15, s40, v32 :: v_dual_add_nc_u32 v17, s40, v29
	v_readfirstlane_b32 s42, v10
	v_readfirstlane_b32 s43, v11
	v_add_nc_u32_e32 v19, s40, v30
	v_dual_add_nc_u32 v12, s31, v38 :: v_dual_add_nc_u32 v14, s31, v41
	v_readfirstlane_b32 s44, v8
	v_readfirstlane_b32 s45, v9
	v_dual_add_nc_u32 v18, s31, v40 :: v_dual_add_nc_u32 v16, s31, v39
	v_add_nc_u32_e32 v13, s40, v13
	s_clause 0x3
	flat_load_u16 v42, v15, s[42:43] scale_offset
	flat_load_u16 v43, v13, s[42:43] scale_offset
	;; [unrolled: 1-line block ×4, first 2 shown]
	s_clause 0x3
	flat_load_u16 v46, v12, s[44:45] scale_offset
	flat_load_u16 v47, v14, s[44:45] scale_offset
	flat_load_u16 v48, v18, s[44:45] scale_offset
	flat_load_u16 v49, v16, s[44:45] scale_offset
	s_wait_xcnt 0x0
	s_and_saveexec_b32 s42, s3
	s_cbranch_execz .LBB512_24
; %bb.28:                               ;   in Loop: Header=BB512_26 Depth=2
	v_dual_ashrrev_i32 v13, 31, v12 :: v_dual_ashrrev_i32 v15, 31, v14
	v_dual_ashrrev_i32 v19, 31, v18 :: v_dual_ashrrev_i32 v17, 31, v16
	s_wait_loadcnt_dscnt 0x707
	v_cvt_f32_f16_e32 v52, v42
	s_delay_alu instid0(VALU_DEP_3)
	v_lshl_add_u64 v[20:21], v[12:13], 1, v[8:9]
	v_lshl_add_u64 v[12:13], v[14:15], 1, v[8:9]
	;; [unrolled: 1-line block ×4, first 2 shown]
	s_wait_loadcnt_dscnt 0x606
	v_cvt_f32_f16_e32 v53, v43
	s_clause 0x3
	flat_load_u16 v18, v[20:21] offset:64
	flat_load_u16 v19, v[12:13] offset:64
	;; [unrolled: 1-line block ×4, first 2 shown]
	s_wait_loadcnt_dscnt 0x909
	v_cvt_f32_f16_e32 v54, v44
	s_wait_loadcnt_dscnt 0x808
	v_cvt_f32_f16_e32 v55, v45
	s_wait_xcnt 0x0
	s_and_saveexec_b32 s43, s4
	s_cbranch_execz .LBB512_23
; %bb.29:                               ;   in Loop: Header=BB512_26 Depth=2
	s_clause 0x3
	flat_load_u16 v56, v[20:21] offset:128
	flat_load_u16 v57, v[12:13] offset:128
	;; [unrolled: 1-line block ×4, first 2 shown]
	s_wait_xcnt 0x0
	s_and_saveexec_b32 s44, s5
	s_cbranch_execz .LBB512_22
; %bb.30:                               ;   in Loop: Header=BB512_26 Depth=2
	s_clause 0x3
	flat_load_u16 v60, v[20:21] offset:192
	flat_load_u16 v61, v[12:13] offset:192
	;; [unrolled: 1-line block ×4, first 2 shown]
	s_wait_loadcnt_dscnt 0x303
	s_wait_xcnt 0x2
	v_fma_mix_f32 v12, v52, v60, v36 op_sel_hi:[0,1,0]
	s_wait_loadcnt_dscnt 0x202
	s_delay_alu instid0(VALU_DEP_1) | instskip(SKIP_1) | instid1(VALU_DEP_1)
	v_fma_mix_f32 v12, v53, v61, v12 op_sel_hi:[0,1,0]
	s_wait_loadcnt_dscnt 0x101
	v_fma_mix_f32 v12, v54, v62, v12 op_sel_hi:[0,1,0]
	s_wait_loadcnt_dscnt 0x0
	s_delay_alu instid0(VALU_DEP_1)
	v_fma_mix_f32 v36, v55, v63, v12 op_sel_hi:[0,1,0]
	s_branch .LBB512_22
.LBB512_31:                             ;   in Loop: Header=BB512_4 Depth=1
	s_or_b32 exec_lo, exec_lo, s39
.LBB512_32:                             ;   in Loop: Header=BB512_4 Depth=1
	s_delay_alu instid0(SALU_CYCLE_1) | instskip(NEXT) | instid1(SALU_CYCLE_1)
	s_or_b32 exec_lo, exec_lo, s7
	s_and_not1_b32 vcc_lo, exec_lo, s20
	s_cbranch_vccnz .LBB512_50
; %bb.33:                               ;   in Loop: Header=BB512_4 Depth=1
	v_cmp_gt_i32_e32 vcc_lo, s21, v37
	v_dual_mov_b32 v18, 0 :: v_dual_bitop2_b32 v12, 1, v37 bitop3:0x54
	v_dual_mov_b32 v19, 0 :: v_dual_mov_b32 v20, 0
	v_mov_b32_e32 v21, 0
	s_and_saveexec_b32 s39, vcc_lo
	s_cbranch_execz .LBB512_41
; %bb.34:                               ;   in Loop: Header=BB512_4 Depth=1
	v_mul_lo_u32 v13, v37, s28
	v_readfirstlane_b32 s40, v10
	v_readfirstlane_b32 s41, v11
	v_dual_mov_b32 v20, 0 :: v_dual_mov_b32 v19, 0
	v_mov_b32_e32 v18, 0
	flat_load_u16 v13, v13, s[40:41] scale_offset
	s_wait_xcnt 0x0
	s_mov_b32 s40, exec_lo
	v_cmpx_gt_i32_e64 s21, v12
	s_cbranch_execz .LBB512_40
; %bb.35:                               ;   in Loop: Header=BB512_4 Depth=1
	v_mul_lo_u32 v14, v12, s28
	v_readfirstlane_b32 s42, v10
	v_readfirstlane_b32 s43, v11
	v_dual_mov_b32 v19, 0 :: v_dual_bitop2_b32 v15, 2, v37 bitop3:0x54
	v_mov_b32_e32 v18, 0
	s_mov_b32 s41, exec_lo
	flat_load_u16 v14, v14, s[42:43] scale_offset
	s_wait_xcnt 0x0
	v_cmpx_gt_i32_e64 s21, v15
	s_cbranch_execz .LBB512_39
; %bb.36:                               ;   in Loop: Header=BB512_4 Depth=1
	v_mul_lo_u32 v15, v15, s28
	v_readfirstlane_b32 s42, v10
	v_readfirstlane_b32 s43, v11
	v_dual_mov_b32 v18, 0 :: v_dual_bitop2_b32 v16, 3, v37 bitop3:0x54
	flat_load_u16 v15, v15, s[42:43] scale_offset
	s_wait_xcnt 0x0
	s_mov_b32 s42, exec_lo
	v_cmpx_gt_i32_e64 s21, v16
	s_cbranch_execz .LBB512_38
; %bb.37:                               ;   in Loop: Header=BB512_4 Depth=1
	v_mul_lo_u32 v16, v16, s28
	v_readfirstlane_b32 s44, v10
	v_readfirstlane_b32 s45, v11
	flat_load_u16 v10, v16, s[44:45] scale_offset
	s_wait_loadcnt_dscnt 0x0
	v_cvt_f32_f16_e32 v18, v10
.LBB512_38:                             ;   in Loop: Header=BB512_4 Depth=1
	s_wait_xcnt 0x0
	s_or_b32 exec_lo, exec_lo, s42
	s_wait_loadcnt_dscnt 0x0
	v_cvt_f32_f16_e32 v19, v15
.LBB512_39:                             ;   in Loop: Header=BB512_4 Depth=1
	s_or_b32 exec_lo, exec_lo, s41
	s_wait_loadcnt_dscnt 0x0
	v_cvt_f32_f16_e32 v20, v14
.LBB512_40:                             ;   in Loop: Header=BB512_4 Depth=1
	s_or_b32 exec_lo, exec_lo, s40
	s_wait_loadcnt_dscnt 0x0
	v_cvt_f32_f16_e32 v21, v13
.LBB512_41:                             ;   in Loop: Header=BB512_4 Depth=1
	s_or_b32 exec_lo, exec_lo, s39
	s_and_saveexec_b32 s7, s1
	s_cbranch_execz .LBB512_49
; %bb.42:                               ;   in Loop: Header=BB512_4 Depth=1
	v_mul_lo_u32 v11, v37, s27
	v_mul_lo_u32 v14, v12, s27
	v_or_b32_e32 v10, 2, v37
	v_readfirstlane_b32 s40, v8
	v_readfirstlane_b32 s41, v9
	v_cndmask_b32_e32 v11, 0, v11, vcc_lo
	s_delay_alu instid0(VALU_DEP_4) | instskip(SKIP_2) | instid1(VALU_DEP_1)
	v_mul_lo_u32 v15, v10, s27
	v_cmp_gt_i32_e32 vcc_lo, s21, v12
	v_dual_cndmask_b32 v12, 0, v14, vcc_lo :: v_dual_bitop2_b32 v13, 3, v37 bitop3:0x54
	v_mul_lo_u32 v16, v13, s27
	v_cmp_gt_i32_e32 vcc_lo, s21, v10
	s_delay_alu instid0(VALU_DEP_3) | instskip(SKIP_2) | instid1(VALU_DEP_2)
	v_dual_add_nc_u32 v10, v11, v26 :: v_dual_add_nc_u32 v12, v12, v26
	v_cndmask_b32_e32 v14, 0, v15, vcc_lo
	v_cmp_gt_i32_e32 vcc_lo, s21, v13
	v_dual_cndmask_b32 v13, 0, v16 :: v_dual_add_nc_u32 v14, v14, v26
	s_delay_alu instid0(VALU_DEP_1)
	v_add_nc_u32_e32 v16, v13, v26
	s_clause 0x3
	flat_load_u16 v37, v10, s[40:41] scale_offset
	flat_load_u16 v38, v12, s[40:41] scale_offset
	;; [unrolled: 1-line block ×4, first 2 shown]
	s_wait_xcnt 0x0
	s_and_saveexec_b32 s39, s3
	s_cbranch_execz .LBB512_48
; %bb.43:                               ;   in Loop: Header=BB512_4 Depth=1
	v_dual_ashrrev_i32 v11, 31, v10 :: v_dual_ashrrev_i32 v13, 31, v12
	v_dual_ashrrev_i32 v15, 31, v14 :: v_dual_ashrrev_i32 v17, 31, v16
	s_delay_alu instid0(VALU_DEP_2) | instskip(NEXT) | instid1(VALU_DEP_3)
	v_lshl_add_u64 v[10:11], v[10:11], 1, v[8:9]
	v_lshl_add_u64 v[12:13], v[12:13], 1, v[8:9]
	s_delay_alu instid0(VALU_DEP_3) | instskip(NEXT) | instid1(VALU_DEP_4)
	v_lshl_add_u64 v[14:15], v[14:15], 1, v[8:9]
	v_lshl_add_u64 v[8:9], v[16:17], 1, v[8:9]
	s_clause 0x3
	flat_load_u16 v16, v[10:11] offset:64
	flat_load_u16 v17, v[12:13] offset:64
	;; [unrolled: 1-line block ×4, first 2 shown]
	s_wait_xcnt 0x0
	s_and_saveexec_b32 s40, s4
	s_cbranch_execz .LBB512_47
; %bb.44:                               ;   in Loop: Header=BB512_4 Depth=1
	s_clause 0x3
	flat_load_u16 v43, v[10:11] offset:128
	flat_load_u16 v44, v[12:13] offset:128
	;; [unrolled: 1-line block ×4, first 2 shown]
	s_wait_xcnt 0x0
	s_and_saveexec_b32 s41, s5
	s_cbranch_execz .LBB512_46
; %bb.45:                               ;   in Loop: Header=BB512_4 Depth=1
	s_clause 0x3
	flat_load_u16 v47, v[10:11] offset:192
	flat_load_u16 v48, v[12:13] offset:192
	;; [unrolled: 1-line block ×4, first 2 shown]
	s_wait_loadcnt_dscnt 0x303
	s_wait_xcnt 0x0
	v_fma_mix_f32 v8, v21, v47, v36 op_sel_hi:[0,1,0]
	s_wait_loadcnt_dscnt 0x202
	s_delay_alu instid0(VALU_DEP_1) | instskip(SKIP_1) | instid1(VALU_DEP_1)
	v_fma_mix_f32 v8, v20, v48, v8 op_sel_hi:[0,1,0]
	s_wait_loadcnt_dscnt 0x101
	v_fma_mix_f32 v8, v19, v49, v8 op_sel_hi:[0,1,0]
	s_wait_loadcnt_dscnt 0x0
	s_delay_alu instid0(VALU_DEP_1)
	v_fma_mix_f32 v36, v18, v50, v8 op_sel_hi:[0,1,0]
.LBB512_46:                             ;   in Loop: Header=BB512_4 Depth=1
	s_or_b32 exec_lo, exec_lo, s41
	s_wait_loadcnt_dscnt 0x303
	v_fma_mix_f32 v8, v21, v43, v35 op_sel_hi:[0,1,0]
	s_wait_loadcnt_dscnt 0x202
	s_delay_alu instid0(VALU_DEP_1) | instskip(SKIP_1) | instid1(VALU_DEP_1)
	v_fma_mix_f32 v8, v20, v44, v8 op_sel_hi:[0,1,0]
	s_wait_loadcnt_dscnt 0x101
	v_fma_mix_f32 v8, v19, v45, v8 op_sel_hi:[0,1,0]
	s_wait_loadcnt_dscnt 0x0
	s_delay_alu instid0(VALU_DEP_1)
	v_fma_mix_f32 v35, v18, v46, v8 op_sel_hi:[0,1,0]
.LBB512_47:                             ;   in Loop: Header=BB512_4 Depth=1
	s_or_b32 exec_lo, exec_lo, s40
	s_wait_loadcnt_dscnt 0x303
	v_fma_mix_f32 v8, v21, v16, v34 op_sel_hi:[0,1,0]
	s_wait_loadcnt_dscnt 0x202
	s_delay_alu instid0(VALU_DEP_1) | instskip(SKIP_1) | instid1(VALU_DEP_1)
	v_fma_mix_f32 v8, v20, v17, v8 op_sel_hi:[0,1,0]
	s_wait_loadcnt_dscnt 0x101
	v_fma_mix_f32 v8, v19, v41, v8 op_sel_hi:[0,1,0]
	s_wait_loadcnt_dscnt 0x0
	s_delay_alu instid0(VALU_DEP_1)
	v_fma_mix_f32 v34, v18, v42, v8 op_sel_hi:[0,1,0]
.LBB512_48:                             ;   in Loop: Header=BB512_4 Depth=1
	s_or_b32 exec_lo, exec_lo, s39
	s_wait_loadcnt_dscnt 0x303
	v_fma_mix_f32 v8, v21, v37, v33 op_sel_hi:[0,1,0]
	s_wait_loadcnt_dscnt 0x202
	s_delay_alu instid0(VALU_DEP_1) | instskip(SKIP_1) | instid1(VALU_DEP_1)
	v_fma_mix_f32 v8, v20, v38, v8 op_sel_hi:[0,1,0]
	s_wait_loadcnt_dscnt 0x101
	v_fma_mix_f32 v8, v19, v39, v8 op_sel_hi:[0,1,0]
	s_wait_loadcnt_dscnt 0x0
	s_delay_alu instid0(VALU_DEP_1)
	v_fma_mix_f32 v33, v18, v40, v8 op_sel_hi:[0,1,0]
.LBB512_49:                             ;   in Loop: Header=BB512_4 Depth=1
	s_or_b32 exec_lo, exec_lo, s7
.LBB512_50:                             ;   in Loop: Header=BB512_4 Depth=1
	ds_store_2addr_b32 v23, v33, v34 offset1:32
	ds_store_2addr_b32 v23, v35, v36 offset0:64 offset1:96
	s_wait_dscnt 0x0
	s_barrier_signal -1
	s_barrier_wait -1
                                        ; implicit-def: $vgpr12
	s_and_saveexec_b32 s7, s0
	s_cbranch_execz .LBB512_56
; %bb.51:                               ;   in Loop: Header=BB512_4 Depth=1
	ds_load_2addr_stride64_b32 v[8:9], v24 offset1:2
	ds_load_2addr_stride64_b32 v[10:11], v24 offset0:4 offset1:6
	ds_load_2addr_stride64_b32 v[12:13], v24 offset0:8 offset1:10
	s_mov_b32 s40, s38
	s_wait_dscnt 0x2
	v_add_f32_e32 v14, v8, v9
	ds_load_2addr_stride64_b32 v[8:9], v24 offset0:12 offset1:14
	s_wait_dscnt 0x2
	v_add_f32_e32 v10, v10, v14
	s_delay_alu instid0(VALU_DEP_1) | instskip(SKIP_3) | instid1(VALU_DEP_1)
	v_add_f32_e32 v14, v11, v10
	ds_load_2addr_stride64_b32 v[10:11], v24 offset0:16 offset1:18
	s_wait_dscnt 0x2
	v_add_f32_e32 v12, v12, v14
	v_add_f32_e32 v14, v13, v12
	ds_load_2addr_stride64_b32 v[12:13], v24 offset0:20 offset1:22
	s_wait_dscnt 0x2
	v_add_f32_e32 v8, v8, v14
	s_delay_alu instid0(VALU_DEP_1) | instskip(SKIP_1) | instid1(VALU_DEP_1)
	v_add_f32_e32 v8, v9, v8
	s_wait_dscnt 0x1
	v_add_f32_e32 v10, v10, v8
	ds_load_2addr_stride64_b32 v[8:9], v24 offset0:24 offset1:26
	v_add_f32_e32 v10, v11, v10
	s_wait_dscnt 0x1
	s_delay_alu instid0(VALU_DEP_1) | instskip(SKIP_3) | instid1(VALU_DEP_1)
	v_add_f32_e32 v12, v12, v10
	ds_load_2addr_stride64_b32 v[10:11], v24 offset0:28 offset1:30
	v_add_f32_e32 v12, v13, v12
	s_wait_dscnt 0x1
	v_add_f32_e32 v8, v8, v12
                                        ; implicit-def: $vgpr12
	s_delay_alu instid0(VALU_DEP_1) | instskip(SKIP_1) | instid1(VALU_DEP_1)
	v_add_f32_e32 v8, v9, v8
	s_wait_dscnt 0x0
	v_add_f32_e32 v8, v10, v8
	s_delay_alu instid0(VALU_DEP_1)
	v_add_f32_e32 v8, v11, v8
	ds_store_b32 v24, v8
	s_and_saveexec_b32 s39, s2
	s_cbranch_execz .LBB512_55
; %bb.52:                               ;   in Loop: Header=BB512_4 Depth=1
	v_mul_f32_e32 v12, s22, v8
	s_and_not1_b32 vcc_lo, exec_lo, s33
	s_cbranch_vccnz .LBB512_54
; %bb.53:                               ;   in Loop: Header=BB512_4 Depth=1
	v_lshl_add_u64 v[8:9], v[4:5], 2, v[6:7]
	flat_load_b32 v8, v[8:9]
	s_wait_loadcnt_dscnt 0x0
	v_fmac_f32_e32 v12, s26, v8
.LBB512_54:                             ;   in Loop: Header=BB512_4 Depth=1
	s_or_b32 s40, s38, exec_lo
.LBB512_55:                             ;   in Loop: Header=BB512_4 Depth=1
	s_wait_xcnt 0x0
	s_or_b32 exec_lo, exec_lo, s39
	s_delay_alu instid0(SALU_CYCLE_1) | instskip(SKIP_1) | instid1(SALU_CYCLE_1)
	s_and_not1_b32 s38, s38, exec_lo
	s_and_b32 s39, s40, exec_lo
	s_or_b32 s38, s38, s39
.LBB512_56:                             ;   in Loop: Header=BB512_4 Depth=1
	s_or_b32 exec_lo, exec_lo, s7
	v_mov_b64_e32 v[8:9], v[4:5]
	s_and_saveexec_b32 s7, s38
	s_cbranch_execz .LBB512_2
.LBB512_57:                             ;   in Loop: Header=BB512_4 Depth=1
	s_delay_alu instid0(VALU_DEP_1)
	v_lshl_add_u64 v[6:7], v[8:9], 2, v[6:7]
	flat_store_b32 v[6:7], v12
	s_branch .LBB512_2
.LBB512_58:
	s_endpgm
	.section	.rodata,"a",@progbits
	.p2align	6, 0x0
	.amdhsa_kernel _ZL20rocblas_gemvn_kernelILi32ELi16EiPKDF16_fKPfEviiT3_lPKT2_lT1_lS7_lS8_lS4_lPT4_lS8_li
		.amdhsa_group_segment_fixed_size 8192
		.amdhsa_private_segment_fixed_size 0
		.amdhsa_kernarg_size 400
		.amdhsa_user_sgpr_count 2
		.amdhsa_user_sgpr_dispatch_ptr 0
		.amdhsa_user_sgpr_queue_ptr 0
		.amdhsa_user_sgpr_kernarg_segment_ptr 1
		.amdhsa_user_sgpr_dispatch_id 0
		.amdhsa_user_sgpr_kernarg_preload_length 0
		.amdhsa_user_sgpr_kernarg_preload_offset 0
		.amdhsa_user_sgpr_private_segment_size 0
		.amdhsa_wavefront_size32 1
		.amdhsa_uses_dynamic_stack 0
		.amdhsa_enable_private_segment 0
		.amdhsa_system_sgpr_workgroup_id_x 1
		.amdhsa_system_sgpr_workgroup_id_y 0
		.amdhsa_system_sgpr_workgroup_id_z 1
		.amdhsa_system_sgpr_workgroup_info 0
		.amdhsa_system_vgpr_workitem_id 1
		.amdhsa_next_free_vgpr 64
		.amdhsa_next_free_sgpr 46
		.amdhsa_named_barrier_count 0
		.amdhsa_reserve_vcc 1
		.amdhsa_float_round_mode_32 0
		.amdhsa_float_round_mode_16_64 0
		.amdhsa_float_denorm_mode_32 3
		.amdhsa_float_denorm_mode_16_64 3
		.amdhsa_fp16_overflow 0
		.amdhsa_memory_ordered 1
		.amdhsa_forward_progress 1
		.amdhsa_inst_pref_size 25
		.amdhsa_round_robin_scheduling 0
		.amdhsa_exception_fp_ieee_invalid_op 0
		.amdhsa_exception_fp_denorm_src 0
		.amdhsa_exception_fp_ieee_div_zero 0
		.amdhsa_exception_fp_ieee_overflow 0
		.amdhsa_exception_fp_ieee_underflow 0
		.amdhsa_exception_fp_ieee_inexact 0
		.amdhsa_exception_int_div_zero 0
	.end_amdhsa_kernel
	.section	.text._ZL20rocblas_gemvn_kernelILi32ELi16EiPKDF16_fKPfEviiT3_lPKT2_lT1_lS7_lS8_lS4_lPT4_lS8_li,"axG",@progbits,_ZL20rocblas_gemvn_kernelILi32ELi16EiPKDF16_fKPfEviiT3_lPKT2_lT1_lS7_lS8_lS4_lPT4_lS8_li,comdat
.Lfunc_end512:
	.size	_ZL20rocblas_gemvn_kernelILi32ELi16EiPKDF16_fKPfEviiT3_lPKT2_lT1_lS7_lS8_lS4_lPT4_lS8_li, .Lfunc_end512-_ZL20rocblas_gemvn_kernelILi32ELi16EiPKDF16_fKPfEviiT3_lPKT2_lT1_lS7_lS8_lS4_lPT4_lS8_li
                                        ; -- End function
	.set _ZL20rocblas_gemvn_kernelILi32ELi16EiPKDF16_fKPfEviiT3_lPKT2_lT1_lS7_lS8_lS4_lPT4_lS8_li.num_vgpr, 64
	.set _ZL20rocblas_gemvn_kernelILi32ELi16EiPKDF16_fKPfEviiT3_lPKT2_lT1_lS7_lS8_lS4_lPT4_lS8_li.num_agpr, 0
	.set _ZL20rocblas_gemvn_kernelILi32ELi16EiPKDF16_fKPfEviiT3_lPKT2_lT1_lS7_lS8_lS4_lPT4_lS8_li.numbered_sgpr, 46
	.set _ZL20rocblas_gemvn_kernelILi32ELi16EiPKDF16_fKPfEviiT3_lPKT2_lT1_lS7_lS8_lS4_lPT4_lS8_li.num_named_barrier, 0
	.set _ZL20rocblas_gemvn_kernelILi32ELi16EiPKDF16_fKPfEviiT3_lPKT2_lT1_lS7_lS8_lS4_lPT4_lS8_li.private_seg_size, 0
	.set _ZL20rocblas_gemvn_kernelILi32ELi16EiPKDF16_fKPfEviiT3_lPKT2_lT1_lS7_lS8_lS4_lPT4_lS8_li.uses_vcc, 1
	.set _ZL20rocblas_gemvn_kernelILi32ELi16EiPKDF16_fKPfEviiT3_lPKT2_lT1_lS7_lS8_lS4_lPT4_lS8_li.uses_flat_scratch, 1
	.set _ZL20rocblas_gemvn_kernelILi32ELi16EiPKDF16_fKPfEviiT3_lPKT2_lT1_lS7_lS8_lS4_lPT4_lS8_li.has_dyn_sized_stack, 0
	.set _ZL20rocblas_gemvn_kernelILi32ELi16EiPKDF16_fKPfEviiT3_lPKT2_lT1_lS7_lS8_lS4_lPT4_lS8_li.has_recursion, 0
	.set _ZL20rocblas_gemvn_kernelILi32ELi16EiPKDF16_fKPfEviiT3_lPKT2_lT1_lS7_lS8_lS4_lPT4_lS8_li.has_indirect_call, 0
	.section	.AMDGPU.csdata,"",@progbits
; Kernel info:
; codeLenInByte = 3132
; TotalNumSgprs: 48
; NumVgprs: 64
; ScratchSize: 0
; MemoryBound: 0
; FloatMode: 240
; IeeeMode: 1
; LDSByteSize: 8192 bytes/workgroup (compile time only)
; SGPRBlocks: 0
; VGPRBlocks: 3
; NumSGPRsForWavesPerEU: 48
; NumVGPRsForWavesPerEU: 64
; NamedBarCnt: 0
; Occupancy: 16
; WaveLimiterHint : 1
; COMPUTE_PGM_RSRC2:SCRATCH_EN: 0
; COMPUTE_PGM_RSRC2:USER_SGPR: 2
; COMPUTE_PGM_RSRC2:TRAP_HANDLER: 0
; COMPUTE_PGM_RSRC2:TGID_X_EN: 1
; COMPUTE_PGM_RSRC2:TGID_Y_EN: 0
; COMPUTE_PGM_RSRC2:TGID_Z_EN: 1
; COMPUTE_PGM_RSRC2:TIDIG_COMP_CNT: 1
	.section	.text._ZL20rocblas_gemvn_kernelILi32ELi16ElPKDF16_fKPfEviiT3_lPKT2_lT1_lS7_lS8_lS4_lPT4_lS8_li,"axG",@progbits,_ZL20rocblas_gemvn_kernelILi32ELi16ElPKDF16_fKPfEviiT3_lPKT2_lT1_lS7_lS8_lS4_lPT4_lS8_li,comdat
	.globl	_ZL20rocblas_gemvn_kernelILi32ELi16ElPKDF16_fKPfEviiT3_lPKT2_lT1_lS7_lS8_lS4_lPT4_lS8_li ; -- Begin function _ZL20rocblas_gemvn_kernelILi32ELi16ElPKDF16_fKPfEviiT3_lPKT2_lT1_lS7_lS8_lS4_lPT4_lS8_li
	.p2align	8
	.type	_ZL20rocblas_gemvn_kernelILi32ELi16ElPKDF16_fKPfEviiT3_lPKT2_lT1_lS7_lS8_lS4_lPT4_lS8_li,@function
_ZL20rocblas_gemvn_kernelILi32ELi16ElPKDF16_fKPfEviiT3_lPKT2_lT1_lS7_lS8_lS4_lPT4_lS8_li: ; @_ZL20rocblas_gemvn_kernelILi32ELi16ElPKDF16_fKPfEviiT3_lPKT2_lT1_lS7_lS8_lS4_lPT4_lS8_li
; %bb.0:
	s_clause 0x1
	s_load_b64 s[2:3], s[0:1], 0x9c
	s_load_b32 s27, s[0:1], 0x88
	s_bfe_u32 s4, ttmp6, 0x40014
	s_lshr_b32 s5, ttmp7, 16
	s_add_co_i32 s4, s4, 1
	s_bfe_u32 s6, ttmp6, 0x40008
	s_mul_i32 s7, s5, s4
	s_getreg_b32 s4, hwreg(HW_REG_IB_STS2, 6, 4)
	s_add_co_i32 s6, s6, s7
	s_mov_b32 s11, 0
	s_wait_kmcnt 0x0
	s_lshr_b32 s7, s2, 16
	s_and_b32 s2, s2, 0xffff
	s_and_b32 s3, s3, 0xffff
	s_mul_i32 s2, s7, s2
	s_cmp_eq_u32 s4, 0
	s_mul_i32 s2, s2, s3
	s_cselect_b32 s10, s5, s6
	s_cmp_lg_u32 s2, 0x200
	s_cselect_b32 s2, -1, 0
	s_cmp_ge_u32 s10, s27
	s_cselect_b32 s3, -1, 0
	s_delay_alu instid0(SALU_CYCLE_1) | instskip(NEXT) | instid1(SALU_CYCLE_1)
	s_or_b32 s2, s2, s3
	s_and_b32 vcc_lo, exec_lo, s2
	s_cbranch_vccnz .LBB513_58
; %bb.1:
	s_clause 0x7
	s_load_b96 s[24:26], s[0:1], 0x0
	s_load_b32 s33, s[0:1], 0x58
	s_load_b64 s[28:29], s[0:1], 0x48
	s_load_b128 s[12:15], s[0:1], 0x18
	s_load_b64 s[30:31], s[0:1], 0x28
	s_load_b128 s[16:19], s[0:1], 0x38
	;; [unrolled: 2-line block ×3, first 2 shown]
	v_bfe_u32 v4, v0, 10, 10
	v_and_b32_e32 v15, 0x3ff, v0
	s_delay_alu instid0(VALU_DEP_2) | instskip(NEXT) | instid1(VALU_DEP_2)
	v_dual_mov_b32 v1, 0 :: v_dual_lshlrev_b32 v48, 2, v4
	v_lshl_add_u32 v14, v4, 5, v15
	s_delay_alu instid0(VALU_DEP_2) | instskip(NEXT) | instid1(VALU_DEP_1)
	v_dual_mov_b32 v5, v1 :: v_dual_lshlrev_b32 v20, 2, v15
	v_lshl_add_u32 v50, v4, 9, v20
	s_wait_kmcnt 0x0
	s_cmp_eq_f32 s26, 0
	v_lshl_add_u32 v51, v4, 7, v20
	v_mad_nc_u64_u32 v[6:7], s28, v48, s[28:29]
	v_mul_u64_e32 v[10:11], s[28:29], v[4:5]
	s_cselect_b32 s38, -1, 0
	s_cmp_neq_f32 s33, 1.0
	v_mad_nc_u64_u32 v[8:9], s30, v48, s[30:31]
	v_mul_u64_e32 v[12:13], s[30:31], v[4:5]
	s_cselect_b32 s0, -1, 0
	s_cmp_neq_f32 s26, 0
	s_delay_alu instid0(VALU_DEP_4)
	v_mad_u32 v7, s29, v48, v7
	s_cselect_b32 s1, -1, 0
	s_bfe_u32 s5, ttmp6, 0x4000c
	s_and_b32 s6, ttmp6, 15
	s_add_co_i32 s5, s5, 1
	s_or_b32 s39, s1, s0
	s_mul_i32 s5, ttmp9, s5
	v_cndmask_b32_e64 v49, 0, 1, s1
	s_add_co_i32 s6, s6, s5
	s_cmp_eq_u32 s4, 0
	s_mov_b32 s0, s24
	s_cselect_b32 s1, ttmp9, s6
	v_mad_u32 v9, s31, v48, v9
	s_lshl_b32 s4, s1, 7
	s_ashr_i32 s1, s24, 31
	v_add_nc_u32_e32 v0, s4, v14
	v_lshlrev_b64_e32 v[4:5], 1, v[6:7]
	v_add_nc_u32_e32 v24, s4, v15
	s_cmp_neq_f32 s33, 0
	s_delay_alu instid0(VALU_DEP_3)
	v_cmp_gt_i64_e32 vcc_lo, s[0:1], v[0:1]
	v_cmp_gt_u32_e64 s0, 0x80, v14
	v_or_b32_e32 v14, s4, v14
	v_mul_u64_e32 v[2:3], s[2:3], v[0:1]
	v_or_b32_e32 v0, 3, v48
	v_lshlrev_b64_e32 v[6:7], 1, v[8:9]
	s_cselect_b32 s40, -1, 0
	v_ashrrev_i32_e32 v15, 31, v14
	s_ashr_i32 s1, s25, 31
	v_mul_u64_e32 v[16:17], s[30:31], v[0:1]
	v_mul_u64_e32 v[18:19], s[28:29], v[0:1]
	v_or_b32_e32 v0, 2, v48
	v_mul_u64_e32 v[8:9], s[2:3], v[14:15]
	s_lshr_b32 s4, s1, 26
	v_dual_ashrrev_i32 v25, 31, v24 :: v_dual_add_nc_u32 v15, 64, v24
	s_delay_alu instid0(VALU_DEP_3)
	v_mul_u64_e32 v[20:21], s[30:31], v[0:1]
	v_mul_u64_e32 v[22:23], s[28:29], v[0:1]
	s_add_co_i32 s41, s25, s4
	v_add_nc_u32_e32 v0, 32, v24
	v_add_nc_u32_e32 v26, 0x60, v24
	s_and_not1_b32 s41, s41, 63
	v_cmp_gt_i32_e64 s2, s24, v14
	v_lshlrev_b64_e32 v[10:11], 3, v[10:11]
	v_lshlrev_b64_e32 v[12:13], 3, v[12:13]
	v_cmp_gt_i32_e64 s4, s24, v15
	s_sub_co_i32 s6, s25, s41
	v_lshlrev_b64_e32 v[14:15], 1, v[24:25]
	v_cmp_gt_i32_e64 s1, s24, v24
	v_cmp_gt_i32_e64 s3, s24, v0
	;; [unrolled: 1-line block ×3, first 2 shown]
	s_cmp_gt_i32 s6, 0
	v_cmp_gt_i32_e64 s6, s41, v48
	s_cselect_b32 s24, -1, 0
	s_and_b32 s42, s0, vcc_lo
	s_lshl_b64 s[34:35], s[28:29], 7
	s_lshl_b64 s[36:37], s[30:31], 7
	s_lshl_b64 s[14:15], s[14:15], 1
	s_lshl_b64 s[18:19], s[18:19], 1
	s_lshl_b64 s[22:23], s[22:23], 2
	v_lshlrev_b64_e32 v[16:17], 1, v[16:17]
	v_lshlrev_b64_e32 v[18:19], 1, v[18:19]
	;; [unrolled: 1-line block ×4, first 2 shown]
	s_branch .LBB513_4
.LBB513_2:                              ;   in Loop: Header=BB513_4 Depth=1
	s_wait_xcnt 0x0
	s_or_b32 exec_lo, exec_lo, s7
.LBB513_3:                              ;   in Loop: Header=BB513_4 Depth=1
	s_add_co_i32 s10, s10, 0x10000
	s_delay_alu instid0(SALU_CYCLE_1)
	s_cmp_lt_u32 s10, s27
	s_cbranch_scc0 .LBB513_58
.LBB513_4:                              ; =>This Loop Header: Depth=1
                                        ;     Child Loop BB513_26 Depth 2
	s_and_not1_b32 vcc_lo, exec_lo, s39
	s_cbranch_vccnz .LBB513_3
; %bb.5:                                ;   in Loop: Header=BB513_4 Depth=1
	s_and_not1_b32 vcc_lo, exec_lo, s38
	s_cbranch_vccnz .LBB513_7
; %bb.6:                                ;   in Loop: Header=BB513_4 Depth=1
	v_mov_b64_e32 v[28:29], 0
	v_mov_b64_e32 v[26:27], 0
	s_cbranch_execz .LBB513_8
	s_branch .LBB513_9
.LBB513_7:                              ;   in Loop: Header=BB513_4 Depth=1
	v_mov_b64_e32 v[28:29], 0
	v_mov_b64_e32 v[26:27], 0
.LBB513_8:                              ;   in Loop: Header=BB513_4 Depth=1
	s_lshl_b64 s[8:9], s[10:11], 3
	s_delay_alu instid0(SALU_CYCLE_1)
	s_add_nc_u64 s[8:9], s[12:13], s[8:9]
	global_load_b64 v[24:25], v1, s[8:9]
	s_wait_loadcnt 0x0
	v_add_nc_u64_e32 v[26:27], s[14:15], v[24:25]
.LBB513_9:                              ;   in Loop: Header=BB513_4 Depth=1
	v_cmp_ne_u32_e32 vcc_lo, 1, v49
	s_cbranch_vccnz .LBB513_11
; %bb.10:                               ;   in Loop: Header=BB513_4 Depth=1
	s_wait_xcnt 0x0
	s_lshl_b64 s[8:9], s[10:11], 3
	s_delay_alu instid0(SALU_CYCLE_1)
	s_add_nc_u64 s[8:9], s[16:17], s[8:9]
	global_load_b64 v[24:25], v1, s[8:9]
	s_wait_loadcnt 0x0
	v_add_nc_u64_e32 v[28:29], s[18:19], v[24:25]
.LBB513_11:                             ;   in Loop: Header=BB513_4 Depth=1
	s_wait_xcnt 0x0
	s_lshl_b64 s[8:9], s[10:11], 3
	s_and_not1_b32 vcc_lo, exec_lo, s38
	s_add_nc_u64 s[8:9], s[20:21], s[8:9]
	global_load_b64 v[24:25], v1, s[8:9]
	s_wait_loadcnt 0x0
	v_add_nc_u64_e32 v[24:25], s[22:23], v[24:25]
	s_cbranch_vccnz .LBB513_15
; %bb.12:                               ;   in Loop: Header=BB513_4 Depth=1
	s_mov_b32 s7, 0
	s_mov_b32 s43, 0
                                        ; implicit-def: $vgpr0
	s_wait_xcnt 0x0
	s_and_saveexec_b32 s8, s42
	s_cbranch_execz .LBB513_16
; %bb.13:                               ;   in Loop: Header=BB513_4 Depth=1
	s_and_not1_b32 vcc_lo, exec_lo, s40
	s_cbranch_vccnz .LBB513_18
; %bb.14:                               ;   in Loop: Header=BB513_4 Depth=1
	v_lshl_add_u64 v[30:31], v[2:3], 2, v[24:25]
	flat_load_b32 v0, v[30:31]
	s_wait_loadcnt_dscnt 0x0
	v_mul_f32_e32 v0, s33, v0
	s_branch .LBB513_19
.LBB513_15:                             ;   in Loop: Header=BB513_4 Depth=1
	s_mov_b32 s43, 0
                                        ; implicit-def: $vgpr0
	s_cbranch_execz .LBB513_17
	s_branch .LBB513_20
.LBB513_16:                             ;   in Loop: Header=BB513_4 Depth=1
	s_or_b32 exec_lo, exec_lo, s8
	s_delay_alu instid0(SALU_CYCLE_1)
	s_and_b32 vcc_lo, exec_lo, s7
	s_cbranch_vccnz .LBB513_20
.LBB513_17:                             ;   in Loop: Header=BB513_4 Depth=1
	v_mov_b64_e32 v[26:27], v[2:3]
	s_wait_xcnt 0x0
	s_and_saveexec_b32 s7, s43
	s_cbranch_execz .LBB513_2
	s_branch .LBB513_57
.LBB513_18:                             ;   in Loop: Header=BB513_4 Depth=1
	v_mov_b32_e32 v0, 0
.LBB513_19:                             ;   in Loop: Header=BB513_4 Depth=1
	s_mov_b32 s43, exec_lo
	s_wait_xcnt 0x0
	s_or_b32 exec_lo, exec_lo, s8
	s_delay_alu instid0(SALU_CYCLE_1)
	s_and_b32 vcc_lo, exec_lo, s7
	s_cbranch_vccz .LBB513_17
.LBB513_20:                             ;   in Loop: Header=BB513_4 Depth=1
	v_dual_mov_b32 v52, 0 :: v_dual_mov_b32 v0, v48
	v_dual_mov_b32 v53, 0 :: v_dual_mov_b32 v54, 0
	v_mov_b32_e32 v55, 0
	s_wait_xcnt 0x0
	s_and_saveexec_b32 s7, s6
	s_cbranch_execz .LBB513_32
; %bb.21:                               ;   in Loop: Header=BB513_4 Depth=1
	v_add_nc_u64_e32 v[30:31], v[26:27], v[16:17]
	v_add_nc_u64_e32 v[32:33], v[26:27], v[12:13]
	v_add_nc_u64_e32 v[34:35], v[26:27], v[20:21]
	v_add_nc_u64_e32 v[36:37], v[26:27], v[6:7]
	v_mov_b64_e32 v[38:39], v[28:29]
	v_dual_mov_b32 v52, 0 :: v_dual_mov_b32 v0, v48
	v_dual_mov_b32 v53, 0 :: v_dual_mov_b32 v54, 0
	v_mov_b32_e32 v55, 0
	s_mov_b32 s8, 0
	s_branch .LBB513_26
.LBB513_22:                             ;   in Loop: Header=BB513_26 Depth=2
	s_wait_xcnt 0x0
	s_or_b32 exec_lo, exec_lo, s46
	s_wait_loadcnt_dscnt 0x303
	v_fma_mix_f32 v40, v68, v72, v54 op_sel_hi:[0,1,0]
	s_wait_loadcnt_dscnt 0x202
	s_delay_alu instid0(VALU_DEP_1) | instskip(SKIP_1) | instid1(VALU_DEP_1)
	v_fma_mix_f32 v40, v69, v73, v40 op_sel_hi:[0,1,0]
	s_wait_loadcnt_dscnt 0x101
	v_fma_mix_f32 v40, v70, v74, v40 op_sel_hi:[0,1,0]
	s_wait_loadcnt_dscnt 0x0
	s_delay_alu instid0(VALU_DEP_1)
	v_fma_mix_f32 v54, v71, v75, v40 op_sel_hi:[0,1,0]
.LBB513_23:                             ;   in Loop: Header=BB513_26 Depth=2
	s_or_b32 exec_lo, exec_lo, s45
	s_wait_loadcnt_dscnt 0x303
	v_fma_mix_f32 v40, v68, v64, v53 op_sel_hi:[0,1,0]
	s_wait_loadcnt_dscnt 0x202
	s_delay_alu instid0(VALU_DEP_1) | instskip(SKIP_1) | instid1(VALU_DEP_1)
	v_fma_mix_f32 v40, v69, v65, v40 op_sel_hi:[0,1,0]
	s_wait_loadcnt_dscnt 0x101
	v_fma_mix_f32 v40, v70, v66, v40 op_sel_hi:[0,1,0]
	s_wait_loadcnt_dscnt 0x0
	s_delay_alu instid0(VALU_DEP_1)
	v_fma_mix_f32 v53, v71, v67, v40 op_sel_hi:[0,1,0]
.LBB513_24:                             ;   in Loop: Header=BB513_26 Depth=2
	s_or_b32 exec_lo, exec_lo, s44
	s_wait_loadcnt_dscnt 0x303
	v_fma_mix_f32 v40, v56, v60, v52 op_sel_hi:[1,1,0]
	s_wait_loadcnt_dscnt 0x202
	s_delay_alu instid0(VALU_DEP_1) | instskip(SKIP_1) | instid1(VALU_DEP_1)
	v_fma_mix_f32 v40, v57, v61, v40 op_sel_hi:[1,1,0]
	s_wait_loadcnt_dscnt 0x101
	v_fma_mix_f32 v40, v58, v62, v40 op_sel_hi:[1,1,0]
	s_wait_loadcnt_dscnt 0x0
	s_delay_alu instid0(VALU_DEP_1)
	v_fma_mix_f32 v52, v59, v63, v40 op_sel_hi:[1,1,0]
.LBB513_25:                             ;   in Loop: Header=BB513_26 Depth=2
	s_or_b32 exec_lo, exec_lo, s9
	v_add_nc_u32_e32 v0, 64, v0
	v_add_nc_u64_e32 v[38:39], s[34:35], v[38:39]
	v_add_nc_u64_e32 v[30:31], s[36:37], v[30:31]
	;; [unrolled: 1-line block ×4, first 2 shown]
	v_cmp_le_i32_e32 vcc_lo, s41, v0
	v_add_nc_u64_e32 v[36:37], s[36:37], v[36:37]
	s_or_b32 s8, vcc_lo, s8
	s_delay_alu instid0(SALU_CYCLE_1)
	s_and_not1_b32 exec_lo, exec_lo, s8
	s_cbranch_execz .LBB513_31
.LBB513_26:                             ;   Parent Loop BB513_4 Depth=1
                                        ; =>  This Inner Loop Header: Depth=2
	s_and_saveexec_b32 s9, s1
	s_cbranch_execz .LBB513_25
; %bb.27:                               ;   in Loop: Header=BB513_26 Depth=2
	v_add_nc_u64_e32 v[64:65], v[38:39], v[10:11]
	v_add_nc_u64_e32 v[66:67], v[38:39], v[4:5]
	;; [unrolled: 1-line block ×8, first 2 shown]
	s_clause 0x3
	flat_load_u16 v56, v[64:65]
	flat_load_u16 v57, v[66:67]
	;; [unrolled: 1-line block ×8, first 2 shown]
	s_wait_xcnt 0x0
	s_and_saveexec_b32 s44, s3
	s_cbranch_execz .LBB513_24
; %bb.28:                               ;   in Loop: Header=BB513_26 Depth=2
	flat_load_u16 v64, v[40:41] offset:64
	flat_load_u16 v65, v[42:43] offset:64
	;; [unrolled: 1-line block ×4, first 2 shown]
	s_wait_loadcnt_dscnt 0xb0b
	v_cvt_f32_f16_e32 v68, v56
	s_wait_loadcnt_dscnt 0xa0a
	v_cvt_f32_f16_e32 v69, v57
	;; [unrolled: 2-line block ×4, first 2 shown]
	s_wait_xcnt 0x0
	s_and_saveexec_b32 s45, s4
	s_cbranch_execz .LBB513_23
; %bb.29:                               ;   in Loop: Header=BB513_26 Depth=2
	flat_load_u16 v72, v[40:41] offset:128
	flat_load_u16 v73, v[42:43] offset:128
	;; [unrolled: 1-line block ×4, first 2 shown]
	s_wait_xcnt 0x0
	s_and_saveexec_b32 s46, s5
	s_cbranch_execz .LBB513_22
; %bb.30:                               ;   in Loop: Header=BB513_26 Depth=2
	flat_load_u16 v76, v[40:41] offset:192
	flat_load_u16 v77, v[42:43] offset:192
	;; [unrolled: 1-line block ×4, first 2 shown]
	s_wait_loadcnt_dscnt 0x303
	s_wait_xcnt 0x3
	v_fma_mix_f32 v40, v68, v76, v55 op_sel_hi:[0,1,0]
	s_wait_loadcnt_dscnt 0x202
	s_delay_alu instid0(VALU_DEP_1) | instskip(SKIP_1) | instid1(VALU_DEP_1)
	v_fma_mix_f32 v40, v69, v77, v40 op_sel_hi:[0,1,0]
	s_wait_loadcnt_dscnt 0x101
	v_fma_mix_f32 v40, v70, v78, v40 op_sel_hi:[0,1,0]
	s_wait_loadcnt_dscnt 0x0
	s_delay_alu instid0(VALU_DEP_1)
	v_fma_mix_f32 v55, v71, v79, v40 op_sel_hi:[0,1,0]
	s_branch .LBB513_22
.LBB513_31:                             ;   in Loop: Header=BB513_4 Depth=1
	s_or_b32 exec_lo, exec_lo, s8
.LBB513_32:                             ;   in Loop: Header=BB513_4 Depth=1
	s_delay_alu instid0(SALU_CYCLE_1) | instskip(NEXT) | instid1(SALU_CYCLE_1)
	s_or_b32 exec_lo, exec_lo, s7
	s_and_not1_b32 vcc_lo, exec_lo, s24
	s_cbranch_vccnz .LBB513_50
; %bb.33:                               ;   in Loop: Header=BB513_4 Depth=1
	v_cmp_gt_i32_e32 vcc_lo, s25, v0
	v_dual_mov_b32 v34, 0 :: v_dual_bitop2_b32 v30, 1, v0 bitop3:0x54
	v_dual_mov_b32 v35, 0 :: v_dual_mov_b32 v36, 0
	v_mov_b32_e32 v37, 0
	s_and_saveexec_b32 s8, vcc_lo
	s_cbranch_execz .LBB513_41
; %bb.34:                               ;   in Loop: Header=BB513_4 Depth=1
	v_mul_u64_e32 v[32:33], s[28:29], v[0:1]
	v_dual_mov_b32 v36, 0 :: v_dual_mov_b32 v35, 0
	v_mov_b32_e32 v34, 0
	s_mov_b32 s9, exec_lo
	s_delay_alu instid0(VALU_DEP_3)
	v_lshl_add_u64 v[32:33], v[32:33], 1, v[28:29]
	flat_load_u16 v37, v[32:33]
	s_wait_xcnt 0x0
	v_cmpx_gt_i32_e64 s25, v30
	s_cbranch_execz .LBB513_40
; %bb.35:                               ;   in Loop: Header=BB513_4 Depth=1
	v_dual_mov_b32 v31, v1 :: v_dual_mov_b32 v35, 0
	v_mov_b32_e32 v34, 0
	s_mov_b32 s44, exec_lo
	s_delay_alu instid0(VALU_DEP_2) | instskip(NEXT) | instid1(VALU_DEP_1)
	v_mul_u64_e32 v[32:33], s[28:29], v[30:31]
	v_lshl_add_u64 v[32:33], v[32:33], 1, v[28:29]
	flat_load_u16 v31, v[32:33]
	s_wait_xcnt 0x0
	v_or_b32_e32 v32, 2, v0
	s_delay_alu instid0(VALU_DEP_1)
	v_cmpx_gt_i32_e64 s25, v32
	s_cbranch_execz .LBB513_39
; %bb.36:                               ;   in Loop: Header=BB513_4 Depth=1
	v_dual_mov_b32 v33, v1 :: v_dual_mov_b32 v34, 0
	s_mov_b32 s45, exec_lo
	s_delay_alu instid0(VALU_DEP_1) | instskip(NEXT) | instid1(VALU_DEP_1)
	v_mul_u64_e32 v[32:33], s[28:29], v[32:33]
	v_lshl_add_u64 v[32:33], v[32:33], 1, v[28:29]
	flat_load_u16 v35, v[32:33]
	s_wait_xcnt 0x0
	v_or_b32_e32 v32, 3, v0
	s_delay_alu instid0(VALU_DEP_1)
	v_cmpx_gt_i32_e64 s25, v32
	s_cbranch_execz .LBB513_38
; %bb.37:                               ;   in Loop: Header=BB513_4 Depth=1
	v_mov_b32_e32 v33, v1
	s_delay_alu instid0(VALU_DEP_1) | instskip(NEXT) | instid1(VALU_DEP_1)
	v_mul_u64_e32 v[32:33], s[28:29], v[32:33]
	v_lshl_add_u64 v[28:29], v[32:33], 1, v[28:29]
	flat_load_u16 v28, v[28:29]
	s_wait_loadcnt_dscnt 0x0
	v_cvt_f32_f16_e32 v34, v28
.LBB513_38:                             ;   in Loop: Header=BB513_4 Depth=1
	s_wait_xcnt 0x0
	s_or_b32 exec_lo, exec_lo, s45
	s_wait_loadcnt_dscnt 0x0
	v_cvt_f32_f16_e32 v35, v35
.LBB513_39:                             ;   in Loop: Header=BB513_4 Depth=1
	s_or_b32 exec_lo, exec_lo, s44
	s_wait_loadcnt_dscnt 0x0
	v_cvt_f32_f16_e32 v36, v31
.LBB513_40:                             ;   in Loop: Header=BB513_4 Depth=1
	s_or_b32 exec_lo, exec_lo, s9
	s_wait_loadcnt_dscnt 0x0
	v_cvt_f32_f16_e32 v37, v37
.LBB513_41:                             ;   in Loop: Header=BB513_4 Depth=1
	s_or_b32 exec_lo, exec_lo, s8
	s_and_saveexec_b32 s44, s1
	s_cbranch_execz .LBB513_49
; %bb.42:                               ;   in Loop: Header=BB513_4 Depth=1
	v_dual_mov_b32 v31, v1 :: v_dual_bitop2_b32 v28, 2, v0 bitop3:0x54
	v_mov_b32_e32 v29, v1
	v_mul_u64_e32 v[32:33], s[30:31], v[0:1]
	v_or_b32_e32 v0, 3, v0
	s_delay_alu instid0(VALU_DEP_4)
	v_mul_u64_e32 v[38:39], s[30:31], v[30:31]
	v_cmp_gt_i32_e64 s7, s25, v30
	v_mul_u64_e32 v[40:41], s[30:31], v[28:29]
	v_cmp_gt_i32_e64 s8, s25, v28
	;; [unrolled: 2-line block ×3, first 2 shown]
	v_dual_cndmask_b32 v29, 0, v33 :: v_dual_cndmask_b32 v28, 0, v32
	v_dual_cndmask_b32 v31, 0, v39, s7 :: v_dual_cndmask_b32 v30, 0, v38, s7
	v_dual_cndmask_b32 v33, 0, v41, s8 :: v_dual_cndmask_b32 v32, 0, v40, s8
	s_delay_alu instid0(VALU_DEP_4) | instskip(NEXT) | instid1(VALU_DEP_4)
	v_dual_cndmask_b32 v39, 0, v43, s9 :: v_dual_cndmask_b32 v38, 0, v42, s9
	v_lshl_add_u64 v[28:29], v[28:29], 1, v[26:27]
	s_delay_alu instid0(VALU_DEP_4) | instskip(NEXT) | instid1(VALU_DEP_4)
	v_lshl_add_u64 v[30:31], v[30:31], 1, v[26:27]
	v_lshl_add_u64 v[32:33], v[32:33], 1, v[26:27]
	s_delay_alu instid0(VALU_DEP_4) | instskip(NEXT) | instid1(VALU_DEP_4)
	v_lshl_add_u64 v[38:39], v[38:39], 1, v[26:27]
	v_add_nc_u64_e32 v[28:29], v[28:29], v[14:15]
	s_delay_alu instid0(VALU_DEP_4) | instskip(NEXT) | instid1(VALU_DEP_4)
	v_add_nc_u64_e32 v[26:27], v[30:31], v[14:15]
	v_add_nc_u64_e32 v[32:33], v[32:33], v[14:15]
	s_delay_alu instid0(VALU_DEP_4)
	v_add_nc_u64_e32 v[30:31], v[38:39], v[14:15]
	s_clause 0x3
	flat_load_u16 v0, v[28:29]
	flat_load_u16 v38, v[26:27]
	;; [unrolled: 1-line block ×4, first 2 shown]
	s_wait_xcnt 0x0
	s_and_saveexec_b32 s7, s3
	s_cbranch_execz .LBB513_48
; %bb.43:                               ;   in Loop: Header=BB513_4 Depth=1
	s_clause 0x3
	flat_load_u16 v41, v[28:29] offset:64
	flat_load_u16 v42, v[26:27] offset:64
	flat_load_u16 v43, v[32:33] offset:64
	flat_load_u16 v44, v[30:31] offset:64
	s_wait_xcnt 0x0
	s_and_saveexec_b32 s8, s4
	s_cbranch_execz .LBB513_47
; %bb.44:                               ;   in Loop: Header=BB513_4 Depth=1
	s_clause 0x3
	flat_load_u16 v45, v[28:29] offset:128
	flat_load_u16 v46, v[26:27] offset:128
	flat_load_u16 v47, v[32:33] offset:128
	flat_load_u16 v56, v[30:31] offset:128
	;; [unrolled: 9-line block ×3, first 2 shown]
	s_wait_loadcnt_dscnt 0x303
	s_wait_xcnt 0x2
	v_fma_mix_f32 v26, v37, v57, v55 op_sel_hi:[0,1,0]
	s_wait_loadcnt_dscnt 0x202
	s_delay_alu instid0(VALU_DEP_1) | instskip(SKIP_1) | instid1(VALU_DEP_1)
	v_fma_mix_f32 v26, v36, v58, v26 op_sel_hi:[0,1,0]
	s_wait_loadcnt_dscnt 0x101
	v_fma_mix_f32 v26, v35, v59, v26 op_sel_hi:[0,1,0]
	s_wait_loadcnt_dscnt 0x0
	s_delay_alu instid0(VALU_DEP_1)
	v_fma_mix_f32 v55, v34, v60, v26 op_sel_hi:[0,1,0]
.LBB513_46:                             ;   in Loop: Header=BB513_4 Depth=1
	s_wait_xcnt 0x0
	s_or_b32 exec_lo, exec_lo, s9
	s_wait_loadcnt_dscnt 0x303
	v_fma_mix_f32 v26, v37, v45, v54 op_sel_hi:[0,1,0]
	s_wait_loadcnt_dscnt 0x202
	s_delay_alu instid0(VALU_DEP_1) | instskip(SKIP_1) | instid1(VALU_DEP_1)
	v_fma_mix_f32 v26, v36, v46, v26 op_sel_hi:[0,1,0]
	s_wait_loadcnt_dscnt 0x101
	v_fma_mix_f32 v26, v35, v47, v26 op_sel_hi:[0,1,0]
	s_wait_loadcnt_dscnt 0x0
	s_delay_alu instid0(VALU_DEP_1)
	v_fma_mix_f32 v54, v34, v56, v26 op_sel_hi:[0,1,0]
.LBB513_47:                             ;   in Loop: Header=BB513_4 Depth=1
	s_or_b32 exec_lo, exec_lo, s8
	s_wait_loadcnt_dscnt 0x303
	v_fma_mix_f32 v26, v37, v41, v53 op_sel_hi:[0,1,0]
	s_wait_loadcnt_dscnt 0x202
	s_delay_alu instid0(VALU_DEP_1) | instskip(SKIP_1) | instid1(VALU_DEP_1)
	v_fma_mix_f32 v26, v36, v42, v26 op_sel_hi:[0,1,0]
	s_wait_loadcnt_dscnt 0x101
	v_fma_mix_f32 v26, v35, v43, v26 op_sel_hi:[0,1,0]
	s_wait_loadcnt_dscnt 0x0
	s_delay_alu instid0(VALU_DEP_1)
	v_fma_mix_f32 v53, v34, v44, v26 op_sel_hi:[0,1,0]
.LBB513_48:                             ;   in Loop: Header=BB513_4 Depth=1
	s_or_b32 exec_lo, exec_lo, s7
	s_wait_loadcnt_dscnt 0x303
	v_fma_mix_f32 v0, v37, v0, v52 op_sel_hi:[0,1,0]
	s_wait_loadcnt_dscnt 0x202
	s_delay_alu instid0(VALU_DEP_1) | instskip(SKIP_1) | instid1(VALU_DEP_1)
	v_fma_mix_f32 v0, v36, v38, v0 op_sel_hi:[0,1,0]
	s_wait_loadcnt_dscnt 0x101
	v_fma_mix_f32 v0, v35, v39, v0 op_sel_hi:[0,1,0]
	s_wait_loadcnt_dscnt 0x0
	s_delay_alu instid0(VALU_DEP_1)
	v_fma_mix_f32 v52, v34, v40, v0 op_sel_hi:[0,1,0]
.LBB513_49:                             ;   in Loop: Header=BB513_4 Depth=1
	s_or_b32 exec_lo, exec_lo, s44
.LBB513_50:                             ;   in Loop: Header=BB513_4 Depth=1
	ds_store_2addr_b32 v50, v52, v53 offset1:32
	ds_store_2addr_b32 v50, v54, v55 offset0:64 offset1:96
	s_wait_dscnt 0x0
	s_barrier_signal -1
	s_barrier_wait -1
                                        ; implicit-def: $vgpr0
	s_and_saveexec_b32 s7, s0
	s_cbranch_execz .LBB513_56
; %bb.51:                               ;   in Loop: Header=BB513_4 Depth=1
	ds_load_2addr_stride64_b32 v[26:27], v51 offset1:2
	ds_load_2addr_stride64_b32 v[28:29], v51 offset0:4 offset1:6
	ds_load_2addr_stride64_b32 v[30:31], v51 offset0:8 offset1:10
	s_mov_b32 s9, s43
	s_wait_dscnt 0x2
	v_add_f32_e32 v0, v26, v27
	ds_load_2addr_stride64_b32 v[26:27], v51 offset0:12 offset1:14
	s_wait_dscnt 0x2
	v_add_f32_e32 v0, v28, v0
	s_delay_alu instid0(VALU_DEP_1) | instskip(SKIP_3) | instid1(VALU_DEP_1)
	v_add_f32_e32 v0, v29, v0
	ds_load_2addr_stride64_b32 v[28:29], v51 offset0:16 offset1:18
	s_wait_dscnt 0x2
	v_add_f32_e32 v0, v30, v0
	v_add_f32_e32 v0, v31, v0
	ds_load_2addr_stride64_b32 v[30:31], v51 offset0:20 offset1:22
	s_wait_dscnt 0x2
	v_add_f32_e32 v0, v26, v0
	s_delay_alu instid0(VALU_DEP_1) | instskip(SKIP_3) | instid1(VALU_DEP_1)
	v_add_f32_e32 v0, v27, v0
	ds_load_2addr_stride64_b32 v[26:27], v51 offset0:24 offset1:26
	s_wait_dscnt 0x2
	v_add_f32_e32 v0, v28, v0
	v_add_f32_e32 v0, v29, v0
	ds_load_2addr_stride64_b32 v[28:29], v51 offset0:28 offset1:30
	s_wait_dscnt 0x2
	v_add_f32_e32 v0, v30, v0
	s_delay_alu instid0(VALU_DEP_1) | instskip(SKIP_1) | instid1(VALU_DEP_1)
	v_add_f32_e32 v0, v31, v0
	s_wait_dscnt 0x1
	v_add_f32_e32 v0, v26, v0
	s_delay_alu instid0(VALU_DEP_1) | instskip(SKIP_1) | instid1(VALU_DEP_1)
	v_add_f32_e32 v0, v27, v0
	s_wait_dscnt 0x0
	v_add_f32_e32 v0, v28, v0
	s_delay_alu instid0(VALU_DEP_1)
	v_add_f32_e32 v26, v29, v0
                                        ; implicit-def: $vgpr0
	ds_store_b32 v51, v26
	s_and_saveexec_b32 s8, s2
	s_cbranch_execz .LBB513_55
; %bb.52:                               ;   in Loop: Header=BB513_4 Depth=1
	v_mul_f32_e32 v0, s26, v26
	s_and_not1_b32 vcc_lo, exec_lo, s40
	s_cbranch_vccnz .LBB513_54
; %bb.53:                               ;   in Loop: Header=BB513_4 Depth=1
	v_lshl_add_u64 v[26:27], v[8:9], 2, v[24:25]
	flat_load_b32 v26, v[26:27]
	s_wait_loadcnt_dscnt 0x0
	v_fmac_f32_e32 v0, s33, v26
.LBB513_54:                             ;   in Loop: Header=BB513_4 Depth=1
	s_or_b32 s9, s43, exec_lo
.LBB513_55:                             ;   in Loop: Header=BB513_4 Depth=1
	s_wait_xcnt 0x0
	s_or_b32 exec_lo, exec_lo, s8
	s_delay_alu instid0(SALU_CYCLE_1) | instskip(SKIP_1) | instid1(SALU_CYCLE_1)
	s_and_not1_b32 s8, s43, exec_lo
	s_and_b32 s9, s9, exec_lo
	s_or_b32 s43, s8, s9
.LBB513_56:                             ;   in Loop: Header=BB513_4 Depth=1
	s_or_b32 exec_lo, exec_lo, s7
	v_mov_b64_e32 v[26:27], v[8:9]
	s_and_saveexec_b32 s7, s43
	s_cbranch_execz .LBB513_2
.LBB513_57:                             ;   in Loop: Header=BB513_4 Depth=1
	s_delay_alu instid0(VALU_DEP_1)
	v_lshl_add_u64 v[24:25], v[26:27], 2, v[24:25]
	flat_store_b32 v[24:25], v0
	s_branch .LBB513_2
.LBB513_58:
	s_sendmsg sendmsg(MSG_DEALLOC_VGPRS)
	s_endpgm
	.section	.rodata,"a",@progbits
	.p2align	6, 0x0
	.amdhsa_kernel _ZL20rocblas_gemvn_kernelILi32ELi16ElPKDF16_fKPfEviiT3_lPKT2_lT1_lS7_lS8_lS4_lPT4_lS8_li
		.amdhsa_group_segment_fixed_size 8192
		.amdhsa_private_segment_fixed_size 0
		.amdhsa_kernarg_size 400
		.amdhsa_user_sgpr_count 2
		.amdhsa_user_sgpr_dispatch_ptr 0
		.amdhsa_user_sgpr_queue_ptr 0
		.amdhsa_user_sgpr_kernarg_segment_ptr 1
		.amdhsa_user_sgpr_dispatch_id 0
		.amdhsa_user_sgpr_kernarg_preload_length 0
		.amdhsa_user_sgpr_kernarg_preload_offset 0
		.amdhsa_user_sgpr_private_segment_size 0
		.amdhsa_wavefront_size32 1
		.amdhsa_uses_dynamic_stack 0
		.amdhsa_enable_private_segment 0
		.amdhsa_system_sgpr_workgroup_id_x 1
		.amdhsa_system_sgpr_workgroup_id_y 0
		.amdhsa_system_sgpr_workgroup_id_z 1
		.amdhsa_system_sgpr_workgroup_info 0
		.amdhsa_system_vgpr_workitem_id 1
		.amdhsa_next_free_vgpr 80
		.amdhsa_next_free_sgpr 47
		.amdhsa_named_barrier_count 0
		.amdhsa_reserve_vcc 1
		.amdhsa_float_round_mode_32 0
		.amdhsa_float_round_mode_16_64 0
		.amdhsa_float_denorm_mode_32 3
		.amdhsa_float_denorm_mode_16_64 3
		.amdhsa_fp16_overflow 0
		.amdhsa_memory_ordered 1
		.amdhsa_forward_progress 1
		.amdhsa_inst_pref_size 24
		.amdhsa_round_robin_scheduling 0
		.amdhsa_exception_fp_ieee_invalid_op 0
		.amdhsa_exception_fp_denorm_src 0
		.amdhsa_exception_fp_ieee_div_zero 0
		.amdhsa_exception_fp_ieee_overflow 0
		.amdhsa_exception_fp_ieee_underflow 0
		.amdhsa_exception_fp_ieee_inexact 0
		.amdhsa_exception_int_div_zero 0
	.end_amdhsa_kernel
	.section	.text._ZL20rocblas_gemvn_kernelILi32ELi16ElPKDF16_fKPfEviiT3_lPKT2_lT1_lS7_lS8_lS4_lPT4_lS8_li,"axG",@progbits,_ZL20rocblas_gemvn_kernelILi32ELi16ElPKDF16_fKPfEviiT3_lPKT2_lT1_lS7_lS8_lS4_lPT4_lS8_li,comdat
.Lfunc_end513:
	.size	_ZL20rocblas_gemvn_kernelILi32ELi16ElPKDF16_fKPfEviiT3_lPKT2_lT1_lS7_lS8_lS4_lPT4_lS8_li, .Lfunc_end513-_ZL20rocblas_gemvn_kernelILi32ELi16ElPKDF16_fKPfEviiT3_lPKT2_lT1_lS7_lS8_lS4_lPT4_lS8_li
                                        ; -- End function
	.set _ZL20rocblas_gemvn_kernelILi32ELi16ElPKDF16_fKPfEviiT3_lPKT2_lT1_lS7_lS8_lS4_lPT4_lS8_li.num_vgpr, 80
	.set _ZL20rocblas_gemvn_kernelILi32ELi16ElPKDF16_fKPfEviiT3_lPKT2_lT1_lS7_lS8_lS4_lPT4_lS8_li.num_agpr, 0
	.set _ZL20rocblas_gemvn_kernelILi32ELi16ElPKDF16_fKPfEviiT3_lPKT2_lT1_lS7_lS8_lS4_lPT4_lS8_li.numbered_sgpr, 47
	.set _ZL20rocblas_gemvn_kernelILi32ELi16ElPKDF16_fKPfEviiT3_lPKT2_lT1_lS7_lS8_lS4_lPT4_lS8_li.num_named_barrier, 0
	.set _ZL20rocblas_gemvn_kernelILi32ELi16ElPKDF16_fKPfEviiT3_lPKT2_lT1_lS7_lS8_lS4_lPT4_lS8_li.private_seg_size, 0
	.set _ZL20rocblas_gemvn_kernelILi32ELi16ElPKDF16_fKPfEviiT3_lPKT2_lT1_lS7_lS8_lS4_lPT4_lS8_li.uses_vcc, 1
	.set _ZL20rocblas_gemvn_kernelILi32ELi16ElPKDF16_fKPfEviiT3_lPKT2_lT1_lS7_lS8_lS4_lPT4_lS8_li.uses_flat_scratch, 1
	.set _ZL20rocblas_gemvn_kernelILi32ELi16ElPKDF16_fKPfEviiT3_lPKT2_lT1_lS7_lS8_lS4_lPT4_lS8_li.has_dyn_sized_stack, 0
	.set _ZL20rocblas_gemvn_kernelILi32ELi16ElPKDF16_fKPfEviiT3_lPKT2_lT1_lS7_lS8_lS4_lPT4_lS8_li.has_recursion, 0
	.set _ZL20rocblas_gemvn_kernelILi32ELi16ElPKDF16_fKPfEviiT3_lPKT2_lT1_lS7_lS8_lS4_lPT4_lS8_li.has_indirect_call, 0
	.section	.AMDGPU.csdata,"",@progbits
; Kernel info:
; codeLenInByte = 3060
; TotalNumSgprs: 49
; NumVgprs: 80
; ScratchSize: 0
; MemoryBound: 0
; FloatMode: 240
; IeeeMode: 1
; LDSByteSize: 8192 bytes/workgroup (compile time only)
; SGPRBlocks: 0
; VGPRBlocks: 4
; NumSGPRsForWavesPerEU: 49
; NumVGPRsForWavesPerEU: 80
; NamedBarCnt: 0
; Occupancy: 12
; WaveLimiterHint : 1
; COMPUTE_PGM_RSRC2:SCRATCH_EN: 0
; COMPUTE_PGM_RSRC2:USER_SGPR: 2
; COMPUTE_PGM_RSRC2:TRAP_HANDLER: 0
; COMPUTE_PGM_RSRC2:TGID_X_EN: 1
; COMPUTE_PGM_RSRC2:TGID_Y_EN: 0
; COMPUTE_PGM_RSRC2:TGID_Z_EN: 1
; COMPUTE_PGM_RSRC2:TIDIG_COMP_CNT: 1
	.section	.text._ZL20rocblas_gemvn_kernelILi64ELi16EiPKDF16_PKfKPfEviiT3_lPKT2_lT1_lS9_lSA_lS6_lPT4_lSA_li,"axG",@progbits,_ZL20rocblas_gemvn_kernelILi64ELi16EiPKDF16_PKfKPfEviiT3_lPKT2_lT1_lS9_lSA_lS6_lPT4_lSA_li,comdat
	.globl	_ZL20rocblas_gemvn_kernelILi64ELi16EiPKDF16_PKfKPfEviiT3_lPKT2_lT1_lS9_lSA_lS6_lPT4_lSA_li ; -- Begin function _ZL20rocblas_gemvn_kernelILi64ELi16EiPKDF16_PKfKPfEviiT3_lPKT2_lT1_lS9_lSA_lS6_lPT4_lSA_li
	.p2align	8
	.type	_ZL20rocblas_gemvn_kernelILi64ELi16EiPKDF16_PKfKPfEviiT3_lPKT2_lT1_lS9_lSA_lS6_lPT4_lSA_li,@function
_ZL20rocblas_gemvn_kernelILi64ELi16EiPKDF16_PKfKPfEviiT3_lPKT2_lT1_lS9_lSA_lS6_lPT4_lSA_li: ; @_ZL20rocblas_gemvn_kernelILi64ELi16EiPKDF16_PKfKPfEviiT3_lPKT2_lT1_lS9_lSA_lS6_lPT4_lSA_li
; %bb.0:
	s_clause 0x1
	s_load_b64 s[4:5], s[0:1], 0x9c
	s_load_b32 s33, s[0:1], 0x88
	s_bfe_u32 s2, ttmp6, 0x40014
	s_lshr_b32 s3, ttmp7, 16
	s_add_co_i32 s2, s2, 1
	s_bfe_u32 s6, ttmp6, 0x40008
	s_mul_i32 s7, s3, s2
	s_getreg_b32 s2, hwreg(HW_REG_IB_STS2, 6, 4)
	s_add_co_i32 s6, s6, s7
	s_mov_b32 s11, 0
	s_wait_kmcnt 0x0
	s_lshr_b32 s7, s4, 16
	s_and_b32 s4, s4, 0xffff
	s_and_b32 s5, s5, 0xffff
	s_mul_i32 s4, s7, s4
	s_cmp_eq_u32 s2, 0
	s_mul_i32 s4, s4, s5
	s_cselect_b32 s10, s3, s6
	s_cmp_lg_u32 s4, 0x400
	s_cselect_b32 s3, -1, 0
	s_cmp_ge_u32 s10, s33
	s_cselect_b32 s4, -1, 0
	s_delay_alu instid0(SALU_CYCLE_1) | instskip(NEXT) | instid1(SALU_CYCLE_1)
	s_or_b32 s3, s3, s4
	s_and_b32 vcc_lo, exec_lo, s3
	s_cbranch_vccnz .LBB514_56
; %bb.1:
	s_clause 0x6
	s_load_b32 s4, s[0:1], 0x78
	s_load_b64 s[8:9], s[0:1], 0x0
	s_load_b256 s[12:19], s[0:1], 0x8
	s_load_b32 s34, s[0:1], 0x28
	s_load_b128 s[28:31], s[0:1], 0x38
	s_load_b32 s35, s[0:1], 0x48
	s_load_b256 s[20:27], s[0:1], 0x58
	s_wait_xcnt 0x0
	s_bfe_u32 s0, ttmp6, 0x4000c
	v_and_b32_e32 v6, 0x3ff, v0
	s_add_co_i32 s0, s0, 1
	v_bfe_u32 v7, v0, 10, 10
	s_and_b32 s1, ttmp6, 15
	s_mul_i32 s0, ttmp9, s0
	v_mov_b32_e32 v1, 0
	s_add_co_i32 s1, s1, s0
	v_lshl_add_u32 v5, v7, 6, v6
	v_lshlrev_b32_e32 v20, 2, v7
	s_wait_kmcnt 0x0
	s_ashr_i32 s5, s4, 31
	s_cmp_eq_u32 s2, 0
	s_mov_b32 s2, s8
	s_cselect_b32 s0, ttmp9, s1
	s_ashr_i32 s3, s8, 31
	s_lshl_b32 s36, s0, 8
	s_ashr_i32 s1, s9, 31
	v_dual_add_nc_u32 v0, s36, v5 :: v_dual_add_nc_u32 v21, s36, v6
	v_or_b32_e32 v8, s36, v5
	s_lshr_b32 s0, s1, 26
	v_mul_lo_u32 v11, v7, s34
	s_delay_alu instid0(VALU_DEP_3)
	v_mul_u64_e32 v[2:3], s[4:5], v[0:1]
	v_add_nc_u32_e32 v9, 0x80, v21
	v_add_nc_u32_e32 v4, 64, v21
	v_cmp_gt_i64_e32 vcc_lo, s[2:3], v[0:1]
	v_add_nc_u32_e32 v0, 0xc0, v21
	s_add_co_i32 s37, s9, s0
	v_cmp_gt_i32_e64 s3, s8, v9
	v_lshlrev_b32_e32 v9, 2, v6
	v_cmp_gt_i32_e64 s2, s8, v4
	v_mul_lo_u32 v4, s4, v8
	v_cmp_gt_i32_e64 s4, s8, v0
	s_and_not1_b32 s37, s37, 63
	v_lshl_add_u32 v0, v7, 10, v9
	v_lshl_add_u32 v22, v7, 8, v9
	v_mul_lo_u32 v7, v7, s35
	s_sub_co_i32 s6, s9, s37
	v_or_b32_e32 v9, 2, v20
	s_cmp_gt_i32 s6, 0
	v_cmp_gt_i32_e64 s6, s8, v8
	v_mul_lo_u32 v8, s34, v20
	v_or_b32_e32 v10, 3, v20
	v_mad_u32 v23, s34, v9, v6
	v_mad_u32 v25, s35, v20, s35
	v_mul_lo_u32 v26, s35, v9
	v_cmp_gt_u32_e64 s5, 0x100, v5
	v_lshlrev_b32_e32 v30, 2, v7
	v_mad_u32 v24, s34, v10, v6
	v_mul_lo_u32 v27, s35, v10
	v_cmp_gt_i32_e64 s0, s37, v20
	v_cmp_gt_i32_e64 s1, s8, v21
	v_ashrrev_i32_e32 v5, 31, v4
	v_add3_u32 v28, v8, s34, v6
	v_lshl_add_u32 v29, v11, 2, v6
	s_cselect_b32 s38, -1, 0
	s_and_b32 s39, s5, vcc_lo
	s_lshl_b32 s40, s34, 6
	s_lshl_b32 s41, s35, 6
	s_lshl_b64 s[18:19], s[18:19], 1
	s_lshl_b64 s[30:31], s[30:31], 1
	;; [unrolled: 1-line block ×3, first 2 shown]
	s_branch .LBB514_4
.LBB514_2:                              ;   in Loop: Header=BB514_4 Depth=1
	s_wait_xcnt 0x0
	s_or_b32 exec_lo, exec_lo, s7
.LBB514_3:                              ;   in Loop: Header=BB514_4 Depth=1
	s_add_co_i32 s10, s10, 0x10000
	s_delay_alu instid0(SALU_CYCLE_1)
	s_cmp_lt_u32 s10, s33
	s_cbranch_scc0 .LBB514_56
.LBB514_4:                              ; =>This Loop Header: Depth=1
                                        ;     Child Loop BB514_24 Depth 2
	s_mul_u64 s[42:43], s[14:15], s[10:11]
	s_wait_xcnt 0x0
	s_mul_u64 s[44:45], s[22:23], s[10:11]
	s_lshl_b64 s[42:43], s[42:43], 2
	s_lshl_b64 s[44:45], s[44:45], 2
	s_add_nc_u64 s[42:43], s[12:13], s[42:43]
	s_add_nc_u64 s[44:45], s[20:21], s[44:45]
	s_clause 0x1
	global_load_b32 v31, v1, s[42:43]
	global_load_b32 v6, v1, s[44:45]
	s_wait_loadcnt 0x1
	v_cmp_eq_f32_e64 s7, 0, v31
	s_wait_loadcnt 0x0
	v_cmp_eq_f32_e32 vcc_lo, 1.0, v6
	s_wait_xcnt 0x1
	v_readfirstlane_b32 s42, v6
	s_and_b32 s8, s7, vcc_lo
	s_delay_alu instid0(SALU_CYCLE_1)
	s_and_b32 vcc_lo, exec_lo, s8
	s_cbranch_vccnz .LBB514_3
; %bb.5:                                ;   in Loop: Header=BB514_4 Depth=1
	v_mov_b64_e32 v[10:11], 0
	v_mov_b64_e32 v[8:9], 0
	v_cmp_neq_f32_e64 s8, 0, v31
	s_and_b32 vcc_lo, exec_lo, s7
	s_cbranch_vccnz .LBB514_7
; %bb.6:                                ;   in Loop: Header=BB514_4 Depth=1
	s_wait_xcnt 0x0
	s_lshl_b64 s[44:45], s[10:11], 3
	s_delay_alu instid0(SALU_CYCLE_1)
	s_add_nc_u64 s[44:45], s[16:17], s[44:45]
	global_load_b64 v[6:7], v1, s[44:45]
	s_wait_loadcnt 0x0
	v_add_nc_u64_e32 v[8:9], s[18:19], v[6:7]
.LBB514_7:                              ;   in Loop: Header=BB514_4 Depth=1
	s_and_not1_b32 vcc_lo, exec_lo, s8
	s_cbranch_vccnz .LBB514_9
; %bb.8:                                ;   in Loop: Header=BB514_4 Depth=1
	s_wait_xcnt 0x0
	s_lshl_b64 s[44:45], s[10:11], 3
	s_delay_alu instid0(SALU_CYCLE_1)
	s_add_nc_u64 s[44:45], s[28:29], s[44:45]
	global_load_b64 v[6:7], v1, s[44:45]
	s_wait_loadcnt 0x0
	v_add_nc_u64_e32 v[10:11], s[30:31], v[6:7]
.LBB514_9:                              ;   in Loop: Header=BB514_4 Depth=1
	s_wait_xcnt 0x0
	s_lshl_b64 s[44:45], s[10:11], 3
	s_and_not1_b32 vcc_lo, exec_lo, s7
	s_add_nc_u64 s[44:45], s[24:25], s[44:45]
	global_load_b64 v[6:7], v1, s[44:45]
	s_wait_loadcnt 0x0
	v_add_nc_u64_e32 v[6:7], s[26:27], v[6:7]
	s_cbranch_vccnz .LBB514_13
; %bb.10:                               ;   in Loop: Header=BB514_4 Depth=1
	s_mov_b32 s7, 0
	s_mov_b32 s8, 0
                                        ; implicit-def: $vgpr12
	s_wait_xcnt 0x0
	s_and_saveexec_b32 s43, s39
	s_cbranch_execz .LBB514_14
; %bb.11:                               ;   in Loop: Header=BB514_4 Depth=1
	s_cmp_eq_f32 s42, 0
	s_cbranch_scc1 .LBB514_16
; %bb.12:                               ;   in Loop: Header=BB514_4 Depth=1
	v_lshl_add_u64 v[12:13], v[2:3], 2, v[6:7]
	flat_load_b32 v12, v[12:13]
	s_wait_loadcnt_dscnt 0x0
	s_wait_xcnt 0x0
	v_mul_f32_e32 v12, s42, v12
	s_branch .LBB514_17
.LBB514_13:                             ;   in Loop: Header=BB514_4 Depth=1
	s_mov_b32 s8, 0
                                        ; implicit-def: $vgpr12
	s_cbranch_execz .LBB514_15
	s_branch .LBB514_18
.LBB514_14:                             ;   in Loop: Header=BB514_4 Depth=1
	s_or_b32 exec_lo, exec_lo, s43
	s_delay_alu instid0(SALU_CYCLE_1)
	s_and_b32 vcc_lo, exec_lo, s7
	s_cbranch_vccnz .LBB514_18
.LBB514_15:                             ;   in Loop: Header=BB514_4 Depth=1
	v_mov_b64_e32 v[8:9], v[2:3]
	s_wait_xcnt 0x0
	s_and_saveexec_b32 s7, s8
	s_cbranch_execz .LBB514_2
	s_branch .LBB514_55
.LBB514_16:                             ;   in Loop: Header=BB514_4 Depth=1
	v_mov_b32_e32 v12, 0
.LBB514_17:                             ;   in Loop: Header=BB514_4 Depth=1
	s_mov_b32 s8, exec_lo
	s_or_b32 exec_lo, exec_lo, s43
	s_delay_alu instid0(SALU_CYCLE_1)
	s_and_b32 vcc_lo, exec_lo, s7
	s_cbranch_vccz .LBB514_15
.LBB514_18:                             ;   in Loop: Header=BB514_4 Depth=1
	v_dual_mov_b32 v32, 0 :: v_dual_mov_b32 v36, v20
	v_dual_mov_b32 v33, 0 :: v_dual_mov_b32 v34, 0
	v_mov_b32_e32 v35, 0
	s_wait_xcnt 0x0
	s_and_saveexec_b32 s7, s0
	s_cbranch_execz .LBB514_30
; %bb.19:                               ;   in Loop: Header=BB514_4 Depth=1
	v_dual_mov_b32 v32, 0 :: v_dual_mov_b32 v37, v29
	v_dual_mov_b32 v38, v24 :: v_dual_mov_b32 v39, v23
	;; [unrolled: 1-line block ×4, first 2 shown]
	v_mov_b32_e32 v35, 0
	s_mov_b32 s43, 0
	s_mov_b32 s44, 0
	s_branch .LBB514_24
.LBB514_20:                             ;   in Loop: Header=BB514_24 Depth=2
	s_wait_xcnt 0x0
	s_or_b32 exec_lo, exec_lo, s48
	s_wait_loadcnt_dscnt 0x303
	v_fma_mix_f32 v12, v53, v57, v34 op_sel_hi:[0,1,0]
	s_wait_loadcnt_dscnt 0x202
	s_delay_alu instid0(VALU_DEP_1) | instskip(SKIP_1) | instid1(VALU_DEP_1)
	v_fma_mix_f32 v12, v54, v58, v12 op_sel_hi:[0,1,0]
	s_wait_loadcnt_dscnt 0x101
	v_fma_mix_f32 v12, v55, v59, v12 op_sel_hi:[0,1,0]
	s_wait_loadcnt_dscnt 0x0
	s_delay_alu instid0(VALU_DEP_1)
	v_fma_mix_f32 v34, v56, v60, v12 op_sel_hi:[0,1,0]
.LBB514_21:                             ;   in Loop: Header=BB514_24 Depth=2
	s_or_b32 exec_lo, exec_lo, s47
	s_wait_loadcnt_dscnt 0x303
	v_fma_mix_f32 v12, v53, v49, v33 op_sel_hi:[0,1,0]
	s_wait_loadcnt_dscnt 0x202
	s_delay_alu instid0(VALU_DEP_1) | instskip(SKIP_1) | instid1(VALU_DEP_1)
	v_fma_mix_f32 v12, v54, v50, v12 op_sel_hi:[0,1,0]
	s_wait_loadcnt_dscnt 0x101
	v_fma_mix_f32 v12, v55, v51, v12 op_sel_hi:[0,1,0]
	s_wait_loadcnt_dscnt 0x0
	s_delay_alu instid0(VALU_DEP_1)
	v_fma_mix_f32 v33, v56, v52, v12 op_sel_hi:[0,1,0]
.LBB514_22:                             ;   in Loop: Header=BB514_24 Depth=2
	s_or_b32 exec_lo, exec_lo, s46
	s_wait_loadcnt_dscnt 0x303
	v_fma_mix_f32 v12, v41, v45, v32 op_sel_hi:[1,1,0]
	s_wait_loadcnt_dscnt 0x202
	s_delay_alu instid0(VALU_DEP_1) | instskip(SKIP_1) | instid1(VALU_DEP_1)
	v_fma_mix_f32 v12, v42, v46, v12 op_sel_hi:[1,1,0]
	s_wait_loadcnt_dscnt 0x101
	v_fma_mix_f32 v12, v43, v47, v12 op_sel_hi:[1,1,0]
	s_wait_loadcnt_dscnt 0x0
	s_delay_alu instid0(VALU_DEP_1)
	v_fma_mix_f32 v32, v44, v48, v12 op_sel_hi:[1,1,0]
.LBB514_23:                             ;   in Loop: Header=BB514_24 Depth=2
	s_or_b32 exec_lo, exec_lo, s45
	v_dual_add_nc_u32 v36, 64, v36 :: v_dual_add_nc_u32 v39, s40, v39
	v_dual_add_nc_u32 v40, s40, v40 :: v_dual_add_nc_u32 v38, s40, v38
	v_add_nc_u32_e32 v37, s40, v37
	s_delay_alu instid0(VALU_DEP_3) | instskip(SKIP_2) | instid1(SALU_CYCLE_1)
	v_cmp_le_i32_e32 vcc_lo, s37, v36
	s_add_co_i32 s44, s44, s41
	s_or_b32 s43, vcc_lo, s43
	s_and_not1_b32 exec_lo, exec_lo, s43
	s_cbranch_execz .LBB514_29
.LBB514_24:                             ;   Parent Loop BB514_4 Depth=1
                                        ; =>  This Inner Loop Header: Depth=2
	s_and_saveexec_b32 s45, s1
	s_cbranch_execz .LBB514_23
; %bb.25:                               ;   in Loop: Header=BB514_24 Depth=2
	v_dual_add_nc_u32 v13, s44, v30 :: v_dual_add_nc_u32 v15, s44, v25
	v_readfirstlane_b32 s46, v10
	v_readfirstlane_b32 s47, v11
	v_dual_add_nc_u32 v17, s44, v26 :: v_dual_add_nc_u32 v19, s44, v27
	v_dual_add_nc_u32 v12, s36, v37 :: v_dual_add_nc_u32 v14, s36, v40
	v_readfirstlane_b32 s48, v8
	v_readfirstlane_b32 s49, v9
	v_dual_add_nc_u32 v18, s36, v39 :: v_dual_add_nc_u32 v16, s36, v38
	s_clause 0x3
	flat_load_u16 v41, v13, s[46:47] scale_offset
	flat_load_u16 v42, v15, s[46:47] scale_offset
	;; [unrolled: 1-line block ×4, first 2 shown]
	s_clause 0x3
	flat_load_u16 v45, v12, s[48:49] scale_offset
	flat_load_u16 v46, v14, s[48:49] scale_offset
	;; [unrolled: 1-line block ×4, first 2 shown]
	s_wait_xcnt 0x0
	s_and_saveexec_b32 s46, s2
	s_cbranch_execz .LBB514_22
; %bb.26:                               ;   in Loop: Header=BB514_24 Depth=2
	v_dual_ashrrev_i32 v13, 31, v12 :: v_dual_ashrrev_i32 v15, 31, v14
	v_dual_ashrrev_i32 v19, 31, v18 :: v_dual_ashrrev_i32 v17, 31, v16
	s_wait_loadcnt_dscnt 0x707
	v_cvt_f32_f16_e32 v53, v41
	s_delay_alu instid0(VALU_DEP_3)
	v_lshl_add_u64 v[12:13], v[12:13], 1, v[8:9]
	v_lshl_add_u64 v[14:15], v[14:15], 1, v[8:9]
	;; [unrolled: 1-line block ×4, first 2 shown]
	s_wait_loadcnt_dscnt 0x606
	v_cvt_f32_f16_e32 v54, v42
	s_clause 0x3
	flat_load_u16 v49, v[12:13] offset:128
	flat_load_u16 v50, v[14:15] offset:128
	;; [unrolled: 1-line block ×4, first 2 shown]
	s_wait_loadcnt_dscnt 0x909
	v_cvt_f32_f16_e32 v55, v43
	s_wait_loadcnt_dscnt 0x808
	v_cvt_f32_f16_e32 v56, v44
	s_wait_xcnt 0x0
	s_and_saveexec_b32 s47, s3
	s_cbranch_execz .LBB514_21
; %bb.27:                               ;   in Loop: Header=BB514_24 Depth=2
	s_clause 0x3
	flat_load_u16 v57, v[12:13] offset:256
	flat_load_u16 v58, v[14:15] offset:256
	;; [unrolled: 1-line block ×4, first 2 shown]
	s_wait_xcnt 0x0
	s_and_saveexec_b32 s48, s4
	s_cbranch_execz .LBB514_20
; %bb.28:                               ;   in Loop: Header=BB514_24 Depth=2
	s_clause 0x3
	flat_load_u16 v61, v[12:13] offset:384
	flat_load_u16 v62, v[14:15] offset:384
	;; [unrolled: 1-line block ×3, first 2 shown]
	; meta instruction
	; meta instruction
	;; [unrolled: 1-line block ×3, first 2 shown]
	flat_load_u16 v12, v[16:17] offset:384
	s_wait_loadcnt_dscnt 0x303
	v_fma_mix_f32 v13, v53, v61, v35 op_sel_hi:[0,1,0]
	s_wait_loadcnt_dscnt 0x202
	s_delay_alu instid0(VALU_DEP_1) | instskip(SKIP_1) | instid1(VALU_DEP_1)
	v_fma_mix_f32 v13, v54, v62, v13 op_sel_hi:[0,1,0]
	s_wait_loadcnt_dscnt 0x101
	v_fma_mix_f32 v13, v55, v63, v13 op_sel_hi:[0,1,0]
	s_wait_loadcnt_dscnt 0x0
	s_delay_alu instid0(VALU_DEP_1)
	v_fma_mix_f32 v35, v56, v12, v13 op_sel_hi:[0,1,0]
	s_branch .LBB514_20
.LBB514_29:                             ;   in Loop: Header=BB514_4 Depth=1
	s_or_b32 exec_lo, exec_lo, s43
.LBB514_30:                             ;   in Loop: Header=BB514_4 Depth=1
	s_delay_alu instid0(SALU_CYCLE_1) | instskip(NEXT) | instid1(SALU_CYCLE_1)
	s_or_b32 exec_lo, exec_lo, s7
	s_and_not1_b32 vcc_lo, exec_lo, s38
	s_cbranch_vccnz .LBB514_48
; %bb.31:                               ;   in Loop: Header=BB514_4 Depth=1
	v_cmp_gt_i32_e32 vcc_lo, s9, v36
	v_dual_mov_b32 v37, 0 :: v_dual_bitop2_b32 v12, 1, v36 bitop3:0x54
	v_dual_mov_b32 v38, 0 :: v_dual_mov_b32 v39, 0
	v_mov_b32_e32 v40, 0
	s_and_saveexec_b32 s43, vcc_lo
	s_cbranch_execz .LBB514_39
; %bb.32:                               ;   in Loop: Header=BB514_4 Depth=1
	v_mul_lo_u32 v13, v36, s35
	v_readfirstlane_b32 s44, v10
	v_readfirstlane_b32 s45, v11
	v_dual_mov_b32 v39, 0 :: v_dual_mov_b32 v38, 0
	v_mov_b32_e32 v37, 0
	flat_load_u16 v13, v13, s[44:45] scale_offset
	s_wait_xcnt 0x0
	s_mov_b32 s44, exec_lo
	v_cmpx_gt_i32_e64 s9, v12
	s_cbranch_execz .LBB514_38
; %bb.33:                               ;   in Loop: Header=BB514_4 Depth=1
	v_mul_lo_u32 v14, v12, s35
	v_readfirstlane_b32 s46, v10
	v_readfirstlane_b32 s47, v11
	v_dual_mov_b32 v38, 0 :: v_dual_bitop2_b32 v15, 2, v36 bitop3:0x54
	v_mov_b32_e32 v37, 0
	s_mov_b32 s45, exec_lo
	flat_load_u16 v14, v14, s[46:47] scale_offset
	s_wait_xcnt 0x0
	v_cmpx_gt_i32_e64 s9, v15
	s_cbranch_execz .LBB514_37
; %bb.34:                               ;   in Loop: Header=BB514_4 Depth=1
	v_mul_lo_u32 v15, v15, s35
	v_readfirstlane_b32 s46, v10
	v_readfirstlane_b32 s47, v11
	v_dual_mov_b32 v37, 0 :: v_dual_bitop2_b32 v16, 3, v36 bitop3:0x54
	flat_load_u16 v15, v15, s[46:47] scale_offset
	s_wait_xcnt 0x0
	s_mov_b32 s46, exec_lo
	v_cmpx_gt_i32_e64 s9, v16
	s_cbranch_execz .LBB514_36
; %bb.35:                               ;   in Loop: Header=BB514_4 Depth=1
	v_mul_lo_u32 v16, v16, s35
	v_readfirstlane_b32 s48, v10
	v_readfirstlane_b32 s49, v11
	flat_load_u16 v10, v16, s[48:49] scale_offset
	s_wait_loadcnt_dscnt 0x0
	v_cvt_f32_f16_e32 v37, v10
.LBB514_36:                             ;   in Loop: Header=BB514_4 Depth=1
	s_wait_xcnt 0x0
	s_or_b32 exec_lo, exec_lo, s46
	s_wait_loadcnt_dscnt 0x0
	v_cvt_f32_f16_e32 v38, v15
.LBB514_37:                             ;   in Loop: Header=BB514_4 Depth=1
	s_or_b32 exec_lo, exec_lo, s45
	s_wait_loadcnt_dscnt 0x0
	v_cvt_f32_f16_e32 v39, v14
.LBB514_38:                             ;   in Loop: Header=BB514_4 Depth=1
	s_or_b32 exec_lo, exec_lo, s44
	s_wait_loadcnt_dscnt 0x0
	v_cvt_f32_f16_e32 v40, v13
.LBB514_39:                             ;   in Loop: Header=BB514_4 Depth=1
	s_or_b32 exec_lo, exec_lo, s43
	s_and_saveexec_b32 s7, s1
	s_cbranch_execz .LBB514_47
; %bb.40:                               ;   in Loop: Header=BB514_4 Depth=1
	v_mul_lo_u32 v11, v36, s34
	v_mul_lo_u32 v14, v12, s34
	v_or_b32_e32 v10, 2, v36
	v_readfirstlane_b32 s44, v8
	v_readfirstlane_b32 s45, v9
	v_cndmask_b32_e32 v11, 0, v11, vcc_lo
	s_delay_alu instid0(VALU_DEP_4) | instskip(SKIP_2) | instid1(VALU_DEP_1)
	v_mul_lo_u32 v15, v10, s34
	v_cmp_gt_i32_e32 vcc_lo, s9, v12
	v_dual_cndmask_b32 v12, 0, v14, vcc_lo :: v_dual_bitop2_b32 v13, 3, v36 bitop3:0x54
	v_mul_lo_u32 v16, v13, s34
	v_cmp_gt_i32_e32 vcc_lo, s9, v10
	s_delay_alu instid0(VALU_DEP_3) | instskip(SKIP_2) | instid1(VALU_DEP_2)
	v_dual_add_nc_u32 v10, v11, v21 :: v_dual_add_nc_u32 v14, v12, v21
	v_cndmask_b32_e32 v15, 0, v15, vcc_lo
	v_cmp_gt_i32_e32 vcc_lo, s9, v13
	v_dual_cndmask_b32 v13, 0, v16 :: v_dual_add_nc_u32 v18, v15, v21
	s_delay_alu instid0(VALU_DEP_1)
	v_add_nc_u32_e32 v16, v13, v21
	s_clause 0x3
	flat_load_u16 v36, v10, s[44:45] scale_offset
	flat_load_u16 v41, v14, s[44:45] scale_offset
	;; [unrolled: 1-line block ×4, first 2 shown]
	s_wait_xcnt 0x0
	s_and_saveexec_b32 s43, s2
	s_cbranch_execz .LBB514_46
; %bb.41:                               ;   in Loop: Header=BB514_4 Depth=1
	v_dual_ashrrev_i32 v11, 31, v10 :: v_dual_ashrrev_i32 v17, 31, v16
	v_ashrrev_i32_e32 v15, 31, v14
	v_ashrrev_i32_e32 v19, 31, v18
	s_delay_alu instid0(VALU_DEP_3) | instskip(NEXT) | instid1(VALU_DEP_3)
	v_lshl_add_u64 v[12:13], v[10:11], 1, v[8:9]
	v_lshl_add_u64 v[10:11], v[14:15], 1, v[8:9]
	s_delay_alu instid0(VALU_DEP_3)
	v_lshl_add_u64 v[14:15], v[18:19], 1, v[8:9]
	v_lshl_add_u64 v[8:9], v[16:17], 1, v[8:9]
	s_clause 0x3
	flat_load_u16 v16, v[12:13] offset:128
	flat_load_u16 v17, v[10:11] offset:128
	;; [unrolled: 1-line block ×4, first 2 shown]
	s_wait_xcnt 0x0
	s_and_saveexec_b32 s44, s3
	s_cbranch_execz .LBB514_45
; %bb.42:                               ;   in Loop: Header=BB514_4 Depth=1
	s_clause 0x3
	flat_load_u16 v44, v[12:13] offset:256
	flat_load_u16 v45, v[10:11] offset:256
	;; [unrolled: 1-line block ×4, first 2 shown]
	s_wait_xcnt 0x0
	s_and_saveexec_b32 s45, s4
	s_cbranch_execz .LBB514_44
; %bb.43:                               ;   in Loop: Header=BB514_4 Depth=1
	s_clause 0x3
	flat_load_u16 v48, v[12:13] offset:384
	flat_load_u16 v49, v[10:11] offset:384
	;; [unrolled: 1-line block ×4, first 2 shown]
	s_wait_loadcnt_dscnt 0x303
	s_wait_xcnt 0x0
	v_fma_mix_f32 v8, v40, v48, v35 op_sel_hi:[0,1,0]
	s_wait_loadcnt_dscnt 0x202
	s_delay_alu instid0(VALU_DEP_1) | instskip(SKIP_1) | instid1(VALU_DEP_1)
	v_fma_mix_f32 v8, v39, v49, v8 op_sel_hi:[0,1,0]
	s_wait_loadcnt_dscnt 0x101
	v_fma_mix_f32 v8, v38, v50, v8 op_sel_hi:[0,1,0]
	s_wait_loadcnt_dscnt 0x0
	s_delay_alu instid0(VALU_DEP_1)
	v_fma_mix_f32 v35, v37, v51, v8 op_sel_hi:[0,1,0]
.LBB514_44:                             ;   in Loop: Header=BB514_4 Depth=1
	s_or_b32 exec_lo, exec_lo, s45
	s_wait_loadcnt_dscnt 0x303
	v_fma_mix_f32 v8, v40, v44, v34 op_sel_hi:[0,1,0]
	s_wait_loadcnt_dscnt 0x202
	s_delay_alu instid0(VALU_DEP_1) | instskip(SKIP_1) | instid1(VALU_DEP_1)
	v_fma_mix_f32 v8, v39, v45, v8 op_sel_hi:[0,1,0]
	s_wait_loadcnt_dscnt 0x101
	v_fma_mix_f32 v8, v38, v46, v8 op_sel_hi:[0,1,0]
	s_wait_loadcnt_dscnt 0x0
	s_delay_alu instid0(VALU_DEP_1)
	v_fma_mix_f32 v34, v37, v47, v8 op_sel_hi:[0,1,0]
.LBB514_45:                             ;   in Loop: Header=BB514_4 Depth=1
	s_or_b32 exec_lo, exec_lo, s44
	s_wait_loadcnt_dscnt 0x303
	v_fma_mix_f32 v8, v40, v16, v33 op_sel_hi:[0,1,0]
	s_wait_loadcnt_dscnt 0x202
	s_delay_alu instid0(VALU_DEP_1) | instskip(SKIP_1) | instid1(VALU_DEP_1)
	v_fma_mix_f32 v8, v39, v17, v8 op_sel_hi:[0,1,0]
	s_wait_loadcnt_dscnt 0x101
	v_fma_mix_f32 v8, v38, v18, v8 op_sel_hi:[0,1,0]
	s_wait_loadcnt_dscnt 0x0
	s_delay_alu instid0(VALU_DEP_1)
	v_fma_mix_f32 v33, v37, v19, v8 op_sel_hi:[0,1,0]
.LBB514_46:                             ;   in Loop: Header=BB514_4 Depth=1
	s_or_b32 exec_lo, exec_lo, s43
	s_wait_loadcnt_dscnt 0x303
	v_fma_mix_f32 v8, v40, v36, v32 op_sel_hi:[0,1,0]
	s_wait_loadcnt_dscnt 0x202
	s_delay_alu instid0(VALU_DEP_1) | instskip(SKIP_1) | instid1(VALU_DEP_1)
	v_fma_mix_f32 v8, v39, v41, v8 op_sel_hi:[0,1,0]
	s_wait_loadcnt_dscnt 0x101
	v_fma_mix_f32 v8, v38, v42, v8 op_sel_hi:[0,1,0]
	s_wait_loadcnt_dscnt 0x0
	s_delay_alu instid0(VALU_DEP_1)
	v_fma_mix_f32 v32, v37, v43, v8 op_sel_hi:[0,1,0]
.LBB514_47:                             ;   in Loop: Header=BB514_4 Depth=1
	s_or_b32 exec_lo, exec_lo, s7
.LBB514_48:                             ;   in Loop: Header=BB514_4 Depth=1
	ds_store_2addr_stride64_b32 v0, v32, v33 offset1:1
	ds_store_2addr_stride64_b32 v0, v34, v35 offset0:2 offset1:3
	s_wait_dscnt 0x0
	s_barrier_signal -1
	s_barrier_wait -1
                                        ; implicit-def: $vgpr12
	s_and_saveexec_b32 s7, s5
	s_cbranch_execz .LBB514_54
; %bb.49:                               ;   in Loop: Header=BB514_4 Depth=1
	ds_load_2addr_stride64_b32 v[8:9], v22 offset1:4
	ds_load_2addr_stride64_b32 v[10:11], v22 offset0:8 offset1:12
	ds_load_2addr_stride64_b32 v[12:13], v22 offset0:16 offset1:20
	s_mov_b32 s44, s8
	s_wait_dscnt 0x2
	v_add_f32_e32 v14, v8, v9
	ds_load_2addr_stride64_b32 v[8:9], v22 offset0:24 offset1:28
	s_wait_dscnt 0x2
	v_add_f32_e32 v10, v10, v14
	s_delay_alu instid0(VALU_DEP_1) | instskip(SKIP_3) | instid1(VALU_DEP_1)
	v_add_f32_e32 v14, v11, v10
	ds_load_2addr_stride64_b32 v[10:11], v22 offset0:32 offset1:36
	s_wait_dscnt 0x2
	v_add_f32_e32 v12, v12, v14
	v_add_f32_e32 v14, v13, v12
	ds_load_2addr_stride64_b32 v[12:13], v22 offset0:40 offset1:44
	s_wait_dscnt 0x2
	v_add_f32_e32 v8, v8, v14
	s_delay_alu instid0(VALU_DEP_1) | instskip(SKIP_1) | instid1(VALU_DEP_1)
	v_add_f32_e32 v8, v9, v8
	s_wait_dscnt 0x1
	v_add_f32_e32 v10, v10, v8
	ds_load_2addr_stride64_b32 v[8:9], v22 offset0:48 offset1:52
	v_add_f32_e32 v10, v11, v10
	s_wait_dscnt 0x1
	s_delay_alu instid0(VALU_DEP_1) | instskip(SKIP_3) | instid1(VALU_DEP_1)
	v_add_f32_e32 v12, v12, v10
	ds_load_2addr_stride64_b32 v[10:11], v22 offset0:56 offset1:60
	v_add_f32_e32 v12, v13, v12
	s_wait_dscnt 0x1
	v_add_f32_e32 v8, v8, v12
                                        ; implicit-def: $vgpr12
	s_delay_alu instid0(VALU_DEP_1) | instskip(SKIP_1) | instid1(VALU_DEP_1)
	v_add_f32_e32 v8, v9, v8
	s_wait_dscnt 0x0
	v_add_f32_e32 v8, v10, v8
	s_delay_alu instid0(VALU_DEP_1)
	v_add_f32_e32 v8, v11, v8
	ds_store_b32 v22, v8
	s_and_saveexec_b32 s43, s6
	s_cbranch_execz .LBB514_53
; %bb.50:                               ;   in Loop: Header=BB514_4 Depth=1
	v_mul_f32_e32 v12, v31, v8
	s_cmp_eq_f32 s42, 0
	s_cbranch_scc1 .LBB514_52
; %bb.51:                               ;   in Loop: Header=BB514_4 Depth=1
	v_lshl_add_u64 v[8:9], v[4:5], 2, v[6:7]
	flat_load_b32 v8, v[8:9]
	s_wait_loadcnt_dscnt 0x0
	v_fmac_f32_e32 v12, s42, v8
.LBB514_52:                             ;   in Loop: Header=BB514_4 Depth=1
	s_or_b32 s44, s8, exec_lo
.LBB514_53:                             ;   in Loop: Header=BB514_4 Depth=1
	s_wait_xcnt 0x0
	s_or_b32 exec_lo, exec_lo, s43
	s_delay_alu instid0(SALU_CYCLE_1) | instskip(SKIP_1) | instid1(SALU_CYCLE_1)
	s_and_not1_b32 s8, s8, exec_lo
	s_and_b32 s42, s44, exec_lo
	s_or_b32 s8, s8, s42
.LBB514_54:                             ;   in Loop: Header=BB514_4 Depth=1
	s_or_b32 exec_lo, exec_lo, s7
	v_mov_b64_e32 v[8:9], v[4:5]
	s_and_saveexec_b32 s7, s8
	s_cbranch_execz .LBB514_2
.LBB514_55:                             ;   in Loop: Header=BB514_4 Depth=1
	s_delay_alu instid0(VALU_DEP_1)
	v_lshl_add_u64 v[6:7], v[8:9], 2, v[6:7]
	flat_store_b32 v[6:7], v12
	s_branch .LBB514_2
.LBB514_56:
	s_endpgm
	.section	.rodata,"a",@progbits
	.p2align	6, 0x0
	.amdhsa_kernel _ZL20rocblas_gemvn_kernelILi64ELi16EiPKDF16_PKfKPfEviiT3_lPKT2_lT1_lS9_lSA_lS6_lPT4_lSA_li
		.amdhsa_group_segment_fixed_size 16384
		.amdhsa_private_segment_fixed_size 0
		.amdhsa_kernarg_size 400
		.amdhsa_user_sgpr_count 2
		.amdhsa_user_sgpr_dispatch_ptr 0
		.amdhsa_user_sgpr_queue_ptr 0
		.amdhsa_user_sgpr_kernarg_segment_ptr 1
		.amdhsa_user_sgpr_dispatch_id 0
		.amdhsa_user_sgpr_kernarg_preload_length 0
		.amdhsa_user_sgpr_kernarg_preload_offset 0
		.amdhsa_user_sgpr_private_segment_size 0
		.amdhsa_wavefront_size32 1
		.amdhsa_uses_dynamic_stack 0
		.amdhsa_enable_private_segment 0
		.amdhsa_system_sgpr_workgroup_id_x 1
		.amdhsa_system_sgpr_workgroup_id_y 0
		.amdhsa_system_sgpr_workgroup_id_z 1
		.amdhsa_system_sgpr_workgroup_info 0
		.amdhsa_system_vgpr_workitem_id 1
		.amdhsa_next_free_vgpr 64
		.amdhsa_next_free_sgpr 50
		.amdhsa_named_barrier_count 0
		.amdhsa_reserve_vcc 1
		.amdhsa_float_round_mode_32 0
		.amdhsa_float_round_mode_16_64 0
		.amdhsa_float_denorm_mode_32 3
		.amdhsa_float_denorm_mode_16_64 3
		.amdhsa_fp16_overflow 0
		.amdhsa_memory_ordered 1
		.amdhsa_forward_progress 1
		.amdhsa_inst_pref_size 25
		.amdhsa_round_robin_scheduling 0
		.amdhsa_exception_fp_ieee_invalid_op 0
		.amdhsa_exception_fp_denorm_src 0
		.amdhsa_exception_fp_ieee_div_zero 0
		.amdhsa_exception_fp_ieee_overflow 0
		.amdhsa_exception_fp_ieee_underflow 0
		.amdhsa_exception_fp_ieee_inexact 0
		.amdhsa_exception_int_div_zero 0
	.end_amdhsa_kernel
	.section	.text._ZL20rocblas_gemvn_kernelILi64ELi16EiPKDF16_PKfKPfEviiT3_lPKT2_lT1_lS9_lSA_lS6_lPT4_lSA_li,"axG",@progbits,_ZL20rocblas_gemvn_kernelILi64ELi16EiPKDF16_PKfKPfEviiT3_lPKT2_lT1_lS9_lSA_lS6_lPT4_lSA_li,comdat
.Lfunc_end514:
	.size	_ZL20rocblas_gemvn_kernelILi64ELi16EiPKDF16_PKfKPfEviiT3_lPKT2_lT1_lS9_lSA_lS6_lPT4_lSA_li, .Lfunc_end514-_ZL20rocblas_gemvn_kernelILi64ELi16EiPKDF16_PKfKPfEviiT3_lPKT2_lT1_lS9_lSA_lS6_lPT4_lSA_li
                                        ; -- End function
	.set _ZL20rocblas_gemvn_kernelILi64ELi16EiPKDF16_PKfKPfEviiT3_lPKT2_lT1_lS9_lSA_lS6_lPT4_lSA_li.num_vgpr, 64
	.set _ZL20rocblas_gemvn_kernelILi64ELi16EiPKDF16_PKfKPfEviiT3_lPKT2_lT1_lS9_lSA_lS6_lPT4_lSA_li.num_agpr, 0
	.set _ZL20rocblas_gemvn_kernelILi64ELi16EiPKDF16_PKfKPfEviiT3_lPKT2_lT1_lS9_lSA_lS6_lPT4_lSA_li.numbered_sgpr, 50
	.set _ZL20rocblas_gemvn_kernelILi64ELi16EiPKDF16_PKfKPfEviiT3_lPKT2_lT1_lS9_lSA_lS6_lPT4_lSA_li.num_named_barrier, 0
	.set _ZL20rocblas_gemvn_kernelILi64ELi16EiPKDF16_PKfKPfEviiT3_lPKT2_lT1_lS9_lSA_lS6_lPT4_lSA_li.private_seg_size, 0
	.set _ZL20rocblas_gemvn_kernelILi64ELi16EiPKDF16_PKfKPfEviiT3_lPKT2_lT1_lS9_lSA_lS6_lPT4_lSA_li.uses_vcc, 1
	.set _ZL20rocblas_gemvn_kernelILi64ELi16EiPKDF16_PKfKPfEviiT3_lPKT2_lT1_lS9_lSA_lS6_lPT4_lSA_li.uses_flat_scratch, 1
	.set _ZL20rocblas_gemvn_kernelILi64ELi16EiPKDF16_PKfKPfEviiT3_lPKT2_lT1_lS9_lSA_lS6_lPT4_lSA_li.has_dyn_sized_stack, 0
	.set _ZL20rocblas_gemvn_kernelILi64ELi16EiPKDF16_PKfKPfEviiT3_lPKT2_lT1_lS9_lSA_lS6_lPT4_lSA_li.has_recursion, 0
	.set _ZL20rocblas_gemvn_kernelILi64ELi16EiPKDF16_PKfKPfEviiT3_lPKT2_lT1_lS9_lSA_lS6_lPT4_lSA_li.has_indirect_call, 0
	.section	.AMDGPU.csdata,"",@progbits
; Kernel info:
; codeLenInByte = 3164
; TotalNumSgprs: 52
; NumVgprs: 64
; ScratchSize: 0
; MemoryBound: 0
; FloatMode: 240
; IeeeMode: 1
; LDSByteSize: 16384 bytes/workgroup (compile time only)
; SGPRBlocks: 0
; VGPRBlocks: 3
; NumSGPRsForWavesPerEU: 52
; NumVGPRsForWavesPerEU: 64
; NamedBarCnt: 0
; Occupancy: 16
; WaveLimiterHint : 1
; COMPUTE_PGM_RSRC2:SCRATCH_EN: 0
; COMPUTE_PGM_RSRC2:USER_SGPR: 2
; COMPUTE_PGM_RSRC2:TRAP_HANDLER: 0
; COMPUTE_PGM_RSRC2:TGID_X_EN: 1
; COMPUTE_PGM_RSRC2:TGID_Y_EN: 0
; COMPUTE_PGM_RSRC2:TGID_Z_EN: 1
; COMPUTE_PGM_RSRC2:TIDIG_COMP_CNT: 1
	.section	.text._ZL20rocblas_gemvn_kernelILi64ELi16ElPKDF16_PKfKPfEviiT3_lPKT2_lT1_lS9_lSA_lS6_lPT4_lSA_li,"axG",@progbits,_ZL20rocblas_gemvn_kernelILi64ELi16ElPKDF16_PKfKPfEviiT3_lPKT2_lT1_lS9_lSA_lS6_lPT4_lSA_li,comdat
	.globl	_ZL20rocblas_gemvn_kernelILi64ELi16ElPKDF16_PKfKPfEviiT3_lPKT2_lT1_lS9_lSA_lS6_lPT4_lSA_li ; -- Begin function _ZL20rocblas_gemvn_kernelILi64ELi16ElPKDF16_PKfKPfEviiT3_lPKT2_lT1_lS9_lSA_lS6_lPT4_lSA_li
	.p2align	8
	.type	_ZL20rocblas_gemvn_kernelILi64ELi16ElPKDF16_PKfKPfEviiT3_lPKT2_lT1_lS9_lSA_lS6_lPT4_lSA_li,@function
_ZL20rocblas_gemvn_kernelILi64ELi16ElPKDF16_PKfKPfEviiT3_lPKT2_lT1_lS9_lSA_lS6_lPT4_lSA_li: ; @_ZL20rocblas_gemvn_kernelILi64ELi16ElPKDF16_PKfKPfEviiT3_lPKT2_lT1_lS9_lSA_lS6_lPT4_lSA_li
; %bb.0:
	s_clause 0x1
	s_load_b64 s[4:5], s[0:1], 0x9c
	s_load_b32 s33, s[0:1], 0x88
	s_bfe_u32 s2, ttmp6, 0x40014
	s_lshr_b32 s3, ttmp7, 16
	s_add_co_i32 s2, s2, 1
	s_bfe_u32 s6, ttmp6, 0x40008
	s_mul_i32 s7, s3, s2
	s_getreg_b32 s2, hwreg(HW_REG_IB_STS2, 6, 4)
	s_add_co_i32 s6, s6, s7
	s_mov_b32 s11, 0
	s_wait_kmcnt 0x0
	s_lshr_b32 s7, s4, 16
	s_and_b32 s4, s4, 0xffff
	s_and_b32 s5, s5, 0xffff
	s_mul_i32 s4, s7, s4
	s_cmp_eq_u32 s2, 0
	s_mul_i32 s4, s4, s5
	s_cselect_b32 s10, s3, s6
	s_cmp_lg_u32 s4, 0x400
	s_cselect_b32 s3, -1, 0
	s_cmp_ge_u32 s10, s33
	s_cselect_b32 s4, -1, 0
	s_delay_alu instid0(SALU_CYCLE_1) | instskip(NEXT) | instid1(SALU_CYCLE_1)
	s_or_b32 s3, s3, s4
	s_and_b32 vcc_lo, exec_lo, s3
	s_cbranch_vccnz .LBB515_56
; %bb.1:
	s_clause 0x2
	s_load_b64 s[34:35], s[0:1], 0x0
	s_load_b64 s[36:37], s[0:1], 0x28
	;; [unrolled: 1-line block ×3, first 2 shown]
	s_bfe_u32 s3, ttmp6, 0x4000c
	v_and_b32_e32 v28, 0x3ff, v0
	s_add_co_i32 s3, s3, 1
	v_bfe_u32 v6, v0, 10, 10
	s_clause 0x1
	s_load_b64 s[38:39], s[0:1], 0x48
	s_load_b128 s[28:31], s[0:1], 0x38
	s_and_b32 s6, ttmp6, 15
	s_mul_i32 s3, ttmp9, s3
	v_lshl_add_u32 v29, v6, 6, v28
	s_add_co_i32 s6, s6, s3
	s_cmp_eq_u32 s2, 0
	s_load_b256 s[12:19], s[0:1], 0x8
	s_cselect_b32 s2, ttmp9, s6
	s_load_b256 s[20:27], s[0:1], 0x58
	s_lshl_b32 s6, s2, 8
	s_delay_alu instid0(SALU_CYCLE_1)
	v_dual_mov_b32 v1, 0 :: v_dual_add_nc_u32 v0, s6, v29
	v_lshlrev_b32_e32 v48, 2, v6
	s_wait_kmcnt 0x0
	s_ashr_i32 s3, s34, 31
	s_mov_b32 s2, s34
	v_mov_b32_e32 v7, v1
	v_cmp_gt_i64_e32 vcc_lo, s[2:3], v[0:1]
	v_mul_u64_e32 v[2:3], s[4:5], v[0:1]
	v_dual_add_nc_u32 v14, s6, v28 :: v_dual_bitop2_b32 v16, s6, v29 bitop3:0x54
	v_or_b32_e32 v0, 3, v48
	v_mul_u64_e32 v[8:9], s[38:39], v[6:7]
	v_mul_u64_e32 v[18:19], s[36:37], v[6:7]
	s_delay_alu instid0(VALU_DEP_4) | instskip(NEXT) | instid1(VALU_DEP_4)
	v_dual_ashrrev_i32 v15, 31, v14 :: v_dual_ashrrev_i32 v17, 31, v16
	v_mul_u64_e32 v[10:11], s[36:37], v[0:1]
	v_mul_u64_e32 v[12:13], s[38:39], v[0:1]
	v_or_b32_e32 v0, 2, v48
	v_mad_nc_u64_u32 v[24:25], s38, v48, s[38:39]
	v_mul_u64_e32 v[4:5], s[4:5], v[16:17]
	v_mad_nc_u64_u32 v[26:27], s36, v48, s[36:37]
	s_ashr_i32 s2, s35, 31
	v_mul_u64_e32 v[20:21], s[36:37], v[0:1]
	v_mul_u64_e32 v[22:23], s[38:39], v[0:1]
	v_add_nc_u32_e32 v0, 64, v14
	s_lshr_b32 s2, s2, 26
	v_add_nc_u32_e32 v7, 0xc0, v14
	s_add_co_i32 s44, s35, s2
	v_lshlrev_b32_e32 v17, 2, v28
	v_mad_u32 v25, s39, v48, v25
	s_and_not1_b32 s44, s44, 63
	v_mad_u32 v27, s37, v48, v27
	v_cmp_gt_i32_e64 s2, s34, v0
	v_add_nc_u32_e32 v0, 0x80, v14
	s_sub_co_i32 s6, s35, s44
	v_cmp_gt_i32_e64 s1, s34, v14
	s_cmp_gt_i32 s6, 0
	v_cmp_gt_i32_e64 s4, s34, v7
	v_lshl_add_u32 v49, v6, 10, v17
	v_cmp_gt_u32_e64 s5, 0x100, v29
	v_lshl_add_u32 v50, v6, 8, v17
	v_cmp_gt_i32_e64 s6, s34, v16
	v_cmp_gt_i32_e64 s0, s44, v48
	v_lshlrev_b64_e32 v[6:7], 3, v[8:9]
	v_lshlrev_b64_e32 v[8:9], 1, v[14:15]
	v_lshlrev_b64_e32 v[14:15], 3, v[18:19]
	v_cmp_gt_i32_e64 s3, s34, v0
	v_lshlrev_b64_e32 v[10:11], 1, v[10:11]
	v_lshlrev_b64_e32 v[12:13], 1, v[12:13]
	s_cselect_b32 s45, -1, 0
	s_and_b32 s34, s5, vcc_lo
	s_lshl_b64 s[40:41], s[38:39], 7
	s_lshl_b64 s[42:43], s[36:37], 7
	;; [unrolled: 1-line block ×3, first 2 shown]
	v_lshlrev_b64_e32 v[16:17], 1, v[20:21]
	v_lshlrev_b64_e32 v[18:19], 1, v[22:23]
	;; [unrolled: 1-line block ×4, first 2 shown]
	s_lshl_b64 s[30:31], s[30:31], 1
	s_lshl_b64 s[26:27], s[26:27], 2
	s_branch .LBB515_4
.LBB515_2:                              ;   in Loop: Header=BB515_4 Depth=1
	s_wait_xcnt 0x0
	s_or_b32 exec_lo, exec_lo, s7
.LBB515_3:                              ;   in Loop: Header=BB515_4 Depth=1
	s_add_co_i32 s10, s10, 0x10000
	s_delay_alu instid0(SALU_CYCLE_1)
	s_cmp_lt_u32 s10, s33
	s_cbranch_scc0 .LBB515_56
.LBB515_4:                              ; =>This Loop Header: Depth=1
                                        ;     Child Loop BB515_24 Depth 2
	s_mul_u64 s[8:9], s[14:15], s[10:11]
	s_mul_u64 s[46:47], s[22:23], s[10:11]
	s_lshl_b64 s[8:9], s[8:9], 2
	s_lshl_b64 s[46:47], s[46:47], 2
	s_add_nc_u64 s[8:9], s[12:13], s[8:9]
	s_add_nc_u64 s[46:47], s[20:21], s[46:47]
	s_clause 0x1
	global_load_b32 v51, v1, s[8:9]
	global_load_b32 v0, v1, s[46:47]
	s_wait_loadcnt 0x1
	v_cmp_eq_f32_e64 s7, 0, v51
	s_wait_loadcnt 0x0
	v_cmp_eq_f32_e32 vcc_lo, 1.0, v0
	s_wait_xcnt 0x0
	v_readfirstlane_b32 s46, v0
	s_and_b32 s8, s7, vcc_lo
	s_delay_alu instid0(SALU_CYCLE_1)
	s_and_b32 vcc_lo, exec_lo, s8
	s_cbranch_vccnz .LBB515_3
; %bb.5:                                ;   in Loop: Header=BB515_4 Depth=1
	v_mov_b64_e32 v[28:29], 0
	v_mov_b64_e32 v[26:27], 0
	v_cmp_neq_f32_e64 s8, 0, v51
	s_and_b32 vcc_lo, exec_lo, s7
	s_cbranch_vccnz .LBB515_7
; %bb.6:                                ;   in Loop: Header=BB515_4 Depth=1
	s_lshl_b64 s[48:49], s[10:11], 3
	s_delay_alu instid0(SALU_CYCLE_1)
	s_add_nc_u64 s[48:49], s[16:17], s[48:49]
	global_load_b64 v[24:25], v1, s[48:49]
	s_wait_loadcnt 0x0
	v_add_nc_u64_e32 v[26:27], s[18:19], v[24:25]
.LBB515_7:                              ;   in Loop: Header=BB515_4 Depth=1
	s_and_not1_b32 vcc_lo, exec_lo, s8
	s_cbranch_vccnz .LBB515_9
; %bb.8:                                ;   in Loop: Header=BB515_4 Depth=1
	s_lshl_b64 s[8:9], s[10:11], 3
	s_delay_alu instid0(SALU_CYCLE_1)
	s_add_nc_u64 s[8:9], s[28:29], s[8:9]
	global_load_b64 v[24:25], v1, s[8:9]
	s_wait_loadcnt 0x0
	v_add_nc_u64_e32 v[28:29], s[30:31], v[24:25]
.LBB515_9:                              ;   in Loop: Header=BB515_4 Depth=1
	s_wait_xcnt 0x0
	s_lshl_b64 s[8:9], s[10:11], 3
	s_and_not1_b32 vcc_lo, exec_lo, s7
	s_add_nc_u64 s[8:9], s[24:25], s[8:9]
	global_load_b64 v[24:25], v1, s[8:9]
	s_wait_loadcnt 0x0
	v_add_nc_u64_e32 v[24:25], s[26:27], v[24:25]
	s_cbranch_vccnz .LBB515_13
; %bb.10:                               ;   in Loop: Header=BB515_4 Depth=1
	s_mov_b32 s7, 0
	s_mov_b32 s47, 0
                                        ; implicit-def: $vgpr0
	s_wait_xcnt 0x0
	s_and_saveexec_b32 s8, s34
	s_cbranch_execz .LBB515_14
; %bb.11:                               ;   in Loop: Header=BB515_4 Depth=1
	s_cmp_eq_f32 s46, 0
	s_cbranch_scc1 .LBB515_16
; %bb.12:                               ;   in Loop: Header=BB515_4 Depth=1
	v_lshl_add_u64 v[30:31], v[2:3], 2, v[24:25]
	flat_load_b32 v0, v[30:31]
	s_wait_loadcnt_dscnt 0x0
	v_mul_f32_e32 v0, s46, v0
	s_branch .LBB515_17
.LBB515_13:                             ;   in Loop: Header=BB515_4 Depth=1
	s_mov_b32 s47, 0
                                        ; implicit-def: $vgpr0
	s_cbranch_execz .LBB515_15
	s_branch .LBB515_18
.LBB515_14:                             ;   in Loop: Header=BB515_4 Depth=1
	s_or_b32 exec_lo, exec_lo, s8
	s_delay_alu instid0(SALU_CYCLE_1)
	s_and_b32 vcc_lo, exec_lo, s7
	s_cbranch_vccnz .LBB515_18
.LBB515_15:                             ;   in Loop: Header=BB515_4 Depth=1
	v_mov_b64_e32 v[26:27], v[2:3]
	s_wait_xcnt 0x0
	s_and_saveexec_b32 s7, s47
	s_cbranch_execz .LBB515_2
	s_branch .LBB515_55
.LBB515_16:                             ;   in Loop: Header=BB515_4 Depth=1
	v_mov_b32_e32 v0, 0
.LBB515_17:                             ;   in Loop: Header=BB515_4 Depth=1
	s_mov_b32 s47, exec_lo
	s_wait_xcnt 0x0
	s_or_b32 exec_lo, exec_lo, s8
	s_delay_alu instid0(SALU_CYCLE_1)
	s_and_b32 vcc_lo, exec_lo, s7
	s_cbranch_vccz .LBB515_15
.LBB515_18:                             ;   in Loop: Header=BB515_4 Depth=1
	v_dual_mov_b32 v52, 0 :: v_dual_mov_b32 v0, v48
	v_dual_mov_b32 v53, 0 :: v_dual_mov_b32 v54, 0
	v_mov_b32_e32 v55, 0
	s_wait_xcnt 0x0
	s_and_saveexec_b32 s7, s0
	s_cbranch_execz .LBB515_30
; %bb.19:                               ;   in Loop: Header=BB515_4 Depth=1
	v_add_nc_u64_e32 v[30:31], v[26:27], v[10:11]
	v_add_nc_u64_e32 v[32:33], v[26:27], v[14:15]
	;; [unrolled: 1-line block ×4, first 2 shown]
	v_mov_b64_e32 v[38:39], v[28:29]
	v_dual_mov_b32 v52, 0 :: v_dual_mov_b32 v0, v48
	v_dual_mov_b32 v53, 0 :: v_dual_mov_b32 v54, 0
	v_mov_b32_e32 v55, 0
	s_mov_b32 s8, 0
	s_branch .LBB515_24
.LBB515_20:                             ;   in Loop: Header=BB515_24 Depth=2
	s_wait_xcnt 0x0
	s_or_b32 exec_lo, exec_lo, s50
	s_wait_loadcnt_dscnt 0x303
	v_fma_mix_f32 v40, v68, v72, v54 op_sel_hi:[0,1,0]
	s_wait_loadcnt_dscnt 0x202
	s_delay_alu instid0(VALU_DEP_1) | instskip(SKIP_1) | instid1(VALU_DEP_1)
	v_fma_mix_f32 v40, v69, v73, v40 op_sel_hi:[0,1,0]
	s_wait_loadcnt_dscnt 0x101
	v_fma_mix_f32 v40, v70, v74, v40 op_sel_hi:[0,1,0]
	s_wait_loadcnt_dscnt 0x0
	s_delay_alu instid0(VALU_DEP_1)
	v_fma_mix_f32 v54, v71, v75, v40 op_sel_hi:[0,1,0]
.LBB515_21:                             ;   in Loop: Header=BB515_24 Depth=2
	s_or_b32 exec_lo, exec_lo, s49
	s_wait_loadcnt_dscnt 0x303
	v_fma_mix_f32 v40, v68, v64, v53 op_sel_hi:[0,1,0]
	s_wait_loadcnt_dscnt 0x202
	s_delay_alu instid0(VALU_DEP_1) | instskip(SKIP_1) | instid1(VALU_DEP_1)
	v_fma_mix_f32 v40, v69, v65, v40 op_sel_hi:[0,1,0]
	s_wait_loadcnt_dscnt 0x101
	v_fma_mix_f32 v40, v70, v66, v40 op_sel_hi:[0,1,0]
	s_wait_loadcnt_dscnt 0x0
	s_delay_alu instid0(VALU_DEP_1)
	v_fma_mix_f32 v53, v71, v67, v40 op_sel_hi:[0,1,0]
.LBB515_22:                             ;   in Loop: Header=BB515_24 Depth=2
	s_or_b32 exec_lo, exec_lo, s48
	s_wait_loadcnt_dscnt 0x303
	v_fma_mix_f32 v40, v56, v60, v52 op_sel_hi:[1,1,0]
	s_wait_loadcnt_dscnt 0x202
	s_delay_alu instid0(VALU_DEP_1) | instskip(SKIP_1) | instid1(VALU_DEP_1)
	v_fma_mix_f32 v40, v57, v61, v40 op_sel_hi:[1,1,0]
	s_wait_loadcnt_dscnt 0x101
	v_fma_mix_f32 v40, v58, v62, v40 op_sel_hi:[1,1,0]
	s_wait_loadcnt_dscnt 0x0
	s_delay_alu instid0(VALU_DEP_1)
	v_fma_mix_f32 v52, v59, v63, v40 op_sel_hi:[1,1,0]
.LBB515_23:                             ;   in Loop: Header=BB515_24 Depth=2
	s_or_b32 exec_lo, exec_lo, s9
	v_add_nc_u32_e32 v0, 64, v0
	v_add_nc_u64_e32 v[38:39], s[40:41], v[38:39]
	v_add_nc_u64_e32 v[30:31], s[42:43], v[30:31]
	;; [unrolled: 1-line block ×4, first 2 shown]
	v_cmp_le_i32_e32 vcc_lo, s44, v0
	v_add_nc_u64_e32 v[36:37], s[42:43], v[36:37]
	s_or_b32 s8, vcc_lo, s8
	s_delay_alu instid0(SALU_CYCLE_1)
	s_and_not1_b32 exec_lo, exec_lo, s8
	s_cbranch_execz .LBB515_29
.LBB515_24:                             ;   Parent Loop BB515_4 Depth=1
                                        ; =>  This Inner Loop Header: Depth=2
	s_and_saveexec_b32 s9, s1
	s_cbranch_execz .LBB515_23
; %bb.25:                               ;   in Loop: Header=BB515_24 Depth=2
	v_add_nc_u64_e32 v[56:57], v[38:39], v[6:7]
	v_add_nc_u64_e32 v[58:59], v[38:39], v[20:21]
	;; [unrolled: 1-line block ×8, first 2 shown]
	s_clause 0x3
	flat_load_u16 v56, v[56:57]
	flat_load_u16 v57, v[58:59]
	;; [unrolled: 1-line block ×4, first 2 shown]
                                        ; kill: killed $vgpr62_vgpr63
                                        ; kill: killed $vgpr60_vgpr61
	flat_load_u16 v60, v[40:41]
	flat_load_u16 v61, v[42:43]
	;; [unrolled: 1-line block ×4, first 2 shown]
	s_wait_xcnt 0x0
	s_and_saveexec_b32 s48, s2
	s_cbranch_execz .LBB515_22
; %bb.26:                               ;   in Loop: Header=BB515_24 Depth=2
	flat_load_u16 v64, v[40:41] offset:128
	flat_load_u16 v65, v[42:43] offset:128
	;; [unrolled: 1-line block ×4, first 2 shown]
	s_wait_loadcnt_dscnt 0xb0b
	v_cvt_f32_f16_e32 v68, v56
	s_wait_loadcnt_dscnt 0xa0a
	v_cvt_f32_f16_e32 v69, v57
	s_wait_loadcnt_dscnt 0x909
	v_cvt_f32_f16_e32 v70, v58
	s_wait_loadcnt_dscnt 0x808
	v_cvt_f32_f16_e32 v71, v59
	s_wait_xcnt 0x0
	s_and_saveexec_b32 s49, s3
	s_cbranch_execz .LBB515_21
; %bb.27:                               ;   in Loop: Header=BB515_24 Depth=2
	flat_load_u16 v72, v[40:41] offset:256
	flat_load_u16 v73, v[42:43] offset:256
	;; [unrolled: 1-line block ×4, first 2 shown]
	s_wait_xcnt 0x0
	s_and_saveexec_b32 s50, s4
	s_cbranch_execz .LBB515_20
; %bb.28:                               ;   in Loop: Header=BB515_24 Depth=2
	flat_load_u16 v40, v[40:41] offset:384
	flat_load_u16 v41, v[42:43] offset:384
	;; [unrolled: 1-line block ×4, first 2 shown]
	s_wait_loadcnt_dscnt 0x303
	v_fma_mix_f32 v40, v68, v40, v55 op_sel_hi:[0,1,0]
	s_wait_loadcnt_dscnt 0x202
	s_delay_alu instid0(VALU_DEP_1) | instskip(SKIP_1) | instid1(VALU_DEP_1)
	v_fma_mix_f32 v40, v69, v41, v40 op_sel_hi:[0,1,0]
	s_wait_loadcnt_dscnt 0x101
	v_fma_mix_f32 v40, v70, v42, v40 op_sel_hi:[0,1,0]
	s_wait_loadcnt_dscnt 0x0
	s_delay_alu instid0(VALU_DEP_1)
	v_fma_mix_f32 v55, v71, v43, v40 op_sel_hi:[0,1,0]
	s_branch .LBB515_20
.LBB515_29:                             ;   in Loop: Header=BB515_4 Depth=1
	s_or_b32 exec_lo, exec_lo, s8
.LBB515_30:                             ;   in Loop: Header=BB515_4 Depth=1
	s_delay_alu instid0(SALU_CYCLE_1) | instskip(NEXT) | instid1(SALU_CYCLE_1)
	s_or_b32 exec_lo, exec_lo, s7
	s_and_not1_b32 vcc_lo, exec_lo, s45
	s_cbranch_vccnz .LBB515_48
; %bb.31:                               ;   in Loop: Header=BB515_4 Depth=1
	v_cmp_gt_i32_e32 vcc_lo, s35, v0
	v_dual_mov_b32 v34, 0 :: v_dual_bitop2_b32 v30, 1, v0 bitop3:0x54
	v_dual_mov_b32 v35, 0 :: v_dual_mov_b32 v36, 0
	v_mov_b32_e32 v37, 0
	s_and_saveexec_b32 s8, vcc_lo
	s_cbranch_execz .LBB515_39
; %bb.32:                               ;   in Loop: Header=BB515_4 Depth=1
	v_mul_u64_e32 v[32:33], s[38:39], v[0:1]
	v_dual_mov_b32 v36, 0 :: v_dual_mov_b32 v35, 0
	v_mov_b32_e32 v34, 0
	s_mov_b32 s9, exec_lo
	s_delay_alu instid0(VALU_DEP_3)
	v_lshl_add_u64 v[32:33], v[32:33], 1, v[28:29]
	flat_load_u16 v37, v[32:33]
	s_wait_xcnt 0x0
	v_cmpx_gt_i32_e64 s35, v30
	s_cbranch_execz .LBB515_38
; %bb.33:                               ;   in Loop: Header=BB515_4 Depth=1
	v_dual_mov_b32 v31, v1 :: v_dual_mov_b32 v35, 0
	v_mov_b32_e32 v34, 0
	s_mov_b32 s48, exec_lo
	s_delay_alu instid0(VALU_DEP_2) | instskip(NEXT) | instid1(VALU_DEP_1)
	v_mul_u64_e32 v[32:33], s[38:39], v[30:31]
	v_lshl_add_u64 v[32:33], v[32:33], 1, v[28:29]
	flat_load_u16 v31, v[32:33]
	s_wait_xcnt 0x0
	v_or_b32_e32 v32, 2, v0
	s_delay_alu instid0(VALU_DEP_1)
	v_cmpx_gt_i32_e64 s35, v32
	s_cbranch_execz .LBB515_37
; %bb.34:                               ;   in Loop: Header=BB515_4 Depth=1
	v_dual_mov_b32 v33, v1 :: v_dual_mov_b32 v34, 0
	s_mov_b32 s49, exec_lo
	s_delay_alu instid0(VALU_DEP_1) | instskip(NEXT) | instid1(VALU_DEP_1)
	v_mul_u64_e32 v[32:33], s[38:39], v[32:33]
	v_lshl_add_u64 v[32:33], v[32:33], 1, v[28:29]
	flat_load_u16 v35, v[32:33]
	s_wait_xcnt 0x0
	v_or_b32_e32 v32, 3, v0
	s_delay_alu instid0(VALU_DEP_1)
	v_cmpx_gt_i32_e64 s35, v32
	s_cbranch_execz .LBB515_36
; %bb.35:                               ;   in Loop: Header=BB515_4 Depth=1
	v_mov_b32_e32 v33, v1
	s_delay_alu instid0(VALU_DEP_1) | instskip(NEXT) | instid1(VALU_DEP_1)
	v_mul_u64_e32 v[32:33], s[38:39], v[32:33]
	v_lshl_add_u64 v[28:29], v[32:33], 1, v[28:29]
	flat_load_u16 v28, v[28:29]
	s_wait_loadcnt_dscnt 0x0
	v_cvt_f32_f16_e32 v34, v28
.LBB515_36:                             ;   in Loop: Header=BB515_4 Depth=1
	s_wait_xcnt 0x0
	s_or_b32 exec_lo, exec_lo, s49
	s_wait_loadcnt_dscnt 0x0
	v_cvt_f32_f16_e32 v35, v35
.LBB515_37:                             ;   in Loop: Header=BB515_4 Depth=1
	s_or_b32 exec_lo, exec_lo, s48
	s_wait_loadcnt_dscnt 0x0
	v_cvt_f32_f16_e32 v36, v31
.LBB515_38:                             ;   in Loop: Header=BB515_4 Depth=1
	s_or_b32 exec_lo, exec_lo, s9
	s_wait_loadcnt_dscnt 0x0
	v_cvt_f32_f16_e32 v37, v37
.LBB515_39:                             ;   in Loop: Header=BB515_4 Depth=1
	s_or_b32 exec_lo, exec_lo, s8
	s_and_saveexec_b32 s48, s1
	s_cbranch_execz .LBB515_47
; %bb.40:                               ;   in Loop: Header=BB515_4 Depth=1
	v_dual_mov_b32 v31, v1 :: v_dual_bitop2_b32 v28, 2, v0 bitop3:0x54
	v_mov_b32_e32 v29, v1
	v_mul_u64_e32 v[32:33], s[36:37], v[0:1]
	v_or_b32_e32 v0, 3, v0
	s_delay_alu instid0(VALU_DEP_4)
	v_mul_u64_e32 v[38:39], s[36:37], v[30:31]
	v_cmp_gt_i32_e64 s7, s35, v30
	v_mul_u64_e32 v[40:41], s[36:37], v[28:29]
	v_cmp_gt_i32_e64 s8, s35, v28
	v_mul_u64_e32 v[42:43], s[36:37], v[0:1]
	v_cmp_gt_i32_e64 s9, s35, v0
	v_dual_cndmask_b32 v29, 0, v33 :: v_dual_cndmask_b32 v28, 0, v32
	v_dual_cndmask_b32 v31, 0, v39, s7 :: v_dual_cndmask_b32 v30, 0, v38, s7
	v_dual_cndmask_b32 v33, 0, v41, s8 :: v_dual_cndmask_b32 v32, 0, v40, s8
	s_delay_alu instid0(VALU_DEP_4) | instskip(NEXT) | instid1(VALU_DEP_4)
	v_dual_cndmask_b32 v39, 0, v43, s9 :: v_dual_cndmask_b32 v38, 0, v42, s9
	v_lshl_add_u64 v[28:29], v[28:29], 1, v[26:27]
	s_delay_alu instid0(VALU_DEP_4) | instskip(NEXT) | instid1(VALU_DEP_4)
	v_lshl_add_u64 v[40:41], v[30:31], 1, v[26:27]
	v_lshl_add_u64 v[32:33], v[32:33], 1, v[26:27]
	s_delay_alu instid0(VALU_DEP_4) | instskip(NEXT) | instid1(VALU_DEP_4)
	v_lshl_add_u64 v[38:39], v[38:39], 1, v[26:27]
	v_add_nc_u64_e32 v[30:31], v[28:29], v[8:9]
	s_delay_alu instid0(VALU_DEP_4) | instskip(NEXT) | instid1(VALU_DEP_4)
	v_add_nc_u64_e32 v[26:27], v[40:41], v[8:9]
	v_add_nc_u64_e32 v[28:29], v[32:33], v[8:9]
	s_delay_alu instid0(VALU_DEP_4)
	v_add_nc_u64_e32 v[32:33], v[38:39], v[8:9]
	s_clause 0x3
	flat_load_u16 v0, v[30:31]
	flat_load_u16 v38, v[26:27]
	;; [unrolled: 1-line block ×4, first 2 shown]
	s_wait_xcnt 0x0
	s_and_saveexec_b32 s7, s2
	s_cbranch_execz .LBB515_46
; %bb.41:                               ;   in Loop: Header=BB515_4 Depth=1
	s_clause 0x3
	flat_load_u16 v41, v[30:31] offset:128
	flat_load_u16 v42, v[26:27] offset:128
	flat_load_u16 v43, v[28:29] offset:128
	flat_load_u16 v44, v[32:33] offset:128
	s_wait_xcnt 0x0
	s_and_saveexec_b32 s8, s3
	s_cbranch_execz .LBB515_45
; %bb.42:                               ;   in Loop: Header=BB515_4 Depth=1
	s_clause 0x3
	flat_load_u16 v45, v[30:31] offset:256
	flat_load_u16 v46, v[26:27] offset:256
	flat_load_u16 v47, v[28:29] offset:256
	flat_load_u16 v56, v[32:33] offset:256
	;; [unrolled: 9-line block ×3, first 2 shown]
	s_wait_loadcnt_dscnt 0x303
	s_wait_xcnt 0x2
	v_fma_mix_f32 v26, v37, v57, v55 op_sel_hi:[0,1,0]
	s_wait_loadcnt_dscnt 0x202
	s_delay_alu instid0(VALU_DEP_1) | instskip(SKIP_1) | instid1(VALU_DEP_1)
	v_fma_mix_f32 v26, v36, v58, v26 op_sel_hi:[0,1,0]
	s_wait_loadcnt_dscnt 0x101
	v_fma_mix_f32 v26, v35, v59, v26 op_sel_hi:[0,1,0]
	s_wait_loadcnt_dscnt 0x0
	s_delay_alu instid0(VALU_DEP_1)
	v_fma_mix_f32 v55, v34, v60, v26 op_sel_hi:[0,1,0]
.LBB515_44:                             ;   in Loop: Header=BB515_4 Depth=1
	s_wait_xcnt 0x0
	s_or_b32 exec_lo, exec_lo, s9
	s_wait_loadcnt_dscnt 0x303
	v_fma_mix_f32 v26, v37, v45, v54 op_sel_hi:[0,1,0]
	s_wait_loadcnt_dscnt 0x202
	s_delay_alu instid0(VALU_DEP_1) | instskip(SKIP_1) | instid1(VALU_DEP_1)
	v_fma_mix_f32 v26, v36, v46, v26 op_sel_hi:[0,1,0]
	s_wait_loadcnt_dscnt 0x101
	v_fma_mix_f32 v26, v35, v47, v26 op_sel_hi:[0,1,0]
	s_wait_loadcnt_dscnt 0x0
	s_delay_alu instid0(VALU_DEP_1)
	v_fma_mix_f32 v54, v34, v56, v26 op_sel_hi:[0,1,0]
.LBB515_45:                             ;   in Loop: Header=BB515_4 Depth=1
	s_or_b32 exec_lo, exec_lo, s8
	s_wait_loadcnt_dscnt 0x303
	v_fma_mix_f32 v26, v37, v41, v53 op_sel_hi:[0,1,0]
	s_wait_loadcnt_dscnt 0x202
	s_delay_alu instid0(VALU_DEP_1) | instskip(SKIP_1) | instid1(VALU_DEP_1)
	v_fma_mix_f32 v26, v36, v42, v26 op_sel_hi:[0,1,0]
	s_wait_loadcnt_dscnt 0x101
	v_fma_mix_f32 v26, v35, v43, v26 op_sel_hi:[0,1,0]
	s_wait_loadcnt_dscnt 0x0
	s_delay_alu instid0(VALU_DEP_1)
	v_fma_mix_f32 v53, v34, v44, v26 op_sel_hi:[0,1,0]
.LBB515_46:                             ;   in Loop: Header=BB515_4 Depth=1
	s_or_b32 exec_lo, exec_lo, s7
	s_wait_loadcnt_dscnt 0x303
	v_fma_mix_f32 v0, v37, v0, v52 op_sel_hi:[0,1,0]
	s_wait_loadcnt_dscnt 0x202
	s_delay_alu instid0(VALU_DEP_1) | instskip(SKIP_1) | instid1(VALU_DEP_1)
	v_fma_mix_f32 v0, v36, v38, v0 op_sel_hi:[0,1,0]
	s_wait_loadcnt_dscnt 0x101
	v_fma_mix_f32 v0, v35, v39, v0 op_sel_hi:[0,1,0]
	s_wait_loadcnt_dscnt 0x0
	s_delay_alu instid0(VALU_DEP_1)
	v_fma_mix_f32 v52, v34, v40, v0 op_sel_hi:[0,1,0]
.LBB515_47:                             ;   in Loop: Header=BB515_4 Depth=1
	s_or_b32 exec_lo, exec_lo, s48
.LBB515_48:                             ;   in Loop: Header=BB515_4 Depth=1
	ds_store_2addr_stride64_b32 v49, v52, v53 offset1:1
	ds_store_2addr_stride64_b32 v49, v54, v55 offset0:2 offset1:3
	s_wait_dscnt 0x0
	s_barrier_signal -1
	s_barrier_wait -1
                                        ; implicit-def: $vgpr0
	s_and_saveexec_b32 s7, s5
	s_cbranch_execz .LBB515_54
; %bb.49:                               ;   in Loop: Header=BB515_4 Depth=1
	ds_load_2addr_stride64_b32 v[26:27], v50 offset1:4
	ds_load_2addr_stride64_b32 v[28:29], v50 offset0:8 offset1:12
	ds_load_2addr_stride64_b32 v[30:31], v50 offset0:16 offset1:20
	s_mov_b32 s9, s47
	s_wait_dscnt 0x2
	v_add_f32_e32 v0, v26, v27
	ds_load_2addr_stride64_b32 v[26:27], v50 offset0:24 offset1:28
	s_wait_dscnt 0x2
	v_add_f32_e32 v0, v28, v0
	s_delay_alu instid0(VALU_DEP_1) | instskip(SKIP_3) | instid1(VALU_DEP_1)
	v_add_f32_e32 v0, v29, v0
	ds_load_2addr_stride64_b32 v[28:29], v50 offset0:32 offset1:36
	s_wait_dscnt 0x2
	v_add_f32_e32 v0, v30, v0
	v_add_f32_e32 v0, v31, v0
	ds_load_2addr_stride64_b32 v[30:31], v50 offset0:40 offset1:44
	s_wait_dscnt 0x2
	v_add_f32_e32 v0, v26, v0
	s_delay_alu instid0(VALU_DEP_1) | instskip(SKIP_3) | instid1(VALU_DEP_1)
	v_add_f32_e32 v0, v27, v0
	ds_load_2addr_stride64_b32 v[26:27], v50 offset0:48 offset1:52
	s_wait_dscnt 0x2
	v_add_f32_e32 v0, v28, v0
	v_add_f32_e32 v0, v29, v0
	ds_load_2addr_stride64_b32 v[28:29], v50 offset0:56 offset1:60
	s_wait_dscnt 0x2
	v_add_f32_e32 v0, v30, v0
	s_delay_alu instid0(VALU_DEP_1) | instskip(SKIP_1) | instid1(VALU_DEP_1)
	v_add_f32_e32 v0, v31, v0
	s_wait_dscnt 0x1
	v_add_f32_e32 v0, v26, v0
	s_delay_alu instid0(VALU_DEP_1) | instskip(SKIP_1) | instid1(VALU_DEP_1)
	v_add_f32_e32 v0, v27, v0
	s_wait_dscnt 0x0
	v_add_f32_e32 v0, v28, v0
	s_delay_alu instid0(VALU_DEP_1)
	v_add_f32_e32 v26, v29, v0
                                        ; implicit-def: $vgpr0
	ds_store_b32 v50, v26
	s_and_saveexec_b32 s8, s6
	s_cbranch_execz .LBB515_53
; %bb.50:                               ;   in Loop: Header=BB515_4 Depth=1
	v_mul_f32_e32 v0, v51, v26
	s_cmp_eq_f32 s46, 0
	s_cbranch_scc1 .LBB515_52
; %bb.51:                               ;   in Loop: Header=BB515_4 Depth=1
	v_lshl_add_u64 v[26:27], v[4:5], 2, v[24:25]
	flat_load_b32 v26, v[26:27]
	s_wait_loadcnt_dscnt 0x0
	v_fmac_f32_e32 v0, s46, v26
.LBB515_52:                             ;   in Loop: Header=BB515_4 Depth=1
	s_or_b32 s9, s47, exec_lo
.LBB515_53:                             ;   in Loop: Header=BB515_4 Depth=1
	s_wait_xcnt 0x0
	s_or_b32 exec_lo, exec_lo, s8
	s_delay_alu instid0(SALU_CYCLE_1) | instskip(SKIP_1) | instid1(SALU_CYCLE_1)
	s_and_not1_b32 s8, s47, exec_lo
	s_and_b32 s9, s9, exec_lo
	s_or_b32 s47, s8, s9
.LBB515_54:                             ;   in Loop: Header=BB515_4 Depth=1
	s_or_b32 exec_lo, exec_lo, s7
	v_mov_b64_e32 v[26:27], v[4:5]
	s_and_saveexec_b32 s7, s47
	s_cbranch_execz .LBB515_2
.LBB515_55:                             ;   in Loop: Header=BB515_4 Depth=1
	s_delay_alu instid0(VALU_DEP_1)
	v_lshl_add_u64 v[24:25], v[26:27], 2, v[24:25]
	flat_store_b32 v[24:25], v0
	s_branch .LBB515_2
.LBB515_56:
	s_sendmsg sendmsg(MSG_DEALLOC_VGPRS)
	s_endpgm
	.section	.rodata,"a",@progbits
	.p2align	6, 0x0
	.amdhsa_kernel _ZL20rocblas_gemvn_kernelILi64ELi16ElPKDF16_PKfKPfEviiT3_lPKT2_lT1_lS9_lSA_lS6_lPT4_lSA_li
		.amdhsa_group_segment_fixed_size 16384
		.amdhsa_private_segment_fixed_size 0
		.amdhsa_kernarg_size 400
		.amdhsa_user_sgpr_count 2
		.amdhsa_user_sgpr_dispatch_ptr 0
		.amdhsa_user_sgpr_queue_ptr 0
		.amdhsa_user_sgpr_kernarg_segment_ptr 1
		.amdhsa_user_sgpr_dispatch_id 0
		.amdhsa_user_sgpr_kernarg_preload_length 0
		.amdhsa_user_sgpr_kernarg_preload_offset 0
		.amdhsa_user_sgpr_private_segment_size 0
		.amdhsa_wavefront_size32 1
		.amdhsa_uses_dynamic_stack 0
		.amdhsa_enable_private_segment 0
		.amdhsa_system_sgpr_workgroup_id_x 1
		.amdhsa_system_sgpr_workgroup_id_y 0
		.amdhsa_system_sgpr_workgroup_id_z 1
		.amdhsa_system_sgpr_workgroup_info 0
		.amdhsa_system_vgpr_workitem_id 1
		.amdhsa_next_free_vgpr 76
		.amdhsa_next_free_sgpr 51
		.amdhsa_named_barrier_count 0
		.amdhsa_reserve_vcc 1
		.amdhsa_float_round_mode_32 0
		.amdhsa_float_round_mode_16_64 0
		.amdhsa_float_denorm_mode_32 3
		.amdhsa_float_denorm_mode_16_64 3
		.amdhsa_fp16_overflow 0
		.amdhsa_memory_ordered 1
		.amdhsa_forward_progress 1
		.amdhsa_inst_pref_size 25
		.amdhsa_round_robin_scheduling 0
		.amdhsa_exception_fp_ieee_invalid_op 0
		.amdhsa_exception_fp_denorm_src 0
		.amdhsa_exception_fp_ieee_div_zero 0
		.amdhsa_exception_fp_ieee_overflow 0
		.amdhsa_exception_fp_ieee_underflow 0
		.amdhsa_exception_fp_ieee_inexact 0
		.amdhsa_exception_int_div_zero 0
	.end_amdhsa_kernel
	.section	.text._ZL20rocblas_gemvn_kernelILi64ELi16ElPKDF16_PKfKPfEviiT3_lPKT2_lT1_lS9_lSA_lS6_lPT4_lSA_li,"axG",@progbits,_ZL20rocblas_gemvn_kernelILi64ELi16ElPKDF16_PKfKPfEviiT3_lPKT2_lT1_lS9_lSA_lS6_lPT4_lSA_li,comdat
.Lfunc_end515:
	.size	_ZL20rocblas_gemvn_kernelILi64ELi16ElPKDF16_PKfKPfEviiT3_lPKT2_lT1_lS9_lSA_lS6_lPT4_lSA_li, .Lfunc_end515-_ZL20rocblas_gemvn_kernelILi64ELi16ElPKDF16_PKfKPfEviiT3_lPKT2_lT1_lS9_lSA_lS6_lPT4_lSA_li
                                        ; -- End function
	.set _ZL20rocblas_gemvn_kernelILi64ELi16ElPKDF16_PKfKPfEviiT3_lPKT2_lT1_lS9_lSA_lS6_lPT4_lSA_li.num_vgpr, 76
	.set _ZL20rocblas_gemvn_kernelILi64ELi16ElPKDF16_PKfKPfEviiT3_lPKT2_lT1_lS9_lSA_lS6_lPT4_lSA_li.num_agpr, 0
	.set _ZL20rocblas_gemvn_kernelILi64ELi16ElPKDF16_PKfKPfEviiT3_lPKT2_lT1_lS9_lSA_lS6_lPT4_lSA_li.numbered_sgpr, 51
	.set _ZL20rocblas_gemvn_kernelILi64ELi16ElPKDF16_PKfKPfEviiT3_lPKT2_lT1_lS9_lSA_lS6_lPT4_lSA_li.num_named_barrier, 0
	.set _ZL20rocblas_gemvn_kernelILi64ELi16ElPKDF16_PKfKPfEviiT3_lPKT2_lT1_lS9_lSA_lS6_lPT4_lSA_li.private_seg_size, 0
	.set _ZL20rocblas_gemvn_kernelILi64ELi16ElPKDF16_PKfKPfEviiT3_lPKT2_lT1_lS9_lSA_lS6_lPT4_lSA_li.uses_vcc, 1
	.set _ZL20rocblas_gemvn_kernelILi64ELi16ElPKDF16_PKfKPfEviiT3_lPKT2_lT1_lS9_lSA_lS6_lPT4_lSA_li.uses_flat_scratch, 1
	.set _ZL20rocblas_gemvn_kernelILi64ELi16ElPKDF16_PKfKPfEviiT3_lPKT2_lT1_lS9_lSA_lS6_lPT4_lSA_li.has_dyn_sized_stack, 0
	.set _ZL20rocblas_gemvn_kernelILi64ELi16ElPKDF16_PKfKPfEviiT3_lPKT2_lT1_lS9_lSA_lS6_lPT4_lSA_li.has_recursion, 0
	.set _ZL20rocblas_gemvn_kernelILi64ELi16ElPKDF16_PKfKPfEviiT3_lPKT2_lT1_lS9_lSA_lS6_lPT4_lSA_li.has_indirect_call, 0
	.section	.AMDGPU.csdata,"",@progbits
; Kernel info:
; codeLenInByte = 3080
; TotalNumSgprs: 53
; NumVgprs: 76
; ScratchSize: 0
; MemoryBound: 0
; FloatMode: 240
; IeeeMode: 1
; LDSByteSize: 16384 bytes/workgroup (compile time only)
; SGPRBlocks: 0
; VGPRBlocks: 4
; NumSGPRsForWavesPerEU: 53
; NumVGPRsForWavesPerEU: 76
; NamedBarCnt: 0
; Occupancy: 12
; WaveLimiterHint : 1
; COMPUTE_PGM_RSRC2:SCRATCH_EN: 0
; COMPUTE_PGM_RSRC2:USER_SGPR: 2
; COMPUTE_PGM_RSRC2:TRAP_HANDLER: 0
; COMPUTE_PGM_RSRC2:TGID_X_EN: 1
; COMPUTE_PGM_RSRC2:TGID_Y_EN: 0
; COMPUTE_PGM_RSRC2:TGID_Z_EN: 1
; COMPUTE_PGM_RSRC2:TIDIG_COMP_CNT: 1
	.section	.text._ZL20rocblas_gemvn_kernelILi64ELi16EiPKDF16_fKPfEviiT3_lPKT2_lT1_lS7_lS8_lS4_lPT4_lS8_li,"axG",@progbits,_ZL20rocblas_gemvn_kernelILi64ELi16EiPKDF16_fKPfEviiT3_lPKT2_lT1_lS7_lS8_lS4_lPT4_lS8_li,comdat
	.globl	_ZL20rocblas_gemvn_kernelILi64ELi16EiPKDF16_fKPfEviiT3_lPKT2_lT1_lS7_lS8_lS4_lPT4_lS8_li ; -- Begin function _ZL20rocblas_gemvn_kernelILi64ELi16EiPKDF16_fKPfEviiT3_lPKT2_lT1_lS7_lS8_lS4_lPT4_lS8_li
	.p2align	8
	.type	_ZL20rocblas_gemvn_kernelILi64ELi16EiPKDF16_fKPfEviiT3_lPKT2_lT1_lS7_lS8_lS4_lPT4_lS8_li,@function
_ZL20rocblas_gemvn_kernelILi64ELi16EiPKDF16_fKPfEviiT3_lPKT2_lT1_lS7_lS8_lS4_lPT4_lS8_li: ; @_ZL20rocblas_gemvn_kernelILi64ELi16EiPKDF16_fKPfEviiT3_lPKT2_lT1_lS7_lS8_lS4_lPT4_lS8_li
; %bb.0:
	s_clause 0x1
	s_load_b64 s[2:3], s[0:1], 0x9c
	s_load_b32 s23, s[0:1], 0x88
	s_bfe_u32 s4, ttmp6, 0x40014
	s_lshr_b32 s5, ttmp7, 16
	s_add_co_i32 s4, s4, 1
	s_bfe_u32 s6, ttmp6, 0x40008
	s_mul_i32 s7, s5, s4
	s_getreg_b32 s4, hwreg(HW_REG_IB_STS2, 6, 4)
	s_add_co_i32 s6, s6, s7
	s_mov_b32 s25, 0
	s_wait_kmcnt 0x0
	s_lshr_b32 s7, s2, 16
	s_and_b32 s2, s2, 0xffff
	s_and_b32 s3, s3, 0xffff
	s_mul_i32 s2, s7, s2
	s_cmp_eq_u32 s4, 0
	s_mul_i32 s2, s2, s3
	s_cselect_b32 s24, s5, s6
	s_cmp_lg_u32 s2, 0x400
	s_cselect_b32 s2, -1, 0
	s_cmp_ge_u32 s24, s23
	s_cselect_b32 s3, -1, 0
	s_delay_alu instid0(SALU_CYCLE_1) | instskip(NEXT) | instid1(SALU_CYCLE_1)
	s_or_b32 s2, s2, s3
	s_and_b32 vcc_lo, exec_lo, s2
	s_cbranch_vccnz .LBB516_58
; %bb.1:
	s_clause 0x7
	s_load_b32 s2, s[0:1], 0x78
	s_load_b96 s[20:22], s[0:1], 0x0
	s_load_b32 s26, s[0:1], 0x58
	s_load_b128 s[8:11], s[0:1], 0x68
	s_load_b32 s27, s[0:1], 0x28
	s_load_b128 s[12:15], s[0:1], 0x38
	;; [unrolled: 2-line block ×3, first 2 shown]
	v_and_b32_e32 v6, 0x3ff, v0
	v_bfe_u32 v7, v0, 10, 10
	s_delay_alu instid0(VALU_DEP_2) | instskip(NEXT) | instid1(VALU_DEP_2)
	v_dual_mov_b32 v1, 0 :: v_dual_lshlrev_b32 v0, 2, v6
	v_lshl_add_u32 v2, v7, 6, v6
	s_delay_alu instid0(VALU_DEP_2)
	v_lshl_add_u32 v21, v7, 10, v0
	v_lshl_add_u32 v22, v7, 8, v0
	s_wait_kmcnt 0x0
	s_ashr_i32 s3, s2, 31
	s_cmp_eq_f32 s22, 0
	v_cmp_gt_u32_e64 s0, 0x100, v2
	s_mov_b32 s6, s20
	v_mul_lo_u32 v9, v7, s27
	s_cselect_b32 s29, -1, 0
	s_cmp_neq_f32 s26, 1.0
	s_cselect_b32 s1, -1, 0
	s_cmp_neq_f32 s22, 0
	s_cselect_b32 s5, -1, 0
	s_bfe_u32 s7, ttmp6, 0x4000c
	s_and_b32 s31, ttmp6, 15
	s_add_co_i32 s7, s7, 1
	s_or_b32 s30, s5, s1
	s_mul_i32 s7, ttmp9, s7
	v_cndmask_b32_e64 v23, 0, 1, s5
	s_add_co_i32 s31, s31, s7
	s_cmp_eq_u32 s4, 0
	v_lshl_add_u32 v27, v9, 2, v6
	s_cselect_b32 s1, ttmp9, s31
	s_ashr_i32 s7, s20, 31
	s_lshl_b32 s31, s1, 8
	s_delay_alu instid0(SALU_CYCLE_1) | instskip(SKIP_3) | instid1(VALU_DEP_3)
	v_dual_lshlrev_b32 v20, 2, v7 :: v_dual_add_nc_u32 v0, s31, v2
	v_or_b32_e32 v5, s31, v2
	v_mul_lo_u32 v7, v7, s28
	s_cmp_neq_f32 s26, 0
	v_mul_lo_u32 v8, s27, v20
	v_mul_u64_e32 v[2:3], s[2:3], v[0:1]
	v_mul_lo_u32 v4, s2, v5
	v_add_nc_u32_e32 v24, s31, v6
	v_cmp_gt_i32_e64 s2, s20, v5
	s_cselect_b32 s33, -1, 0
	s_ashr_i32 s1, s21, 31
	v_mad_u32 v28, s28, v20, s28
	s_lshr_b32 s3, s1, 26
	v_cmp_gt_i64_e32 vcc_lo, s[6:7], v[0:1]
	s_add_co_i32 s34, s21, s3
	v_lshlrev_b32_e32 v31, 2, v7
	s_and_not1_b32 s34, s34, 63
	v_ashrrev_i32_e32 v5, 31, v4
	v_add_nc_u32_e32 v10, 0x80, v24
	v_add_nc_u32_e32 v11, 0xc0, v24
	;; [unrolled: 1-line block ×3, first 2 shown]
	s_sub_co_i32 s6, s21, s34
	v_cmp_gt_i32_e64 s1, s20, v24
	v_cmp_gt_i32_e64 s4, s20, v10
	;; [unrolled: 1-line block ×3, first 2 shown]
	v_or_b32_e32 v10, 2, v20
	v_or_b32_e32 v11, 3, v20
	v_cmp_gt_i32_e64 s3, s20, v0
	s_cmp_gt_i32 s6, 0
	v_cmp_gt_i32_e64 s6, s34, v20
	v_mad_u32 v25, s27, v10, v6
	v_mad_u32 v26, s27, v11, v6
	v_mul_lo_u32 v29, s28, v10
	v_mul_lo_u32 v30, s28, v11
	v_add3_u32 v0, v8, s27, v6
	s_cselect_b32 s20, -1, 0
	s_and_b32 s35, s0, vcc_lo
	s_lshl_b32 s36, s27, 6
	s_lshl_b32 s37, s28, 6
	s_lshl_b64 s[18:19], s[18:19], 1
	s_lshl_b64 s[14:15], s[14:15], 1
	;; [unrolled: 1-line block ×3, first 2 shown]
	s_branch .LBB516_4
.LBB516_2:                              ;   in Loop: Header=BB516_4 Depth=1
	s_wait_xcnt 0x0
	s_or_b32 exec_lo, exec_lo, s7
.LBB516_3:                              ;   in Loop: Header=BB516_4 Depth=1
	s_add_co_i32 s24, s24, 0x10000
	s_delay_alu instid0(SALU_CYCLE_1)
	s_cmp_lt_u32 s24, s23
	s_cbranch_scc0 .LBB516_58
.LBB516_4:                              ; =>This Loop Header: Depth=1
                                        ;     Child Loop BB516_26 Depth 2
	s_and_not1_b32 vcc_lo, exec_lo, s30
	s_cbranch_vccnz .LBB516_3
; %bb.5:                                ;   in Loop: Header=BB516_4 Depth=1
	s_and_not1_b32 vcc_lo, exec_lo, s29
	s_cbranch_vccnz .LBB516_7
; %bb.6:                                ;   in Loop: Header=BB516_4 Depth=1
	v_mov_b64_e32 v[10:11], 0
	v_mov_b64_e32 v[8:9], 0
	s_cbranch_execz .LBB516_8
	s_branch .LBB516_9
.LBB516_7:                              ;   in Loop: Header=BB516_4 Depth=1
	v_mov_b64_e32 v[10:11], 0
	v_mov_b64_e32 v[8:9], 0
.LBB516_8:                              ;   in Loop: Header=BB516_4 Depth=1
	s_lshl_b64 s[38:39], s[24:25], 3
	s_delay_alu instid0(SALU_CYCLE_1)
	s_add_nc_u64 s[38:39], s[16:17], s[38:39]
	global_load_b64 v[6:7], v1, s[38:39]
	s_wait_loadcnt 0x0
	v_add_nc_u64_e32 v[8:9], s[18:19], v[6:7]
.LBB516_9:                              ;   in Loop: Header=BB516_4 Depth=1
	v_cmp_ne_u32_e32 vcc_lo, 1, v23
	s_cbranch_vccnz .LBB516_11
; %bb.10:                               ;   in Loop: Header=BB516_4 Depth=1
	s_wait_xcnt 0x0
	s_lshl_b64 s[38:39], s[24:25], 3
	s_delay_alu instid0(SALU_CYCLE_1)
	s_add_nc_u64 s[38:39], s[12:13], s[38:39]
	global_load_b64 v[6:7], v1, s[38:39]
	s_wait_loadcnt 0x0
	v_add_nc_u64_e32 v[10:11], s[14:15], v[6:7]
.LBB516_11:                             ;   in Loop: Header=BB516_4 Depth=1
	s_wait_xcnt 0x0
	s_lshl_b64 s[38:39], s[24:25], 3
	s_and_not1_b32 vcc_lo, exec_lo, s29
	s_add_nc_u64 s[38:39], s[8:9], s[38:39]
	global_load_b64 v[6:7], v1, s[38:39]
	s_wait_loadcnt 0x0
	v_add_nc_u64_e32 v[6:7], s[10:11], v[6:7]
	s_cbranch_vccnz .LBB516_15
; %bb.12:                               ;   in Loop: Header=BB516_4 Depth=1
	s_mov_b32 s7, 0
	s_wait_xcnt 0x0
	s_mov_b32 s38, 0
                                        ; implicit-def: $vgpr12
	s_and_saveexec_b32 s39, s35
	s_cbranch_execz .LBB516_16
; %bb.13:                               ;   in Loop: Header=BB516_4 Depth=1
	s_and_not1_b32 vcc_lo, exec_lo, s33
	s_cbranch_vccnz .LBB516_18
; %bb.14:                               ;   in Loop: Header=BB516_4 Depth=1
	v_lshl_add_u64 v[12:13], v[2:3], 2, v[6:7]
	flat_load_b32 v12, v[12:13]
	s_wait_loadcnt_dscnt 0x0
	s_wait_xcnt 0x0
	v_mul_f32_e32 v12, s26, v12
	s_branch .LBB516_19
.LBB516_15:                             ;   in Loop: Header=BB516_4 Depth=1
	s_wait_xcnt 0x0
	s_mov_b32 s38, 0
                                        ; implicit-def: $vgpr12
	s_cbranch_execz .LBB516_17
	s_branch .LBB516_20
.LBB516_16:                             ;   in Loop: Header=BB516_4 Depth=1
	s_or_b32 exec_lo, exec_lo, s39
	s_delay_alu instid0(SALU_CYCLE_1)
	s_and_b32 vcc_lo, exec_lo, s7
	s_cbranch_vccnz .LBB516_20
.LBB516_17:                             ;   in Loop: Header=BB516_4 Depth=1
	v_mov_b64_e32 v[8:9], v[2:3]
	s_and_saveexec_b32 s7, s38
	s_cbranch_execz .LBB516_2
	s_branch .LBB516_57
.LBB516_18:                             ;   in Loop: Header=BB516_4 Depth=1
	v_mov_b32_e32 v12, 0
.LBB516_19:                             ;   in Loop: Header=BB516_4 Depth=1
	s_mov_b32 s38, exec_lo
	s_or_b32 exec_lo, exec_lo, s39
	s_delay_alu instid0(SALU_CYCLE_1)
	s_and_b32 vcc_lo, exec_lo, s7
	s_cbranch_vccz .LBB516_17
.LBB516_20:                             ;   in Loop: Header=BB516_4 Depth=1
	v_dual_mov_b32 v32, 0 :: v_dual_mov_b32 v36, v20
	v_dual_mov_b32 v33, 0 :: v_dual_mov_b32 v34, 0
	v_mov_b32_e32 v35, 0
	s_and_saveexec_b32 s7, s6
	s_cbranch_execz .LBB516_32
; %bb.21:                               ;   in Loop: Header=BB516_4 Depth=1
	v_dual_mov_b32 v32, 0 :: v_dual_mov_b32 v37, v27
	v_dual_mov_b32 v38, v26 :: v_dual_mov_b32 v39, v25
	;; [unrolled: 1-line block ×4, first 2 shown]
	v_mov_b32_e32 v35, 0
	s_mov_b32 s39, 0
	s_mov_b32 s40, 0
	s_branch .LBB516_26
.LBB516_22:                             ;   in Loop: Header=BB516_26 Depth=2
	s_wait_xcnt 0x0
	s_or_b32 exec_lo, exec_lo, s44
	s_wait_loadcnt_dscnt 0x303
	v_fma_mix_f32 v12, v53, v57, v34 op_sel_hi:[0,1,0]
	s_wait_loadcnt_dscnt 0x202
	s_delay_alu instid0(VALU_DEP_1) | instskip(SKIP_1) | instid1(VALU_DEP_1)
	v_fma_mix_f32 v12, v54, v58, v12 op_sel_hi:[0,1,0]
	s_wait_loadcnt_dscnt 0x101
	v_fma_mix_f32 v12, v55, v59, v12 op_sel_hi:[0,1,0]
	s_wait_loadcnt_dscnt 0x0
	s_delay_alu instid0(VALU_DEP_1)
	v_fma_mix_f32 v34, v56, v60, v12 op_sel_hi:[0,1,0]
.LBB516_23:                             ;   in Loop: Header=BB516_26 Depth=2
	s_or_b32 exec_lo, exec_lo, s43
	s_wait_loadcnt_dscnt 0x303
	v_fma_mix_f32 v12, v53, v49, v33 op_sel_hi:[0,1,0]
	s_wait_loadcnt_dscnt 0x202
	s_delay_alu instid0(VALU_DEP_1) | instskip(SKIP_1) | instid1(VALU_DEP_1)
	v_fma_mix_f32 v12, v54, v50, v12 op_sel_hi:[0,1,0]
	s_wait_loadcnt_dscnt 0x101
	v_fma_mix_f32 v12, v55, v51, v12 op_sel_hi:[0,1,0]
	s_wait_loadcnt_dscnt 0x0
	s_delay_alu instid0(VALU_DEP_1)
	v_fma_mix_f32 v33, v56, v52, v12 op_sel_hi:[0,1,0]
.LBB516_24:                             ;   in Loop: Header=BB516_26 Depth=2
	s_or_b32 exec_lo, exec_lo, s42
	s_wait_loadcnt_dscnt 0x303
	v_fma_mix_f32 v12, v41, v45, v32 op_sel_hi:[1,1,0]
	s_wait_loadcnt_dscnt 0x202
	s_delay_alu instid0(VALU_DEP_1) | instskip(SKIP_1) | instid1(VALU_DEP_1)
	v_fma_mix_f32 v12, v42, v46, v12 op_sel_hi:[1,1,0]
	s_wait_loadcnt_dscnt 0x101
	v_fma_mix_f32 v12, v43, v47, v12 op_sel_hi:[1,1,0]
	s_wait_loadcnt_dscnt 0x0
	s_delay_alu instid0(VALU_DEP_1)
	v_fma_mix_f32 v32, v44, v48, v12 op_sel_hi:[1,1,0]
.LBB516_25:                             ;   in Loop: Header=BB516_26 Depth=2
	s_or_b32 exec_lo, exec_lo, s41
	v_dual_add_nc_u32 v36, 64, v36 :: v_dual_add_nc_u32 v39, s36, v39
	v_dual_add_nc_u32 v40, s36, v40 :: v_dual_add_nc_u32 v38, s36, v38
	v_add_nc_u32_e32 v37, s36, v37
	s_delay_alu instid0(VALU_DEP_3) | instskip(SKIP_2) | instid1(SALU_CYCLE_1)
	v_cmp_le_i32_e32 vcc_lo, s34, v36
	s_add_co_i32 s40, s40, s37
	s_or_b32 s39, vcc_lo, s39
	s_and_not1_b32 exec_lo, exec_lo, s39
	s_cbranch_execz .LBB516_31
.LBB516_26:                             ;   Parent Loop BB516_4 Depth=1
                                        ; =>  This Inner Loop Header: Depth=2
	s_and_saveexec_b32 s41, s1
	s_cbranch_execz .LBB516_25
; %bb.27:                               ;   in Loop: Header=BB516_26 Depth=2
	v_dual_add_nc_u32 v13, s40, v31 :: v_dual_add_nc_u32 v15, s40, v28
	v_readfirstlane_b32 s42, v10
	v_readfirstlane_b32 s43, v11
	v_dual_add_nc_u32 v17, s40, v29 :: v_dual_add_nc_u32 v19, s40, v30
	v_dual_add_nc_u32 v12, s31, v37 :: v_dual_add_nc_u32 v14, s31, v40
	v_readfirstlane_b32 s44, v8
	v_readfirstlane_b32 s45, v9
	v_dual_add_nc_u32 v18, s31, v39 :: v_dual_add_nc_u32 v16, s31, v38
	s_clause 0x3
	flat_load_u16 v41, v13, s[42:43] scale_offset
	flat_load_u16 v42, v15, s[42:43] scale_offset
	flat_load_u16 v43, v17, s[42:43] scale_offset
	flat_load_u16 v44, v19, s[42:43] scale_offset
	s_clause 0x3
	flat_load_u16 v45, v12, s[44:45] scale_offset
	flat_load_u16 v46, v14, s[44:45] scale_offset
	;; [unrolled: 1-line block ×4, first 2 shown]
	s_wait_xcnt 0x0
	s_and_saveexec_b32 s42, s3
	s_cbranch_execz .LBB516_24
; %bb.28:                               ;   in Loop: Header=BB516_26 Depth=2
	v_dual_ashrrev_i32 v13, 31, v12 :: v_dual_ashrrev_i32 v15, 31, v14
	v_dual_ashrrev_i32 v19, 31, v18 :: v_dual_ashrrev_i32 v17, 31, v16
	s_wait_loadcnt_dscnt 0x707
	v_cvt_f32_f16_e32 v53, v41
	s_delay_alu instid0(VALU_DEP_3)
	v_lshl_add_u64 v[12:13], v[12:13], 1, v[8:9]
	v_lshl_add_u64 v[14:15], v[14:15], 1, v[8:9]
	;; [unrolled: 1-line block ×4, first 2 shown]
	s_wait_loadcnt_dscnt 0x606
	v_cvt_f32_f16_e32 v54, v42
	s_clause 0x3
	flat_load_u16 v49, v[12:13] offset:128
	flat_load_u16 v50, v[14:15] offset:128
	;; [unrolled: 1-line block ×4, first 2 shown]
	s_wait_loadcnt_dscnt 0x909
	v_cvt_f32_f16_e32 v55, v43
	s_wait_loadcnt_dscnt 0x808
	v_cvt_f32_f16_e32 v56, v44
	s_wait_xcnt 0x0
	s_and_saveexec_b32 s43, s4
	s_cbranch_execz .LBB516_23
; %bb.29:                               ;   in Loop: Header=BB516_26 Depth=2
	s_clause 0x3
	flat_load_u16 v57, v[12:13] offset:256
	flat_load_u16 v58, v[14:15] offset:256
	flat_load_u16 v59, v[18:19] offset:256
	flat_load_u16 v60, v[16:17] offset:256
	s_wait_xcnt 0x0
	s_and_saveexec_b32 s44, s5
	s_cbranch_execz .LBB516_22
; %bb.30:                               ;   in Loop: Header=BB516_26 Depth=2
	s_clause 0x3
	flat_load_u16 v61, v[12:13] offset:384
	flat_load_u16 v62, v[14:15] offset:384
	flat_load_u16 v63, v[18:19] offset:384
	; meta instruction
	; meta instruction
	;; [unrolled: 1-line block ×3, first 2 shown]
	flat_load_u16 v12, v[16:17] offset:384
	s_wait_loadcnt_dscnt 0x303
	v_fma_mix_f32 v13, v53, v61, v35 op_sel_hi:[0,1,0]
	s_wait_loadcnt_dscnt 0x202
	s_delay_alu instid0(VALU_DEP_1) | instskip(SKIP_1) | instid1(VALU_DEP_1)
	v_fma_mix_f32 v13, v54, v62, v13 op_sel_hi:[0,1,0]
	s_wait_loadcnt_dscnt 0x101
	v_fma_mix_f32 v13, v55, v63, v13 op_sel_hi:[0,1,0]
	s_wait_loadcnt_dscnt 0x0
	s_delay_alu instid0(VALU_DEP_1)
	v_fma_mix_f32 v35, v56, v12, v13 op_sel_hi:[0,1,0]
	s_branch .LBB516_22
.LBB516_31:                             ;   in Loop: Header=BB516_4 Depth=1
	s_or_b32 exec_lo, exec_lo, s39
.LBB516_32:                             ;   in Loop: Header=BB516_4 Depth=1
	s_delay_alu instid0(SALU_CYCLE_1) | instskip(NEXT) | instid1(SALU_CYCLE_1)
	s_or_b32 exec_lo, exec_lo, s7
	s_and_not1_b32 vcc_lo, exec_lo, s20
	s_cbranch_vccnz .LBB516_50
; %bb.33:                               ;   in Loop: Header=BB516_4 Depth=1
	v_cmp_gt_i32_e32 vcc_lo, s21, v36
	v_dual_mov_b32 v18, 0 :: v_dual_bitop2_b32 v12, 1, v36 bitop3:0x54
	v_dual_mov_b32 v19, 0 :: v_dual_mov_b32 v37, 0
	v_mov_b32_e32 v38, 0
	s_and_saveexec_b32 s39, vcc_lo
	s_cbranch_execz .LBB516_41
; %bb.34:                               ;   in Loop: Header=BB516_4 Depth=1
	v_mul_lo_u32 v13, v36, s28
	v_readfirstlane_b32 s40, v10
	v_readfirstlane_b32 s41, v11
	v_dual_mov_b32 v37, 0 :: v_dual_mov_b32 v19, 0
	v_mov_b32_e32 v18, 0
	flat_load_u16 v13, v13, s[40:41] scale_offset
	s_wait_xcnt 0x0
	s_mov_b32 s40, exec_lo
	v_cmpx_gt_i32_e64 s21, v12
	s_cbranch_execz .LBB516_40
; %bb.35:                               ;   in Loop: Header=BB516_4 Depth=1
	v_mul_lo_u32 v14, v12, s28
	v_readfirstlane_b32 s42, v10
	v_readfirstlane_b32 s43, v11
	v_dual_mov_b32 v19, 0 :: v_dual_bitop2_b32 v15, 2, v36 bitop3:0x54
	v_mov_b32_e32 v18, 0
	s_mov_b32 s41, exec_lo
	flat_load_u16 v14, v14, s[42:43] scale_offset
	s_wait_xcnt 0x0
	v_cmpx_gt_i32_e64 s21, v15
	s_cbranch_execz .LBB516_39
; %bb.36:                               ;   in Loop: Header=BB516_4 Depth=1
	v_mul_lo_u32 v15, v15, s28
	v_readfirstlane_b32 s42, v10
	v_readfirstlane_b32 s43, v11
	v_dual_mov_b32 v18, 0 :: v_dual_bitop2_b32 v16, 3, v36 bitop3:0x54
	flat_load_u16 v15, v15, s[42:43] scale_offset
	s_wait_xcnt 0x0
	s_mov_b32 s42, exec_lo
	v_cmpx_gt_i32_e64 s21, v16
	s_cbranch_execz .LBB516_38
; %bb.37:                               ;   in Loop: Header=BB516_4 Depth=1
	v_mul_lo_u32 v16, v16, s28
	v_readfirstlane_b32 s44, v10
	v_readfirstlane_b32 s45, v11
	flat_load_u16 v10, v16, s[44:45] scale_offset
	s_wait_loadcnt_dscnt 0x0
	v_cvt_f32_f16_e32 v18, v10
.LBB516_38:                             ;   in Loop: Header=BB516_4 Depth=1
	s_wait_xcnt 0x0
	s_or_b32 exec_lo, exec_lo, s42
	s_wait_loadcnt_dscnt 0x0
	v_cvt_f32_f16_e32 v19, v15
.LBB516_39:                             ;   in Loop: Header=BB516_4 Depth=1
	s_or_b32 exec_lo, exec_lo, s41
	s_wait_loadcnt_dscnt 0x0
	v_cvt_f32_f16_e32 v37, v14
.LBB516_40:                             ;   in Loop: Header=BB516_4 Depth=1
	s_or_b32 exec_lo, exec_lo, s40
	s_wait_loadcnt_dscnt 0x0
	v_cvt_f32_f16_e32 v38, v13
.LBB516_41:                             ;   in Loop: Header=BB516_4 Depth=1
	s_or_b32 exec_lo, exec_lo, s39
	s_and_saveexec_b32 s7, s1
	s_cbranch_execz .LBB516_49
; %bb.42:                               ;   in Loop: Header=BB516_4 Depth=1
	v_mul_lo_u32 v11, v36, s27
	v_mul_lo_u32 v14, v12, s27
	v_or_b32_e32 v10, 2, v36
	v_readfirstlane_b32 s40, v8
	v_readfirstlane_b32 s41, v9
	v_cndmask_b32_e32 v11, 0, v11, vcc_lo
	s_delay_alu instid0(VALU_DEP_4) | instskip(SKIP_2) | instid1(VALU_DEP_1)
	v_mul_lo_u32 v15, v10, s27
	v_cmp_gt_i32_e32 vcc_lo, s21, v12
	v_dual_cndmask_b32 v12, 0, v14, vcc_lo :: v_dual_bitop2_b32 v13, 3, v36 bitop3:0x54
	v_mul_lo_u32 v16, v13, s27
	v_cmp_gt_i32_e32 vcc_lo, s21, v10
	s_delay_alu instid0(VALU_DEP_3) | instskip(SKIP_3) | instid1(VALU_DEP_1)
	v_dual_add_nc_u32 v10, v11, v24 :: v_dual_add_nc_u32 v12, v12, v24
	v_cndmask_b32_e32 v14, 0, v15, vcc_lo
	v_cmp_gt_i32_e32 vcc_lo, s21, v13
	v_cndmask_b32_e32 v13, 0, v16, vcc_lo
	v_dual_add_nc_u32 v14, v14, v24 :: v_dual_add_nc_u32 v16, v13, v24
	s_clause 0x3
	flat_load_u16 v36, v10, s[40:41] scale_offset
	flat_load_u16 v39, v12, s[40:41] scale_offset
	;; [unrolled: 1-line block ×4, first 2 shown]
	s_wait_xcnt 0x0
	s_and_saveexec_b32 s39, s3
	s_cbranch_execz .LBB516_48
; %bb.43:                               ;   in Loop: Header=BB516_4 Depth=1
	v_dual_ashrrev_i32 v11, 31, v10 :: v_dual_ashrrev_i32 v13, 31, v12
	v_dual_ashrrev_i32 v15, 31, v14 :: v_dual_ashrrev_i32 v17, 31, v16
	s_delay_alu instid0(VALU_DEP_2) | instskip(NEXT) | instid1(VALU_DEP_3)
	v_lshl_add_u64 v[10:11], v[10:11], 1, v[8:9]
	v_lshl_add_u64 v[12:13], v[12:13], 1, v[8:9]
	s_delay_alu instid0(VALU_DEP_3) | instskip(NEXT) | instid1(VALU_DEP_4)
	v_lshl_add_u64 v[14:15], v[14:15], 1, v[8:9]
	v_lshl_add_u64 v[8:9], v[16:17], 1, v[8:9]
	s_clause 0x3
	flat_load_u16 v16, v[10:11] offset:128
	flat_load_u16 v17, v[12:13] offset:128
	;; [unrolled: 1-line block ×4, first 2 shown]
	s_wait_xcnt 0x0
	s_and_saveexec_b32 s40, s4
	s_cbranch_execz .LBB516_47
; %bb.44:                               ;   in Loop: Header=BB516_4 Depth=1
	s_clause 0x3
	flat_load_u16 v44, v[10:11] offset:256
	flat_load_u16 v45, v[12:13] offset:256
	;; [unrolled: 1-line block ×4, first 2 shown]
	s_wait_xcnt 0x0
	s_and_saveexec_b32 s41, s5
	s_cbranch_execz .LBB516_46
; %bb.45:                               ;   in Loop: Header=BB516_4 Depth=1
	s_clause 0x3
	flat_load_u16 v48, v[10:11] offset:384
	flat_load_u16 v49, v[12:13] offset:384
	;; [unrolled: 1-line block ×4, first 2 shown]
	s_wait_loadcnt_dscnt 0x303
	s_wait_xcnt 0x0
	v_fma_mix_f32 v8, v38, v48, v35 op_sel_hi:[0,1,0]
	s_wait_loadcnt_dscnt 0x202
	s_delay_alu instid0(VALU_DEP_1) | instskip(SKIP_1) | instid1(VALU_DEP_1)
	v_fma_mix_f32 v8, v37, v49, v8 op_sel_hi:[0,1,0]
	s_wait_loadcnt_dscnt 0x101
	v_fma_mix_f32 v8, v19, v50, v8 op_sel_hi:[0,1,0]
	s_wait_loadcnt_dscnt 0x0
	s_delay_alu instid0(VALU_DEP_1)
	v_fma_mix_f32 v35, v18, v51, v8 op_sel_hi:[0,1,0]
.LBB516_46:                             ;   in Loop: Header=BB516_4 Depth=1
	s_or_b32 exec_lo, exec_lo, s41
	s_wait_loadcnt_dscnt 0x303
	v_fma_mix_f32 v8, v38, v44, v34 op_sel_hi:[0,1,0]
	s_wait_loadcnt_dscnt 0x202
	s_delay_alu instid0(VALU_DEP_1) | instskip(SKIP_1) | instid1(VALU_DEP_1)
	v_fma_mix_f32 v8, v37, v45, v8 op_sel_hi:[0,1,0]
	s_wait_loadcnt_dscnt 0x101
	v_fma_mix_f32 v8, v19, v46, v8 op_sel_hi:[0,1,0]
	s_wait_loadcnt_dscnt 0x0
	s_delay_alu instid0(VALU_DEP_1)
	v_fma_mix_f32 v34, v18, v47, v8 op_sel_hi:[0,1,0]
.LBB516_47:                             ;   in Loop: Header=BB516_4 Depth=1
	s_or_b32 exec_lo, exec_lo, s40
	s_wait_loadcnt_dscnt 0x303
	v_fma_mix_f32 v8, v38, v16, v33 op_sel_hi:[0,1,0]
	s_wait_loadcnt_dscnt 0x202
	s_delay_alu instid0(VALU_DEP_1) | instskip(SKIP_1) | instid1(VALU_DEP_1)
	v_fma_mix_f32 v8, v37, v17, v8 op_sel_hi:[0,1,0]
	s_wait_loadcnt_dscnt 0x101
	v_fma_mix_f32 v8, v19, v42, v8 op_sel_hi:[0,1,0]
	s_wait_loadcnt_dscnt 0x0
	s_delay_alu instid0(VALU_DEP_1)
	v_fma_mix_f32 v33, v18, v43, v8 op_sel_hi:[0,1,0]
.LBB516_48:                             ;   in Loop: Header=BB516_4 Depth=1
	s_or_b32 exec_lo, exec_lo, s39
	s_wait_loadcnt_dscnt 0x303
	v_fma_mix_f32 v8, v38, v36, v32 op_sel_hi:[0,1,0]
	s_wait_loadcnt_dscnt 0x202
	s_delay_alu instid0(VALU_DEP_1) | instskip(SKIP_1) | instid1(VALU_DEP_1)
	v_fma_mix_f32 v8, v37, v39, v8 op_sel_hi:[0,1,0]
	s_wait_loadcnt_dscnt 0x101
	v_fma_mix_f32 v8, v19, v40, v8 op_sel_hi:[0,1,0]
	s_wait_loadcnt_dscnt 0x0
	s_delay_alu instid0(VALU_DEP_1)
	v_fma_mix_f32 v32, v18, v41, v8 op_sel_hi:[0,1,0]
.LBB516_49:                             ;   in Loop: Header=BB516_4 Depth=1
	s_or_b32 exec_lo, exec_lo, s7
.LBB516_50:                             ;   in Loop: Header=BB516_4 Depth=1
	ds_store_2addr_stride64_b32 v21, v32, v33 offset1:1
	ds_store_2addr_stride64_b32 v21, v34, v35 offset0:2 offset1:3
	s_wait_dscnt 0x0
	s_barrier_signal -1
	s_barrier_wait -1
                                        ; implicit-def: $vgpr12
	s_and_saveexec_b32 s7, s0
	s_cbranch_execz .LBB516_56
; %bb.51:                               ;   in Loop: Header=BB516_4 Depth=1
	ds_load_2addr_stride64_b32 v[8:9], v22 offset1:4
	ds_load_2addr_stride64_b32 v[10:11], v22 offset0:8 offset1:12
	ds_load_2addr_stride64_b32 v[12:13], v22 offset0:16 offset1:20
	s_mov_b32 s40, s38
	s_wait_dscnt 0x2
	v_add_f32_e32 v14, v8, v9
	ds_load_2addr_stride64_b32 v[8:9], v22 offset0:24 offset1:28
	s_wait_dscnt 0x2
	v_add_f32_e32 v10, v10, v14
	s_delay_alu instid0(VALU_DEP_1) | instskip(SKIP_3) | instid1(VALU_DEP_1)
	v_add_f32_e32 v14, v11, v10
	ds_load_2addr_stride64_b32 v[10:11], v22 offset0:32 offset1:36
	s_wait_dscnt 0x2
	v_add_f32_e32 v12, v12, v14
	v_add_f32_e32 v14, v13, v12
	ds_load_2addr_stride64_b32 v[12:13], v22 offset0:40 offset1:44
	s_wait_dscnt 0x2
	v_add_f32_e32 v8, v8, v14
	s_delay_alu instid0(VALU_DEP_1) | instskip(SKIP_1) | instid1(VALU_DEP_1)
	v_add_f32_e32 v8, v9, v8
	s_wait_dscnt 0x1
	v_add_f32_e32 v10, v10, v8
	ds_load_2addr_stride64_b32 v[8:9], v22 offset0:48 offset1:52
	v_add_f32_e32 v10, v11, v10
	s_wait_dscnt 0x1
	s_delay_alu instid0(VALU_DEP_1) | instskip(SKIP_3) | instid1(VALU_DEP_1)
	v_add_f32_e32 v12, v12, v10
	ds_load_2addr_stride64_b32 v[10:11], v22 offset0:56 offset1:60
	v_add_f32_e32 v12, v13, v12
	s_wait_dscnt 0x1
	v_add_f32_e32 v8, v8, v12
                                        ; implicit-def: $vgpr12
	s_delay_alu instid0(VALU_DEP_1) | instskip(SKIP_1) | instid1(VALU_DEP_1)
	v_add_f32_e32 v8, v9, v8
	s_wait_dscnt 0x0
	v_add_f32_e32 v8, v10, v8
	s_delay_alu instid0(VALU_DEP_1)
	v_add_f32_e32 v8, v11, v8
	ds_store_b32 v22, v8
	s_and_saveexec_b32 s39, s2
	s_cbranch_execz .LBB516_55
; %bb.52:                               ;   in Loop: Header=BB516_4 Depth=1
	v_mul_f32_e32 v12, s22, v8
	s_and_not1_b32 vcc_lo, exec_lo, s33
	s_cbranch_vccnz .LBB516_54
; %bb.53:                               ;   in Loop: Header=BB516_4 Depth=1
	v_lshl_add_u64 v[8:9], v[4:5], 2, v[6:7]
	flat_load_b32 v8, v[8:9]
	s_wait_loadcnt_dscnt 0x0
	v_fmac_f32_e32 v12, s26, v8
.LBB516_54:                             ;   in Loop: Header=BB516_4 Depth=1
	s_or_b32 s40, s38, exec_lo
.LBB516_55:                             ;   in Loop: Header=BB516_4 Depth=1
	s_wait_xcnt 0x0
	s_or_b32 exec_lo, exec_lo, s39
	s_delay_alu instid0(SALU_CYCLE_1) | instskip(SKIP_1) | instid1(SALU_CYCLE_1)
	s_and_not1_b32 s38, s38, exec_lo
	s_and_b32 s39, s40, exec_lo
	s_or_b32 s38, s38, s39
.LBB516_56:                             ;   in Loop: Header=BB516_4 Depth=1
	s_or_b32 exec_lo, exec_lo, s7
	v_mov_b64_e32 v[8:9], v[4:5]
	s_and_saveexec_b32 s7, s38
	s_cbranch_execz .LBB516_2
.LBB516_57:                             ;   in Loop: Header=BB516_4 Depth=1
	s_delay_alu instid0(VALU_DEP_1)
	v_lshl_add_u64 v[6:7], v[8:9], 2, v[6:7]
	flat_store_b32 v[6:7], v12
	s_branch .LBB516_2
.LBB516_58:
	s_endpgm
	.section	.rodata,"a",@progbits
	.p2align	6, 0x0
	.amdhsa_kernel _ZL20rocblas_gemvn_kernelILi64ELi16EiPKDF16_fKPfEviiT3_lPKT2_lT1_lS7_lS8_lS4_lPT4_lS8_li
		.amdhsa_group_segment_fixed_size 16384
		.amdhsa_private_segment_fixed_size 0
		.amdhsa_kernarg_size 400
		.amdhsa_user_sgpr_count 2
		.amdhsa_user_sgpr_dispatch_ptr 0
		.amdhsa_user_sgpr_queue_ptr 0
		.amdhsa_user_sgpr_kernarg_segment_ptr 1
		.amdhsa_user_sgpr_dispatch_id 0
		.amdhsa_user_sgpr_kernarg_preload_length 0
		.amdhsa_user_sgpr_kernarg_preload_offset 0
		.amdhsa_user_sgpr_private_segment_size 0
		.amdhsa_wavefront_size32 1
		.amdhsa_uses_dynamic_stack 0
		.amdhsa_enable_private_segment 0
		.amdhsa_system_sgpr_workgroup_id_x 1
		.amdhsa_system_sgpr_workgroup_id_y 0
		.amdhsa_system_sgpr_workgroup_id_z 1
		.amdhsa_system_sgpr_workgroup_info 0
		.amdhsa_system_vgpr_workitem_id 1
		.amdhsa_next_free_vgpr 64
		.amdhsa_next_free_sgpr 46
		.amdhsa_named_barrier_count 0
		.amdhsa_reserve_vcc 1
		.amdhsa_float_round_mode_32 0
		.amdhsa_float_round_mode_16_64 0
		.amdhsa_float_denorm_mode_32 3
		.amdhsa_float_denorm_mode_16_64 3
		.amdhsa_fp16_overflow 0
		.amdhsa_memory_ordered 1
		.amdhsa_forward_progress 1
		.amdhsa_inst_pref_size 25
		.amdhsa_round_robin_scheduling 0
		.amdhsa_exception_fp_ieee_invalid_op 0
		.amdhsa_exception_fp_denorm_src 0
		.amdhsa_exception_fp_ieee_div_zero 0
		.amdhsa_exception_fp_ieee_overflow 0
		.amdhsa_exception_fp_ieee_underflow 0
		.amdhsa_exception_fp_ieee_inexact 0
		.amdhsa_exception_int_div_zero 0
	.end_amdhsa_kernel
	.section	.text._ZL20rocblas_gemvn_kernelILi64ELi16EiPKDF16_fKPfEviiT3_lPKT2_lT1_lS7_lS8_lS4_lPT4_lS8_li,"axG",@progbits,_ZL20rocblas_gemvn_kernelILi64ELi16EiPKDF16_fKPfEviiT3_lPKT2_lT1_lS7_lS8_lS4_lPT4_lS8_li,comdat
.Lfunc_end516:
	.size	_ZL20rocblas_gemvn_kernelILi64ELi16EiPKDF16_fKPfEviiT3_lPKT2_lT1_lS7_lS8_lS4_lPT4_lS8_li, .Lfunc_end516-_ZL20rocblas_gemvn_kernelILi64ELi16EiPKDF16_fKPfEviiT3_lPKT2_lT1_lS7_lS8_lS4_lPT4_lS8_li
                                        ; -- End function
	.set _ZL20rocblas_gemvn_kernelILi64ELi16EiPKDF16_fKPfEviiT3_lPKT2_lT1_lS7_lS8_lS4_lPT4_lS8_li.num_vgpr, 64
	.set _ZL20rocblas_gemvn_kernelILi64ELi16EiPKDF16_fKPfEviiT3_lPKT2_lT1_lS7_lS8_lS4_lPT4_lS8_li.num_agpr, 0
	.set _ZL20rocblas_gemvn_kernelILi64ELi16EiPKDF16_fKPfEviiT3_lPKT2_lT1_lS7_lS8_lS4_lPT4_lS8_li.numbered_sgpr, 46
	.set _ZL20rocblas_gemvn_kernelILi64ELi16EiPKDF16_fKPfEviiT3_lPKT2_lT1_lS7_lS8_lS4_lPT4_lS8_li.num_named_barrier, 0
	.set _ZL20rocblas_gemvn_kernelILi64ELi16EiPKDF16_fKPfEviiT3_lPKT2_lT1_lS7_lS8_lS4_lPT4_lS8_li.private_seg_size, 0
	.set _ZL20rocblas_gemvn_kernelILi64ELi16EiPKDF16_fKPfEviiT3_lPKT2_lT1_lS7_lS8_lS4_lPT4_lS8_li.uses_vcc, 1
	.set _ZL20rocblas_gemvn_kernelILi64ELi16EiPKDF16_fKPfEviiT3_lPKT2_lT1_lS7_lS8_lS4_lPT4_lS8_li.uses_flat_scratch, 1
	.set _ZL20rocblas_gemvn_kernelILi64ELi16EiPKDF16_fKPfEviiT3_lPKT2_lT1_lS7_lS8_lS4_lPT4_lS8_li.has_dyn_sized_stack, 0
	.set _ZL20rocblas_gemvn_kernelILi64ELi16EiPKDF16_fKPfEviiT3_lPKT2_lT1_lS7_lS8_lS4_lPT4_lS8_li.has_recursion, 0
	.set _ZL20rocblas_gemvn_kernelILi64ELi16EiPKDF16_fKPfEviiT3_lPKT2_lT1_lS7_lS8_lS4_lPT4_lS8_li.has_indirect_call, 0
	.section	.AMDGPU.csdata,"",@progbits
; Kernel info:
; codeLenInByte = 3140
; TotalNumSgprs: 48
; NumVgprs: 64
; ScratchSize: 0
; MemoryBound: 0
; FloatMode: 240
; IeeeMode: 1
; LDSByteSize: 16384 bytes/workgroup (compile time only)
; SGPRBlocks: 0
; VGPRBlocks: 3
; NumSGPRsForWavesPerEU: 48
; NumVGPRsForWavesPerEU: 64
; NamedBarCnt: 0
; Occupancy: 16
; WaveLimiterHint : 1
; COMPUTE_PGM_RSRC2:SCRATCH_EN: 0
; COMPUTE_PGM_RSRC2:USER_SGPR: 2
; COMPUTE_PGM_RSRC2:TRAP_HANDLER: 0
; COMPUTE_PGM_RSRC2:TGID_X_EN: 1
; COMPUTE_PGM_RSRC2:TGID_Y_EN: 0
; COMPUTE_PGM_RSRC2:TGID_Z_EN: 1
; COMPUTE_PGM_RSRC2:TIDIG_COMP_CNT: 1
	.section	.text._ZL20rocblas_gemvn_kernelILi64ELi16ElPKDF16_fKPfEviiT3_lPKT2_lT1_lS7_lS8_lS4_lPT4_lS8_li,"axG",@progbits,_ZL20rocblas_gemvn_kernelILi64ELi16ElPKDF16_fKPfEviiT3_lPKT2_lT1_lS7_lS8_lS4_lPT4_lS8_li,comdat
	.globl	_ZL20rocblas_gemvn_kernelILi64ELi16ElPKDF16_fKPfEviiT3_lPKT2_lT1_lS7_lS8_lS4_lPT4_lS8_li ; -- Begin function _ZL20rocblas_gemvn_kernelILi64ELi16ElPKDF16_fKPfEviiT3_lPKT2_lT1_lS7_lS8_lS4_lPT4_lS8_li
	.p2align	8
	.type	_ZL20rocblas_gemvn_kernelILi64ELi16ElPKDF16_fKPfEviiT3_lPKT2_lT1_lS7_lS8_lS4_lPT4_lS8_li,@function
_ZL20rocblas_gemvn_kernelILi64ELi16ElPKDF16_fKPfEviiT3_lPKT2_lT1_lS7_lS8_lS4_lPT4_lS8_li: ; @_ZL20rocblas_gemvn_kernelILi64ELi16ElPKDF16_fKPfEviiT3_lPKT2_lT1_lS7_lS8_lS4_lPT4_lS8_li
; %bb.0:
	s_clause 0x1
	s_load_b64 s[2:3], s[0:1], 0x9c
	s_load_b32 s27, s[0:1], 0x88
	s_bfe_u32 s4, ttmp6, 0x40014
	s_lshr_b32 s5, ttmp7, 16
	s_add_co_i32 s4, s4, 1
	s_bfe_u32 s6, ttmp6, 0x40008
	s_mul_i32 s7, s5, s4
	s_getreg_b32 s4, hwreg(HW_REG_IB_STS2, 6, 4)
	s_add_co_i32 s6, s6, s7
	s_mov_b32 s11, 0
	s_wait_kmcnt 0x0
	s_lshr_b32 s7, s2, 16
	s_and_b32 s2, s2, 0xffff
	s_and_b32 s3, s3, 0xffff
	s_mul_i32 s2, s7, s2
	s_cmp_eq_u32 s4, 0
	s_mul_i32 s2, s2, s3
	s_cselect_b32 s10, s5, s6
	s_cmp_lg_u32 s2, 0x400
	s_cselect_b32 s2, -1, 0
	s_cmp_ge_u32 s10, s27
	s_cselect_b32 s3, -1, 0
	s_delay_alu instid0(SALU_CYCLE_1) | instskip(NEXT) | instid1(SALU_CYCLE_1)
	s_or_b32 s2, s2, s3
	s_and_b32 vcc_lo, exec_lo, s2
	s_cbranch_vccnz .LBB517_58
; %bb.1:
	s_clause 0x7
	s_load_b96 s[24:26], s[0:1], 0x0
	s_load_b32 s33, s[0:1], 0x58
	s_load_b64 s[28:29], s[0:1], 0x48
	s_load_b128 s[12:15], s[0:1], 0x18
	s_load_b64 s[30:31], s[0:1], 0x28
	s_load_b128 s[16:19], s[0:1], 0x38
	s_load_b64 s[2:3], s[0:1], 0x78
	s_load_b128 s[20:23], s[0:1], 0x68
	v_bfe_u32 v4, v0, 10, 10
	v_and_b32_e32 v15, 0x3ff, v0
	s_delay_alu instid0(VALU_DEP_2) | instskip(NEXT) | instid1(VALU_DEP_2)
	v_dual_mov_b32 v1, 0 :: v_dual_lshlrev_b32 v48, 2, v4
	v_lshl_add_u32 v14, v4, 6, v15
	s_delay_alu instid0(VALU_DEP_2) | instskip(NEXT) | instid1(VALU_DEP_1)
	v_dual_mov_b32 v5, v1 :: v_dual_lshlrev_b32 v16, 2, v15
	v_lshl_add_u32 v50, v4, 10, v16
	s_wait_kmcnt 0x0
	s_cmp_eq_f32 s26, 0
	v_lshl_add_u32 v51, v4, 8, v16
	v_mad_nc_u64_u32 v[6:7], s28, v48, s[28:29]
	v_mul_u64_e32 v[10:11], s[28:29], v[4:5]
	s_cselect_b32 s38, -1, 0
	s_cmp_neq_f32 s33, 1.0
	v_mad_nc_u64_u32 v[8:9], s30, v48, s[30:31]
	v_mul_u64_e32 v[12:13], s[30:31], v[4:5]
	s_cselect_b32 s0, -1, 0
	s_cmp_neq_f32 s26, 0
	s_delay_alu instid0(VALU_DEP_4)
	v_mad_u32 v7, s29, v48, v7
	s_cselect_b32 s1, -1, 0
	s_bfe_u32 s5, ttmp6, 0x4000c
	s_and_b32 s6, ttmp6, 15
	s_add_co_i32 s5, s5, 1
	s_or_b32 s39, s1, s0
	s_mul_i32 s5, ttmp9, s5
	v_cndmask_b32_e64 v49, 0, 1, s1
	s_add_co_i32 s6, s6, s5
	s_cmp_eq_u32 s4, 0
	s_mov_b32 s0, s24
	s_cselect_b32 s1, ttmp9, s6
	v_mad_u32 v9, s31, v48, v9
	s_lshl_b32 s4, s1, 8
	s_ashr_i32 s1, s24, 31
	v_add_nc_u32_e32 v0, s4, v14
	v_lshlrev_b64_e32 v[4:5], 1, v[6:7]
	v_add_nc_u32_e32 v24, s4, v15
	s_cmp_neq_f32 s33, 0
	s_delay_alu instid0(VALU_DEP_3)
	v_cmp_gt_i64_e32 vcc_lo, s[0:1], v[0:1]
	v_cmp_gt_u32_e64 s0, 0x100, v14
	v_or_b32_e32 v14, s4, v14
	v_mul_u64_e32 v[2:3], s[2:3], v[0:1]
	v_or_b32_e32 v0, 3, v48
	v_lshlrev_b64_e32 v[6:7], 1, v[8:9]
	s_cselect_b32 s40, -1, 0
	v_ashrrev_i32_e32 v15, 31, v14
	s_ashr_i32 s1, s25, 31
	v_mul_u64_e32 v[16:17], s[30:31], v[0:1]
	v_mul_u64_e32 v[18:19], s[28:29], v[0:1]
	v_or_b32_e32 v0, 2, v48
	v_mul_u64_e32 v[8:9], s[2:3], v[14:15]
	s_lshr_b32 s4, s1, 26
	v_ashrrev_i32_e32 v25, 31, v24
	v_add_nc_u32_e32 v15, 0x80, v24
	v_mul_u64_e32 v[20:21], s[30:31], v[0:1]
	v_mul_u64_e32 v[22:23], s[28:29], v[0:1]
	s_add_co_i32 s41, s25, s4
	v_add_nc_u32_e32 v0, 64, v24
	v_add_nc_u32_e32 v26, 0xc0, v24
	s_and_not1_b32 s41, s41, 63
	v_cmp_gt_i32_e64 s2, s24, v14
	v_lshlrev_b64_e32 v[10:11], 3, v[10:11]
	v_lshlrev_b64_e32 v[12:13], 3, v[12:13]
	v_cmp_gt_i32_e64 s4, s24, v15
	s_sub_co_i32 s6, s25, s41
	v_lshlrev_b64_e32 v[14:15], 1, v[24:25]
	v_cmp_gt_i32_e64 s1, s24, v24
	v_cmp_gt_i32_e64 s3, s24, v0
	;; [unrolled: 1-line block ×3, first 2 shown]
	s_cmp_gt_i32 s6, 0
	v_cmp_gt_i32_e64 s6, s41, v48
	s_cselect_b32 s24, -1, 0
	s_and_b32 s42, s0, vcc_lo
	s_lshl_b64 s[34:35], s[28:29], 7
	s_lshl_b64 s[36:37], s[30:31], 7
	;; [unrolled: 1-line block ×5, first 2 shown]
	v_lshlrev_b64_e32 v[16:17], 1, v[16:17]
	v_lshlrev_b64_e32 v[18:19], 1, v[18:19]
	;; [unrolled: 1-line block ×4, first 2 shown]
	s_branch .LBB517_4
.LBB517_2:                              ;   in Loop: Header=BB517_4 Depth=1
	s_wait_xcnt 0x0
	s_or_b32 exec_lo, exec_lo, s7
.LBB517_3:                              ;   in Loop: Header=BB517_4 Depth=1
	s_add_co_i32 s10, s10, 0x10000
	s_delay_alu instid0(SALU_CYCLE_1)
	s_cmp_lt_u32 s10, s27
	s_cbranch_scc0 .LBB517_58
.LBB517_4:                              ; =>This Loop Header: Depth=1
                                        ;     Child Loop BB517_26 Depth 2
	s_and_not1_b32 vcc_lo, exec_lo, s39
	s_cbranch_vccnz .LBB517_3
; %bb.5:                                ;   in Loop: Header=BB517_4 Depth=1
	s_and_not1_b32 vcc_lo, exec_lo, s38
	s_cbranch_vccnz .LBB517_7
; %bb.6:                                ;   in Loop: Header=BB517_4 Depth=1
	v_mov_b64_e32 v[28:29], 0
	v_mov_b64_e32 v[26:27], 0
	s_cbranch_execz .LBB517_8
	s_branch .LBB517_9
.LBB517_7:                              ;   in Loop: Header=BB517_4 Depth=1
	v_mov_b64_e32 v[28:29], 0
	v_mov_b64_e32 v[26:27], 0
.LBB517_8:                              ;   in Loop: Header=BB517_4 Depth=1
	s_lshl_b64 s[8:9], s[10:11], 3
	s_delay_alu instid0(SALU_CYCLE_1)
	s_add_nc_u64 s[8:9], s[12:13], s[8:9]
	global_load_b64 v[24:25], v1, s[8:9]
	s_wait_loadcnt 0x0
	v_add_nc_u64_e32 v[26:27], s[14:15], v[24:25]
.LBB517_9:                              ;   in Loop: Header=BB517_4 Depth=1
	v_cmp_ne_u32_e32 vcc_lo, 1, v49
	s_cbranch_vccnz .LBB517_11
; %bb.10:                               ;   in Loop: Header=BB517_4 Depth=1
	s_wait_xcnt 0x0
	s_lshl_b64 s[8:9], s[10:11], 3
	s_delay_alu instid0(SALU_CYCLE_1)
	s_add_nc_u64 s[8:9], s[16:17], s[8:9]
	global_load_b64 v[24:25], v1, s[8:9]
	s_wait_loadcnt 0x0
	v_add_nc_u64_e32 v[28:29], s[18:19], v[24:25]
.LBB517_11:                             ;   in Loop: Header=BB517_4 Depth=1
	s_wait_xcnt 0x0
	s_lshl_b64 s[8:9], s[10:11], 3
	s_and_not1_b32 vcc_lo, exec_lo, s38
	s_add_nc_u64 s[8:9], s[20:21], s[8:9]
	global_load_b64 v[24:25], v1, s[8:9]
	s_wait_loadcnt 0x0
	v_add_nc_u64_e32 v[24:25], s[22:23], v[24:25]
	s_cbranch_vccnz .LBB517_15
; %bb.12:                               ;   in Loop: Header=BB517_4 Depth=1
	s_mov_b32 s7, 0
	s_mov_b32 s43, 0
                                        ; implicit-def: $vgpr0
	s_wait_xcnt 0x0
	s_and_saveexec_b32 s8, s42
	s_cbranch_execz .LBB517_16
; %bb.13:                               ;   in Loop: Header=BB517_4 Depth=1
	s_and_not1_b32 vcc_lo, exec_lo, s40
	s_cbranch_vccnz .LBB517_18
; %bb.14:                               ;   in Loop: Header=BB517_4 Depth=1
	v_lshl_add_u64 v[30:31], v[2:3], 2, v[24:25]
	flat_load_b32 v0, v[30:31]
	s_wait_loadcnt_dscnt 0x0
	v_mul_f32_e32 v0, s33, v0
	s_branch .LBB517_19
.LBB517_15:                             ;   in Loop: Header=BB517_4 Depth=1
	s_mov_b32 s43, 0
                                        ; implicit-def: $vgpr0
	s_cbranch_execz .LBB517_17
	s_branch .LBB517_20
.LBB517_16:                             ;   in Loop: Header=BB517_4 Depth=1
	s_or_b32 exec_lo, exec_lo, s8
	s_delay_alu instid0(SALU_CYCLE_1)
	s_and_b32 vcc_lo, exec_lo, s7
	s_cbranch_vccnz .LBB517_20
.LBB517_17:                             ;   in Loop: Header=BB517_4 Depth=1
	v_mov_b64_e32 v[26:27], v[2:3]
	s_wait_xcnt 0x0
	s_and_saveexec_b32 s7, s43
	s_cbranch_execz .LBB517_2
	s_branch .LBB517_57
.LBB517_18:                             ;   in Loop: Header=BB517_4 Depth=1
	v_mov_b32_e32 v0, 0
.LBB517_19:                             ;   in Loop: Header=BB517_4 Depth=1
	s_mov_b32 s43, exec_lo
	s_wait_xcnt 0x0
	s_or_b32 exec_lo, exec_lo, s8
	s_delay_alu instid0(SALU_CYCLE_1)
	s_and_b32 vcc_lo, exec_lo, s7
	s_cbranch_vccz .LBB517_17
.LBB517_20:                             ;   in Loop: Header=BB517_4 Depth=1
	v_dual_mov_b32 v52, 0 :: v_dual_mov_b32 v0, v48
	v_dual_mov_b32 v53, 0 :: v_dual_mov_b32 v54, 0
	v_mov_b32_e32 v55, 0
	s_wait_xcnt 0x0
	s_and_saveexec_b32 s7, s6
	s_cbranch_execz .LBB517_32
; %bb.21:                               ;   in Loop: Header=BB517_4 Depth=1
	v_add_nc_u64_e32 v[30:31], v[26:27], v[16:17]
	v_add_nc_u64_e32 v[32:33], v[26:27], v[12:13]
	;; [unrolled: 1-line block ×4, first 2 shown]
	v_mov_b64_e32 v[38:39], v[28:29]
	v_dual_mov_b32 v52, 0 :: v_dual_mov_b32 v0, v48
	v_dual_mov_b32 v53, 0 :: v_dual_mov_b32 v54, 0
	v_mov_b32_e32 v55, 0
	s_mov_b32 s8, 0
	s_branch .LBB517_26
.LBB517_22:                             ;   in Loop: Header=BB517_26 Depth=2
	s_wait_xcnt 0x0
	s_or_b32 exec_lo, exec_lo, s46
	s_wait_loadcnt_dscnt 0x303
	v_fma_mix_f32 v40, v68, v72, v54 op_sel_hi:[0,1,0]
	s_wait_loadcnt_dscnt 0x202
	s_delay_alu instid0(VALU_DEP_1) | instskip(SKIP_1) | instid1(VALU_DEP_1)
	v_fma_mix_f32 v40, v69, v73, v40 op_sel_hi:[0,1,0]
	s_wait_loadcnt_dscnt 0x101
	v_fma_mix_f32 v40, v70, v74, v40 op_sel_hi:[0,1,0]
	s_wait_loadcnt_dscnt 0x0
	s_delay_alu instid0(VALU_DEP_1)
	v_fma_mix_f32 v54, v71, v75, v40 op_sel_hi:[0,1,0]
.LBB517_23:                             ;   in Loop: Header=BB517_26 Depth=2
	s_or_b32 exec_lo, exec_lo, s45
	s_wait_loadcnt_dscnt 0x303
	v_fma_mix_f32 v40, v68, v64, v53 op_sel_hi:[0,1,0]
	s_wait_loadcnt_dscnt 0x202
	s_delay_alu instid0(VALU_DEP_1) | instskip(SKIP_1) | instid1(VALU_DEP_1)
	v_fma_mix_f32 v40, v69, v65, v40 op_sel_hi:[0,1,0]
	s_wait_loadcnt_dscnt 0x101
	v_fma_mix_f32 v40, v70, v66, v40 op_sel_hi:[0,1,0]
	s_wait_loadcnt_dscnt 0x0
	s_delay_alu instid0(VALU_DEP_1)
	v_fma_mix_f32 v53, v71, v67, v40 op_sel_hi:[0,1,0]
.LBB517_24:                             ;   in Loop: Header=BB517_26 Depth=2
	s_or_b32 exec_lo, exec_lo, s44
	s_wait_loadcnt_dscnt 0x303
	v_fma_mix_f32 v40, v56, v60, v52 op_sel_hi:[1,1,0]
	s_wait_loadcnt_dscnt 0x202
	s_delay_alu instid0(VALU_DEP_1) | instskip(SKIP_1) | instid1(VALU_DEP_1)
	v_fma_mix_f32 v40, v57, v61, v40 op_sel_hi:[1,1,0]
	s_wait_loadcnt_dscnt 0x101
	v_fma_mix_f32 v40, v58, v62, v40 op_sel_hi:[1,1,0]
	s_wait_loadcnt_dscnt 0x0
	s_delay_alu instid0(VALU_DEP_1)
	v_fma_mix_f32 v52, v59, v63, v40 op_sel_hi:[1,1,0]
.LBB517_25:                             ;   in Loop: Header=BB517_26 Depth=2
	s_or_b32 exec_lo, exec_lo, s9
	v_add_nc_u32_e32 v0, 64, v0
	v_add_nc_u64_e32 v[38:39], s[34:35], v[38:39]
	v_add_nc_u64_e32 v[30:31], s[36:37], v[30:31]
	;; [unrolled: 1-line block ×4, first 2 shown]
	v_cmp_le_i32_e32 vcc_lo, s41, v0
	v_add_nc_u64_e32 v[36:37], s[36:37], v[36:37]
	s_or_b32 s8, vcc_lo, s8
	s_delay_alu instid0(SALU_CYCLE_1)
	s_and_not1_b32 exec_lo, exec_lo, s8
	s_cbranch_execz .LBB517_31
.LBB517_26:                             ;   Parent Loop BB517_4 Depth=1
                                        ; =>  This Inner Loop Header: Depth=2
	s_and_saveexec_b32 s9, s1
	s_cbranch_execz .LBB517_25
; %bb.27:                               ;   in Loop: Header=BB517_26 Depth=2
	v_add_nc_u64_e32 v[56:57], v[38:39], v[10:11]
	v_add_nc_u64_e32 v[58:59], v[38:39], v[4:5]
	;; [unrolled: 1-line block ×8, first 2 shown]
	s_clause 0x3
	flat_load_u16 v56, v[56:57]
	flat_load_u16 v57, v[58:59]
	;; [unrolled: 1-line block ×4, first 2 shown]
                                        ; kill: killed $vgpr60_vgpr61
                                        ; kill: killed $vgpr62_vgpr63
	flat_load_u16 v60, v[40:41]
	flat_load_u16 v61, v[42:43]
	;; [unrolled: 1-line block ×4, first 2 shown]
	s_wait_xcnt 0x0
	s_and_saveexec_b32 s44, s3
	s_cbranch_execz .LBB517_24
; %bb.28:                               ;   in Loop: Header=BB517_26 Depth=2
	flat_load_u16 v64, v[40:41] offset:128
	flat_load_u16 v65, v[42:43] offset:128
	;; [unrolled: 1-line block ×4, first 2 shown]
	s_wait_loadcnt_dscnt 0xb0b
	v_cvt_f32_f16_e32 v68, v56
	s_wait_loadcnt_dscnt 0xa0a
	v_cvt_f32_f16_e32 v69, v57
	;; [unrolled: 2-line block ×4, first 2 shown]
	s_wait_xcnt 0x0
	s_and_saveexec_b32 s45, s4
	s_cbranch_execz .LBB517_23
; %bb.29:                               ;   in Loop: Header=BB517_26 Depth=2
	flat_load_u16 v72, v[40:41] offset:256
	flat_load_u16 v73, v[42:43] offset:256
	;; [unrolled: 1-line block ×4, first 2 shown]
	s_wait_xcnt 0x0
	s_and_saveexec_b32 s46, s5
	s_cbranch_execz .LBB517_22
; %bb.30:                               ;   in Loop: Header=BB517_26 Depth=2
	flat_load_u16 v40, v[40:41] offset:384
	flat_load_u16 v41, v[42:43] offset:384
	;; [unrolled: 1-line block ×4, first 2 shown]
	s_wait_loadcnt_dscnt 0x303
	v_fma_mix_f32 v40, v68, v40, v55 op_sel_hi:[0,1,0]
	s_wait_loadcnt_dscnt 0x202
	s_delay_alu instid0(VALU_DEP_1) | instskip(SKIP_1) | instid1(VALU_DEP_1)
	v_fma_mix_f32 v40, v69, v41, v40 op_sel_hi:[0,1,0]
	s_wait_loadcnt_dscnt 0x101
	v_fma_mix_f32 v40, v70, v42, v40 op_sel_hi:[0,1,0]
	s_wait_loadcnt_dscnt 0x0
	s_delay_alu instid0(VALU_DEP_1)
	v_fma_mix_f32 v55, v71, v43, v40 op_sel_hi:[0,1,0]
	s_branch .LBB517_22
.LBB517_31:                             ;   in Loop: Header=BB517_4 Depth=1
	s_or_b32 exec_lo, exec_lo, s8
.LBB517_32:                             ;   in Loop: Header=BB517_4 Depth=1
	s_delay_alu instid0(SALU_CYCLE_1) | instskip(NEXT) | instid1(SALU_CYCLE_1)
	s_or_b32 exec_lo, exec_lo, s7
	s_and_not1_b32 vcc_lo, exec_lo, s24
	s_cbranch_vccnz .LBB517_50
; %bb.33:                               ;   in Loop: Header=BB517_4 Depth=1
	v_cmp_gt_i32_e32 vcc_lo, s25, v0
	v_dual_mov_b32 v34, 0 :: v_dual_bitop2_b32 v30, 1, v0 bitop3:0x54
	v_dual_mov_b32 v35, 0 :: v_dual_mov_b32 v36, 0
	v_mov_b32_e32 v37, 0
	s_and_saveexec_b32 s8, vcc_lo
	s_cbranch_execz .LBB517_41
; %bb.34:                               ;   in Loop: Header=BB517_4 Depth=1
	v_mul_u64_e32 v[32:33], s[28:29], v[0:1]
	v_dual_mov_b32 v36, 0 :: v_dual_mov_b32 v35, 0
	v_mov_b32_e32 v34, 0
	s_mov_b32 s9, exec_lo
	s_delay_alu instid0(VALU_DEP_3)
	v_lshl_add_u64 v[32:33], v[32:33], 1, v[28:29]
	flat_load_u16 v37, v[32:33]
	s_wait_xcnt 0x0
	v_cmpx_gt_i32_e64 s25, v30
	s_cbranch_execz .LBB517_40
; %bb.35:                               ;   in Loop: Header=BB517_4 Depth=1
	v_dual_mov_b32 v31, v1 :: v_dual_mov_b32 v35, 0
	v_mov_b32_e32 v34, 0
	s_mov_b32 s44, exec_lo
	s_delay_alu instid0(VALU_DEP_2) | instskip(NEXT) | instid1(VALU_DEP_1)
	v_mul_u64_e32 v[32:33], s[28:29], v[30:31]
	v_lshl_add_u64 v[32:33], v[32:33], 1, v[28:29]
	flat_load_u16 v31, v[32:33]
	s_wait_xcnt 0x0
	v_or_b32_e32 v32, 2, v0
	s_delay_alu instid0(VALU_DEP_1)
	v_cmpx_gt_i32_e64 s25, v32
	s_cbranch_execz .LBB517_39
; %bb.36:                               ;   in Loop: Header=BB517_4 Depth=1
	v_dual_mov_b32 v33, v1 :: v_dual_mov_b32 v34, 0
	s_mov_b32 s45, exec_lo
	s_delay_alu instid0(VALU_DEP_1) | instskip(NEXT) | instid1(VALU_DEP_1)
	v_mul_u64_e32 v[32:33], s[28:29], v[32:33]
	v_lshl_add_u64 v[32:33], v[32:33], 1, v[28:29]
	flat_load_u16 v35, v[32:33]
	s_wait_xcnt 0x0
	v_or_b32_e32 v32, 3, v0
	s_delay_alu instid0(VALU_DEP_1)
	v_cmpx_gt_i32_e64 s25, v32
	s_cbranch_execz .LBB517_38
; %bb.37:                               ;   in Loop: Header=BB517_4 Depth=1
	v_mov_b32_e32 v33, v1
	s_delay_alu instid0(VALU_DEP_1) | instskip(NEXT) | instid1(VALU_DEP_1)
	v_mul_u64_e32 v[32:33], s[28:29], v[32:33]
	v_lshl_add_u64 v[28:29], v[32:33], 1, v[28:29]
	flat_load_u16 v28, v[28:29]
	s_wait_loadcnt_dscnt 0x0
	v_cvt_f32_f16_e32 v34, v28
.LBB517_38:                             ;   in Loop: Header=BB517_4 Depth=1
	s_wait_xcnt 0x0
	s_or_b32 exec_lo, exec_lo, s45
	s_wait_loadcnt_dscnt 0x0
	v_cvt_f32_f16_e32 v35, v35
.LBB517_39:                             ;   in Loop: Header=BB517_4 Depth=1
	s_or_b32 exec_lo, exec_lo, s44
	s_wait_loadcnt_dscnt 0x0
	v_cvt_f32_f16_e32 v36, v31
.LBB517_40:                             ;   in Loop: Header=BB517_4 Depth=1
	s_or_b32 exec_lo, exec_lo, s9
	s_wait_loadcnt_dscnt 0x0
	v_cvt_f32_f16_e32 v37, v37
.LBB517_41:                             ;   in Loop: Header=BB517_4 Depth=1
	s_or_b32 exec_lo, exec_lo, s8
	s_and_saveexec_b32 s44, s1
	s_cbranch_execz .LBB517_49
; %bb.42:                               ;   in Loop: Header=BB517_4 Depth=1
	v_dual_mov_b32 v31, v1 :: v_dual_bitop2_b32 v28, 2, v0 bitop3:0x54
	v_mov_b32_e32 v29, v1
	v_mul_u64_e32 v[32:33], s[30:31], v[0:1]
	v_or_b32_e32 v0, 3, v0
	s_delay_alu instid0(VALU_DEP_4)
	v_mul_u64_e32 v[38:39], s[30:31], v[30:31]
	v_cmp_gt_i32_e64 s7, s25, v30
	v_mul_u64_e32 v[40:41], s[30:31], v[28:29]
	v_cmp_gt_i32_e64 s8, s25, v28
	;; [unrolled: 2-line block ×3, first 2 shown]
	v_dual_cndmask_b32 v29, 0, v33 :: v_dual_cndmask_b32 v28, 0, v32
	v_dual_cndmask_b32 v31, 0, v39, s7 :: v_dual_cndmask_b32 v30, 0, v38, s7
	v_dual_cndmask_b32 v33, 0, v41, s8 :: v_dual_cndmask_b32 v32, 0, v40, s8
	s_delay_alu instid0(VALU_DEP_4) | instskip(NEXT) | instid1(VALU_DEP_4)
	v_dual_cndmask_b32 v39, 0, v43, s9 :: v_dual_cndmask_b32 v38, 0, v42, s9
	v_lshl_add_u64 v[28:29], v[28:29], 1, v[26:27]
	s_delay_alu instid0(VALU_DEP_4) | instskip(NEXT) | instid1(VALU_DEP_4)
	v_lshl_add_u64 v[30:31], v[30:31], 1, v[26:27]
	v_lshl_add_u64 v[32:33], v[32:33], 1, v[26:27]
	s_delay_alu instid0(VALU_DEP_4) | instskip(NEXT) | instid1(VALU_DEP_4)
	v_lshl_add_u64 v[38:39], v[38:39], 1, v[26:27]
	v_add_nc_u64_e32 v[28:29], v[28:29], v[14:15]
	s_delay_alu instid0(VALU_DEP_4) | instskip(NEXT) | instid1(VALU_DEP_4)
	v_add_nc_u64_e32 v[26:27], v[30:31], v[14:15]
	v_add_nc_u64_e32 v[32:33], v[32:33], v[14:15]
	s_delay_alu instid0(VALU_DEP_4)
	v_add_nc_u64_e32 v[30:31], v[38:39], v[14:15]
	s_clause 0x3
	flat_load_u16 v0, v[28:29]
	flat_load_u16 v38, v[26:27]
	flat_load_u16 v39, v[32:33]
	flat_load_u16 v40, v[30:31]
	s_wait_xcnt 0x0
	s_and_saveexec_b32 s7, s3
	s_cbranch_execz .LBB517_48
; %bb.43:                               ;   in Loop: Header=BB517_4 Depth=1
	s_clause 0x3
	flat_load_u16 v41, v[28:29] offset:128
	flat_load_u16 v42, v[26:27] offset:128
	flat_load_u16 v43, v[32:33] offset:128
	flat_load_u16 v44, v[30:31] offset:128
	s_wait_xcnt 0x0
	s_and_saveexec_b32 s8, s4
	s_cbranch_execz .LBB517_47
; %bb.44:                               ;   in Loop: Header=BB517_4 Depth=1
	s_clause 0x3
	flat_load_u16 v45, v[28:29] offset:256
	flat_load_u16 v46, v[26:27] offset:256
	flat_load_u16 v47, v[32:33] offset:256
	flat_load_u16 v56, v[30:31] offset:256
	;; [unrolled: 9-line block ×3, first 2 shown]
	s_wait_loadcnt_dscnt 0x303
	s_wait_xcnt 0x2
	v_fma_mix_f32 v26, v37, v57, v55 op_sel_hi:[0,1,0]
	s_wait_loadcnt_dscnt 0x202
	s_delay_alu instid0(VALU_DEP_1) | instskip(SKIP_1) | instid1(VALU_DEP_1)
	v_fma_mix_f32 v26, v36, v58, v26 op_sel_hi:[0,1,0]
	s_wait_loadcnt_dscnt 0x101
	v_fma_mix_f32 v26, v35, v59, v26 op_sel_hi:[0,1,0]
	s_wait_loadcnt_dscnt 0x0
	s_delay_alu instid0(VALU_DEP_1)
	v_fma_mix_f32 v55, v34, v60, v26 op_sel_hi:[0,1,0]
.LBB517_46:                             ;   in Loop: Header=BB517_4 Depth=1
	s_wait_xcnt 0x0
	s_or_b32 exec_lo, exec_lo, s9
	s_wait_loadcnt_dscnt 0x303
	v_fma_mix_f32 v26, v37, v45, v54 op_sel_hi:[0,1,0]
	s_wait_loadcnt_dscnt 0x202
	s_delay_alu instid0(VALU_DEP_1) | instskip(SKIP_1) | instid1(VALU_DEP_1)
	v_fma_mix_f32 v26, v36, v46, v26 op_sel_hi:[0,1,0]
	s_wait_loadcnt_dscnt 0x101
	v_fma_mix_f32 v26, v35, v47, v26 op_sel_hi:[0,1,0]
	s_wait_loadcnt_dscnt 0x0
	s_delay_alu instid0(VALU_DEP_1)
	v_fma_mix_f32 v54, v34, v56, v26 op_sel_hi:[0,1,0]
.LBB517_47:                             ;   in Loop: Header=BB517_4 Depth=1
	s_or_b32 exec_lo, exec_lo, s8
	s_wait_loadcnt_dscnt 0x303
	v_fma_mix_f32 v26, v37, v41, v53 op_sel_hi:[0,1,0]
	s_wait_loadcnt_dscnt 0x202
	s_delay_alu instid0(VALU_DEP_1) | instskip(SKIP_1) | instid1(VALU_DEP_1)
	v_fma_mix_f32 v26, v36, v42, v26 op_sel_hi:[0,1,0]
	s_wait_loadcnt_dscnt 0x101
	v_fma_mix_f32 v26, v35, v43, v26 op_sel_hi:[0,1,0]
	s_wait_loadcnt_dscnt 0x0
	s_delay_alu instid0(VALU_DEP_1)
	v_fma_mix_f32 v53, v34, v44, v26 op_sel_hi:[0,1,0]
.LBB517_48:                             ;   in Loop: Header=BB517_4 Depth=1
	s_or_b32 exec_lo, exec_lo, s7
	s_wait_loadcnt_dscnt 0x303
	v_fma_mix_f32 v0, v37, v0, v52 op_sel_hi:[0,1,0]
	s_wait_loadcnt_dscnt 0x202
	s_delay_alu instid0(VALU_DEP_1) | instskip(SKIP_1) | instid1(VALU_DEP_1)
	v_fma_mix_f32 v0, v36, v38, v0 op_sel_hi:[0,1,0]
	s_wait_loadcnt_dscnt 0x101
	v_fma_mix_f32 v0, v35, v39, v0 op_sel_hi:[0,1,0]
	s_wait_loadcnt_dscnt 0x0
	s_delay_alu instid0(VALU_DEP_1)
	v_fma_mix_f32 v52, v34, v40, v0 op_sel_hi:[0,1,0]
.LBB517_49:                             ;   in Loop: Header=BB517_4 Depth=1
	s_or_b32 exec_lo, exec_lo, s44
.LBB517_50:                             ;   in Loop: Header=BB517_4 Depth=1
	ds_store_2addr_stride64_b32 v50, v52, v53 offset1:1
	ds_store_2addr_stride64_b32 v50, v54, v55 offset0:2 offset1:3
	s_wait_dscnt 0x0
	s_barrier_signal -1
	s_barrier_wait -1
                                        ; implicit-def: $vgpr0
	s_and_saveexec_b32 s7, s0
	s_cbranch_execz .LBB517_56
; %bb.51:                               ;   in Loop: Header=BB517_4 Depth=1
	ds_load_2addr_stride64_b32 v[26:27], v51 offset1:4
	ds_load_2addr_stride64_b32 v[28:29], v51 offset0:8 offset1:12
	ds_load_2addr_stride64_b32 v[30:31], v51 offset0:16 offset1:20
	s_mov_b32 s9, s43
	s_wait_dscnt 0x2
	v_add_f32_e32 v0, v26, v27
	ds_load_2addr_stride64_b32 v[26:27], v51 offset0:24 offset1:28
	s_wait_dscnt 0x2
	v_add_f32_e32 v0, v28, v0
	s_delay_alu instid0(VALU_DEP_1) | instskip(SKIP_3) | instid1(VALU_DEP_1)
	v_add_f32_e32 v0, v29, v0
	ds_load_2addr_stride64_b32 v[28:29], v51 offset0:32 offset1:36
	s_wait_dscnt 0x2
	v_add_f32_e32 v0, v30, v0
	v_add_f32_e32 v0, v31, v0
	ds_load_2addr_stride64_b32 v[30:31], v51 offset0:40 offset1:44
	s_wait_dscnt 0x2
	v_add_f32_e32 v0, v26, v0
	s_delay_alu instid0(VALU_DEP_1) | instskip(SKIP_3) | instid1(VALU_DEP_1)
	v_add_f32_e32 v0, v27, v0
	ds_load_2addr_stride64_b32 v[26:27], v51 offset0:48 offset1:52
	s_wait_dscnt 0x2
	v_add_f32_e32 v0, v28, v0
	v_add_f32_e32 v0, v29, v0
	ds_load_2addr_stride64_b32 v[28:29], v51 offset0:56 offset1:60
	s_wait_dscnt 0x2
	v_add_f32_e32 v0, v30, v0
	s_delay_alu instid0(VALU_DEP_1) | instskip(SKIP_1) | instid1(VALU_DEP_1)
	v_add_f32_e32 v0, v31, v0
	s_wait_dscnt 0x1
	v_add_f32_e32 v0, v26, v0
	s_delay_alu instid0(VALU_DEP_1) | instskip(SKIP_1) | instid1(VALU_DEP_1)
	v_add_f32_e32 v0, v27, v0
	s_wait_dscnt 0x0
	v_add_f32_e32 v0, v28, v0
	s_delay_alu instid0(VALU_DEP_1)
	v_add_f32_e32 v26, v29, v0
                                        ; implicit-def: $vgpr0
	ds_store_b32 v51, v26
	s_and_saveexec_b32 s8, s2
	s_cbranch_execz .LBB517_55
; %bb.52:                               ;   in Loop: Header=BB517_4 Depth=1
	v_mul_f32_e32 v0, s26, v26
	s_and_not1_b32 vcc_lo, exec_lo, s40
	s_cbranch_vccnz .LBB517_54
; %bb.53:                               ;   in Loop: Header=BB517_4 Depth=1
	v_lshl_add_u64 v[26:27], v[8:9], 2, v[24:25]
	flat_load_b32 v26, v[26:27]
	s_wait_loadcnt_dscnt 0x0
	v_fmac_f32_e32 v0, s33, v26
.LBB517_54:                             ;   in Loop: Header=BB517_4 Depth=1
	s_or_b32 s9, s43, exec_lo
.LBB517_55:                             ;   in Loop: Header=BB517_4 Depth=1
	s_wait_xcnt 0x0
	s_or_b32 exec_lo, exec_lo, s8
	s_delay_alu instid0(SALU_CYCLE_1) | instskip(SKIP_1) | instid1(SALU_CYCLE_1)
	s_and_not1_b32 s8, s43, exec_lo
	s_and_b32 s9, s9, exec_lo
	s_or_b32 s43, s8, s9
.LBB517_56:                             ;   in Loop: Header=BB517_4 Depth=1
	s_or_b32 exec_lo, exec_lo, s7
	v_mov_b64_e32 v[26:27], v[8:9]
	s_and_saveexec_b32 s7, s43
	s_cbranch_execz .LBB517_2
.LBB517_57:                             ;   in Loop: Header=BB517_4 Depth=1
	s_delay_alu instid0(VALU_DEP_1)
	v_lshl_add_u64 v[24:25], v[26:27], 2, v[24:25]
	flat_store_b32 v[24:25], v0
	s_branch .LBB517_2
.LBB517_58:
	s_sendmsg sendmsg(MSG_DEALLOC_VGPRS)
	s_endpgm
	.section	.rodata,"a",@progbits
	.p2align	6, 0x0
	.amdhsa_kernel _ZL20rocblas_gemvn_kernelILi64ELi16ElPKDF16_fKPfEviiT3_lPKT2_lT1_lS7_lS8_lS4_lPT4_lS8_li
		.amdhsa_group_segment_fixed_size 16384
		.amdhsa_private_segment_fixed_size 0
		.amdhsa_kernarg_size 400
		.amdhsa_user_sgpr_count 2
		.amdhsa_user_sgpr_dispatch_ptr 0
		.amdhsa_user_sgpr_queue_ptr 0
		.amdhsa_user_sgpr_kernarg_segment_ptr 1
		.amdhsa_user_sgpr_dispatch_id 0
		.amdhsa_user_sgpr_kernarg_preload_length 0
		.amdhsa_user_sgpr_kernarg_preload_offset 0
		.amdhsa_user_sgpr_private_segment_size 0
		.amdhsa_wavefront_size32 1
		.amdhsa_uses_dynamic_stack 0
		.amdhsa_enable_private_segment 0
		.amdhsa_system_sgpr_workgroup_id_x 1
		.amdhsa_system_sgpr_workgroup_id_y 0
		.amdhsa_system_sgpr_workgroup_id_z 1
		.amdhsa_system_sgpr_workgroup_info 0
		.amdhsa_system_vgpr_workitem_id 1
		.amdhsa_next_free_vgpr 76
		.amdhsa_next_free_sgpr 47
		.amdhsa_named_barrier_count 0
		.amdhsa_reserve_vcc 1
		.amdhsa_float_round_mode_32 0
		.amdhsa_float_round_mode_16_64 0
		.amdhsa_float_denorm_mode_32 3
		.amdhsa_float_denorm_mode_16_64 3
		.amdhsa_fp16_overflow 0
		.amdhsa_memory_ordered 1
		.amdhsa_forward_progress 1
		.amdhsa_inst_pref_size 24
		.amdhsa_round_robin_scheduling 0
		.amdhsa_exception_fp_ieee_invalid_op 0
		.amdhsa_exception_fp_denorm_src 0
		.amdhsa_exception_fp_ieee_div_zero 0
		.amdhsa_exception_fp_ieee_overflow 0
		.amdhsa_exception_fp_ieee_underflow 0
		.amdhsa_exception_fp_ieee_inexact 0
		.amdhsa_exception_int_div_zero 0
	.end_amdhsa_kernel
	.section	.text._ZL20rocblas_gemvn_kernelILi64ELi16ElPKDF16_fKPfEviiT3_lPKT2_lT1_lS7_lS8_lS4_lPT4_lS8_li,"axG",@progbits,_ZL20rocblas_gemvn_kernelILi64ELi16ElPKDF16_fKPfEviiT3_lPKT2_lT1_lS7_lS8_lS4_lPT4_lS8_li,comdat
.Lfunc_end517:
	.size	_ZL20rocblas_gemvn_kernelILi64ELi16ElPKDF16_fKPfEviiT3_lPKT2_lT1_lS7_lS8_lS4_lPT4_lS8_li, .Lfunc_end517-_ZL20rocblas_gemvn_kernelILi64ELi16ElPKDF16_fKPfEviiT3_lPKT2_lT1_lS7_lS8_lS4_lPT4_lS8_li
                                        ; -- End function
	.set _ZL20rocblas_gemvn_kernelILi64ELi16ElPKDF16_fKPfEviiT3_lPKT2_lT1_lS7_lS8_lS4_lPT4_lS8_li.num_vgpr, 76
	.set _ZL20rocblas_gemvn_kernelILi64ELi16ElPKDF16_fKPfEviiT3_lPKT2_lT1_lS7_lS8_lS4_lPT4_lS8_li.num_agpr, 0
	.set _ZL20rocblas_gemvn_kernelILi64ELi16ElPKDF16_fKPfEviiT3_lPKT2_lT1_lS7_lS8_lS4_lPT4_lS8_li.numbered_sgpr, 47
	.set _ZL20rocblas_gemvn_kernelILi64ELi16ElPKDF16_fKPfEviiT3_lPKT2_lT1_lS7_lS8_lS4_lPT4_lS8_li.num_named_barrier, 0
	.set _ZL20rocblas_gemvn_kernelILi64ELi16ElPKDF16_fKPfEviiT3_lPKT2_lT1_lS7_lS8_lS4_lPT4_lS8_li.private_seg_size, 0
	.set _ZL20rocblas_gemvn_kernelILi64ELi16ElPKDF16_fKPfEviiT3_lPKT2_lT1_lS7_lS8_lS4_lPT4_lS8_li.uses_vcc, 1
	.set _ZL20rocblas_gemvn_kernelILi64ELi16ElPKDF16_fKPfEviiT3_lPKT2_lT1_lS7_lS8_lS4_lPT4_lS8_li.uses_flat_scratch, 1
	.set _ZL20rocblas_gemvn_kernelILi64ELi16ElPKDF16_fKPfEviiT3_lPKT2_lT1_lS7_lS8_lS4_lPT4_lS8_li.has_dyn_sized_stack, 0
	.set _ZL20rocblas_gemvn_kernelILi64ELi16ElPKDF16_fKPfEviiT3_lPKT2_lT1_lS7_lS8_lS4_lPT4_lS8_li.has_recursion, 0
	.set _ZL20rocblas_gemvn_kernelILi64ELi16ElPKDF16_fKPfEviiT3_lPKT2_lT1_lS7_lS8_lS4_lPT4_lS8_li.has_indirect_call, 0
	.section	.AMDGPU.csdata,"",@progbits
; Kernel info:
; codeLenInByte = 3052
; TotalNumSgprs: 49
; NumVgprs: 76
; ScratchSize: 0
; MemoryBound: 0
; FloatMode: 240
; IeeeMode: 1
; LDSByteSize: 16384 bytes/workgroup (compile time only)
; SGPRBlocks: 0
; VGPRBlocks: 4
; NumSGPRsForWavesPerEU: 49
; NumVGPRsForWavesPerEU: 76
; NamedBarCnt: 0
; Occupancy: 12
; WaveLimiterHint : 1
; COMPUTE_PGM_RSRC2:SCRATCH_EN: 0
; COMPUTE_PGM_RSRC2:USER_SGPR: 2
; COMPUTE_PGM_RSRC2:TRAP_HANDLER: 0
; COMPUTE_PGM_RSRC2:TGID_X_EN: 1
; COMPUTE_PGM_RSRC2:TGID_Y_EN: 0
; COMPUTE_PGM_RSRC2:TGID_Z_EN: 1
; COMPUTE_PGM_RSRC2:TIDIG_COMP_CNT: 1
	.section	.text._ZL22rocblas_gemvtsm_kernelILb0ELi256EPKDF16_PKfKPfEviiT2_lPKT1_lilS9_lilS6_lPT3_lil,"axG",@progbits,_ZL22rocblas_gemvtsm_kernelILb0ELi256EPKDF16_PKfKPfEviiT2_lPKT1_lilS9_lilS6_lPT3_lil,comdat
	.globl	_ZL22rocblas_gemvtsm_kernelILb0ELi256EPKDF16_PKfKPfEviiT2_lPKT1_lilS9_lilS6_lPT3_lil ; -- Begin function _ZL22rocblas_gemvtsm_kernelILb0ELi256EPKDF16_PKfKPfEviiT2_lPKT1_lilS9_lilS6_lPT3_lil
	.p2align	8
	.type	_ZL22rocblas_gemvtsm_kernelILb0ELi256EPKDF16_PKfKPfEviiT2_lPKT1_lilS9_lilS6_lPT3_lil,@function
_ZL22rocblas_gemvtsm_kernelILb0ELi256EPKDF16_PKfKPfEviiT2_lPKT1_lilS9_lilS6_lPT3_lil: ; @_ZL22rocblas_gemvtsm_kernelILb0ELi256EPKDF16_PKfKPfEviiT2_lPKT1_lilS9_lilS6_lPT3_lil
; %bb.0:
	s_clause 0x1
	s_load_b256 s[12:19], s[0:1], 0x8
	s_load_b256 s[4:11], s[0:1], 0x58
	s_bfe_u32 s2, ttmp6, 0x4000c
	s_and_b32 s3, ttmp6, 15
	s_add_co_i32 s2, s2, 1
	s_getreg_b32 s20, hwreg(HW_REG_IB_STS2, 6, 4)
	s_mul_i32 s2, ttmp9, s2
	s_delay_alu instid0(SALU_CYCLE_1)
	s_add_co_i32 s2, s3, s2
	s_cmp_eq_u32 s20, 0
	s_mov_b32 s3, 0
	s_cselect_b32 s2, ttmp9, s2
	s_wait_kmcnt 0x0
	s_mul_u64 s[14:15], s[14:15], s[2:3]
	s_mul_u64 s[6:7], s[6:7], s[2:3]
	s_lshl_b64 s[14:15], s[14:15], 2
	s_lshl_b64 s[6:7], s[6:7], 2
	s_add_nc_u64 s[12:13], s[12:13], s[14:15]
	s_add_nc_u64 s[4:5], s[4:5], s[6:7]
	s_load_b32 s21, s[12:13], 0x0
	s_load_b32 s20, s[4:5], 0x0
	s_wait_kmcnt 0x0
	s_cmp_eq_f32 s21, 0
	s_cselect_b32 s4, -1, 0
	s_cmp_eq_f32 s20, 1.0
	s_cselect_b32 s5, -1, 0
	s_delay_alu instid0(SALU_CYCLE_1) | instskip(NEXT) | instid1(SALU_CYCLE_1)
	s_and_b32 s4, s4, s5
	s_and_b32 vcc_lo, exec_lo, s4
	s_cbranch_vccnz .LBB518_38
; %bb.1:
	s_cmp_neq_f32 s21, 0
	s_mov_b64 s[12:13], 0
	s_mov_b64 s[6:7], 0
	s_cselect_b32 s4, -1, 0
	s_cmp_eq_f32 s21, 0
	s_cselect_b32 s5, -1, 0
	s_delay_alu instid0(SALU_CYCLE_1)
	s_and_b32 vcc_lo, exec_lo, s5
	s_cbranch_vccnz .LBB518_3
; %bb.2:
	s_lshl_b64 s[6:7], s[2:3], 3
	s_lshl_b64 s[14:15], s[18:19], 1
	s_add_nc_u64 s[6:7], s[16:17], s[6:7]
	s_load_b64 s[6:7], s[6:7], 0x0
	s_wait_kmcnt 0x0
	s_add_nc_u64 s[6:7], s[6:7], s[14:15]
.LBB518_3:
	s_and_not1_b32 vcc_lo, exec_lo, s4
	s_cbranch_vccnz .LBB518_5
; %bb.4:
	s_load_b128 s[12:15], s[0:1], 0x38
	s_lshl_b64 s[16:17], s[2:3], 3
	s_wait_kmcnt 0x0
	s_add_nc_u64 s[12:13], s[12:13], s[16:17]
	s_lshl_b64 s[14:15], s[14:15], 1
	s_load_b64 s[12:13], s[12:13], 0x0
	s_wait_kmcnt 0x0
	s_add_nc_u64 s[12:13], s[12:13], s[14:15]
.LBB518_5:
	s_lshl_b64 s[2:3], s[2:3], 3
	s_and_not1_b32 vcc_lo, exec_lo, s5
	s_add_nc_u64 s[14:15], s[8:9], s[2:3]
	s_clause 0x1
	s_load_b64 s[2:3], s[0:1], 0x0
	s_load_b32 s4, s[0:1], 0x78
	s_load_b64 s[8:9], s[14:15], 0x0
	s_mov_b32 s5, -1
	s_cbranch_vccnz .LBB518_20
; %bb.6:
	s_wait_kmcnt 0x0
	s_cmp_gt_i32 s3, 0
	s_cselect_b32 s16, -1, 0
	s_cmp_neq_f32 s20, 0
	v_cndmask_b32_e64 v1, 0, 1, s16
	s_delay_alu instid0(VALU_DEP_1)
	v_cmp_ne_u32_e32 vcc_lo, 1, v1
	s_cbranch_scc1 .LBB518_13
; %bb.7:
	s_and_b32 vcc_lo, exec_lo, vcc_lo
	s_cbranch_vccnz .LBB518_12
; %bb.8:
	v_mov_b32_e32 v1, 0
	s_ashr_i32 s5, s4, 31
	s_lshl_b64 s[14:15], s[10:11], 2
	s_delay_alu instid0(SALU_CYCLE_1) | instskip(NEXT) | instid1(VALU_DEP_1)
	s_add_nc_u64 s[14:15], s[8:9], s[14:15]
	v_mul_u64_e32 v[2:3], s[4:5], v[0:1]
	s_delay_alu instid0(VALU_DEP_1)
	v_lshl_add_u64 v[2:3], v[2:3], 2, s[14:15]
	s_lshl_b64 s[14:15], s[4:5], 10
	s_mov_b32 s5, 0
	s_branch .LBB518_10
.LBB518_9:                              ;   in Loop: Header=BB518_10 Depth=1
	s_wait_xcnt 0x0
	s_or_b32 exec_lo, exec_lo, s17
	v_add_nc_u64_e32 v[2:3], s[14:15], v[2:3]
	s_addk_co_i32 s5, 0x100
	s_delay_alu instid0(SALU_CYCLE_1)
	s_cmp_ge_i32 s5, s3
	s_cbranch_scc1 .LBB518_12
.LBB518_10:                             ; =>This Inner Loop Header: Depth=1
	v_add_nc_u32_e32 v4, s5, v0
	s_mov_b32 s17, exec_lo
	s_delay_alu instid0(VALU_DEP_1)
	v_cmpx_gt_i32_e64 s3, v4
	s_cbranch_execz .LBB518_9
; %bb.11:                               ;   in Loop: Header=BB518_10 Depth=1
	flat_store_b32 v[2:3], v1
	s_branch .LBB518_9
.LBB518_12:
	s_mov_b32 s5, 0
.LBB518_13:
	s_delay_alu instid0(SALU_CYCLE_1)
	s_and_not1_b32 vcc_lo, exec_lo, s5
	s_cbranch_vccnz .LBB518_19
; %bb.14:
	s_and_not1_b32 vcc_lo, exec_lo, s16
	s_cbranch_vccnz .LBB518_19
; %bb.15:
	v_mov_b32_e32 v1, 0
	s_ashr_i32 s5, s4, 31
	s_lshl_b64 s[14:15], s[10:11], 2
	s_delay_alu instid0(SALU_CYCLE_1) | instskip(NEXT) | instid1(VALU_DEP_1)
	s_add_nc_u64 s[14:15], s[8:9], s[14:15]
	v_mul_u64_e32 v[2:3], s[4:5], v[0:1]
	s_delay_alu instid0(VALU_DEP_1)
	v_lshl_add_u64 v[2:3], v[2:3], 2, s[14:15]
	s_lshl_b64 s[14:15], s[4:5], 10
	s_mov_b32 s5, 0
	s_branch .LBB518_17
.LBB518_16:                             ;   in Loop: Header=BB518_17 Depth=1
	s_wait_xcnt 0x0
	s_or_b32 exec_lo, exec_lo, s16
	v_add_nc_u64_e32 v[2:3], s[14:15], v[2:3]
	s_addk_co_i32 s5, 0x100
	s_delay_alu instid0(SALU_CYCLE_1)
	s_cmp_ge_i32 s5, s3
	s_cbranch_scc1 .LBB518_19
.LBB518_17:                             ; =>This Inner Loop Header: Depth=1
	v_add_nc_u32_e32 v1, s5, v0
	s_mov_b32 s16, exec_lo
	s_delay_alu instid0(VALU_DEP_1)
	v_cmpx_gt_i32_e64 s3, v1
	s_cbranch_execz .LBB518_16
; %bb.18:                               ;   in Loop: Header=BB518_17 Depth=1
	flat_load_b32 v1, v[2:3]
	s_wait_loadcnt_dscnt 0x0
	v_mul_f32_e32 v1, s20, v1
	flat_store_b32 v[2:3], v1
	s_branch .LBB518_16
.LBB518_19:
	s_mov_b32 s5, 0
.LBB518_20:
	s_delay_alu instid0(SALU_CYCLE_1)
	s_and_not1_b32 vcc_lo, exec_lo, s5
	s_cbranch_vccnz .LBB518_38
; %bb.21:
	s_mov_b32 s5, exec_lo
	s_wait_kmcnt 0x0
	v_cmpx_gt_i32_e64 s2, v0
	s_cbranch_execz .LBB518_23
; %bb.22:
	s_load_b32 s14, s[0:1], 0x48
	v_mov_b32_e32 v1, 0
	s_wait_kmcnt 0x0
	s_ashr_i32 s15, s14, 31
	s_delay_alu instid0(VALU_DEP_1) | instid1(SALU_CYCLE_1)
	v_mul_u64_e32 v[2:3], s[14:15], v[0:1]
	s_delay_alu instid0(VALU_DEP_1)
	v_lshl_add_u64 v[2:3], v[2:3], 1, s[12:13]
	flat_load_u16 v1, v[2:3]
	s_wait_xcnt 0x0
	v_lshlrev_b32_e32 v2, 2, v0
	s_wait_loadcnt_dscnt 0x0
	v_cvt_f32_f16_e32 v1, v1
	s_delay_alu instid0(VALU_DEP_1)
	v_mul_f32_e32 v1, s21, v1
	ds_store_b32 v2, v1
.LBB518_23:
	s_or_b32 exec_lo, exec_lo, s5
	s_cmp_lt_i32 s3, 1
	s_wait_storecnt_dscnt 0x0
	s_barrier_signal -1
	s_barrier_wait -1
	s_cbranch_scc1 .LBB518_38
; %bb.24:
	s_load_b32 s16, s[0:1], 0x28
	v_mov_b32_e32 v3, 0
	s_wait_xcnt 0x0
	s_lshl_b64 s[0:1], s[10:11], 2
	s_ashr_i32 s5, s4, 31
	s_add_nc_u64 s[0:1], s[8:9], s[0:1]
	s_mov_b32 s15, 0
	v_mov_b32_e32 v1, v3
	s_wait_kmcnt 0x0
	s_ashr_i32 s17, s16, 31
	s_cmp_neq_f32 s20, 0
	s_delay_alu instid0(VALU_DEP_1)
	v_mul_u64_e32 v[4:5], s[16:17], v[0:1]
	s_cselect_b32 s10, -1, 0
	s_cmp_gt_i32 s2, 0
	s_cselect_b32 s11, -1, 0
	s_and_b32 s12, s2, 7
	s_cmp_gt_u32 s2, 7
	s_cselect_b32 s13, -1, 0
	s_and_b32 s2, s2, 0x7ffffff8
	s_cmp_lg_u32 s12, 0
	s_cselect_b32 s14, -1, 0
	s_lshl_b64 s[8:9], s[16:17], 9
	s_delay_alu instid0(VALU_DEP_1) | instskip(SKIP_1) | instid1(VALU_DEP_1)
	v_lshl_add_u64 v[4:5], v[4:5], 1, s[6:7]
	s_mov_b32 s7, 0
	v_add_nc_u64_e32 v[6:7], 14, v[4:5]
	s_branch .LBB518_27
.LBB518_25:                             ;   in Loop: Header=BB518_27 Depth=1
	flat_store_b32 v[8:9], v1
.LBB518_26:                             ;   in Loop: Header=BB518_27 Depth=1
	s_wait_xcnt 0x0
	s_or_b32 exec_lo, exec_lo, s16
	v_add_nc_u64_e32 v[6:7], s[8:9], v[6:7]
	v_add_nc_u64_e32 v[4:5], s[8:9], v[4:5]
	s_addk_co_i32 s15, 0x100
	s_delay_alu instid0(SALU_CYCLE_1)
	s_cmp_ge_i32 s15, s3
	s_cbranch_scc1 .LBB518_38
.LBB518_27:                             ; =>This Loop Header: Depth=1
                                        ;     Child Loop BB518_33 Depth 2
                                        ;     Child Loop BB518_37 Depth 2
	v_add_nc_u32_e32 v2, s15, v0
	s_mov_b32 s16, exec_lo
	s_delay_alu instid0(VALU_DEP_1)
	v_cmpx_gt_i32_e64 s3, v2
	s_cbranch_execz .LBB518_26
; %bb.28:                               ;   in Loop: Header=BB518_27 Depth=1
	v_mul_u64_e32 v[8:9], s[4:5], v[2:3]
	s_and_not1_b32 vcc_lo, exec_lo, s10
	s_delay_alu instid0(VALU_DEP_1)
	v_lshl_add_u64 v[8:9], v[8:9], 2, s[0:1]
	s_cbranch_vccnz .LBB518_30
; %bb.29:                               ;   in Loop: Header=BB518_27 Depth=1
	flat_load_b32 v1, v[8:9]
	s_wait_loadcnt_dscnt 0x0
	v_mul_f32_e32 v1, s20, v1
	s_and_not1_b32 vcc_lo, exec_lo, s11
	s_cbranch_vccz .LBB518_31
	s_branch .LBB518_25
.LBB518_30:                             ;   in Loop: Header=BB518_27 Depth=1
	v_mov_b32_e32 v1, 0
	s_and_not1_b32 vcc_lo, exec_lo, s11
	s_cbranch_vccnz .LBB518_25
.LBB518_31:                             ;   in Loop: Header=BB518_27 Depth=1
	s_and_not1_b32 vcc_lo, exec_lo, s13
	s_mov_b32 s17, 0
	s_cbranch_vccnz .LBB518_35
; %bb.32:                               ;   in Loop: Header=BB518_27 Depth=1
	v_mov_b64_e32 v[10:11], v[6:7]
	s_mov_b32 s6, 0
.LBB518_33:                             ;   Parent Loop BB518_27 Depth=1
                                        ; =>  This Inner Loop Header: Depth=2
	flat_load_b128 v[12:15], v[10:11] offset:-14
	v_mov_b32_e32 v2, s6
	s_wait_xcnt 0x0
	v_add_nc_u64_e32 v[10:11], 16, v[10:11]
	s_add_co_i32 s17, s17, 8
	s_add_co_i32 s6, s6, 32
	ds_load_b128 v[16:19], v2
	ds_load_b128 v[20:23], v2 offset:16
	s_cmp_eq_u32 s2, s17
	s_wait_loadcnt_dscnt 0x1
	v_fma_mix_f32 v1, v16, v12, v1 op_sel_hi:[0,1,0]
	s_delay_alu instid0(VALU_DEP_1) | instskip(NEXT) | instid1(VALU_DEP_1)
	v_fma_mix_f32 v1, v17, v12, v1 op_sel:[0,1,0] op_sel_hi:[0,1,0]
	v_fma_mix_f32 v1, v18, v13, v1 op_sel_hi:[0,1,0]
	s_delay_alu instid0(VALU_DEP_1) | instskip(SKIP_1) | instid1(VALU_DEP_1)
	v_fma_mix_f32 v1, v19, v13, v1 op_sel:[0,1,0] op_sel_hi:[0,1,0]
	s_wait_dscnt 0x0
	v_fma_mix_f32 v1, v20, v14, v1 op_sel_hi:[0,1,0]
	s_delay_alu instid0(VALU_DEP_1) | instskip(NEXT) | instid1(VALU_DEP_1)
	v_fma_mix_f32 v1, v21, v14, v1 op_sel:[0,1,0] op_sel_hi:[0,1,0]
	v_fma_mix_f32 v1, v22, v15, v1 op_sel_hi:[0,1,0]
	s_delay_alu instid0(VALU_DEP_1)
	v_fma_mix_f32 v1, v23, v15, v1 op_sel:[0,1,0] op_sel_hi:[0,1,0]
	s_cbranch_scc0 .LBB518_33
; %bb.34:                               ;   in Loop: Header=BB518_27 Depth=1
	s_mov_b32 s17, s2
.LBB518_35:                             ;   in Loop: Header=BB518_27 Depth=1
	s_and_not1_b32 vcc_lo, exec_lo, s14
	s_cbranch_vccnz .LBB518_25
; %bb.36:                               ;   in Loop: Header=BB518_27 Depth=1
	s_lshl_b32 s6, s17, 1
	s_delay_alu instid0(SALU_CYCLE_1)
	v_add_nc_u64_e32 v[10:11], s[6:7], v[4:5]
	s_lshl_b32 s6, s17, 2
	s_mov_b32 s17, s12
.LBB518_37:                             ;   Parent Loop BB518_27 Depth=1
                                        ; =>  This Inner Loop Header: Depth=2
	flat_load_u16 v2, v[10:11]
	v_mov_b32_e32 v12, s6
	s_wait_xcnt 0x0
	v_add_nc_u64_e32 v[10:11], 2, v[10:11]
	s_add_co_i32 s17, s17, -1
	s_add_co_i32 s6, s6, 4
	s_cmp_lg_u32 s17, 0
	ds_load_b32 v12, v12
	s_wait_loadcnt_dscnt 0x0
	v_fma_mix_f32 v1, v12, v2, v1 op_sel_hi:[0,1,0]
	s_cbranch_scc1 .LBB518_37
	s_branch .LBB518_25
.LBB518_38:
	s_endpgm
	.section	.rodata,"a",@progbits
	.p2align	6, 0x0
	.amdhsa_kernel _ZL22rocblas_gemvtsm_kernelILb0ELi256EPKDF16_PKfKPfEviiT2_lPKT1_lilS9_lilS6_lPT3_lil
		.amdhsa_group_segment_fixed_size 256
		.amdhsa_private_segment_fixed_size 0
		.amdhsa_kernarg_size 136
		.amdhsa_user_sgpr_count 2
		.amdhsa_user_sgpr_dispatch_ptr 0
		.amdhsa_user_sgpr_queue_ptr 0
		.amdhsa_user_sgpr_kernarg_segment_ptr 1
		.amdhsa_user_sgpr_dispatch_id 0
		.amdhsa_user_sgpr_kernarg_preload_length 0
		.amdhsa_user_sgpr_kernarg_preload_offset 0
		.amdhsa_user_sgpr_private_segment_size 0
		.amdhsa_wavefront_size32 1
		.amdhsa_uses_dynamic_stack 0
		.amdhsa_enable_private_segment 0
		.amdhsa_system_sgpr_workgroup_id_x 1
		.amdhsa_system_sgpr_workgroup_id_y 0
		.amdhsa_system_sgpr_workgroup_id_z 0
		.amdhsa_system_sgpr_workgroup_info 0
		.amdhsa_system_vgpr_workitem_id 0
		.amdhsa_next_free_vgpr 24
		.amdhsa_next_free_sgpr 22
		.amdhsa_named_barrier_count 0
		.amdhsa_reserve_vcc 1
		.amdhsa_float_round_mode_32 0
		.amdhsa_float_round_mode_16_64 0
		.amdhsa_float_denorm_mode_32 3
		.amdhsa_float_denorm_mode_16_64 3
		.amdhsa_fp16_overflow 0
		.amdhsa_memory_ordered 1
		.amdhsa_forward_progress 1
		.amdhsa_inst_pref_size 11
		.amdhsa_round_robin_scheduling 0
		.amdhsa_exception_fp_ieee_invalid_op 0
		.amdhsa_exception_fp_denorm_src 0
		.amdhsa_exception_fp_ieee_div_zero 0
		.amdhsa_exception_fp_ieee_overflow 0
		.amdhsa_exception_fp_ieee_underflow 0
		.amdhsa_exception_fp_ieee_inexact 0
		.amdhsa_exception_int_div_zero 0
	.end_amdhsa_kernel
	.section	.text._ZL22rocblas_gemvtsm_kernelILb0ELi256EPKDF16_PKfKPfEviiT2_lPKT1_lilS9_lilS6_lPT3_lil,"axG",@progbits,_ZL22rocblas_gemvtsm_kernelILb0ELi256EPKDF16_PKfKPfEviiT2_lPKT1_lilS9_lilS6_lPT3_lil,comdat
.Lfunc_end518:
	.size	_ZL22rocblas_gemvtsm_kernelILb0ELi256EPKDF16_PKfKPfEviiT2_lPKT1_lilS9_lilS6_lPT3_lil, .Lfunc_end518-_ZL22rocblas_gemvtsm_kernelILb0ELi256EPKDF16_PKfKPfEviiT2_lPKT1_lilS9_lilS6_lPT3_lil
                                        ; -- End function
	.set _ZL22rocblas_gemvtsm_kernelILb0ELi256EPKDF16_PKfKPfEviiT2_lPKT1_lilS9_lilS6_lPT3_lil.num_vgpr, 24
	.set _ZL22rocblas_gemvtsm_kernelILb0ELi256EPKDF16_PKfKPfEviiT2_lPKT1_lilS9_lilS6_lPT3_lil.num_agpr, 0
	.set _ZL22rocblas_gemvtsm_kernelILb0ELi256EPKDF16_PKfKPfEviiT2_lPKT1_lilS9_lilS6_lPT3_lil.numbered_sgpr, 22
	.set _ZL22rocblas_gemvtsm_kernelILb0ELi256EPKDF16_PKfKPfEviiT2_lPKT1_lilS9_lilS6_lPT3_lil.num_named_barrier, 0
	.set _ZL22rocblas_gemvtsm_kernelILb0ELi256EPKDF16_PKfKPfEviiT2_lPKT1_lilS9_lilS6_lPT3_lil.private_seg_size, 0
	.set _ZL22rocblas_gemvtsm_kernelILb0ELi256EPKDF16_PKfKPfEviiT2_lPKT1_lilS9_lilS6_lPT3_lil.uses_vcc, 1
	.set _ZL22rocblas_gemvtsm_kernelILb0ELi256EPKDF16_PKfKPfEviiT2_lPKT1_lilS9_lilS6_lPT3_lil.uses_flat_scratch, 0
	.set _ZL22rocblas_gemvtsm_kernelILb0ELi256EPKDF16_PKfKPfEviiT2_lPKT1_lilS9_lilS6_lPT3_lil.has_dyn_sized_stack, 0
	.set _ZL22rocblas_gemvtsm_kernelILb0ELi256EPKDF16_PKfKPfEviiT2_lPKT1_lilS9_lilS6_lPT3_lil.has_recursion, 0
	.set _ZL22rocblas_gemvtsm_kernelILb0ELi256EPKDF16_PKfKPfEviiT2_lPKT1_lilS9_lilS6_lPT3_lil.has_indirect_call, 0
	.section	.AMDGPU.csdata,"",@progbits
; Kernel info:
; codeLenInByte = 1292
; TotalNumSgprs: 24
; NumVgprs: 24
; ScratchSize: 0
; MemoryBound: 0
; FloatMode: 240
; IeeeMode: 1
; LDSByteSize: 256 bytes/workgroup (compile time only)
; SGPRBlocks: 0
; VGPRBlocks: 1
; NumSGPRsForWavesPerEU: 24
; NumVGPRsForWavesPerEU: 24
; NamedBarCnt: 0
; Occupancy: 16
; WaveLimiterHint : 1
; COMPUTE_PGM_RSRC2:SCRATCH_EN: 0
; COMPUTE_PGM_RSRC2:USER_SGPR: 2
; COMPUTE_PGM_RSRC2:TRAP_HANDLER: 0
; COMPUTE_PGM_RSRC2:TGID_X_EN: 1
; COMPUTE_PGM_RSRC2:TGID_Y_EN: 0
; COMPUTE_PGM_RSRC2:TGID_Z_EN: 0
; COMPUTE_PGM_RSRC2:TIDIG_COMP_CNT: 0
	.section	.text._ZL22rocblas_gemvtsm_kernelILb0ELi256EPKDF16_fKPfEviiT2_lPKT1_lilS7_lilS4_lPT3_lil,"axG",@progbits,_ZL22rocblas_gemvtsm_kernelILb0ELi256EPKDF16_fKPfEviiT2_lPKT1_lilS7_lilS4_lPT3_lil,comdat
	.globl	_ZL22rocblas_gemvtsm_kernelILb0ELi256EPKDF16_fKPfEviiT2_lPKT1_lilS7_lilS4_lPT3_lil ; -- Begin function _ZL22rocblas_gemvtsm_kernelILb0ELi256EPKDF16_fKPfEviiT2_lPKT1_lilS7_lilS4_lPT3_lil
	.p2align	8
	.type	_ZL22rocblas_gemvtsm_kernelILb0ELi256EPKDF16_fKPfEviiT2_lPKT1_lilS7_lilS4_lPT3_lil,@function
_ZL22rocblas_gemvtsm_kernelILb0ELi256EPKDF16_fKPfEviiT2_lPKT1_lilS7_lilS4_lPT3_lil: ; @_ZL22rocblas_gemvtsm_kernelILb0ELi256EPKDF16_fKPfEviiT2_lPKT1_lilS7_lilS4_lPT3_lil
; %bb.0:
	s_clause 0x1
	s_load_b96 s[8:10], s[0:1], 0x0
	s_load_b32 s11, s[0:1], 0x58
	s_mov_b32 s5, 0
	s_wait_kmcnt 0x0
	s_cmp_eq_f32 s10, 0
	s_cselect_b32 s2, -1, 0
	s_cmp_eq_f32 s11, 1.0
	s_cselect_b32 s3, -1, 0
	s_delay_alu instid0(SALU_CYCLE_1) | instskip(NEXT) | instid1(SALU_CYCLE_1)
	s_and_b32 s2, s2, s3
	s_and_b32 vcc_lo, exec_lo, s2
	s_cbranch_vccnz .LBB519_40
; %bb.1:
	s_bfe_u32 s2, ttmp6, 0x4000c
	s_and_b32 s3, ttmp6, 15
	s_add_co_i32 s2, s2, 1
	s_getreg_b32 s4, hwreg(HW_REG_IB_STS2, 6, 4)
	s_mul_i32 s2, ttmp9, s2
	s_delay_alu instid0(SALU_CYCLE_1)
	s_add_co_i32 s3, s3, s2
	s_cmp_eq_u32 s4, 0
	s_cselect_b32 s4, ttmp9, s3
	s_cmp_neq_f32 s10, 0
	s_cselect_b32 s6, -1, 0
	s_cmp_eq_f32 s10, 0
	s_cselect_b32 s16, -1, 0
	s_and_b32 vcc_lo, exec_lo, s6
	s_cbranch_vccnz .LBB519_3
; %bb.2:
	s_mov_b32 s3, 0
	s_mov_b32 s2, s4
	;; [unrolled: 1-line block ×3, first 2 shown]
	s_mov_b64 s[14:15], 0
	s_and_not1_b32 vcc_lo, exec_lo, s7
	s_mov_b64 s[12:13], 0
	s_cbranch_vccz .LBB519_4
	s_branch .LBB519_5
.LBB519_3:
	s_mov_b64 s[2:3], s[4:5]
	s_mov_b64 s[14:15], 0
	;; [unrolled: 1-line block ×3, first 2 shown]
.LBB519_4:
	s_load_b128 s[20:23], s[0:1], 0x18
	s_lshl_b64 s[4:5], s[4:5], 3
	s_wait_kmcnt 0x0
	s_add_nc_u64 s[4:5], s[20:21], s[4:5]
	s_lshl_b64 s[12:13], s[22:23], 1
	s_load_b64 s[4:5], s[4:5], 0x0
	s_wait_kmcnt 0x0
	s_add_nc_u64 s[12:13], s[4:5], s[12:13]
.LBB519_5:
	s_and_not1_b32 vcc_lo, exec_lo, s6
	s_cbranch_vccnz .LBB519_7
; %bb.6:
	s_load_b128 s[4:7], s[0:1], 0x38
	s_lshl_b64 s[14:15], s[2:3], 3
	s_wait_kmcnt 0x0
	s_add_nc_u64 s[4:5], s[4:5], s[14:15]
	s_lshl_b64 s[6:7], s[6:7], 1
	s_load_b64 s[4:5], s[4:5], 0x0
	s_wait_kmcnt 0x0
	s_add_nc_u64 s[14:15], s[4:5], s[6:7]
.LBB519_7:
	s_load_b128 s[4:7], s[0:1], 0x68
	s_lshl_b64 s[18:19], s[2:3], 3
	s_load_b32 s2, s[0:1], 0x78
	s_and_not1_b32 vcc_lo, exec_lo, s16
	s_mov_b32 s3, -1
	s_wait_kmcnt 0x0
	s_add_nc_u64 s[4:5], s[4:5], s[18:19]
	s_load_b64 s[4:5], s[4:5], 0x0
	s_cbranch_vccnz .LBB519_22
; %bb.8:
	s_cmp_gt_i32 s9, 0
	s_cselect_b32 s18, -1, 0
	s_cmp_neq_f32 s11, 0
	v_cndmask_b32_e64 v1, 0, 1, s18
	s_delay_alu instid0(VALU_DEP_1)
	v_cmp_ne_u32_e32 vcc_lo, 1, v1
	s_cbranch_scc1 .LBB519_15
; %bb.9:
	s_and_b32 vcc_lo, exec_lo, vcc_lo
	s_cbranch_vccnz .LBB519_14
; %bb.10:
	v_mov_b32_e32 v1, 0
	s_ashr_i32 s3, s2, 31
	s_lshl_b64 s[16:17], s[6:7], 2
	s_wait_kmcnt 0x0
	s_add_nc_u64 s[16:17], s[4:5], s[16:17]
	v_mul_u64_e32 v[2:3], s[2:3], v[0:1]
	s_delay_alu instid0(VALU_DEP_1)
	v_lshl_add_u64 v[2:3], v[2:3], 2, s[16:17]
	s_lshl_b64 s[16:17], s[2:3], 10
	s_mov_b32 s3, 0
	s_branch .LBB519_12
.LBB519_11:                             ;   in Loop: Header=BB519_12 Depth=1
	s_wait_xcnt 0x0
	s_or_b32 exec_lo, exec_lo, s19
	v_add_nc_u64_e32 v[2:3], s[16:17], v[2:3]
	s_addk_co_i32 s3, 0x100
	s_delay_alu instid0(SALU_CYCLE_1)
	s_cmp_ge_i32 s3, s9
	s_cbranch_scc1 .LBB519_14
.LBB519_12:                             ; =>This Inner Loop Header: Depth=1
	v_add_nc_u32_e32 v4, s3, v0
	s_mov_b32 s19, exec_lo
	s_delay_alu instid0(VALU_DEP_1)
	v_cmpx_gt_i32_e64 s9, v4
	s_cbranch_execz .LBB519_11
; %bb.13:                               ;   in Loop: Header=BB519_12 Depth=1
	flat_store_b32 v[2:3], v1
	s_branch .LBB519_11
.LBB519_14:
	s_mov_b32 s3, 0
.LBB519_15:
	s_delay_alu instid0(SALU_CYCLE_1)
	s_and_not1_b32 vcc_lo, exec_lo, s3
	s_cbranch_vccnz .LBB519_21
; %bb.16:
	s_and_not1_b32 vcc_lo, exec_lo, s18
	s_cbranch_vccnz .LBB519_21
; %bb.17:
	v_mov_b32_e32 v1, 0
	s_ashr_i32 s3, s2, 31
	s_lshl_b64 s[16:17], s[6:7], 2
	s_wait_kmcnt 0x0
	s_add_nc_u64 s[16:17], s[4:5], s[16:17]
	v_mul_u64_e32 v[2:3], s[2:3], v[0:1]
	s_delay_alu instid0(VALU_DEP_1)
	v_lshl_add_u64 v[2:3], v[2:3], 2, s[16:17]
	s_lshl_b64 s[16:17], s[2:3], 10
	s_mov_b32 s3, 0
	s_branch .LBB519_19
.LBB519_18:                             ;   in Loop: Header=BB519_19 Depth=1
	s_wait_xcnt 0x0
	s_or_b32 exec_lo, exec_lo, s18
	v_add_nc_u64_e32 v[2:3], s[16:17], v[2:3]
	s_addk_co_i32 s3, 0x100
	s_delay_alu instid0(SALU_CYCLE_1)
	s_cmp_ge_i32 s3, s9
	s_cbranch_scc1 .LBB519_21
.LBB519_19:                             ; =>This Inner Loop Header: Depth=1
	v_add_nc_u32_e32 v1, s3, v0
	s_mov_b32 s18, exec_lo
	s_delay_alu instid0(VALU_DEP_1)
	v_cmpx_gt_i32_e64 s9, v1
	s_cbranch_execz .LBB519_18
; %bb.20:                               ;   in Loop: Header=BB519_19 Depth=1
	flat_load_b32 v1, v[2:3]
	s_wait_loadcnt_dscnt 0x0
	v_mul_f32_e32 v1, s11, v1
	flat_store_b32 v[2:3], v1
	s_branch .LBB519_18
.LBB519_21:
	s_mov_b32 s3, 0
.LBB519_22:
	s_delay_alu instid0(SALU_CYCLE_1)
	s_and_not1_b32 vcc_lo, exec_lo, s3
	s_cbranch_vccnz .LBB519_40
; %bb.23:
	s_mov_b32 s3, exec_lo
	v_cmpx_gt_i32_e64 s8, v0
	s_cbranch_execz .LBB519_25
; %bb.24:
	s_load_b32 s16, s[0:1], 0x48
	v_mov_b32_e32 v1, 0
	s_wait_kmcnt 0x0
	s_ashr_i32 s17, s16, 31
	s_delay_alu instid0(VALU_DEP_1) | instid1(SALU_CYCLE_1)
	v_mul_u64_e32 v[2:3], s[16:17], v[0:1]
	s_delay_alu instid0(VALU_DEP_1)
	v_lshl_add_u64 v[2:3], v[2:3], 1, s[14:15]
	flat_load_u16 v1, v[2:3]
	s_wait_xcnt 0x0
	v_lshlrev_b32_e32 v2, 2, v0
	s_wait_loadcnt_dscnt 0x0
	v_cvt_f32_f16_e32 v1, v1
	s_delay_alu instid0(VALU_DEP_1)
	v_mul_f32_e32 v1, s10, v1
	ds_store_b32 v2, v1
.LBB519_25:
	s_or_b32 exec_lo, exec_lo, s3
	s_cmp_lt_i32 s9, 1
	s_wait_storecnt_dscnt 0x0
	s_barrier_signal -1
	s_barrier_wait -1
	s_cbranch_scc1 .LBB519_40
; %bb.26:
	s_load_b32 s16, s[0:1], 0x28
	v_mov_b32_e32 v3, 0
	s_wait_xcnt 0x0
	s_lshl_b64 s[0:1], s[6:7], 2
	s_ashr_i32 s3, s2, 31
	s_wait_kmcnt 0x0
	s_add_nc_u64 s[0:1], s[4:5], s[0:1]
	s_mov_b32 s5, 0
	v_mov_b32_e32 v1, v3
	s_ashr_i32 s17, s16, 31
	s_cmp_neq_f32 s11, 0
	s_delay_alu instid0(VALU_DEP_1)
	v_mul_u64_e32 v[4:5], s[16:17], v[0:1]
	s_cselect_b32 s10, -1, 0
	s_cmp_gt_i32 s8, 0
	s_cselect_b32 s14, -1, 0
	s_and_b32 s15, s8, 7
	s_cmp_gt_u32 s8, 7
	s_delay_alu instid0(VALU_DEP_1)
	v_lshl_add_u64 v[4:5], v[4:5], 1, s[12:13]
	s_cselect_b32 s12, -1, 0
	s_and_b32 s8, s8, 0x7ffffff8
	s_cmp_lg_u32 s15, 0
	s_cselect_b32 s13, -1, 0
	v_add_nc_u64_e32 v[6:7], 14, v[4:5]
	s_lshl_b64 s[6:7], s[16:17], 9
	s_mov_b32 s16, 0
	s_branch .LBB519_29
.LBB519_27:                             ;   in Loop: Header=BB519_29 Depth=1
	flat_store_b32 v[8:9], v1
.LBB519_28:                             ;   in Loop: Header=BB519_29 Depth=1
	s_wait_xcnt 0x0
	s_or_b32 exec_lo, exec_lo, s17
	v_add_nc_u64_e32 v[6:7], s[6:7], v[6:7]
	v_add_nc_u64_e32 v[4:5], s[6:7], v[4:5]
	s_addk_co_i32 s16, 0x100
	s_delay_alu instid0(SALU_CYCLE_1)
	s_cmp_ge_i32 s16, s9
	s_cbranch_scc1 .LBB519_40
.LBB519_29:                             ; =>This Loop Header: Depth=1
                                        ;     Child Loop BB519_35 Depth 2
                                        ;     Child Loop BB519_39 Depth 2
	v_add_nc_u32_e32 v2, s16, v0
	s_mov_b32 s17, exec_lo
	s_delay_alu instid0(VALU_DEP_1)
	v_cmpx_gt_i32_e64 s9, v2
	s_cbranch_execz .LBB519_28
; %bb.30:                               ;   in Loop: Header=BB519_29 Depth=1
	v_mul_u64_e32 v[8:9], s[2:3], v[2:3]
	s_and_not1_b32 vcc_lo, exec_lo, s10
	s_delay_alu instid0(VALU_DEP_1)
	v_lshl_add_u64 v[8:9], v[8:9], 2, s[0:1]
	s_cbranch_vccnz .LBB519_32
; %bb.31:                               ;   in Loop: Header=BB519_29 Depth=1
	flat_load_b32 v1, v[8:9]
	s_wait_loadcnt_dscnt 0x0
	v_mul_f32_e32 v1, s11, v1
	s_and_not1_b32 vcc_lo, exec_lo, s14
	s_cbranch_vccz .LBB519_33
	s_branch .LBB519_27
.LBB519_32:                             ;   in Loop: Header=BB519_29 Depth=1
	v_mov_b32_e32 v1, 0
	s_and_not1_b32 vcc_lo, exec_lo, s14
	s_cbranch_vccnz .LBB519_27
.LBB519_33:                             ;   in Loop: Header=BB519_29 Depth=1
	s_and_not1_b32 vcc_lo, exec_lo, s12
	s_mov_b32 s18, 0
	s_cbranch_vccnz .LBB519_37
; %bb.34:                               ;   in Loop: Header=BB519_29 Depth=1
	v_mov_b64_e32 v[10:11], v[6:7]
	s_mov_b32 s4, 0
.LBB519_35:                             ;   Parent Loop BB519_29 Depth=1
                                        ; =>  This Inner Loop Header: Depth=2
	flat_load_b128 v[12:15], v[10:11] offset:-14
	v_mov_b32_e32 v2, s4
	s_wait_xcnt 0x0
	v_add_nc_u64_e32 v[10:11], 16, v[10:11]
	s_add_co_i32 s18, s18, 8
	s_add_co_i32 s4, s4, 32
	ds_load_b128 v[16:19], v2
	ds_load_b128 v[20:23], v2 offset:16
	s_cmp_eq_u32 s8, s18
	s_wait_loadcnt_dscnt 0x1
	v_fma_mix_f32 v1, v16, v12, v1 op_sel_hi:[0,1,0]
	s_delay_alu instid0(VALU_DEP_1) | instskip(NEXT) | instid1(VALU_DEP_1)
	v_fma_mix_f32 v1, v17, v12, v1 op_sel:[0,1,0] op_sel_hi:[0,1,0]
	v_fma_mix_f32 v1, v18, v13, v1 op_sel_hi:[0,1,0]
	s_delay_alu instid0(VALU_DEP_1) | instskip(SKIP_1) | instid1(VALU_DEP_1)
	v_fma_mix_f32 v1, v19, v13, v1 op_sel:[0,1,0] op_sel_hi:[0,1,0]
	s_wait_dscnt 0x0
	v_fma_mix_f32 v1, v20, v14, v1 op_sel_hi:[0,1,0]
	s_delay_alu instid0(VALU_DEP_1) | instskip(NEXT) | instid1(VALU_DEP_1)
	v_fma_mix_f32 v1, v21, v14, v1 op_sel:[0,1,0] op_sel_hi:[0,1,0]
	v_fma_mix_f32 v1, v22, v15, v1 op_sel_hi:[0,1,0]
	s_delay_alu instid0(VALU_DEP_1)
	v_fma_mix_f32 v1, v23, v15, v1 op_sel:[0,1,0] op_sel_hi:[0,1,0]
	s_cbranch_scc0 .LBB519_35
; %bb.36:                               ;   in Loop: Header=BB519_29 Depth=1
	s_mov_b32 s18, s8
.LBB519_37:                             ;   in Loop: Header=BB519_29 Depth=1
	s_and_not1_b32 vcc_lo, exec_lo, s13
	s_cbranch_vccnz .LBB519_27
; %bb.38:                               ;   in Loop: Header=BB519_29 Depth=1
	s_lshl_b32 s4, s18, 1
	s_delay_alu instid0(SALU_CYCLE_1)
	v_add_nc_u64_e32 v[10:11], s[4:5], v[4:5]
	s_lshl_b32 s4, s18, 2
	s_mov_b32 s18, s15
.LBB519_39:                             ;   Parent Loop BB519_29 Depth=1
                                        ; =>  This Inner Loop Header: Depth=2
	flat_load_u16 v2, v[10:11]
	v_mov_b32_e32 v12, s4
	s_wait_xcnt 0x0
	v_add_nc_u64_e32 v[10:11], 2, v[10:11]
	s_add_co_i32 s18, s18, -1
	s_add_co_i32 s4, s4, 4
	s_cmp_lg_u32 s18, 0
	ds_load_b32 v12, v12
	s_wait_loadcnt_dscnt 0x0
	v_fma_mix_f32 v1, v12, v2, v1 op_sel_hi:[0,1,0]
	s_cbranch_scc1 .LBB519_39
	s_branch .LBB519_27
.LBB519_40:
	s_endpgm
	.section	.rodata,"a",@progbits
	.p2align	6, 0x0
	.amdhsa_kernel _ZL22rocblas_gemvtsm_kernelILb0ELi256EPKDF16_fKPfEviiT2_lPKT1_lilS7_lilS4_lPT3_lil
		.amdhsa_group_segment_fixed_size 256
		.amdhsa_private_segment_fixed_size 0
		.amdhsa_kernarg_size 136
		.amdhsa_user_sgpr_count 2
		.amdhsa_user_sgpr_dispatch_ptr 0
		.amdhsa_user_sgpr_queue_ptr 0
		.amdhsa_user_sgpr_kernarg_segment_ptr 1
		.amdhsa_user_sgpr_dispatch_id 0
		.amdhsa_user_sgpr_kernarg_preload_length 0
		.amdhsa_user_sgpr_kernarg_preload_offset 0
		.amdhsa_user_sgpr_private_segment_size 0
		.amdhsa_wavefront_size32 1
		.amdhsa_uses_dynamic_stack 0
		.amdhsa_enable_private_segment 0
		.amdhsa_system_sgpr_workgroup_id_x 1
		.amdhsa_system_sgpr_workgroup_id_y 0
		.amdhsa_system_sgpr_workgroup_id_z 0
		.amdhsa_system_sgpr_workgroup_info 0
		.amdhsa_system_vgpr_workitem_id 0
		.amdhsa_next_free_vgpr 24
		.amdhsa_next_free_sgpr 24
		.amdhsa_named_barrier_count 0
		.amdhsa_reserve_vcc 1
		.amdhsa_float_round_mode_32 0
		.amdhsa_float_round_mode_16_64 0
		.amdhsa_float_denorm_mode_32 3
		.amdhsa_float_denorm_mode_16_64 3
		.amdhsa_fp16_overflow 0
		.amdhsa_memory_ordered 1
		.amdhsa_forward_progress 1
		.amdhsa_inst_pref_size 11
		.amdhsa_round_robin_scheduling 0
		.amdhsa_exception_fp_ieee_invalid_op 0
		.amdhsa_exception_fp_denorm_src 0
		.amdhsa_exception_fp_ieee_div_zero 0
		.amdhsa_exception_fp_ieee_overflow 0
		.amdhsa_exception_fp_ieee_underflow 0
		.amdhsa_exception_fp_ieee_inexact 0
		.amdhsa_exception_int_div_zero 0
	.end_amdhsa_kernel
	.section	.text._ZL22rocblas_gemvtsm_kernelILb0ELi256EPKDF16_fKPfEviiT2_lPKT1_lilS7_lilS4_lPT3_lil,"axG",@progbits,_ZL22rocblas_gemvtsm_kernelILb0ELi256EPKDF16_fKPfEviiT2_lPKT1_lilS7_lilS4_lPT3_lil,comdat
.Lfunc_end519:
	.size	_ZL22rocblas_gemvtsm_kernelILb0ELi256EPKDF16_fKPfEviiT2_lPKT1_lilS7_lilS4_lPT3_lil, .Lfunc_end519-_ZL22rocblas_gemvtsm_kernelILb0ELi256EPKDF16_fKPfEviiT2_lPKT1_lilS7_lilS4_lPT3_lil
                                        ; -- End function
	.set _ZL22rocblas_gemvtsm_kernelILb0ELi256EPKDF16_fKPfEviiT2_lPKT1_lilS7_lilS4_lPT3_lil.num_vgpr, 24
	.set _ZL22rocblas_gemvtsm_kernelILb0ELi256EPKDF16_fKPfEviiT2_lPKT1_lilS7_lilS4_lPT3_lil.num_agpr, 0
	.set _ZL22rocblas_gemvtsm_kernelILb0ELi256EPKDF16_fKPfEviiT2_lPKT1_lilS7_lilS4_lPT3_lil.numbered_sgpr, 24
	.set _ZL22rocblas_gemvtsm_kernelILb0ELi256EPKDF16_fKPfEviiT2_lPKT1_lilS7_lilS4_lPT3_lil.num_named_barrier, 0
	.set _ZL22rocblas_gemvtsm_kernelILb0ELi256EPKDF16_fKPfEviiT2_lPKT1_lilS7_lilS4_lPT3_lil.private_seg_size, 0
	.set _ZL22rocblas_gemvtsm_kernelILb0ELi256EPKDF16_fKPfEviiT2_lPKT1_lilS7_lilS4_lPT3_lil.uses_vcc, 1
	.set _ZL22rocblas_gemvtsm_kernelILb0ELi256EPKDF16_fKPfEviiT2_lPKT1_lilS7_lilS4_lPT3_lil.uses_flat_scratch, 0
	.set _ZL22rocblas_gemvtsm_kernelILb0ELi256EPKDF16_fKPfEviiT2_lPKT1_lilS7_lilS4_lPT3_lil.has_dyn_sized_stack, 0
	.set _ZL22rocblas_gemvtsm_kernelILb0ELi256EPKDF16_fKPfEviiT2_lPKT1_lilS7_lilS4_lPT3_lil.has_recursion, 0
	.set _ZL22rocblas_gemvtsm_kernelILb0ELi256EPKDF16_fKPfEviiT2_lPKT1_lilS7_lilS4_lPT3_lil.has_indirect_call, 0
	.section	.AMDGPU.csdata,"",@progbits
; Kernel info:
; codeLenInByte = 1284
; TotalNumSgprs: 26
; NumVgprs: 24
; ScratchSize: 0
; MemoryBound: 0
; FloatMode: 240
; IeeeMode: 1
; LDSByteSize: 256 bytes/workgroup (compile time only)
; SGPRBlocks: 0
; VGPRBlocks: 1
; NumSGPRsForWavesPerEU: 26
; NumVGPRsForWavesPerEU: 24
; NamedBarCnt: 0
; Occupancy: 16
; WaveLimiterHint : 1
; COMPUTE_PGM_RSRC2:SCRATCH_EN: 0
; COMPUTE_PGM_RSRC2:USER_SGPR: 2
; COMPUTE_PGM_RSRC2:TRAP_HANDLER: 0
; COMPUTE_PGM_RSRC2:TGID_X_EN: 1
; COMPUTE_PGM_RSRC2:TGID_Y_EN: 0
; COMPUTE_PGM_RSRC2:TGID_Z_EN: 0
; COMPUTE_PGM_RSRC2:TIDIG_COMP_CNT: 0
	.section	.text._ZL23rocblas_gemvt_sn_reduceILi256ELi8EfPKfKPfEviT2_lPT3_lilPT1_i,"axG",@progbits,_ZL23rocblas_gemvt_sn_reduceILi256ELi8EfPKfKPfEviT2_lPT3_lilPT1_i,comdat
	.globl	_ZL23rocblas_gemvt_sn_reduceILi256ELi8EfPKfKPfEviT2_lPT3_lilPT1_i ; -- Begin function _ZL23rocblas_gemvt_sn_reduceILi256ELi8EfPKfKPfEviT2_lPT3_lilPT1_i
	.p2align	8
	.type	_ZL23rocblas_gemvt_sn_reduceILi256ELi8EfPKfKPfEviT2_lPT3_lilPT1_i,@function
_ZL23rocblas_gemvt_sn_reduceILi256ELi8EfPKfKPfEviT2_lPT3_lilPT1_i: ; @_ZL23rocblas_gemvt_sn_reduceILi256ELi8EfPKfKPfEviT2_lPT3_lilPT1_i
; %bb.0:
	s_load_b32 s28, s[0:1], 0x40
	s_bfe_u32 s2, ttmp6, 0x40014
	s_lshr_b32 s3, ttmp7, 16
	s_add_co_i32 s2, s2, 1
	s_bfe_u32 s5, ttmp6, 0x40008
	s_mul_i32 s4, s3, s2
	s_getreg_b32 s2, hwreg(HW_REG_IB_STS2, 6, 4)
	s_add_co_i32 s5, s5, s4
	s_cmp_eq_u32 s2, 0
	s_mov_b32 s7, 0
	s_cselect_b32 s6, s3, s5
	s_wait_kmcnt 0x0
	s_cmp_ge_u32 s6, s28
	s_cbranch_scc1 .LBB520_21
; %bb.1:
	s_clause 0x5
	s_load_b32 s16, s[0:1], 0x0
	s_load_b32 s29, s[0:1], 0x4c
	;; [unrolled: 1-line block ×4, first 2 shown]
	s_load_b64 s[18:19], s[0:1], 0x38
	s_load_b256 s[8:15], s[0:1], 0x8
	v_mbcnt_lo_u32_b32 v6, -1, 0
	s_wait_xcnt 0x0
	s_bfe_u32 s0, ttmp6, 0x40010
	v_dual_mov_b32 v3, 0 :: v_dual_lshlrev_b32 v8, 3, v0
	v_and_b32_e32 v1, 31, v0
	v_cmp_gt_u32_e32 vcc_lo, 24, v6
	s_and_b32 s1, ttmp7, 0xffff
	s_add_co_i32 s5, s0, 1
	s_bfe_u32 s4, ttmp6, 0x40004
	s_mul_i32 s5, s1, s5
	v_cndmask_b32_e64 v4, 0, 8, vcc_lo
	v_cmp_gt_u32_e32 vcc_lo, 28, v6
	s_add_co_i32 s4, s4, s5
	v_cmp_gt_u32_e64 s0, 32, v0
	v_mov_b32_e32 v5, v3
	v_add_lshl_u32 v11, v4, v6, 2
	v_cndmask_b32_e64 v7, 0, 4, vcc_lo
	v_cmp_gt_u32_e32 vcc_lo, 30, v6
	v_dual_lshlrev_b32 v4, 5, v0 :: v_dual_lshlrev_b32 v9, 2, v1
	s_wait_kmcnt 0x0
	s_ashr_i32 s17, s16, 31
	s_ashr_i32 s23, s22, 31
	s_cmp_eq_u32 s2, 0
	v_cndmask_b32_e64 v13, 0, 2, vcc_lo
	s_cselect_b32 s20, s1, s4
	s_lshr_b32 s1, s17, 29
	v_cmp_ne_u32_e32 vcc_lo, 31, v6
	v_add_nc_u64_e32 v[4:5], s[18:19], v[4:5]
	s_add_co_i32 s1, s16, s1
	v_add_lshl_u32 v12, v7, v6, 2
	s_and_b32 s30, s1, -8
	v_add_co_ci_u32_e64 v14, null, 0, v6, vcc_lo
	v_lshrrev_b32_e32 v7, 3, v0
	s_sub_co_i32 s2, s16, s30
	v_xad_u32 v2, v0, -1, s16
	s_and_b32 s24, s3, 0xffff
	v_cmp_gt_u32_e64 s2, s2, v0
	v_cmp_eq_u32_e64 s3, 0, v1
	v_cmp_gt_u32_e64 s4, 8, v0
	v_cmp_eq_u32_e64 s5, 0, v0
	v_add_nc_u64_e32 v[0:1], 28, v[4:5]
	s_mov_b32 s21, s7
	v_cmp_gt_i32_e64 s1, s30, v8
	v_lshl_or_b32 v10, v6, 2, 64
	v_add_lshl_u32 v13, v13, v6, 2
	v_dual_lshlrev_b32 v14, 2, v14 :: v_dual_bitop2_b32 v15, 28, v7 bitop3:0x40
	s_mul_u64 s[26:27], s[22:23], s[20:21]
	s_mul_i32 s21, s6, s29
	s_lshl_b32 s31, s24, 3
	s_lshl_b64 s[22:23], s[16:17], 2
	s_add_co_i32 s21, s20, s21
	s_lshl_b32 s33, s29, 16
	s_lshl_b32 s24, s24, 5
	s_mov_b32 s25, s7
	s_lshl_b64 s[14:15], s[14:15], 2
	s_lshl_b64 s[26:27], s[26:27], 2
	s_branch .LBB520_4
.LBB520_2:                              ;   in Loop: Header=BB520_4 Depth=1
	s_wait_dscnt 0x0
	flat_store_b32 v[4:5], v6
.LBB520_3:                              ;   in Loop: Header=BB520_4 Depth=1
	s_wait_xcnt 0x0
	s_or_b32 exec_lo, exec_lo, s34
	s_add_co_i32 s6, s6, 0x10000
	s_add_co_i32 s21, s21, s33
	s_cmp_lt_u32 s6, s28
	s_cbranch_scc0 .LBB520_21
.LBB520_4:                              ; =>This Loop Header: Depth=1
                                        ;     Child Loop BB520_14 Depth 2
	s_wait_dscnt 0x0
	v_dual_mov_b32 v6, s6 :: v_dual_mov_b32 v17, 0
	s_mul_u64 s[34:35], s[10:11], s[6:7]
	s_delay_alu instid0(SALU_CYCLE_1) | instskip(NEXT) | instid1(SALU_CYCLE_1)
	s_lshl_b64 s[34:35], s[34:35], 2
	s_add_nc_u64 s[34:35], s[8:9], s[34:35]
	global_load_b64 v[4:5], v6, s[12:13] scale_offset
	global_load_b32 v16, v3, s[34:35]
	s_wait_xcnt 0x0
	s_and_saveexec_b32 s34, s1
	s_cbranch_execnz .LBB520_13
; %bb.5:                                ;   in Loop: Header=BB520_4 Depth=1
	s_or_b32 exec_lo, exec_lo, s34
	s_and_saveexec_b32 s34, s2
	s_cbranch_execnz .LBB520_16
.LBB520_6:                              ;   in Loop: Header=BB520_4 Depth=1
	s_or_b32 exec_lo, exec_lo, s34
	s_and_saveexec_b32 s34, s0
.LBB520_7:                              ;   in Loop: Header=BB520_4 Depth=1
	ds_store_b32 v9, v3
.LBB520_8:                              ;   in Loop: Header=BB520_4 Depth=1
	s_or_b32 exec_lo, exec_lo, s34
	ds_bpermute_b32 v6, v10, v17
	s_wait_loadcnt_dscnt 0x0
	s_barrier_signal -1
	s_barrier_wait -1
	v_add_f32_e32 v6, v17, v6
	ds_bpermute_b32 v7, v11, v6
	s_wait_dscnt 0x0
	v_add_f32_e32 v6, v6, v7
	ds_bpermute_b32 v7, v12, v6
	s_wait_dscnt 0x0
	;; [unrolled: 3-line block ×3, first 2 shown]
	v_add_f32_e32 v6, v6, v7
	ds_bpermute_b32 v7, v14, v6
	s_and_saveexec_b32 s34, s3
	s_cbranch_execz .LBB520_10
; %bb.9:                                ;   in Loop: Header=BB520_4 Depth=1
	s_wait_dscnt 0x0
	v_add_f32_e32 v6, v6, v7
	ds_store_b32 v15, v6
.LBB520_10:                             ;   in Loop: Header=BB520_4 Depth=1
	s_or_b32 exec_lo, exec_lo, s34
	v_mov_b32_e32 v6, 0
	s_wait_dscnt 0x0
	s_barrier_signal -1
	s_barrier_wait -1
	s_and_saveexec_b32 s34, s4
	s_cbranch_execnz .LBB520_17
; %bb.11:                               ;   in Loop: Header=BB520_4 Depth=1
	s_or_b32 exec_lo, exec_lo, s34
	s_and_saveexec_b32 s34, s0
	s_cbranch_execnz .LBB520_18
.LBB520_12:                             ;   in Loop: Header=BB520_4 Depth=1
	s_or_b32 exec_lo, exec_lo, s34
	s_and_saveexec_b32 s34, s5
	s_cbranch_execz .LBB520_3
	s_branch .LBB520_19
.LBB520_13:                             ;   in Loop: Header=BB520_4 Depth=1
	v_mad_nc_u64_u32 v[6:7], s22, s21, v[0:1]
	v_dual_mov_b32 v17, 0 :: v_dual_mov_b32 v18, v8
	s_mov_b32 s35, 0
	s_delay_alu instid0(VALU_DEP_2)
	v_mad_u32 v7, s23, s21, v7
.LBB520_14:                             ;   Parent Loop BB520_4 Depth=1
                                        ; =>  This Inner Loop Header: Depth=2
	s_clause 0x1
	global_load_b128 v[20:23], v[6:7], off offset:-28
	global_load_b128 v[24:27], v[6:7], off offset:-12
	s_wait_xcnt 0x0
	v_add_nc_u64_e32 v[6:7], s[24:25], v[6:7]
	v_add_nc_u32_e32 v18, s31, v18
	s_delay_alu instid0(VALU_DEP_1) | instskip(SKIP_3) | instid1(VALU_DEP_1)
	v_cmp_le_i32_e32 vcc_lo, s30, v18
	s_or_b32 s35, vcc_lo, s35
	s_wait_loadcnt 0x1
	v_add_f32_e32 v17, v17, v20
	v_add_f32_e32 v17, v17, v21
	s_delay_alu instid0(VALU_DEP_1) | instskip(NEXT) | instid1(VALU_DEP_1)
	v_add_f32_e32 v17, v17, v22
	v_add_f32_e32 v17, v17, v23
	s_wait_loadcnt 0x0
	s_delay_alu instid0(VALU_DEP_1) | instskip(NEXT) | instid1(VALU_DEP_1)
	v_add_f32_e32 v17, v17, v24
	v_add_f32_e32 v17, v17, v25
	s_delay_alu instid0(VALU_DEP_1) | instskip(NEXT) | instid1(VALU_DEP_1)
	v_add_f32_e32 v17, v17, v26
	v_add_f32_e32 v17, v17, v27
	s_and_not1_b32 exec_lo, exec_lo, s35
	s_cbranch_execnz .LBB520_14
; %bb.15:                               ;   in Loop: Header=BB520_4 Depth=1
	s_or_b32 exec_lo, exec_lo, s35
	s_delay_alu instid0(SALU_CYCLE_1)
	s_or_b32 exec_lo, exec_lo, s34
	s_and_saveexec_b32 s34, s2
	s_cbranch_execz .LBB520_6
.LBB520_16:                             ;   in Loop: Header=BB520_4 Depth=1
	s_mul_i32 s35, s29, s6
	s_mov_b32 s37, s7
	s_add_co_i32 s36, s35, s20
	s_delay_alu instid0(SALU_CYCLE_1) | instskip(NEXT) | instid1(SALU_CYCLE_1)
	s_mul_u64 s[36:37], s[36:37], s[16:17]
	s_lshl_b64 s[36:37], s[36:37], 2
	s_delay_alu instid0(SALU_CYCLE_1) | instskip(NEXT) | instid1(SALU_CYCLE_1)
	s_add_nc_u64 s[36:37], s[18:19], s[36:37]
	v_lshl_add_u64 v[6:7], v[2:3], 2, s[36:37]
	global_load_b32 v6, v[6:7], off
	s_wait_loadcnt 0x0
	v_add_f32_e32 v17, v17, v6
	s_wait_xcnt 0x0
	s_or_b32 exec_lo, exec_lo, s34
	s_and_saveexec_b32 s34, s0
	s_cbranch_execnz .LBB520_7
	s_branch .LBB520_8
.LBB520_17:                             ;   in Loop: Header=BB520_4 Depth=1
	ds_load_b32 v6, v9
	s_or_b32 exec_lo, exec_lo, s34
	s_and_saveexec_b32 s34, s0
	s_cbranch_execz .LBB520_12
.LBB520_18:                             ;   in Loop: Header=BB520_4 Depth=1
	s_wait_dscnt 0x0
	ds_bpermute_b32 v7, v12, v6
	s_wait_dscnt 0x0
	v_add_f32_e32 v6, v6, v7
	ds_bpermute_b32 v7, v13, v6
	s_wait_dscnt 0x0
	v_add_f32_e32 v6, v6, v7
	;; [unrolled: 3-line block ×3, first 2 shown]
	s_or_b32 exec_lo, exec_lo, s34
	s_and_saveexec_b32 s34, s5
	s_cbranch_execz .LBB520_3
.LBB520_19:                             ;   in Loop: Header=BB520_4 Depth=1
	v_add_nc_u64_e32 v[4:5], s[14:15], v[4:5]
	v_cmp_eq_f32_e32 vcc_lo, 0, v16
	s_delay_alu instid0(VALU_DEP_2)
	v_add_nc_u64_e32 v[4:5], s[26:27], v[4:5]
	s_cbranch_vccnz .LBB520_2
; %bb.20:                               ;   in Loop: Header=BB520_4 Depth=1
	flat_load_b32 v7, v[4:5]
	s_wait_loadcnt_dscnt 0x0
	v_fmac_f32_e32 v6, v16, v7
	s_branch .LBB520_2
.LBB520_21:
	s_endpgm
	.section	.rodata,"a",@progbits
	.p2align	6, 0x0
	.amdhsa_kernel _ZL23rocblas_gemvt_sn_reduceILi256ELi8EfPKfKPfEviT2_lPT3_lilPT1_i
		.amdhsa_group_segment_fixed_size 128
		.amdhsa_private_segment_fixed_size 0
		.amdhsa_kernarg_size 328
		.amdhsa_user_sgpr_count 2
		.amdhsa_user_sgpr_dispatch_ptr 0
		.amdhsa_user_sgpr_queue_ptr 0
		.amdhsa_user_sgpr_kernarg_segment_ptr 1
		.amdhsa_user_sgpr_dispatch_id 0
		.amdhsa_user_sgpr_kernarg_preload_length 0
		.amdhsa_user_sgpr_kernarg_preload_offset 0
		.amdhsa_user_sgpr_private_segment_size 0
		.amdhsa_wavefront_size32 1
		.amdhsa_uses_dynamic_stack 0
		.amdhsa_enable_private_segment 0
		.amdhsa_system_sgpr_workgroup_id_x 1
		.amdhsa_system_sgpr_workgroup_id_y 1
		.amdhsa_system_sgpr_workgroup_id_z 1
		.amdhsa_system_sgpr_workgroup_info 0
		.amdhsa_system_vgpr_workitem_id 0
		.amdhsa_next_free_vgpr 28
		.amdhsa_next_free_sgpr 38
		.amdhsa_named_barrier_count 0
		.amdhsa_reserve_vcc 1
		.amdhsa_float_round_mode_32 0
		.amdhsa_float_round_mode_16_64 0
		.amdhsa_float_denorm_mode_32 3
		.amdhsa_float_denorm_mode_16_64 3
		.amdhsa_fp16_overflow 0
		.amdhsa_memory_ordered 1
		.amdhsa_forward_progress 1
		.amdhsa_inst_pref_size 9
		.amdhsa_round_robin_scheduling 0
		.amdhsa_exception_fp_ieee_invalid_op 0
		.amdhsa_exception_fp_denorm_src 0
		.amdhsa_exception_fp_ieee_div_zero 0
		.amdhsa_exception_fp_ieee_overflow 0
		.amdhsa_exception_fp_ieee_underflow 0
		.amdhsa_exception_fp_ieee_inexact 0
		.amdhsa_exception_int_div_zero 0
	.end_amdhsa_kernel
	.section	.text._ZL23rocblas_gemvt_sn_reduceILi256ELi8EfPKfKPfEviT2_lPT3_lilPT1_i,"axG",@progbits,_ZL23rocblas_gemvt_sn_reduceILi256ELi8EfPKfKPfEviT2_lPT3_lilPT1_i,comdat
.Lfunc_end520:
	.size	_ZL23rocblas_gemvt_sn_reduceILi256ELi8EfPKfKPfEviT2_lPT3_lilPT1_i, .Lfunc_end520-_ZL23rocblas_gemvt_sn_reduceILi256ELi8EfPKfKPfEviT2_lPT3_lilPT1_i
                                        ; -- End function
	.set _ZL23rocblas_gemvt_sn_reduceILi256ELi8EfPKfKPfEviT2_lPT3_lilPT1_i.num_vgpr, 28
	.set _ZL23rocblas_gemvt_sn_reduceILi256ELi8EfPKfKPfEviT2_lPT3_lilPT1_i.num_agpr, 0
	.set _ZL23rocblas_gemvt_sn_reduceILi256ELi8EfPKfKPfEviT2_lPT3_lilPT1_i.numbered_sgpr, 38
	.set _ZL23rocblas_gemvt_sn_reduceILi256ELi8EfPKfKPfEviT2_lPT3_lilPT1_i.num_named_barrier, 0
	.set _ZL23rocblas_gemvt_sn_reduceILi256ELi8EfPKfKPfEviT2_lPT3_lilPT1_i.private_seg_size, 0
	.set _ZL23rocblas_gemvt_sn_reduceILi256ELi8EfPKfKPfEviT2_lPT3_lilPT1_i.uses_vcc, 1
	.set _ZL23rocblas_gemvt_sn_reduceILi256ELi8EfPKfKPfEviT2_lPT3_lilPT1_i.uses_flat_scratch, 0
	.set _ZL23rocblas_gemvt_sn_reduceILi256ELi8EfPKfKPfEviT2_lPT3_lilPT1_i.has_dyn_sized_stack, 0
	.set _ZL23rocblas_gemvt_sn_reduceILi256ELi8EfPKfKPfEviT2_lPT3_lilPT1_i.has_recursion, 0
	.set _ZL23rocblas_gemvt_sn_reduceILi256ELi8EfPKfKPfEviT2_lPT3_lilPT1_i.has_indirect_call, 0
	.section	.AMDGPU.csdata,"",@progbits
; Kernel info:
; codeLenInByte = 1124
; TotalNumSgprs: 40
; NumVgprs: 28
; ScratchSize: 0
; MemoryBound: 0
; FloatMode: 240
; IeeeMode: 1
; LDSByteSize: 128 bytes/workgroup (compile time only)
; SGPRBlocks: 0
; VGPRBlocks: 1
; NumSGPRsForWavesPerEU: 40
; NumVGPRsForWavesPerEU: 28
; NamedBarCnt: 0
; Occupancy: 16
; WaveLimiterHint : 1
; COMPUTE_PGM_RSRC2:SCRATCH_EN: 0
; COMPUTE_PGM_RSRC2:USER_SGPR: 2
; COMPUTE_PGM_RSRC2:TRAP_HANDLER: 0
; COMPUTE_PGM_RSRC2:TGID_X_EN: 1
; COMPUTE_PGM_RSRC2:TGID_Y_EN: 1
; COMPUTE_PGM_RSRC2:TGID_Z_EN: 1
; COMPUTE_PGM_RSRC2:TIDIG_COMP_CNT: 0
	.section	.text._ZL23rocblas_gemvt_sn_reduceILi256ELi8EffKPfEviT2_lPT3_lilPT1_i,"axG",@progbits,_ZL23rocblas_gemvt_sn_reduceILi256ELi8EffKPfEviT2_lPT3_lilPT1_i,comdat
	.globl	_ZL23rocblas_gemvt_sn_reduceILi256ELi8EffKPfEviT2_lPT3_lilPT1_i ; -- Begin function _ZL23rocblas_gemvt_sn_reduceILi256ELi8EffKPfEviT2_lPT3_lilPT1_i
	.p2align	8
	.type	_ZL23rocblas_gemvt_sn_reduceILi256ELi8EffKPfEviT2_lPT3_lilPT1_i,@function
_ZL23rocblas_gemvt_sn_reduceILi256ELi8EffKPfEviT2_lPT3_lilPT1_i: ; @_ZL23rocblas_gemvt_sn_reduceILi256ELi8EffKPfEviT2_lPT3_lilPT1_i
; %bb.0:
	s_load_b32 s26, s[0:1], 0x38
	s_bfe_u32 s2, ttmp6, 0x40014
	s_lshr_b32 s3, ttmp7, 16
	s_add_co_i32 s2, s2, 1
	s_bfe_u32 s5, ttmp6, 0x40008
	s_mul_i32 s4, s3, s2
	s_getreg_b32 s2, hwreg(HW_REG_IB_STS2, 6, 4)
	s_add_co_i32 s5, s5, s4
	s_cmp_eq_u32 s2, 0
	s_mov_b32 s7, 0
	s_cselect_b32 s27, s3, s5
	s_wait_kmcnt 0x0
	s_cmp_ge_u32 s27, s26
	s_cbranch_scc1 .LBB521_21
; %bb.1:
	v_mbcnt_lo_u32_b32 v1, -1, 0
	s_clause 0x5
	s_load_b32 s28, s[0:1], 0x44
	s_load_b32 s3, s[0:1], 0x4c
	;; [unrolled: 1-line block ×3, first 2 shown]
	s_load_b64 s[12:13], s[0:1], 0x0
	s_load_b64 s[14:15], s[0:1], 0x30
	s_load_b128 s[8:11], s[0:1], 0x10
	s_wait_xcnt 0x0
	s_bfe_u32 s1, ttmp6, 0x40010
	v_dual_mov_b32 v3, 0 :: v_dual_lshlrev_b32 v8, 3, v0
	v_cmp_gt_u32_e32 vcc_lo, 24, v1
	v_dual_lshrrev_b32 v15, 3, v0 :: v_dual_bitop2_b32 v6, 31, v0 bitop3:0x40
	s_and_b32 s0, ttmp7, 0xffff
	s_add_co_i32 s1, s1, 1
	v_cndmask_b32_e64 v4, 0, 8, vcc_lo
	v_cmp_gt_u32_e32 vcc_lo, 28, v1
	s_bfe_u32 s4, ttmp6, 0x40004
	s_mul_i32 s1, s0, s1
	v_lshlrev_b32_e32 v9, 2, v6
	v_add_lshl_u32 v11, v4, v1, 2
	v_cndmask_b32_e64 v5, 0, 4, vcc_lo
	v_cmp_gt_u32_e32 vcc_lo, 30, v1
	v_lshlrev_b32_e32 v4, 5, v0
	s_add_co_i32 s4, s4, s1
	s_wait_kmcnt 0x0
	s_ashr_i32 s21, s20, 31
	v_add_lshl_u32 v12, v5, v1, 2
	v_cndmask_b32_e64 v7, 0, 2, vcc_lo
	v_cmp_ne_u32_e32 vcc_lo, 31, v1
	s_ashr_i32 s17, s12, 31
	s_cmp_eq_u32 s2, 0
	v_xad_u32 v2, v0, -1, s12
	s_cselect_b32 s18, s0, s4
	v_add_co_ci_u32_e64 v14, null, 0, v1, vcc_lo
	v_mov_b32_e32 v5, v3
	s_lshr_b32 s0, s17, 29
	s_and_b32 s6, s3, 0xffff
	s_delay_alu instid0(VALU_DEP_2)
	v_lshlrev_b32_e32 v14, 2, v14
	s_add_co_i32 s0, s12, s0
	v_add_nc_u64_e32 v[4:5], s[14:15], v[4:5]
	s_and_b32 s29, s0, -8
	s_lshl_b32 s30, s6, 3
	s_sub_co_i32 s1, s12, s29
	v_cmp_gt_u32_e64 s2, 32, v0
	v_cmp_gt_u32_e64 s1, s1, v0
	v_lshl_or_b32 v10, v1, 2, 64
	v_add_lshl_u32 v13, v7, v1, 2
	v_cmp_gt_u32_e64 s4, 8, v0
	v_cmp_eq_u32_e64 s5, 0, v0
	v_add_nc_u64_e32 v[0:1], 28, v[4:5]
	s_cmp_neq_f32 s13, 0
	s_mov_b32 s19, s7
	v_cmp_gt_i32_e64 s0, s29, v8
	v_cmp_eq_u32_e64 s3, 0, v6
	v_and_b32_e32 v15, 28, v15
	s_mov_b32 s16, s12
	s_mul_u64 s[24:25], s[20:21], s[18:19]
	s_mul_i32 s19, s27, s28
	s_cselect_b32 s12, -1, 0
	s_lshl_b64 s[20:21], s[16:17], 2
	s_add_co_i32 s19, s18, s19
	s_lshl_b32 s31, s28, 16
	s_lshl_b32 s22, s6, 5
	s_mov_b32 s23, s7
	s_lshl_b64 s[10:11], s[10:11], 2
	s_lshl_b64 s[24:25], s[24:25], 2
	s_branch .LBB521_4
.LBB521_2:                              ;   in Loop: Header=BB521_4 Depth=1
	s_wait_dscnt 0x0
	flat_store_b32 v[4:5], v6
.LBB521_3:                              ;   in Loop: Header=BB521_4 Depth=1
	s_wait_xcnt 0x0
	s_or_b32 exec_lo, exec_lo, s6
	s_add_co_i32 s27, s27, 0x10000
	s_add_co_i32 s19, s19, s31
	s_cmp_lt_u32 s27, s26
	s_cbranch_scc0 .LBB521_21
.LBB521_4:                              ; =>This Loop Header: Depth=1
                                        ;     Child Loop BB521_14 Depth 2
	v_dual_mov_b32 v4, s27 :: v_dual_mov_b32 v16, 0
	global_load_b64 v[4:5], v4, s[8:9] scale_offset
	s_wait_xcnt 0x0
	s_and_saveexec_b32 s6, s0
	s_cbranch_execnz .LBB521_13
; %bb.5:                                ;   in Loop: Header=BB521_4 Depth=1
	s_or_b32 exec_lo, exec_lo, s6
	s_and_saveexec_b32 s33, s1
	s_cbranch_execnz .LBB521_16
.LBB521_6:                              ;   in Loop: Header=BB521_4 Depth=1
	s_or_b32 exec_lo, exec_lo, s33
	s_and_saveexec_b32 s6, s2
.LBB521_7:                              ;   in Loop: Header=BB521_4 Depth=1
	ds_store_b32 v9, v3
.LBB521_8:                              ;   in Loop: Header=BB521_4 Depth=1
	s_or_b32 exec_lo, exec_lo, s6
	s_wait_dscnt 0x0
	ds_bpermute_b32 v6, v10, v16
	s_wait_loadcnt_dscnt 0x0
	s_barrier_signal -1
	s_barrier_wait -1
	v_add_f32_e32 v6, v16, v6
	ds_bpermute_b32 v7, v11, v6
	s_wait_dscnt 0x0
	v_add_f32_e32 v6, v6, v7
	ds_bpermute_b32 v7, v12, v6
	s_wait_dscnt 0x0
	;; [unrolled: 3-line block ×3, first 2 shown]
	v_add_f32_e32 v6, v6, v7
	ds_bpermute_b32 v7, v14, v6
	s_and_saveexec_b32 s6, s3
	s_cbranch_execz .LBB521_10
; %bb.9:                                ;   in Loop: Header=BB521_4 Depth=1
	s_wait_dscnt 0x0
	v_add_f32_e32 v6, v6, v7
	ds_store_b32 v15, v6
.LBB521_10:                             ;   in Loop: Header=BB521_4 Depth=1
	s_or_b32 exec_lo, exec_lo, s6
	v_mov_b32_e32 v6, 0
	s_wait_dscnt 0x0
	s_barrier_signal -1
	s_barrier_wait -1
	s_and_saveexec_b32 s6, s4
	s_cbranch_execnz .LBB521_17
; %bb.11:                               ;   in Loop: Header=BB521_4 Depth=1
	s_or_b32 exec_lo, exec_lo, s6
	s_and_saveexec_b32 s6, s2
	s_cbranch_execnz .LBB521_18
.LBB521_12:                             ;   in Loop: Header=BB521_4 Depth=1
	s_or_b32 exec_lo, exec_lo, s6
	s_and_saveexec_b32 s6, s5
	s_cbranch_execz .LBB521_3
	s_branch .LBB521_19
.LBB521_13:                             ;   in Loop: Header=BB521_4 Depth=1
	s_wait_dscnt 0x0
	v_mad_nc_u64_u32 v[6:7], s20, s19, v[0:1]
	v_dual_mov_b32 v16, 0 :: v_dual_mov_b32 v17, v8
	s_mov_b32 s33, 0
	s_delay_alu instid0(VALU_DEP_2)
	v_mad_u32 v7, s21, s19, v7
.LBB521_14:                             ;   Parent Loop BB521_4 Depth=1
                                        ; =>  This Inner Loop Header: Depth=2
	s_clause 0x1
	global_load_b128 v[18:21], v[6:7], off offset:-28
	global_load_b128 v[22:25], v[6:7], off offset:-12
	s_wait_xcnt 0x0
	v_add_nc_u64_e32 v[6:7], s[22:23], v[6:7]
	v_add_nc_u32_e32 v17, s30, v17
	s_delay_alu instid0(VALU_DEP_1) | instskip(SKIP_3) | instid1(VALU_DEP_1)
	v_cmp_le_i32_e32 vcc_lo, s29, v17
	s_or_b32 s33, vcc_lo, s33
	s_wait_loadcnt 0x1
	v_add_f32_e32 v16, v16, v18
	v_add_f32_e32 v16, v16, v19
	s_delay_alu instid0(VALU_DEP_1) | instskip(NEXT) | instid1(VALU_DEP_1)
	v_add_f32_e32 v16, v16, v20
	v_add_f32_e32 v16, v16, v21
	s_wait_loadcnt 0x0
	s_delay_alu instid0(VALU_DEP_1) | instskip(NEXT) | instid1(VALU_DEP_1)
	v_add_f32_e32 v16, v16, v22
	v_add_f32_e32 v16, v16, v23
	s_delay_alu instid0(VALU_DEP_1) | instskip(NEXT) | instid1(VALU_DEP_1)
	v_add_f32_e32 v16, v16, v24
	v_add_f32_e32 v16, v16, v25
	s_and_not1_b32 exec_lo, exec_lo, s33
	s_cbranch_execnz .LBB521_14
; %bb.15:                               ;   in Loop: Header=BB521_4 Depth=1
	s_or_b32 exec_lo, exec_lo, s33
	s_delay_alu instid0(SALU_CYCLE_1)
	s_or_b32 exec_lo, exec_lo, s6
	s_and_saveexec_b32 s33, s1
	s_cbranch_execz .LBB521_6
.LBB521_16:                             ;   in Loop: Header=BB521_4 Depth=1
	s_mul_i32 s6, s28, s27
	s_delay_alu instid0(SALU_CYCLE_1) | instskip(NEXT) | instid1(SALU_CYCLE_1)
	s_add_co_i32 s6, s6, s18
	s_mul_u64 s[34:35], s[6:7], s[16:17]
	s_delay_alu instid0(SALU_CYCLE_1) | instskip(NEXT) | instid1(SALU_CYCLE_1)
	s_lshl_b64 s[34:35], s[34:35], 2
	s_add_nc_u64 s[34:35], s[14:15], s[34:35]
	s_wait_dscnt 0x0
	v_lshl_add_u64 v[6:7], v[2:3], 2, s[34:35]
	global_load_b32 v6, v[6:7], off
	s_wait_loadcnt 0x0
	v_add_f32_e32 v16, v16, v6
	s_wait_xcnt 0x0
	s_or_b32 exec_lo, exec_lo, s33
	s_and_saveexec_b32 s6, s2
	s_cbranch_execnz .LBB521_7
	s_branch .LBB521_8
.LBB521_17:                             ;   in Loop: Header=BB521_4 Depth=1
	ds_load_b32 v6, v9
	s_or_b32 exec_lo, exec_lo, s6
	s_and_saveexec_b32 s6, s2
	s_cbranch_execz .LBB521_12
.LBB521_18:                             ;   in Loop: Header=BB521_4 Depth=1
	s_wait_dscnt 0x0
	ds_bpermute_b32 v7, v12, v6
	s_wait_dscnt 0x0
	v_add_f32_e32 v6, v6, v7
	ds_bpermute_b32 v7, v13, v6
	s_wait_dscnt 0x0
	v_add_f32_e32 v6, v6, v7
	;; [unrolled: 3-line block ×3, first 2 shown]
	s_or_b32 exec_lo, exec_lo, s6
	s_and_saveexec_b32 s6, s5
	s_cbranch_execz .LBB521_3
.LBB521_19:                             ;   in Loop: Header=BB521_4 Depth=1
	v_add_nc_u64_e32 v[4:5], s[10:11], v[4:5]
	s_and_not1_b32 vcc_lo, exec_lo, s12
	s_delay_alu instid0(VALU_DEP_1)
	v_add_nc_u64_e32 v[4:5], s[24:25], v[4:5]
	s_cbranch_vccnz .LBB521_2
; %bb.20:                               ;   in Loop: Header=BB521_4 Depth=1
	flat_load_b32 v7, v[4:5]
	s_wait_loadcnt_dscnt 0x0
	v_fmac_f32_e32 v6, s13, v7
	s_branch .LBB521_2
.LBB521_21:
	s_endpgm
	.section	.rodata,"a",@progbits
	.p2align	6, 0x0
	.amdhsa_kernel _ZL23rocblas_gemvt_sn_reduceILi256ELi8EffKPfEviT2_lPT3_lilPT1_i
		.amdhsa_group_segment_fixed_size 128
		.amdhsa_private_segment_fixed_size 0
		.amdhsa_kernarg_size 320
		.amdhsa_user_sgpr_count 2
		.amdhsa_user_sgpr_dispatch_ptr 0
		.amdhsa_user_sgpr_queue_ptr 0
		.amdhsa_user_sgpr_kernarg_segment_ptr 1
		.amdhsa_user_sgpr_dispatch_id 0
		.amdhsa_user_sgpr_kernarg_preload_length 0
		.amdhsa_user_sgpr_kernarg_preload_offset 0
		.amdhsa_user_sgpr_private_segment_size 0
		.amdhsa_wavefront_size32 1
		.amdhsa_uses_dynamic_stack 0
		.amdhsa_enable_private_segment 0
		.amdhsa_system_sgpr_workgroup_id_x 1
		.amdhsa_system_sgpr_workgroup_id_y 1
		.amdhsa_system_sgpr_workgroup_id_z 1
		.amdhsa_system_sgpr_workgroup_info 0
		.amdhsa_system_vgpr_workitem_id 0
		.amdhsa_next_free_vgpr 26
		.amdhsa_next_free_sgpr 36
		.amdhsa_named_barrier_count 0
		.amdhsa_reserve_vcc 1
		.amdhsa_float_round_mode_32 0
		.amdhsa_float_round_mode_16_64 0
		.amdhsa_float_denorm_mode_32 3
		.amdhsa_float_denorm_mode_16_64 3
		.amdhsa_fp16_overflow 0
		.amdhsa_memory_ordered 1
		.amdhsa_forward_progress 1
		.amdhsa_inst_pref_size 9
		.amdhsa_round_robin_scheduling 0
		.amdhsa_exception_fp_ieee_invalid_op 0
		.amdhsa_exception_fp_denorm_src 0
		.amdhsa_exception_fp_ieee_div_zero 0
		.amdhsa_exception_fp_ieee_overflow 0
		.amdhsa_exception_fp_ieee_underflow 0
		.amdhsa_exception_fp_ieee_inexact 0
		.amdhsa_exception_int_div_zero 0
	.end_amdhsa_kernel
	.section	.text._ZL23rocblas_gemvt_sn_reduceILi256ELi8EffKPfEviT2_lPT3_lilPT1_i,"axG",@progbits,_ZL23rocblas_gemvt_sn_reduceILi256ELi8EffKPfEviT2_lPT3_lilPT1_i,comdat
.Lfunc_end521:
	.size	_ZL23rocblas_gemvt_sn_reduceILi256ELi8EffKPfEviT2_lPT3_lilPT1_i, .Lfunc_end521-_ZL23rocblas_gemvt_sn_reduceILi256ELi8EffKPfEviT2_lPT3_lilPT1_i
                                        ; -- End function
	.set _ZL23rocblas_gemvt_sn_reduceILi256ELi8EffKPfEviT2_lPT3_lilPT1_i.num_vgpr, 26
	.set _ZL23rocblas_gemvt_sn_reduceILi256ELi8EffKPfEviT2_lPT3_lilPT1_i.num_agpr, 0
	.set _ZL23rocblas_gemvt_sn_reduceILi256ELi8EffKPfEviT2_lPT3_lilPT1_i.numbered_sgpr, 36
	.set _ZL23rocblas_gemvt_sn_reduceILi256ELi8EffKPfEviT2_lPT3_lilPT1_i.num_named_barrier, 0
	.set _ZL23rocblas_gemvt_sn_reduceILi256ELi8EffKPfEviT2_lPT3_lilPT1_i.private_seg_size, 0
	.set _ZL23rocblas_gemvt_sn_reduceILi256ELi8EffKPfEviT2_lPT3_lilPT1_i.uses_vcc, 1
	.set _ZL23rocblas_gemvt_sn_reduceILi256ELi8EffKPfEviT2_lPT3_lilPT1_i.uses_flat_scratch, 0
	.set _ZL23rocblas_gemvt_sn_reduceILi256ELi8EffKPfEviT2_lPT3_lilPT1_i.has_dyn_sized_stack, 0
	.set _ZL23rocblas_gemvt_sn_reduceILi256ELi8EffKPfEviT2_lPT3_lilPT1_i.has_recursion, 0
	.set _ZL23rocblas_gemvt_sn_reduceILi256ELi8EffKPfEviT2_lPT3_lilPT1_i.has_indirect_call, 0
	.section	.AMDGPU.csdata,"",@progbits
; Kernel info:
; codeLenInByte = 1116
; TotalNumSgprs: 38
; NumVgprs: 26
; ScratchSize: 0
; MemoryBound: 0
; FloatMode: 240
; IeeeMode: 1
; LDSByteSize: 128 bytes/workgroup (compile time only)
; SGPRBlocks: 0
; VGPRBlocks: 1
; NumSGPRsForWavesPerEU: 38
; NumVGPRsForWavesPerEU: 26
; NamedBarCnt: 0
; Occupancy: 16
; WaveLimiterHint : 1
; COMPUTE_PGM_RSRC2:SCRATCH_EN: 0
; COMPUTE_PGM_RSRC2:USER_SGPR: 2
; COMPUTE_PGM_RSRC2:TRAP_HANDLER: 0
; COMPUTE_PGM_RSRC2:TGID_X_EN: 1
; COMPUTE_PGM_RSRC2:TGID_Y_EN: 1
; COMPUTE_PGM_RSRC2:TGID_Z_EN: 1
; COMPUTE_PGM_RSRC2:TIDIG_COMP_CNT: 0
	.section	.text._ZL32rocblas_gemvt_warp_reduce_kernelILb0ELi256EiPKDF16_PKfKPfEviiT3_lPKT2_lT1_lS9_lSA_lS6_lPT4_lSA_li,"axG",@progbits,_ZL32rocblas_gemvt_warp_reduce_kernelILb0ELi256EiPKDF16_PKfKPfEviiT3_lPKT2_lT1_lS9_lSA_lS6_lPT4_lSA_li,comdat
	.globl	_ZL32rocblas_gemvt_warp_reduce_kernelILb0ELi256EiPKDF16_PKfKPfEviiT3_lPKT2_lT1_lS9_lSA_lS6_lPT4_lSA_li ; -- Begin function _ZL32rocblas_gemvt_warp_reduce_kernelILb0ELi256EiPKDF16_PKfKPfEviiT3_lPKT2_lT1_lS9_lSA_lS6_lPT4_lSA_li
	.p2align	8
	.type	_ZL32rocblas_gemvt_warp_reduce_kernelILb0ELi256EiPKDF16_PKfKPfEviiT3_lPKT2_lT1_lS9_lSA_lS6_lPT4_lSA_li,@function
_ZL32rocblas_gemvt_warp_reduce_kernelILb0ELi256EiPKDF16_PKfKPfEviiT3_lPKT2_lT1_lS9_lSA_lS6_lPT4_lSA_li: ; @_ZL32rocblas_gemvt_warp_reduce_kernelILb0ELi256EiPKDF16_PKfKPfEviiT3_lPKT2_lT1_lS9_lSA_lS6_lPT4_lSA_li
; %bb.0:
	s_load_b32 s33, s[0:1], 0x88
	s_bfe_u32 s2, ttmp6, 0x40014
	s_lshr_b32 s3, ttmp7, 16
	s_add_co_i32 s2, s2, 1
	s_bfe_u32 s5, ttmp6, 0x40008
	s_mul_i32 s4, s3, s2
	s_getreg_b32 s2, hwreg(HW_REG_IB_STS2, 6, 4)
	s_add_co_i32 s5, s5, s4
	s_cmp_eq_u32 s2, 0
	s_mov_b32 s29, 0
	s_cselect_b32 s28, s3, s5
	s_wait_kmcnt 0x0
	s_cmp_ge_u32 s28, s33
	s_cbranch_scc1 .LBB522_38
; %bb.1:
	s_clause 0x6
	s_load_b32 s5, s[0:1], 0x0
	s_load_b256 s[8:15], s[0:1], 0x8
	s_load_b32 s4, s[0:1], 0x28
	s_load_b128 s[24:27], s[0:1], 0x38
	s_load_b32 s7, s[0:1], 0x48
	s_load_b256 s[16:23], s[0:1], 0x58
	s_load_b32 s6, s[0:1], 0x78
	s_wait_xcnt 0x0
	s_bfe_u32 s1, ttmp6, 0x4000c
	s_and_b32 s3, ttmp6, 15
	s_add_co_i32 s1, s1, 1
	v_dual_mov_b32 v3, 0 :: v_dual_bitop2_b32 v2, 31, v0 bitop3:0x40
	s_mul_i32 s30, ttmp9, s1
	v_lshrrev_b32_e32 v4, 3, v0
	s_add_co_i32 s3, s3, s30
	s_cmp_eq_u32 s2, 0
	v_lshlrev_b32_e32 v14, 2, v2
	s_cselect_b32 s31, ttmp9, s3
	v_mbcnt_lo_u32_b32 v1, -1, 0
	v_cmp_eq_u32_e64 s0, 0, v0
	s_wait_kmcnt 0x0
	s_ashr_i32 s3, s5, 31
	v_cmp_gt_i32_e32 vcc_lo, s5, v0
	s_lshr_b32 s3, s3, 24
	v_cmp_gt_u32_e64 s1, 32, v0
	s_add_co_i32 s3, s5, s3
	v_mul_lo_u32 v16, v0, s7
	s_and_b32 s30, s3, 0xffffff00
	v_cmp_eq_u32_e64 s3, 0, v2
	v_dual_cndmask_b32 v2, 0, v0, vcc_lo :: v_dual_bitop2_b32 v5, s30, v0 bitop3:0x54
	v_and_b32_e32 v15, 28, v4
	s_mul_i32 s6, s6, s31
	v_cmp_gt_u32_e64 s2, 8, v0
	s_delay_alu instid0(VALU_DEP_3)
	v_mul_lo_u32 v4, s7, v5
	s_mul_i32 s34, s4, s31
	v_lshlrev_b32_e32 v2, 1, v2
	v_cmp_gt_i32_e64 s4, s30, v0
	v_cmp_gt_i32_e64 s5, s5, v5
	v_lshl_or_b32 v17, v1, 2, 64
	s_lshl_b32 s38, s7, 8
	s_ashr_i32 s7, s6, 31
	s_lshl_b64 s[14:15], s[14:15], 1
	s_ashr_i32 s35, s34, 31
	s_ashr_i32 s31, s30, 31
	v_ashrrev_i32_e32 v5, 31, v4
	s_lshl_b64 s[26:27], s[26:27], 1
	s_lshl_b64 s[22:23], s[22:23], 2
	;; [unrolled: 1-line block ×3, first 2 shown]
	s_branch .LBB522_4
.LBB522_2:                              ;   in Loop: Header=BB522_4 Depth=1
	s_wait_xcnt 0x0
	s_or_b32 exec_lo, exec_lo, s7
.LBB522_3:                              ;   in Loop: Header=BB522_4 Depth=1
	s_add_co_i32 s28, s28, 0x10000
	s_delay_alu instid0(SALU_CYCLE_1)
	s_cmp_lt_u32 s28, s33
	s_cbranch_scc0 .LBB522_38
.LBB522_4:                              ; =>This Loop Header: Depth=1
                                        ;     Child Loop BB522_27 Depth 2
	s_mul_u64 s[6:7], s[10:11], s[28:29]
	s_wait_xcnt 0x0
	s_mul_u64 s[40:41], s[18:19], s[28:29]
	s_lshl_b64 s[6:7], s[6:7], 2
	s_lshl_b64 s[40:41], s[40:41], 2
	s_add_nc_u64 s[6:7], s[8:9], s[6:7]
	s_add_nc_u64 s[40:41], s[16:17], s[40:41]
	s_clause 0x1
	global_load_b32 v18, v3, s[6:7]
	global_load_b32 v6, v3, s[40:41]
	s_wait_loadcnt 0x1
	s_wait_xcnt 0x1
	v_cmp_eq_f32_e64 s6, 0, v18
	s_wait_loadcnt 0x0
	v_cmp_eq_f32_e32 vcc_lo, 1.0, v6
	v_readfirstlane_b32 s39, v6
	s_and_b32 s7, s6, vcc_lo
	s_delay_alu instid0(SALU_CYCLE_1)
	s_and_b32 vcc_lo, exec_lo, s7
	s_cbranch_vccnz .LBB522_3
; %bb.5:                                ;   in Loop: Header=BB522_4 Depth=1
	v_mov_b64_e32 v[8:9], 0
	s_wait_dscnt 0x0
	v_mov_b64_e32 v[10:11], 0
	v_cmp_neq_f32_e64 s7, 0, v18
	s_and_b32 vcc_lo, exec_lo, s6
	s_cbranch_vccnz .LBB522_7
; %bb.6:                                ;   in Loop: Header=BB522_4 Depth=1
	s_wait_xcnt 0x0
	s_lshl_b64 s[40:41], s[28:29], 3
	s_delay_alu instid0(SALU_CYCLE_1)
	s_add_nc_u64 s[40:41], s[12:13], s[40:41]
	global_load_b64 v[6:7], v3, s[40:41]
	s_wait_loadcnt 0x0
	v_add_nc_u64_e32 v[10:11], s[14:15], v[6:7]
.LBB522_7:                              ;   in Loop: Header=BB522_4 Depth=1
	s_and_not1_b32 vcc_lo, exec_lo, s7
	s_cbranch_vccnz .LBB522_9
; %bb.8:                                ;   in Loop: Header=BB522_4 Depth=1
	s_wait_xcnt 0x0
	s_lshl_b64 s[40:41], s[28:29], 3
	s_delay_alu instid0(SALU_CYCLE_1)
	s_add_nc_u64 s[40:41], s[24:25], s[40:41]
	global_load_b64 v[6:7], v3, s[40:41]
	s_wait_loadcnt 0x0
	v_add_nc_u64_e32 v[8:9], s[26:27], v[6:7]
.LBB522_9:                              ;   in Loop: Header=BB522_4 Depth=1
	s_wait_xcnt 0x0
	s_lshl_b64 s[40:41], s[28:29], 3
	s_and_not1_b32 vcc_lo, exec_lo, s6
	s_add_nc_u64 s[40:41], s[20:21], s[40:41]
	global_load_b64 v[6:7], v3, s[40:41]
	s_wait_loadcnt 0x0
	v_add_nc_u64_e32 v[6:7], s[22:23], v[6:7]
	s_cbranch_vccnz .LBB522_13
; %bb.10:                               ;   in Loop: Header=BB522_4 Depth=1
	s_mov_b32 s7, 0
	s_mov_b32 s6, 0
                                        ; implicit-def: $vgpr12
	s_wait_xcnt 0x0
	s_and_saveexec_b32 s40, s0
	s_cbranch_execz .LBB522_14
; %bb.11:                               ;   in Loop: Header=BB522_4 Depth=1
	s_cmp_eq_f32 s39, 0
	s_cbranch_scc1 .LBB522_15
; %bb.12:                               ;   in Loop: Header=BB522_4 Depth=1
	v_add_nc_u64_e32 v[12:13], s[36:37], v[6:7]
	flat_load_b32 v12, v[12:13]
	s_wait_loadcnt_dscnt 0x0
	s_wait_xcnt 0x0
	v_mul_f32_e32 v12, s39, v12
	s_branch .LBB522_16
.LBB522_13:                             ;   in Loop: Header=BB522_4 Depth=1
	s_mov_b32 s6, 0
                                        ; implicit-def: $vgpr12
	s_cbranch_execnz .LBB522_17
	s_branch .LBB522_36
.LBB522_14:                             ;   in Loop: Header=BB522_4 Depth=1
	s_or_b32 exec_lo, exec_lo, s40
	s_delay_alu instid0(SALU_CYCLE_1)
	s_and_b32 vcc_lo, exec_lo, s7
	s_cbranch_vccnz .LBB522_17
	s_branch .LBB522_36
.LBB522_15:                             ;   in Loop: Header=BB522_4 Depth=1
	v_mov_b32_e32 v12, 0
.LBB522_16:                             ;   in Loop: Header=BB522_4 Depth=1
	s_mov_b32 s6, exec_lo
	s_or_b32 exec_lo, exec_lo, s40
	s_delay_alu instid0(SALU_CYCLE_1)
	s_and_b32 vcc_lo, exec_lo, s7
	s_cbranch_vccz .LBB522_36
.LBB522_17:                             ;   in Loop: Header=BB522_4 Depth=1
	v_add_nc_u64_e32 v[10:11], v[10:11], v[2:3]
	v_mov_b32_e32 v19, 0
	s_delay_alu instid0(VALU_DEP_2)
	v_lshl_add_u64 v[10:11], s[34:35], 1, v[10:11]
	s_wait_xcnt 0x0
	s_and_saveexec_b32 s7, s4
	s_cbranch_execnz .LBB522_26
; %bb.18:                               ;   in Loop: Header=BB522_4 Depth=1
	s_or_b32 exec_lo, exec_lo, s7
	s_and_saveexec_b32 s7, s5
	s_cbranch_execnz .LBB522_29
.LBB522_19:                             ;   in Loop: Header=BB522_4 Depth=1
	s_or_b32 exec_lo, exec_lo, s7
	s_and_saveexec_b32 s7, s1
.LBB522_20:                             ;   in Loop: Header=BB522_4 Depth=1
	ds_store_b32 v14, v3
.LBB522_21:                             ;   in Loop: Header=BB522_4 Depth=1
	s_or_b32 exec_lo, exec_lo, s7
	ds_bpermute_b32 v8, v17, v19
	v_cmp_gt_u32_e32 vcc_lo, 24, v1
	s_wait_dscnt 0x0
	s_barrier_signal -1
	s_barrier_wait -1
	v_cndmask_b32_e64 v9, 0, 8, vcc_lo
	v_cmp_gt_u32_e32 vcc_lo, 28, v1
	s_delay_alu instid0(VALU_DEP_2)
	v_add_lshl_u32 v9, v9, v1, 2
	v_add_f32_e32 v10, v19, v8
	v_cndmask_b32_e64 v8, 0, 4, vcc_lo
	v_cmp_gt_u32_e32 vcc_lo, 30, v1
	ds_bpermute_b32 v9, v9, v10
	v_add_lshl_u32 v8, v8, v1, 2
	s_wait_dscnt 0x0
	v_add_f32_e32 v10, v10, v9
	v_cndmask_b32_e64 v9, 0, 2, vcc_lo
	v_cmp_ne_u32_e32 vcc_lo, 31, v1
	ds_bpermute_b32 v11, v8, v10
	v_add_lshl_u32 v9, v9, v1, 2
	v_add_co_ci_u32_e64 v12, null, 0, v1, vcc_lo
	s_wait_dscnt 0x0
	v_add_f32_e32 v10, v10, v11
	ds_bpermute_b32 v11, v9, v10
	s_wait_dscnt 0x0
	v_dual_add_f32 v11, v10, v11 :: v_dual_lshlrev_b32 v10, 2, v12
	ds_bpermute_b32 v12, v10, v11
	s_and_saveexec_b32 s7, s3
	s_cbranch_execz .LBB522_23
; %bb.22:                               ;   in Loop: Header=BB522_4 Depth=1
	s_wait_dscnt 0x0
	v_add_f32_e32 v11, v11, v12
	ds_store_b32 v15, v11
.LBB522_23:                             ;   in Loop: Header=BB522_4 Depth=1
	s_or_b32 exec_lo, exec_lo, s7
	v_mov_b32_e32 v11, 0
	s_wait_dscnt 0x0
	s_barrier_signal -1
	s_barrier_wait -1
	s_and_saveexec_b32 s7, s2
	s_cbranch_execnz .LBB522_30
; %bb.24:                               ;   in Loop: Header=BB522_4 Depth=1
	s_or_b32 exec_lo, exec_lo, s7
	s_and_saveexec_b32 s7, s1
	s_cbranch_execnz .LBB522_31
.LBB522_25:                             ;   in Loop: Header=BB522_4 Depth=1
	s_or_b32 exec_lo, exec_lo, s7
                                        ; implicit-def: $vgpr12
	s_and_saveexec_b32 s7, s0
	s_cbranch_execnz .LBB522_32
	s_branch .LBB522_35
.LBB522_26:                             ;   in Loop: Header=BB522_4 Depth=1
	s_delay_alu instid0(VALU_DEP_1)
	v_mov_b64_e32 v[12:13], v[10:11]
	v_dual_mov_b32 v19, 0 :: v_dual_mov_b32 v20, v16
	v_mov_b32_e32 v21, v0
	s_mov_b32 s40, 0
.LBB522_27:                             ;   Parent Loop BB522_4 Depth=1
                                        ; =>  This Inner Loop Header: Depth=2
	v_readfirstlane_b32 s42, v8
	v_readfirstlane_b32 s43, v9
	s_delay_alu instid0(VALU_DEP_3)
	v_add_nc_u32_e32 v21, 0x100, v21
	flat_load_u16 v22, v[12:13]
	flat_load_u16 v23, v20, s[42:43] scale_offset
	s_wait_xcnt 0x1
	v_add_nc_u64_e32 v[12:13], 0x200, v[12:13]
	v_cmp_le_i32_e32 vcc_lo, s30, v21
	s_or_b32 s40, vcc_lo, s40
	s_wait_loadcnt_dscnt 0x0
	v_mul_f16_e32 v22, v22, v23
	s_delay_alu instid0(VALU_DEP_1) | instskip(SKIP_1) | instid1(VALU_DEP_1)
	v_cvt_f32_f16_e32 v22, v22
	s_wait_xcnt 0x0
	v_dual_add_f32 v19, v19, v22 :: v_dual_add_nc_u32 v20, s38, v20
	s_and_not1_b32 exec_lo, exec_lo, s40
	s_cbranch_execnz .LBB522_27
; %bb.28:                               ;   in Loop: Header=BB522_4 Depth=1
	s_or_b32 exec_lo, exec_lo, s40
	s_delay_alu instid0(SALU_CYCLE_1)
	s_or_b32 exec_lo, exec_lo, s7
	s_and_saveexec_b32 s7, s5
	s_cbranch_execz .LBB522_19
.LBB522_29:                             ;   in Loop: Header=BB522_4 Depth=1
	v_lshl_add_u64 v[10:11], s[30:31], 1, v[10:11]
	v_lshl_add_u64 v[8:9], v[4:5], 1, v[8:9]
	flat_load_u16 v12, v[10:11]
	flat_load_u16 v13, v[8:9]
	s_wait_loadcnt_dscnt 0x0
	s_wait_xcnt 0x0
	v_mul_f16_e32 v8, v12, v13
	s_delay_alu instid0(VALU_DEP_1) | instskip(NEXT) | instid1(VALU_DEP_1)
	v_cvt_f32_f16_e32 v8, v8
	v_add_f32_e32 v19, v19, v8
	s_or_b32 exec_lo, exec_lo, s7
	s_and_saveexec_b32 s7, s1
	s_cbranch_execnz .LBB522_20
	s_branch .LBB522_21
.LBB522_30:                             ;   in Loop: Header=BB522_4 Depth=1
	ds_load_b32 v11, v14
	s_or_b32 exec_lo, exec_lo, s7
	s_and_saveexec_b32 s7, s1
	s_cbranch_execz .LBB522_25
.LBB522_31:                             ;   in Loop: Header=BB522_4 Depth=1
	s_wait_dscnt 0x0
	ds_bpermute_b32 v8, v8, v11
	s_wait_dscnt 0x0
	v_add_f32_e32 v8, v11, v8
	ds_bpermute_b32 v9, v9, v8
	s_wait_dscnt 0x0
	v_add_f32_e32 v8, v8, v9
	;; [unrolled: 3-line block ×3, first 2 shown]
	s_or_b32 exec_lo, exec_lo, s7
                                        ; implicit-def: $vgpr12
	s_and_saveexec_b32 s7, s0
	s_cbranch_execz .LBB522_35
.LBB522_32:                             ;   in Loop: Header=BB522_4 Depth=1
	s_wait_dscnt 0x0
	v_mul_f32_e32 v12, v18, v11
	s_cmp_eq_f32 s39, 0
	s_cbranch_scc1 .LBB522_34
; %bb.33:                               ;   in Loop: Header=BB522_4 Depth=1
	v_add_nc_u64_e32 v[8:9], s[36:37], v[6:7]
	flat_load_b32 v8, v[8:9]
	s_wait_loadcnt_dscnt 0x0
	v_fmac_f32_e32 v12, s39, v8
.LBB522_34:                             ;   in Loop: Header=BB522_4 Depth=1
	s_or_b32 s6, s6, exec_lo
.LBB522_35:                             ;   in Loop: Header=BB522_4 Depth=1
	s_wait_xcnt 0x0
	s_or_b32 exec_lo, exec_lo, s7
.LBB522_36:                             ;   in Loop: Header=BB522_4 Depth=1
	s_wait_xcnt 0x0
	s_and_saveexec_b32 s7, s6
	s_cbranch_execz .LBB522_2
; %bb.37:                               ;   in Loop: Header=BB522_4 Depth=1
	v_add_nc_u64_e32 v[6:7], s[36:37], v[6:7]
	flat_store_b32 v[6:7], v12
	s_branch .LBB522_2
.LBB522_38:
	s_endpgm
	.section	.rodata,"a",@progbits
	.p2align	6, 0x0
	.amdhsa_kernel _ZL32rocblas_gemvt_warp_reduce_kernelILb0ELi256EiPKDF16_PKfKPfEviiT3_lPKT2_lT1_lS9_lSA_lS6_lPT4_lSA_li
		.amdhsa_group_segment_fixed_size 128
		.amdhsa_private_segment_fixed_size 0
		.amdhsa_kernarg_size 140
		.amdhsa_user_sgpr_count 2
		.amdhsa_user_sgpr_dispatch_ptr 0
		.amdhsa_user_sgpr_queue_ptr 0
		.amdhsa_user_sgpr_kernarg_segment_ptr 1
		.amdhsa_user_sgpr_dispatch_id 0
		.amdhsa_user_sgpr_kernarg_preload_length 0
		.amdhsa_user_sgpr_kernarg_preload_offset 0
		.amdhsa_user_sgpr_private_segment_size 0
		.amdhsa_wavefront_size32 1
		.amdhsa_uses_dynamic_stack 0
		.amdhsa_enable_private_segment 0
		.amdhsa_system_sgpr_workgroup_id_x 1
		.amdhsa_system_sgpr_workgroup_id_y 0
		.amdhsa_system_sgpr_workgroup_id_z 1
		.amdhsa_system_sgpr_workgroup_info 0
		.amdhsa_system_vgpr_workitem_id 0
		.amdhsa_next_free_vgpr 24
		.amdhsa_next_free_sgpr 44
		.amdhsa_named_barrier_count 0
		.amdhsa_reserve_vcc 1
		.amdhsa_float_round_mode_32 0
		.amdhsa_float_round_mode_16_64 0
		.amdhsa_float_denorm_mode_32 3
		.amdhsa_float_denorm_mode_16_64 3
		.amdhsa_fp16_overflow 0
		.amdhsa_memory_ordered 1
		.amdhsa_forward_progress 1
		.amdhsa_inst_pref_size 12
		.amdhsa_round_robin_scheduling 0
		.amdhsa_exception_fp_ieee_invalid_op 0
		.amdhsa_exception_fp_denorm_src 0
		.amdhsa_exception_fp_ieee_div_zero 0
		.amdhsa_exception_fp_ieee_overflow 0
		.amdhsa_exception_fp_ieee_underflow 0
		.amdhsa_exception_fp_ieee_inexact 0
		.amdhsa_exception_int_div_zero 0
	.end_amdhsa_kernel
	.section	.text._ZL32rocblas_gemvt_warp_reduce_kernelILb0ELi256EiPKDF16_PKfKPfEviiT3_lPKT2_lT1_lS9_lSA_lS6_lPT4_lSA_li,"axG",@progbits,_ZL32rocblas_gemvt_warp_reduce_kernelILb0ELi256EiPKDF16_PKfKPfEviiT3_lPKT2_lT1_lS9_lSA_lS6_lPT4_lSA_li,comdat
.Lfunc_end522:
	.size	_ZL32rocblas_gemvt_warp_reduce_kernelILb0ELi256EiPKDF16_PKfKPfEviiT3_lPKT2_lT1_lS9_lSA_lS6_lPT4_lSA_li, .Lfunc_end522-_ZL32rocblas_gemvt_warp_reduce_kernelILb0ELi256EiPKDF16_PKfKPfEviiT3_lPKT2_lT1_lS9_lSA_lS6_lPT4_lSA_li
                                        ; -- End function
	.set _ZL32rocblas_gemvt_warp_reduce_kernelILb0ELi256EiPKDF16_PKfKPfEviiT3_lPKT2_lT1_lS9_lSA_lS6_lPT4_lSA_li.num_vgpr, 24
	.set _ZL32rocblas_gemvt_warp_reduce_kernelILb0ELi256EiPKDF16_PKfKPfEviiT3_lPKT2_lT1_lS9_lSA_lS6_lPT4_lSA_li.num_agpr, 0
	.set _ZL32rocblas_gemvt_warp_reduce_kernelILb0ELi256EiPKDF16_PKfKPfEviiT3_lPKT2_lT1_lS9_lSA_lS6_lPT4_lSA_li.numbered_sgpr, 44
	.set _ZL32rocblas_gemvt_warp_reduce_kernelILb0ELi256EiPKDF16_PKfKPfEviiT3_lPKT2_lT1_lS9_lSA_lS6_lPT4_lSA_li.num_named_barrier, 0
	.set _ZL32rocblas_gemvt_warp_reduce_kernelILb0ELi256EiPKDF16_PKfKPfEviiT3_lPKT2_lT1_lS9_lSA_lS6_lPT4_lSA_li.private_seg_size, 0
	.set _ZL32rocblas_gemvt_warp_reduce_kernelILb0ELi256EiPKDF16_PKfKPfEviiT3_lPKT2_lT1_lS9_lSA_lS6_lPT4_lSA_li.uses_vcc, 1
	.set _ZL32rocblas_gemvt_warp_reduce_kernelILb0ELi256EiPKDF16_PKfKPfEviiT3_lPKT2_lT1_lS9_lSA_lS6_lPT4_lSA_li.uses_flat_scratch, 0
	.set _ZL32rocblas_gemvt_warp_reduce_kernelILb0ELi256EiPKDF16_PKfKPfEviiT3_lPKT2_lT1_lS9_lSA_lS6_lPT4_lSA_li.has_dyn_sized_stack, 0
	.set _ZL32rocblas_gemvt_warp_reduce_kernelILb0ELi256EiPKDF16_PKfKPfEviiT3_lPKT2_lT1_lS9_lSA_lS6_lPT4_lSA_li.has_recursion, 0
	.set _ZL32rocblas_gemvt_warp_reduce_kernelILb0ELi256EiPKDF16_PKfKPfEviiT3_lPKT2_lT1_lS9_lSA_lS6_lPT4_lSA_li.has_indirect_call, 0
	.section	.AMDGPU.csdata,"",@progbits
; Kernel info:
; codeLenInByte = 1456
; TotalNumSgprs: 46
; NumVgprs: 24
; ScratchSize: 0
; MemoryBound: 0
; FloatMode: 240
; IeeeMode: 1
; LDSByteSize: 128 bytes/workgroup (compile time only)
; SGPRBlocks: 0
; VGPRBlocks: 1
; NumSGPRsForWavesPerEU: 46
; NumVGPRsForWavesPerEU: 24
; NamedBarCnt: 0
; Occupancy: 16
; WaveLimiterHint : 1
; COMPUTE_PGM_RSRC2:SCRATCH_EN: 0
; COMPUTE_PGM_RSRC2:USER_SGPR: 2
; COMPUTE_PGM_RSRC2:TRAP_HANDLER: 0
; COMPUTE_PGM_RSRC2:TGID_X_EN: 1
; COMPUTE_PGM_RSRC2:TGID_Y_EN: 0
; COMPUTE_PGM_RSRC2:TGID_Z_EN: 1
; COMPUTE_PGM_RSRC2:TIDIG_COMP_CNT: 0
	.section	.text._ZL32rocblas_gemvt_warp_reduce_kernelILb0ELi256ElPKDF16_PKfKPfEviiT3_lPKT2_lT1_lS9_lSA_lS6_lPT4_lSA_li,"axG",@progbits,_ZL32rocblas_gemvt_warp_reduce_kernelILb0ELi256ElPKDF16_PKfKPfEviiT3_lPKT2_lT1_lS9_lSA_lS6_lPT4_lSA_li,comdat
	.globl	_ZL32rocblas_gemvt_warp_reduce_kernelILb0ELi256ElPKDF16_PKfKPfEviiT3_lPKT2_lT1_lS9_lSA_lS6_lPT4_lSA_li ; -- Begin function _ZL32rocblas_gemvt_warp_reduce_kernelILb0ELi256ElPKDF16_PKfKPfEviiT3_lPKT2_lT1_lS9_lSA_lS6_lPT4_lSA_li
	.p2align	8
	.type	_ZL32rocblas_gemvt_warp_reduce_kernelILb0ELi256ElPKDF16_PKfKPfEviiT3_lPKT2_lT1_lS9_lSA_lS6_lPT4_lSA_li,@function
_ZL32rocblas_gemvt_warp_reduce_kernelILb0ELi256ElPKDF16_PKfKPfEviiT3_lPKT2_lT1_lS9_lSA_lS6_lPT4_lSA_li: ; @_ZL32rocblas_gemvt_warp_reduce_kernelILb0ELi256ElPKDF16_PKfKPfEviiT3_lPKT2_lT1_lS9_lSA_lS6_lPT4_lSA_li
; %bb.0:
	s_load_b32 s33, s[0:1], 0x88
	s_bfe_u32 s2, ttmp6, 0x40014
	s_lshr_b32 s3, ttmp7, 16
	s_add_co_i32 s2, s2, 1
	s_bfe_u32 s5, ttmp6, 0x40008
	s_mul_i32 s4, s3, s2
	s_getreg_b32 s2, hwreg(HW_REG_IB_STS2, 6, 4)
	s_add_co_i32 s5, s5, s4
	s_cmp_eq_u32 s2, 0
	s_mov_b32 s29, 0
	s_cselect_b32 s28, s3, s5
	s_wait_kmcnt 0x0
	s_cmp_ge_u32 s28, s33
	s_cbranch_scc1 .LBB523_38
; %bb.1:
	s_clause 0x1
	s_load_b32 s31, s[0:1], 0x0
	s_load_b64 s[6:7], s[0:1], 0x48
	s_bfe_u32 s3, ttmp6, 0x4000c
	s_and_b32 s4, ttmp6, 15
	s_add_co_i32 s3, s3, 1
	s_clause 0x2
	s_load_b256 s[8:15], s[0:1], 0x8
	s_load_b128 s[24:27], s[0:1], 0x38
	s_load_b256 s[16:23], s[0:1], 0x58
	s_mul_i32 s3, ttmp9, s3
	v_mbcnt_lo_u32_b32 v19, -1, 0
	s_add_co_i32 s4, s4, s3
	s_cmp_eq_u32 s2, 0
	s_load_b64 s[34:35], s[0:1], 0x28
	s_cselect_b32 s2, ttmp9, s4
	s_load_b64 s[4:5], s[0:1], 0x78
	s_wait_xcnt 0x0
	v_cmp_eq_u32_e64 s0, 0, v0
	v_lshl_or_b32 v20, v19, 2, 64
	s_wait_kmcnt 0x0
	s_ashr_i32 s3, s31, 31
	v_cmp_gt_i32_e32 vcc_lo, s31, v0
	s_lshr_b32 s3, s3, 24
	s_lshl_b64 s[36:37], s[6:7], 9
	s_add_co_i32 s3, s31, s3
	s_lshl_b64 s[14:15], s[14:15], 1
	s_and_b32 s30, s3, 0xffffff00
	s_delay_alu instid0(SALU_CYCLE_1) | instskip(SKIP_3) | instid1(VALU_DEP_2)
	v_dual_mov_b32 v3, 0 :: v_dual_bitop2_b32 v6, s30, v0 bitop3:0x54
	s_ashr_i32 s3, s2, 31
	v_cndmask_b32_e32 v2, 0, v0, vcc_lo
	s_mul_u64 s[34:35], s[34:35], s[2:3]
	v_dual_mov_b32 v1, v3 :: v_dual_ashrrev_i32 v7, 31, v6
	s_mul_u64 s[38:39], s[4:5], s[2:3]
	v_cmp_gt_i32_e64 s2, s31, v6
	v_cmp_gt_i32_e64 s1, s30, v0
	s_delay_alu instid0(VALU_DEP_3) | instskip(SKIP_4) | instid1(VALU_DEP_3)
	v_mul_u64_e32 v[8:9], s[6:7], v[0:1]
	v_mul_u64_e32 v[4:5], s[6:7], v[6:7]
	v_dual_lshrrev_b32 v6, 3, v0 :: v_dual_bitop2_b32 v7, 31, v0 bitop3:0x40
	v_cmp_gt_u32_e64 s3, 32, v0
	v_cmp_gt_u32_e64 s5, 8, v0
	v_dual_lshlrev_b32 v2, 1, v2 :: v_dual_lshlrev_b32 v1, 2, v7
	v_cmp_eq_u32_e64 s4, 0, v7
	v_and_b32_e32 v18, 28, v6
	s_ashr_i32 s31, s30, 31
	s_lshl_b64 s[26:27], s[26:27], 1
	s_lshl_b64 s[22:23], s[22:23], 2
	;; [unrolled: 1-line block ×3, first 2 shown]
	v_lshlrev_b64_e32 v[6:7], 1, v[8:9]
	s_branch .LBB523_4
.LBB523_2:                              ;   in Loop: Header=BB523_4 Depth=1
	s_wait_xcnt 0x0
	s_or_b32 exec_lo, exec_lo, s7
.LBB523_3:                              ;   in Loop: Header=BB523_4 Depth=1
	s_add_co_i32 s28, s28, 0x10000
	s_delay_alu instid0(SALU_CYCLE_1)
	s_cmp_lt_u32 s28, s33
	s_cbranch_scc0 .LBB523_38
.LBB523_4:                              ; =>This Loop Header: Depth=1
                                        ;     Child Loop BB523_27 Depth 2
	s_mul_u64 s[6:7], s[10:11], s[28:29]
	s_mul_u64 s[40:41], s[18:19], s[28:29]
	s_lshl_b64 s[6:7], s[6:7], 2
	s_lshl_b64 s[40:41], s[40:41], 2
	s_add_nc_u64 s[6:7], s[8:9], s[6:7]
	s_add_nc_u64 s[40:41], s[16:17], s[40:41]
	s_clause 0x1
	global_load_b32 v21, v3, s[6:7]
	global_load_b32 v8, v3, s[40:41]
	s_wait_loadcnt 0x1
	s_wait_xcnt 0x1
	v_cmp_eq_f32_e64 s6, 0, v21
	s_wait_loadcnt 0x0
	v_cmp_eq_f32_e32 vcc_lo, 1.0, v8
	s_wait_xcnt 0x0
	v_readfirstlane_b32 s40, v8
	s_and_b32 s7, s6, vcc_lo
	s_delay_alu instid0(SALU_CYCLE_1)
	s_and_b32 vcc_lo, exec_lo, s7
	s_cbranch_vccnz .LBB523_3
; %bb.5:                                ;   in Loop: Header=BB523_4 Depth=1
	v_mov_b64_e32 v[10:11], 0
	s_wait_dscnt 0x0
	v_mov_b64_e32 v[12:13], 0
	v_cmp_neq_f32_e64 s7, 0, v21
	s_and_b32 vcc_lo, exec_lo, s6
	s_cbranch_vccnz .LBB523_7
; %bb.6:                                ;   in Loop: Header=BB523_4 Depth=1
	s_lshl_b64 s[42:43], s[28:29], 3
	s_delay_alu instid0(SALU_CYCLE_1)
	s_add_nc_u64 s[42:43], s[12:13], s[42:43]
	global_load_b64 v[8:9], v3, s[42:43]
	s_wait_loadcnt 0x0
	v_add_nc_u64_e32 v[12:13], s[14:15], v[8:9]
.LBB523_7:                              ;   in Loop: Header=BB523_4 Depth=1
	s_and_not1_b32 vcc_lo, exec_lo, s7
	s_cbranch_vccnz .LBB523_9
; %bb.8:                                ;   in Loop: Header=BB523_4 Depth=1
	s_wait_xcnt 0x0
	s_lshl_b64 s[42:43], s[28:29], 3
	s_delay_alu instid0(SALU_CYCLE_1)
	s_add_nc_u64 s[42:43], s[24:25], s[42:43]
	global_load_b64 v[8:9], v3, s[42:43]
	s_wait_loadcnt 0x0
	v_add_nc_u64_e32 v[10:11], s[26:27], v[8:9]
.LBB523_9:                              ;   in Loop: Header=BB523_4 Depth=1
	s_wait_xcnt 0x0
	s_lshl_b64 s[42:43], s[28:29], 3
	s_and_not1_b32 vcc_lo, exec_lo, s6
	s_add_nc_u64 s[42:43], s[20:21], s[42:43]
	global_load_b64 v[8:9], v3, s[42:43]
	s_wait_loadcnt 0x0
	v_add_nc_u64_e32 v[8:9], s[22:23], v[8:9]
	s_cbranch_vccnz .LBB523_13
; %bb.10:                               ;   in Loop: Header=BB523_4 Depth=1
	s_mov_b32 s7, 0
	s_mov_b32 s6, 0
                                        ; implicit-def: $vgpr14
	s_wait_xcnt 0x0
	s_and_saveexec_b32 s41, s0
	s_cbranch_execz .LBB523_14
; %bb.11:                               ;   in Loop: Header=BB523_4 Depth=1
	s_cmp_eq_f32 s40, 0
	s_cbranch_scc1 .LBB523_15
; %bb.12:                               ;   in Loop: Header=BB523_4 Depth=1
	v_add_nc_u64_e32 v[14:15], s[38:39], v[8:9]
	flat_load_b32 v14, v[14:15]
	s_wait_loadcnt_dscnt 0x0
	s_wait_xcnt 0x0
	v_mul_f32_e32 v14, s40, v14
	s_branch .LBB523_16
.LBB523_13:                             ;   in Loop: Header=BB523_4 Depth=1
	s_mov_b32 s6, 0
                                        ; implicit-def: $vgpr14
	s_cbranch_execnz .LBB523_17
	s_branch .LBB523_36
.LBB523_14:                             ;   in Loop: Header=BB523_4 Depth=1
	s_or_b32 exec_lo, exec_lo, s41
	s_delay_alu instid0(SALU_CYCLE_1)
	s_and_b32 vcc_lo, exec_lo, s7
	s_cbranch_vccnz .LBB523_17
	s_branch .LBB523_36
.LBB523_15:                             ;   in Loop: Header=BB523_4 Depth=1
	v_mov_b32_e32 v14, 0
.LBB523_16:                             ;   in Loop: Header=BB523_4 Depth=1
	s_mov_b32 s6, exec_lo
	s_or_b32 exec_lo, exec_lo, s41
	s_delay_alu instid0(SALU_CYCLE_1)
	s_and_b32 vcc_lo, exec_lo, s7
	s_cbranch_vccz .LBB523_36
.LBB523_17:                             ;   in Loop: Header=BB523_4 Depth=1
	v_add_nc_u64_e32 v[12:13], v[12:13], v[2:3]
	v_mov_b32_e32 v22, 0
	s_delay_alu instid0(VALU_DEP_2)
	v_lshl_add_u64 v[12:13], s[34:35], 1, v[12:13]
	s_wait_xcnt 0x0
	s_and_saveexec_b32 s7, s1
	s_cbranch_execnz .LBB523_26
; %bb.18:                               ;   in Loop: Header=BB523_4 Depth=1
	s_or_b32 exec_lo, exec_lo, s7
	s_and_saveexec_b32 s7, s2
	s_cbranch_execnz .LBB523_29
.LBB523_19:                             ;   in Loop: Header=BB523_4 Depth=1
	s_or_b32 exec_lo, exec_lo, s7
	s_and_saveexec_b32 s7, s3
.LBB523_20:                             ;   in Loop: Header=BB523_4 Depth=1
	ds_store_b32 v1, v3
.LBB523_21:                             ;   in Loop: Header=BB523_4 Depth=1
	s_or_b32 exec_lo, exec_lo, s7
	ds_bpermute_b32 v10, v20, v22
	v_cmp_gt_u32_e32 vcc_lo, 24, v19
	s_wait_dscnt 0x0
	s_barrier_signal -1
	s_barrier_wait -1
	v_cndmask_b32_e64 v11, 0, 8, vcc_lo
	v_cmp_gt_u32_e32 vcc_lo, 28, v19
	s_delay_alu instid0(VALU_DEP_2)
	v_add_lshl_u32 v11, v11, v19, 2
	v_add_f32_e32 v12, v22, v10
	v_cndmask_b32_e64 v10, 0, 4, vcc_lo
	v_cmp_gt_u32_e32 vcc_lo, 30, v19
	ds_bpermute_b32 v11, v11, v12
	v_add_lshl_u32 v10, v10, v19, 2
	s_wait_dscnt 0x0
	v_add_f32_e32 v12, v12, v11
	v_cndmask_b32_e64 v11, 0, 2, vcc_lo
	v_cmp_ne_u32_e32 vcc_lo, 31, v19
	ds_bpermute_b32 v13, v10, v12
	v_add_lshl_u32 v11, v11, v19, 2
	v_add_co_ci_u32_e64 v14, null, 0, v19, vcc_lo
	s_wait_dscnt 0x0
	v_add_f32_e32 v12, v12, v13
	ds_bpermute_b32 v13, v11, v12
	s_wait_dscnt 0x0
	v_dual_add_f32 v13, v12, v13 :: v_dual_lshlrev_b32 v12, 2, v14
	ds_bpermute_b32 v14, v12, v13
	s_and_saveexec_b32 s7, s4
	s_cbranch_execz .LBB523_23
; %bb.22:                               ;   in Loop: Header=BB523_4 Depth=1
	s_wait_dscnt 0x0
	v_add_f32_e32 v13, v13, v14
	ds_store_b32 v18, v13
.LBB523_23:                             ;   in Loop: Header=BB523_4 Depth=1
	s_or_b32 exec_lo, exec_lo, s7
	v_mov_b32_e32 v13, 0
	s_wait_dscnt 0x0
	s_barrier_signal -1
	s_barrier_wait -1
	s_and_saveexec_b32 s7, s5
	s_cbranch_execnz .LBB523_30
; %bb.24:                               ;   in Loop: Header=BB523_4 Depth=1
	s_or_b32 exec_lo, exec_lo, s7
	s_and_saveexec_b32 s7, s3
	s_cbranch_execnz .LBB523_31
.LBB523_25:                             ;   in Loop: Header=BB523_4 Depth=1
	s_or_b32 exec_lo, exec_lo, s7
                                        ; implicit-def: $vgpr14
	s_and_saveexec_b32 s7, s0
	s_cbranch_execnz .LBB523_32
	s_branch .LBB523_35
.LBB523_26:                             ;   in Loop: Header=BB523_4 Depth=1
	v_add_nc_u64_e32 v[14:15], v[10:11], v[6:7]
	v_mov_b64_e32 v[16:17], v[12:13]
	v_dual_mov_b32 v22, 0 :: v_dual_mov_b32 v23, v0
	s_mov_b32 s41, 0
.LBB523_27:                             ;   Parent Loop BB523_4 Depth=1
                                        ; =>  This Inner Loop Header: Depth=2
	flat_load_u16 v24, v[16:17]
	flat_load_u16 v25, v[14:15]
	s_wait_xcnt 0x1
	v_add_nc_u64_e32 v[16:17], 0x200, v[16:17]
	s_wait_xcnt 0x0
	v_add_nc_u64_e32 v[14:15], s[36:37], v[14:15]
	s_wait_loadcnt_dscnt 0x0
	v_mul_f16_e32 v24, v24, v25
	s_delay_alu instid0(VALU_DEP_1) | instskip(NEXT) | instid1(VALU_DEP_1)
	v_cvt_f32_f16_e32 v24, v24
	v_dual_add_f32 v22, v22, v24 :: v_dual_add_nc_u32 v23, 0x100, v23
	s_delay_alu instid0(VALU_DEP_1) | instskip(SKIP_1) | instid1(SALU_CYCLE_1)
	v_cmp_le_i32_e32 vcc_lo, s30, v23
	s_or_b32 s41, vcc_lo, s41
	s_and_not1_b32 exec_lo, exec_lo, s41
	s_cbranch_execnz .LBB523_27
; %bb.28:                               ;   in Loop: Header=BB523_4 Depth=1
	s_or_b32 exec_lo, exec_lo, s41
	s_delay_alu instid0(SALU_CYCLE_1)
	s_or_b32 exec_lo, exec_lo, s7
	s_and_saveexec_b32 s7, s2
	s_cbranch_execz .LBB523_19
.LBB523_29:                             ;   in Loop: Header=BB523_4 Depth=1
	v_lshl_add_u64 v[12:13], s[30:31], 1, v[12:13]
	v_lshl_add_u64 v[10:11], v[4:5], 1, v[10:11]
	flat_load_u16 v14, v[12:13]
	flat_load_u16 v15, v[10:11]
	s_wait_loadcnt_dscnt 0x0
	s_wait_xcnt 0x0
	v_mul_f16_e32 v10, v14, v15
	s_delay_alu instid0(VALU_DEP_1) | instskip(NEXT) | instid1(VALU_DEP_1)
	v_cvt_f32_f16_e32 v10, v10
	v_add_f32_e32 v22, v22, v10
	s_or_b32 exec_lo, exec_lo, s7
	s_and_saveexec_b32 s7, s3
	s_cbranch_execnz .LBB523_20
	s_branch .LBB523_21
.LBB523_30:                             ;   in Loop: Header=BB523_4 Depth=1
	ds_load_b32 v13, v1
	s_or_b32 exec_lo, exec_lo, s7
	s_and_saveexec_b32 s7, s3
	s_cbranch_execz .LBB523_25
.LBB523_31:                             ;   in Loop: Header=BB523_4 Depth=1
	s_wait_dscnt 0x0
	ds_bpermute_b32 v10, v10, v13
	s_wait_dscnt 0x0
	v_add_f32_e32 v10, v13, v10
	ds_bpermute_b32 v11, v11, v10
	s_wait_dscnt 0x0
	v_add_f32_e32 v10, v10, v11
	;; [unrolled: 3-line block ×3, first 2 shown]
	s_or_b32 exec_lo, exec_lo, s7
                                        ; implicit-def: $vgpr14
	s_and_saveexec_b32 s7, s0
	s_cbranch_execz .LBB523_35
.LBB523_32:                             ;   in Loop: Header=BB523_4 Depth=1
	s_wait_dscnt 0x0
	v_mul_f32_e32 v14, v21, v13
	s_cmp_eq_f32 s40, 0
	s_cbranch_scc1 .LBB523_34
; %bb.33:                               ;   in Loop: Header=BB523_4 Depth=1
	v_add_nc_u64_e32 v[10:11], s[38:39], v[8:9]
	flat_load_b32 v10, v[10:11]
	s_wait_loadcnt_dscnt 0x0
	v_fmac_f32_e32 v14, s40, v10
.LBB523_34:                             ;   in Loop: Header=BB523_4 Depth=1
	s_or_b32 s6, s6, exec_lo
.LBB523_35:                             ;   in Loop: Header=BB523_4 Depth=1
	s_wait_xcnt 0x0
	s_or_b32 exec_lo, exec_lo, s7
.LBB523_36:                             ;   in Loop: Header=BB523_4 Depth=1
	s_wait_xcnt 0x0
	s_and_saveexec_b32 s7, s6
	s_cbranch_execz .LBB523_2
; %bb.37:                               ;   in Loop: Header=BB523_4 Depth=1
	v_add_nc_u64_e32 v[8:9], s[38:39], v[8:9]
	flat_store_b32 v[8:9], v14
	s_branch .LBB523_2
.LBB523_38:
	s_endpgm
	.section	.rodata,"a",@progbits
	.p2align	6, 0x0
	.amdhsa_kernel _ZL32rocblas_gemvt_warp_reduce_kernelILb0ELi256ElPKDF16_PKfKPfEviiT3_lPKT2_lT1_lS9_lSA_lS6_lPT4_lSA_li
		.amdhsa_group_segment_fixed_size 128
		.amdhsa_private_segment_fixed_size 0
		.amdhsa_kernarg_size 140
		.amdhsa_user_sgpr_count 2
		.amdhsa_user_sgpr_dispatch_ptr 0
		.amdhsa_user_sgpr_queue_ptr 0
		.amdhsa_user_sgpr_kernarg_segment_ptr 1
		.amdhsa_user_sgpr_dispatch_id 0
		.amdhsa_user_sgpr_kernarg_preload_length 0
		.amdhsa_user_sgpr_kernarg_preload_offset 0
		.amdhsa_user_sgpr_private_segment_size 0
		.amdhsa_wavefront_size32 1
		.amdhsa_uses_dynamic_stack 0
		.amdhsa_enable_private_segment 0
		.amdhsa_system_sgpr_workgroup_id_x 1
		.amdhsa_system_sgpr_workgroup_id_y 0
		.amdhsa_system_sgpr_workgroup_id_z 1
		.amdhsa_system_sgpr_workgroup_info 0
		.amdhsa_system_vgpr_workitem_id 0
		.amdhsa_next_free_vgpr 26
		.amdhsa_next_free_sgpr 44
		.amdhsa_named_barrier_count 0
		.amdhsa_reserve_vcc 1
		.amdhsa_float_round_mode_32 0
		.amdhsa_float_round_mode_16_64 0
		.amdhsa_float_denorm_mode_32 3
		.amdhsa_float_denorm_mode_16_64 3
		.amdhsa_fp16_overflow 0
		.amdhsa_memory_ordered 1
		.amdhsa_forward_progress 1
		.amdhsa_inst_pref_size 12
		.amdhsa_round_robin_scheduling 0
		.amdhsa_exception_fp_ieee_invalid_op 0
		.amdhsa_exception_fp_denorm_src 0
		.amdhsa_exception_fp_ieee_div_zero 0
		.amdhsa_exception_fp_ieee_overflow 0
		.amdhsa_exception_fp_ieee_underflow 0
		.amdhsa_exception_fp_ieee_inexact 0
		.amdhsa_exception_int_div_zero 0
	.end_amdhsa_kernel
	.section	.text._ZL32rocblas_gemvt_warp_reduce_kernelILb0ELi256ElPKDF16_PKfKPfEviiT3_lPKT2_lT1_lS9_lSA_lS6_lPT4_lSA_li,"axG",@progbits,_ZL32rocblas_gemvt_warp_reduce_kernelILb0ELi256ElPKDF16_PKfKPfEviiT3_lPKT2_lT1_lS9_lSA_lS6_lPT4_lSA_li,comdat
.Lfunc_end523:
	.size	_ZL32rocblas_gemvt_warp_reduce_kernelILb0ELi256ElPKDF16_PKfKPfEviiT3_lPKT2_lT1_lS9_lSA_lS6_lPT4_lSA_li, .Lfunc_end523-_ZL32rocblas_gemvt_warp_reduce_kernelILb0ELi256ElPKDF16_PKfKPfEviiT3_lPKT2_lT1_lS9_lSA_lS6_lPT4_lSA_li
                                        ; -- End function
	.set _ZL32rocblas_gemvt_warp_reduce_kernelILb0ELi256ElPKDF16_PKfKPfEviiT3_lPKT2_lT1_lS9_lSA_lS6_lPT4_lSA_li.num_vgpr, 26
	.set _ZL32rocblas_gemvt_warp_reduce_kernelILb0ELi256ElPKDF16_PKfKPfEviiT3_lPKT2_lT1_lS9_lSA_lS6_lPT4_lSA_li.num_agpr, 0
	.set _ZL32rocblas_gemvt_warp_reduce_kernelILb0ELi256ElPKDF16_PKfKPfEviiT3_lPKT2_lT1_lS9_lSA_lS6_lPT4_lSA_li.numbered_sgpr, 44
	.set _ZL32rocblas_gemvt_warp_reduce_kernelILb0ELi256ElPKDF16_PKfKPfEviiT3_lPKT2_lT1_lS9_lSA_lS6_lPT4_lSA_li.num_named_barrier, 0
	.set _ZL32rocblas_gemvt_warp_reduce_kernelILb0ELi256ElPKDF16_PKfKPfEviiT3_lPKT2_lT1_lS9_lSA_lS6_lPT4_lSA_li.private_seg_size, 0
	.set _ZL32rocblas_gemvt_warp_reduce_kernelILb0ELi256ElPKDF16_PKfKPfEviiT3_lPKT2_lT1_lS9_lSA_lS6_lPT4_lSA_li.uses_vcc, 1
	.set _ZL32rocblas_gemvt_warp_reduce_kernelILb0ELi256ElPKDF16_PKfKPfEviiT3_lPKT2_lT1_lS9_lSA_lS6_lPT4_lSA_li.uses_flat_scratch, 0
	.set _ZL32rocblas_gemvt_warp_reduce_kernelILb0ELi256ElPKDF16_PKfKPfEviiT3_lPKT2_lT1_lS9_lSA_lS6_lPT4_lSA_li.has_dyn_sized_stack, 0
	.set _ZL32rocblas_gemvt_warp_reduce_kernelILb0ELi256ElPKDF16_PKfKPfEviiT3_lPKT2_lT1_lS9_lSA_lS6_lPT4_lSA_li.has_recursion, 0
	.set _ZL32rocblas_gemvt_warp_reduce_kernelILb0ELi256ElPKDF16_PKfKPfEviiT3_lPKT2_lT1_lS9_lSA_lS6_lPT4_lSA_li.has_indirect_call, 0
	.section	.AMDGPU.csdata,"",@progbits
; Kernel info:
; codeLenInByte = 1452
; TotalNumSgprs: 46
; NumVgprs: 26
; ScratchSize: 0
; MemoryBound: 0
; FloatMode: 240
; IeeeMode: 1
; LDSByteSize: 128 bytes/workgroup (compile time only)
; SGPRBlocks: 0
; VGPRBlocks: 1
; NumSGPRsForWavesPerEU: 46
; NumVGPRsForWavesPerEU: 26
; NamedBarCnt: 0
; Occupancy: 16
; WaveLimiterHint : 1
; COMPUTE_PGM_RSRC2:SCRATCH_EN: 0
; COMPUTE_PGM_RSRC2:USER_SGPR: 2
; COMPUTE_PGM_RSRC2:TRAP_HANDLER: 0
; COMPUTE_PGM_RSRC2:TGID_X_EN: 1
; COMPUTE_PGM_RSRC2:TGID_Y_EN: 0
; COMPUTE_PGM_RSRC2:TGID_Z_EN: 1
; COMPUTE_PGM_RSRC2:TIDIG_COMP_CNT: 0
	.section	.text._ZL32rocblas_gemvt_warp_reduce_kernelILb0ELi256EiPKDF16_fKPfEviiT3_lPKT2_lT1_lS7_lS8_lS4_lPT4_lS8_li,"axG",@progbits,_ZL32rocblas_gemvt_warp_reduce_kernelILb0ELi256EiPKDF16_fKPfEviiT3_lPKT2_lT1_lS7_lS8_lS4_lPT4_lS8_li,comdat
	.globl	_ZL32rocblas_gemvt_warp_reduce_kernelILb0ELi256EiPKDF16_fKPfEviiT3_lPKT2_lT1_lS7_lS8_lS4_lPT4_lS8_li ; -- Begin function _ZL32rocblas_gemvt_warp_reduce_kernelILb0ELi256EiPKDF16_fKPfEviiT3_lPKT2_lT1_lS7_lS8_lS4_lPT4_lS8_li
	.p2align	8
	.type	_ZL32rocblas_gemvt_warp_reduce_kernelILb0ELi256EiPKDF16_fKPfEviiT3_lPKT2_lT1_lS7_lS8_lS4_lPT4_lS8_li,@function
_ZL32rocblas_gemvt_warp_reduce_kernelILb0ELi256EiPKDF16_fKPfEviiT3_lPKT2_lT1_lS7_lS8_lS4_lPT4_lS8_li: ; @_ZL32rocblas_gemvt_warp_reduce_kernelILb0ELi256EiPKDF16_fKPfEviiT3_lPKT2_lT1_lS7_lS8_lS4_lPT4_lS8_li
; %bb.0:
	s_load_b32 s26, s[0:1], 0x88
	s_bfe_u32 s2, ttmp6, 0x40014
	s_lshr_b32 s4, ttmp7, 16
	s_add_co_i32 s2, s2, 1
	s_bfe_u32 s5, ttmp6, 0x40008
	s_mul_i32 s2, s4, s2
	s_getreg_b32 s3, hwreg(HW_REG_IB_STS2, 6, 4)
	s_add_co_i32 s5, s5, s2
	s_cmp_eq_u32 s3, 0
	s_mov_b32 s7, 0
	s_cselect_b32 s6, s4, s5
	s_wait_kmcnt 0x0
	s_cmp_ge_u32 s6, s26
	s_cbranch_scc1 .LBB524_40
; %bb.1:
	s_clause 0x8
	s_load_b32 s27, s[0:1], 0x8
	s_load_b32 s28, s[0:1], 0x58
	s_load_b128 s[8:11], s[0:1], 0x18
	s_load_b32 s4, s[0:1], 0x28
	s_load_b32 s5, s[0:1], 0x0
	s_load_b128 s[12:15], s[0:1], 0x38
	s_load_b32 s21, s[0:1], 0x48
	s_load_b128 s[16:19], s[0:1], 0x68
	s_load_b32 s22, s[0:1], 0x78
	v_dual_mov_b32 v3, 0 :: v_dual_bitop2_b32 v2, 31, v0 bitop3:0x40
	v_lshrrev_b32_e32 v4, 3, v0
	v_mbcnt_lo_u32_b32 v14, -1, 0
	s_wait_xcnt 0x0
	v_cmp_eq_u32_e64 s0, 0, v0
	v_lshlrev_b32_e32 v15, 2, v2
	s_delay_alu instid0(VALU_DEP_3)
	v_lshl_or_b32 v18, v14, 2, 64
	s_wait_kmcnt 0x0
	s_cmp_eq_f32 s27, 0
	v_cmp_gt_i32_e32 vcc_lo, s5, v0
	v_mul_lo_u32 v17, v0, s21
	s_cselect_b32 s29, -1, 0
	s_cmp_neq_f32 s28, 1.0
	s_cselect_b32 s2, -1, 0
	s_cmp_neq_f32 s27, 0
	s_cselect_b32 s1, -1, 0
	s_delay_alu instid0(SALU_CYCLE_1)
	s_or_b32 s30, s1, s2
	s_cmp_neq_f32 s28, 0
	v_cndmask_b32_e64 v1, 0, 1, s1
	v_cmp_gt_u32_e64 s1, 32, v0
	s_cselect_b32 s31, -1, 0
	s_bfe_u32 s2, ttmp6, 0x4000c
	s_and_b32 s20, ttmp6, 15
	s_add_co_i32 s2, s2, 1
	s_delay_alu instid0(SALU_CYCLE_1)
	s_mul_i32 s23, ttmp9, s2
	v_cmp_gt_u32_e64 s2, 8, v0
	s_add_co_i32 s20, s20, s23
	s_cmp_eq_u32 s3, 0
	s_cselect_b32 s23, ttmp9, s20
	s_ashr_i32 s3, s5, 31
	s_mul_i32 s24, s22, s23
	s_lshr_b32 s20, s3, 24
	v_cmp_eq_u32_e64 s3, 0, v2
	s_add_co_i32 s20, s5, s20
	s_mul_i32 s22, s4, s23
	s_and_b32 s20, s20, 0xffffff00
	s_delay_alu instid0(SALU_CYCLE_1)
	v_dual_cndmask_b32 v2, 0, v0, vcc_lo :: v_dual_bitop2_b32 v5, s20, v0 bitop3:0x54
	v_and_b32_e32 v16, 28, v4
	v_cmp_gt_i32_e64 s4, s20, v0
	s_ashr_i32 s25, s24, 31
	v_lshlrev_b32_e32 v2, 1, v2
	v_mul_lo_u32 v4, s21, v5
	v_cmp_gt_i32_e64 s5, s5, v5
	s_lshl_b32 s33, s21, 8
	s_lshl_b64 s[10:11], s[10:11], 1
	s_ashr_i32 s23, s22, 31
	s_ashr_i32 s21, s20, 31
	s_lshl_b64 s[14:15], s[14:15], 1
	s_lshl_b64 s[18:19], s[18:19], 2
	;; [unrolled: 1-line block ×3, first 2 shown]
	v_ashrrev_i32_e32 v5, 31, v4
	s_branch .LBB524_4
.LBB524_2:                              ;   in Loop: Header=BB524_4 Depth=1
	s_wait_xcnt 0x0
	s_or_b32 exec_lo, exec_lo, s35
.LBB524_3:                              ;   in Loop: Header=BB524_4 Depth=1
	s_add_co_i32 s6, s6, 0x10000
	s_delay_alu instid0(SALU_CYCLE_1)
	s_cmp_lt_u32 s6, s26
	s_cbranch_scc0 .LBB524_40
.LBB524_4:                              ; =>This Loop Header: Depth=1
                                        ;     Child Loop BB524_29 Depth 2
	s_and_not1_b32 vcc_lo, exec_lo, s30
	s_cbranch_vccnz .LBB524_3
; %bb.5:                                ;   in Loop: Header=BB524_4 Depth=1
	s_and_not1_b32 vcc_lo, exec_lo, s29
	s_cbranch_vccnz .LBB524_7
; %bb.6:                                ;   in Loop: Header=BB524_4 Depth=1
	v_mov_b64_e32 v[8:9], 0
	s_wait_dscnt 0x0
	v_mov_b64_e32 v[10:11], 0
	s_cbranch_execz .LBB524_8
	s_branch .LBB524_9
.LBB524_7:                              ;   in Loop: Header=BB524_4 Depth=1
	v_mov_b64_e32 v[8:9], 0
	s_wait_dscnt 0x0
	v_mov_b64_e32 v[10:11], 0
.LBB524_8:                              ;   in Loop: Header=BB524_4 Depth=1
	s_lshl_b64 s[34:35], s[6:7], 3
	s_delay_alu instid0(SALU_CYCLE_1)
	s_add_nc_u64 s[34:35], s[8:9], s[34:35]
	global_load_b64 v[6:7], v3, s[34:35]
	s_wait_loadcnt 0x0
	v_add_nc_u64_e32 v[10:11], s[10:11], v[6:7]
.LBB524_9:                              ;   in Loop: Header=BB524_4 Depth=1
	v_cmp_ne_u32_e32 vcc_lo, 1, v1
	s_cbranch_vccnz .LBB524_11
; %bb.10:                               ;   in Loop: Header=BB524_4 Depth=1
	s_wait_xcnt 0x0
	s_lshl_b64 s[34:35], s[6:7], 3
	s_delay_alu instid0(SALU_CYCLE_1)
	s_add_nc_u64 s[34:35], s[12:13], s[34:35]
	global_load_b64 v[6:7], v3, s[34:35]
	s_wait_loadcnt 0x0
	v_add_nc_u64_e32 v[8:9], s[14:15], v[6:7]
.LBB524_11:                             ;   in Loop: Header=BB524_4 Depth=1
	s_wait_xcnt 0x0
	s_lshl_b64 s[34:35], s[6:7], 3
	s_and_not1_b32 vcc_lo, exec_lo, s29
	s_add_nc_u64 s[34:35], s[16:17], s[34:35]
	global_load_b64 v[6:7], v3, s[34:35]
	s_wait_loadcnt 0x0
	v_add_nc_u64_e32 v[6:7], s[18:19], v[6:7]
	s_cbranch_vccnz .LBB524_15
; %bb.12:                               ;   in Loop: Header=BB524_4 Depth=1
	s_wait_xcnt 0x0
	s_mov_b32 s35, 0
	s_mov_b32 s34, 0
                                        ; implicit-def: $vgpr12
	s_and_saveexec_b32 s36, s0
	s_cbranch_execz .LBB524_16
; %bb.13:                               ;   in Loop: Header=BB524_4 Depth=1
	s_and_not1_b32 vcc_lo, exec_lo, s31
	s_cbranch_vccnz .LBB524_17
; %bb.14:                               ;   in Loop: Header=BB524_4 Depth=1
	v_add_nc_u64_e32 v[12:13], s[24:25], v[6:7]
	flat_load_b32 v12, v[12:13]
	s_wait_loadcnt_dscnt 0x0
	s_wait_xcnt 0x0
	v_mul_f32_e32 v12, s28, v12
	s_branch .LBB524_18
.LBB524_15:                             ;   in Loop: Header=BB524_4 Depth=1
	s_wait_xcnt 0x0
	s_mov_b32 s34, 0
                                        ; implicit-def: $vgpr12
	s_cbranch_execnz .LBB524_19
	s_branch .LBB524_38
.LBB524_16:                             ;   in Loop: Header=BB524_4 Depth=1
	s_or_b32 exec_lo, exec_lo, s36
	s_delay_alu instid0(SALU_CYCLE_1)
	s_and_b32 vcc_lo, exec_lo, s35
	s_cbranch_vccnz .LBB524_19
	s_branch .LBB524_38
.LBB524_17:                             ;   in Loop: Header=BB524_4 Depth=1
	v_mov_b32_e32 v12, 0
.LBB524_18:                             ;   in Loop: Header=BB524_4 Depth=1
	s_mov_b32 s34, exec_lo
	s_or_b32 exec_lo, exec_lo, s36
	s_delay_alu instid0(SALU_CYCLE_1)
	s_and_b32 vcc_lo, exec_lo, s35
	s_cbranch_vccz .LBB524_38
.LBB524_19:                             ;   in Loop: Header=BB524_4 Depth=1
	v_add_nc_u64_e32 v[10:11], v[10:11], v[2:3]
	v_mov_b32_e32 v19, 0
	s_delay_alu instid0(VALU_DEP_2)
	v_lshl_add_u64 v[10:11], s[22:23], 1, v[10:11]
	s_and_saveexec_b32 s35, s4
	s_cbranch_execnz .LBB524_28
; %bb.20:                               ;   in Loop: Header=BB524_4 Depth=1
	s_or_b32 exec_lo, exec_lo, s35
	s_and_saveexec_b32 s35, s5
	s_cbranch_execnz .LBB524_31
.LBB524_21:                             ;   in Loop: Header=BB524_4 Depth=1
	s_or_b32 exec_lo, exec_lo, s35
	s_and_saveexec_b32 s35, s1
.LBB524_22:                             ;   in Loop: Header=BB524_4 Depth=1
	ds_store_b32 v15, v3
.LBB524_23:                             ;   in Loop: Header=BB524_4 Depth=1
	s_or_b32 exec_lo, exec_lo, s35
	ds_bpermute_b32 v8, v18, v19
	v_cmp_gt_u32_e32 vcc_lo, 24, v14
	s_wait_dscnt 0x0
	s_barrier_signal -1
	s_barrier_wait -1
	v_cndmask_b32_e64 v9, 0, 8, vcc_lo
	v_cmp_gt_u32_e32 vcc_lo, 28, v14
	s_delay_alu instid0(VALU_DEP_2)
	v_add_lshl_u32 v9, v9, v14, 2
	v_add_f32_e32 v10, v19, v8
	v_cndmask_b32_e64 v8, 0, 4, vcc_lo
	v_cmp_gt_u32_e32 vcc_lo, 30, v14
	ds_bpermute_b32 v9, v9, v10
	v_add_lshl_u32 v8, v8, v14, 2
	s_wait_dscnt 0x0
	v_add_f32_e32 v10, v10, v9
	v_cndmask_b32_e64 v9, 0, 2, vcc_lo
	v_cmp_ne_u32_e32 vcc_lo, 31, v14
	ds_bpermute_b32 v11, v8, v10
	v_add_lshl_u32 v9, v9, v14, 2
	v_add_co_ci_u32_e64 v12, null, 0, v14, vcc_lo
	s_wait_dscnt 0x0
	v_add_f32_e32 v10, v10, v11
	ds_bpermute_b32 v11, v9, v10
	s_wait_dscnt 0x0
	v_dual_add_f32 v11, v10, v11 :: v_dual_lshlrev_b32 v10, 2, v12
	ds_bpermute_b32 v12, v10, v11
	s_and_saveexec_b32 s35, s3
	s_cbranch_execz .LBB524_25
; %bb.24:                               ;   in Loop: Header=BB524_4 Depth=1
	s_wait_dscnt 0x0
	v_add_f32_e32 v11, v11, v12
	ds_store_b32 v16, v11
.LBB524_25:                             ;   in Loop: Header=BB524_4 Depth=1
	s_or_b32 exec_lo, exec_lo, s35
	v_mov_b32_e32 v11, 0
	s_wait_dscnt 0x0
	s_barrier_signal -1
	s_barrier_wait -1
	s_and_saveexec_b32 s35, s2
	s_cbranch_execnz .LBB524_32
; %bb.26:                               ;   in Loop: Header=BB524_4 Depth=1
	s_or_b32 exec_lo, exec_lo, s35
	s_and_saveexec_b32 s35, s1
	s_cbranch_execnz .LBB524_33
.LBB524_27:                             ;   in Loop: Header=BB524_4 Depth=1
	s_or_b32 exec_lo, exec_lo, s35
                                        ; implicit-def: $vgpr12
	s_and_saveexec_b32 s35, s0
	s_cbranch_execnz .LBB524_34
	s_branch .LBB524_37
.LBB524_28:                             ;   in Loop: Header=BB524_4 Depth=1
	s_delay_alu instid0(VALU_DEP_1)
	v_mov_b64_e32 v[12:13], v[10:11]
	v_dual_mov_b32 v19, 0 :: v_dual_mov_b32 v20, v17
	v_mov_b32_e32 v21, v0
	s_mov_b32 s36, 0
.LBB524_29:                             ;   Parent Loop BB524_4 Depth=1
                                        ; =>  This Inner Loop Header: Depth=2
	v_readfirstlane_b32 s38, v8
	v_readfirstlane_b32 s39, v9
	s_delay_alu instid0(VALU_DEP_3)
	v_add_nc_u32_e32 v21, 0x100, v21
	flat_load_u16 v22, v[12:13]
	flat_load_u16 v23, v20, s[38:39] scale_offset
	s_wait_xcnt 0x1
	v_add_nc_u64_e32 v[12:13], 0x200, v[12:13]
	v_cmp_le_i32_e32 vcc_lo, s20, v21
	s_or_b32 s36, vcc_lo, s36
	s_wait_loadcnt_dscnt 0x0
	v_mul_f16_e32 v22, v22, v23
	s_delay_alu instid0(VALU_DEP_1) | instskip(SKIP_1) | instid1(VALU_DEP_1)
	v_cvt_f32_f16_e32 v22, v22
	s_wait_xcnt 0x0
	v_dual_add_f32 v19, v19, v22 :: v_dual_add_nc_u32 v20, s33, v20
	s_and_not1_b32 exec_lo, exec_lo, s36
	s_cbranch_execnz .LBB524_29
; %bb.30:                               ;   in Loop: Header=BB524_4 Depth=1
	s_or_b32 exec_lo, exec_lo, s36
	s_delay_alu instid0(SALU_CYCLE_1)
	s_or_b32 exec_lo, exec_lo, s35
	s_and_saveexec_b32 s35, s5
	s_cbranch_execz .LBB524_21
.LBB524_31:                             ;   in Loop: Header=BB524_4 Depth=1
	v_lshl_add_u64 v[10:11], s[20:21], 1, v[10:11]
	v_lshl_add_u64 v[8:9], v[4:5], 1, v[8:9]
	flat_load_u16 v12, v[10:11]
	flat_load_u16 v13, v[8:9]
	s_wait_loadcnt_dscnt 0x0
	s_wait_xcnt 0x0
	v_mul_f16_e32 v8, v12, v13
	s_delay_alu instid0(VALU_DEP_1) | instskip(NEXT) | instid1(VALU_DEP_1)
	v_cvt_f32_f16_e32 v8, v8
	v_add_f32_e32 v19, v19, v8
	s_or_b32 exec_lo, exec_lo, s35
	s_and_saveexec_b32 s35, s1
	s_cbranch_execnz .LBB524_22
	s_branch .LBB524_23
.LBB524_32:                             ;   in Loop: Header=BB524_4 Depth=1
	ds_load_b32 v11, v15
	s_or_b32 exec_lo, exec_lo, s35
	s_and_saveexec_b32 s35, s1
	s_cbranch_execz .LBB524_27
.LBB524_33:                             ;   in Loop: Header=BB524_4 Depth=1
	s_wait_dscnt 0x0
	ds_bpermute_b32 v8, v8, v11
	s_wait_dscnt 0x0
	v_add_f32_e32 v8, v11, v8
	ds_bpermute_b32 v9, v9, v8
	s_wait_dscnt 0x0
	v_add_f32_e32 v8, v8, v9
	;; [unrolled: 3-line block ×3, first 2 shown]
	s_or_b32 exec_lo, exec_lo, s35
                                        ; implicit-def: $vgpr12
	s_and_saveexec_b32 s35, s0
	s_cbranch_execz .LBB524_37
.LBB524_34:                             ;   in Loop: Header=BB524_4 Depth=1
	s_wait_dscnt 0x0
	v_mul_f32_e32 v12, s27, v11
	s_and_not1_b32 vcc_lo, exec_lo, s31
	s_cbranch_vccnz .LBB524_36
; %bb.35:                               ;   in Loop: Header=BB524_4 Depth=1
	v_add_nc_u64_e32 v[8:9], s[24:25], v[6:7]
	flat_load_b32 v8, v[8:9]
	s_wait_loadcnt_dscnt 0x0
	v_fmac_f32_e32 v12, s28, v8
.LBB524_36:                             ;   in Loop: Header=BB524_4 Depth=1
	s_or_b32 s34, s34, exec_lo
.LBB524_37:                             ;   in Loop: Header=BB524_4 Depth=1
	s_wait_xcnt 0x0
	s_or_b32 exec_lo, exec_lo, s35
.LBB524_38:                             ;   in Loop: Header=BB524_4 Depth=1
	s_and_saveexec_b32 s35, s34
	s_cbranch_execz .LBB524_2
; %bb.39:                               ;   in Loop: Header=BB524_4 Depth=1
	v_add_nc_u64_e32 v[6:7], s[24:25], v[6:7]
	flat_store_b32 v[6:7], v12
	s_branch .LBB524_2
.LBB524_40:
	s_endpgm
	.section	.rodata,"a",@progbits
	.p2align	6, 0x0
	.amdhsa_kernel _ZL32rocblas_gemvt_warp_reduce_kernelILb0ELi256EiPKDF16_fKPfEviiT3_lPKT2_lT1_lS7_lS8_lS4_lPT4_lS8_li
		.amdhsa_group_segment_fixed_size 128
		.amdhsa_private_segment_fixed_size 0
		.amdhsa_kernarg_size 140
		.amdhsa_user_sgpr_count 2
		.amdhsa_user_sgpr_dispatch_ptr 0
		.amdhsa_user_sgpr_queue_ptr 0
		.amdhsa_user_sgpr_kernarg_segment_ptr 1
		.amdhsa_user_sgpr_dispatch_id 0
		.amdhsa_user_sgpr_kernarg_preload_length 0
		.amdhsa_user_sgpr_kernarg_preload_offset 0
		.amdhsa_user_sgpr_private_segment_size 0
		.amdhsa_wavefront_size32 1
		.amdhsa_uses_dynamic_stack 0
		.amdhsa_enable_private_segment 0
		.amdhsa_system_sgpr_workgroup_id_x 1
		.amdhsa_system_sgpr_workgroup_id_y 0
		.amdhsa_system_sgpr_workgroup_id_z 1
		.amdhsa_system_sgpr_workgroup_info 0
		.amdhsa_system_vgpr_workitem_id 0
		.amdhsa_next_free_vgpr 24
		.amdhsa_next_free_sgpr 40
		.amdhsa_named_barrier_count 0
		.amdhsa_reserve_vcc 1
		.amdhsa_float_round_mode_32 0
		.amdhsa_float_round_mode_16_64 0
		.amdhsa_float_denorm_mode_32 3
		.amdhsa_float_denorm_mode_16_64 3
		.amdhsa_fp16_overflow 0
		.amdhsa_memory_ordered 1
		.amdhsa_forward_progress 1
		.amdhsa_inst_pref_size 12
		.amdhsa_round_robin_scheduling 0
		.amdhsa_exception_fp_ieee_invalid_op 0
		.amdhsa_exception_fp_denorm_src 0
		.amdhsa_exception_fp_ieee_div_zero 0
		.amdhsa_exception_fp_ieee_overflow 0
		.amdhsa_exception_fp_ieee_underflow 0
		.amdhsa_exception_fp_ieee_inexact 0
		.amdhsa_exception_int_div_zero 0
	.end_amdhsa_kernel
	.section	.text._ZL32rocblas_gemvt_warp_reduce_kernelILb0ELi256EiPKDF16_fKPfEviiT3_lPKT2_lT1_lS7_lS8_lS4_lPT4_lS8_li,"axG",@progbits,_ZL32rocblas_gemvt_warp_reduce_kernelILb0ELi256EiPKDF16_fKPfEviiT3_lPKT2_lT1_lS7_lS8_lS4_lPT4_lS8_li,comdat
.Lfunc_end524:
	.size	_ZL32rocblas_gemvt_warp_reduce_kernelILb0ELi256EiPKDF16_fKPfEviiT3_lPKT2_lT1_lS7_lS8_lS4_lPT4_lS8_li, .Lfunc_end524-_ZL32rocblas_gemvt_warp_reduce_kernelILb0ELi256EiPKDF16_fKPfEviiT3_lPKT2_lT1_lS7_lS8_lS4_lPT4_lS8_li
                                        ; -- End function
	.set _ZL32rocblas_gemvt_warp_reduce_kernelILb0ELi256EiPKDF16_fKPfEviiT3_lPKT2_lT1_lS7_lS8_lS4_lPT4_lS8_li.num_vgpr, 24
	.set _ZL32rocblas_gemvt_warp_reduce_kernelILb0ELi256EiPKDF16_fKPfEviiT3_lPKT2_lT1_lS7_lS8_lS4_lPT4_lS8_li.num_agpr, 0
	.set _ZL32rocblas_gemvt_warp_reduce_kernelILb0ELi256EiPKDF16_fKPfEviiT3_lPKT2_lT1_lS7_lS8_lS4_lPT4_lS8_li.numbered_sgpr, 40
	.set _ZL32rocblas_gemvt_warp_reduce_kernelILb0ELi256EiPKDF16_fKPfEviiT3_lPKT2_lT1_lS7_lS8_lS4_lPT4_lS8_li.num_named_barrier, 0
	.set _ZL32rocblas_gemvt_warp_reduce_kernelILb0ELi256EiPKDF16_fKPfEviiT3_lPKT2_lT1_lS7_lS8_lS4_lPT4_lS8_li.private_seg_size, 0
	.set _ZL32rocblas_gemvt_warp_reduce_kernelILb0ELi256EiPKDF16_fKPfEviiT3_lPKT2_lT1_lS7_lS8_lS4_lPT4_lS8_li.uses_vcc, 1
	.set _ZL32rocblas_gemvt_warp_reduce_kernelILb0ELi256EiPKDF16_fKPfEviiT3_lPKT2_lT1_lS7_lS8_lS4_lPT4_lS8_li.uses_flat_scratch, 0
	.set _ZL32rocblas_gemvt_warp_reduce_kernelILb0ELi256EiPKDF16_fKPfEviiT3_lPKT2_lT1_lS7_lS8_lS4_lPT4_lS8_li.has_dyn_sized_stack, 0
	.set _ZL32rocblas_gemvt_warp_reduce_kernelILb0ELi256EiPKDF16_fKPfEviiT3_lPKT2_lT1_lS7_lS8_lS4_lPT4_lS8_li.has_recursion, 0
	.set _ZL32rocblas_gemvt_warp_reduce_kernelILb0ELi256EiPKDF16_fKPfEviiT3_lPKT2_lT1_lS7_lS8_lS4_lPT4_lS8_li.has_indirect_call, 0
	.section	.AMDGPU.csdata,"",@progbits
; Kernel info:
; codeLenInByte = 1440
; TotalNumSgprs: 42
; NumVgprs: 24
; ScratchSize: 0
; MemoryBound: 0
; FloatMode: 240
; IeeeMode: 1
; LDSByteSize: 128 bytes/workgroup (compile time only)
; SGPRBlocks: 0
; VGPRBlocks: 1
; NumSGPRsForWavesPerEU: 42
; NumVGPRsForWavesPerEU: 24
; NamedBarCnt: 0
; Occupancy: 16
; WaveLimiterHint : 1
; COMPUTE_PGM_RSRC2:SCRATCH_EN: 0
; COMPUTE_PGM_RSRC2:USER_SGPR: 2
; COMPUTE_PGM_RSRC2:TRAP_HANDLER: 0
; COMPUTE_PGM_RSRC2:TGID_X_EN: 1
; COMPUTE_PGM_RSRC2:TGID_Y_EN: 0
; COMPUTE_PGM_RSRC2:TGID_Z_EN: 1
; COMPUTE_PGM_RSRC2:TIDIG_COMP_CNT: 0
	.section	.text._ZL32rocblas_gemvt_warp_reduce_kernelILb0ELi256ElPKDF16_fKPfEviiT3_lPKT2_lT1_lS7_lS8_lS4_lPT4_lS8_li,"axG",@progbits,_ZL32rocblas_gemvt_warp_reduce_kernelILb0ELi256ElPKDF16_fKPfEviiT3_lPKT2_lT1_lS7_lS8_lS4_lPT4_lS8_li,comdat
	.globl	_ZL32rocblas_gemvt_warp_reduce_kernelILb0ELi256ElPKDF16_fKPfEviiT3_lPKT2_lT1_lS7_lS8_lS4_lPT4_lS8_li ; -- Begin function _ZL32rocblas_gemvt_warp_reduce_kernelILb0ELi256ElPKDF16_fKPfEviiT3_lPKT2_lT1_lS7_lS8_lS4_lPT4_lS8_li
	.p2align	8
	.type	_ZL32rocblas_gemvt_warp_reduce_kernelILb0ELi256ElPKDF16_fKPfEviiT3_lPKT2_lT1_lS7_lS8_lS4_lPT4_lS8_li,@function
_ZL32rocblas_gemvt_warp_reduce_kernelILb0ELi256ElPKDF16_fKPfEviiT3_lPKT2_lT1_lS7_lS8_lS4_lPT4_lS8_li: ; @_ZL32rocblas_gemvt_warp_reduce_kernelILb0ELi256ElPKDF16_fKPfEviiT3_lPKT2_lT1_lS7_lS8_lS4_lPT4_lS8_li
; %bb.0:
	s_load_b32 s28, s[0:1], 0x88
	s_bfe_u32 s2, ttmp6, 0x40014
	s_lshr_b32 s3, ttmp7, 16
	s_add_co_i32 s2, s2, 1
	s_bfe_u32 s5, ttmp6, 0x40008
	s_mul_i32 s4, s3, s2
	s_getreg_b32 s2, hwreg(HW_REG_IB_STS2, 6, 4)
	s_add_co_i32 s5, s5, s4
	s_cmp_eq_u32 s2, 0
	s_mov_b32 s7, 0
	s_cselect_b32 s6, s3, s5
	s_wait_kmcnt 0x0
	s_cmp_ge_u32 s6, s28
	s_cbranch_scc1 .LBB525_40
; %bb.1:
	s_clause 0x7
	s_load_b32 s29, s[0:1], 0x8
	s_load_b32 s30, s[0:1], 0x58
	s_load_b128 s[8:11], s[0:1], 0x18
	s_load_b64 s[4:5], s[0:1], 0x28
	s_load_b32 s21, s[0:1], 0x0
	s_load_b128 s[12:15], s[0:1], 0x68
	s_load_b64 s[24:25], s[0:1], 0x48
	s_load_b64 s[22:23], s[0:1], 0x78
	v_mbcnt_lo_u32_b32 v20, -1, 0
	s_delay_alu instid0(VALU_DEP_1)
	v_lshl_or_b32 v21, v20, 2, 64
	s_wait_kmcnt 0x0
	s_cmp_eq_f32 s29, 0
	s_cselect_b32 s31, -1, 0
	s_cmp_neq_f32 s30, 1.0
	s_cselect_b32 s3, -1, 0
	s_cmp_neq_f32 s29, 0
	s_cselect_b32 s16, -1, 0
	s_delay_alu instid0(SALU_CYCLE_1)
	s_or_b32 s33, s16, s3
	s_cmp_neq_f32 s30, 0
	v_cndmask_b32_e64 v18, 0, 1, s16
	s_cselect_b32 s34, -1, 0
	s_bfe_u32 s3, ttmp6, 0x4000c
	s_and_b32 s16, ttmp6, 15
	s_add_co_i32 s3, s3, 1
	s_delay_alu instid0(SALU_CYCLE_1) | instskip(NEXT) | instid1(SALU_CYCLE_1)
	s_mul_i32 s3, ttmp9, s3
	s_add_co_i32 s16, s16, s3
	s_cmp_eq_u32 s2, 0
	s_cselect_b32 s2, ttmp9, s16
	s_load_b128 s[16:19], s[0:1], 0x38
	s_ashr_i32 s3, s21, 31
	v_cmp_gt_i32_e32 vcc_lo, s21, v0
	s_lshr_b32 s3, s3, 24
	s_wait_xcnt 0x0
	v_cmp_eq_u32_e64 s0, 0, v0
	s_add_co_i32 s3, s21, s3
	s_lshl_b64 s[10:11], s[10:11], 1
	s_and_b32 s20, s3, 0xffffff00
	s_delay_alu instid0(SALU_CYCLE_1) | instskip(SKIP_3) | instid1(VALU_DEP_2)
	v_dual_mov_b32 v3, 0 :: v_dual_bitop2_b32 v8, s20, v0 bitop3:0x54
	s_ashr_i32 s3, s2, 31
	v_cndmask_b32_e32 v2, 0, v0, vcc_lo
	s_mul_u64 s[26:27], s[22:23], s[2:3]
	v_dual_mov_b32 v1, v3 :: v_dual_ashrrev_i32 v9, 31, v8
	s_mul_u64 s[22:23], s[4:5], s[2:3]
	v_cmp_gt_i32_e64 s2, s21, v8
	v_cmp_gt_i32_e64 s1, s20, v0
	s_delay_alu instid0(VALU_DEP_3) | instskip(SKIP_4) | instid1(VALU_DEP_3)
	v_mul_u64_e32 v[6:7], s[24:25], v[0:1]
	v_mul_u64_e32 v[4:5], s[24:25], v[8:9]
	v_dual_lshrrev_b32 v8, 3, v0 :: v_dual_bitop2_b32 v9, 31, v0 bitop3:0x40
	v_cmp_gt_u32_e64 s3, 32, v0
	v_cmp_gt_u32_e64 s5, 8, v0
	v_dual_lshlrev_b32 v2, 1, v2 :: v_dual_lshlrev_b32 v1, 2, v9
	v_cmp_eq_u32_e64 s4, 0, v9
	v_and_b32_e32 v19, 28, v8
	s_ashr_i32 s21, s20, 31
	s_lshl_b64 s[24:25], s[24:25], 9
	s_wait_kmcnt 0x0
	s_lshl_b64 s[18:19], s[18:19], 1
	s_lshl_b64 s[14:15], s[14:15], 2
	s_lshl_b64 s[26:27], s[26:27], 2
	v_lshlrev_b64_e32 v[6:7], 1, v[6:7]
	s_branch .LBB525_4
.LBB525_2:                              ;   in Loop: Header=BB525_4 Depth=1
	s_wait_xcnt 0x0
	s_or_b32 exec_lo, exec_lo, s36
.LBB525_3:                              ;   in Loop: Header=BB525_4 Depth=1
	s_add_co_i32 s6, s6, 0x10000
	s_delay_alu instid0(SALU_CYCLE_1)
	s_cmp_lt_u32 s6, s28
	s_cbranch_scc0 .LBB525_40
.LBB525_4:                              ; =>This Loop Header: Depth=1
                                        ;     Child Loop BB525_29 Depth 2
	s_and_not1_b32 vcc_lo, exec_lo, s33
	s_cbranch_vccnz .LBB525_3
; %bb.5:                                ;   in Loop: Header=BB525_4 Depth=1
	s_and_not1_b32 vcc_lo, exec_lo, s31
	s_cbranch_vccnz .LBB525_7
; %bb.6:                                ;   in Loop: Header=BB525_4 Depth=1
	v_mov_b64_e32 v[10:11], 0
	s_wait_dscnt 0x0
	v_mov_b64_e32 v[12:13], 0
	s_cbranch_execz .LBB525_8
	s_branch .LBB525_9
.LBB525_7:                              ;   in Loop: Header=BB525_4 Depth=1
	v_mov_b64_e32 v[10:11], 0
	s_wait_dscnt 0x0
	v_mov_b64_e32 v[12:13], 0
.LBB525_8:                              ;   in Loop: Header=BB525_4 Depth=1
	s_lshl_b64 s[36:37], s[6:7], 3
	s_delay_alu instid0(SALU_CYCLE_1)
	s_add_nc_u64 s[36:37], s[8:9], s[36:37]
	global_load_b64 v[8:9], v3, s[36:37]
	s_wait_loadcnt 0x0
	v_add_nc_u64_e32 v[12:13], s[10:11], v[8:9]
.LBB525_9:                              ;   in Loop: Header=BB525_4 Depth=1
	v_cmp_ne_u32_e32 vcc_lo, 1, v18
	s_cbranch_vccnz .LBB525_11
; %bb.10:                               ;   in Loop: Header=BB525_4 Depth=1
	s_wait_xcnt 0x0
	s_lshl_b64 s[36:37], s[6:7], 3
	s_delay_alu instid0(SALU_CYCLE_1)
	s_add_nc_u64 s[36:37], s[16:17], s[36:37]
	global_load_b64 v[8:9], v3, s[36:37]
	s_wait_loadcnt 0x0
	v_add_nc_u64_e32 v[10:11], s[18:19], v[8:9]
.LBB525_11:                             ;   in Loop: Header=BB525_4 Depth=1
	s_wait_xcnt 0x0
	s_lshl_b64 s[36:37], s[6:7], 3
	s_and_not1_b32 vcc_lo, exec_lo, s31
	s_add_nc_u64 s[36:37], s[12:13], s[36:37]
	global_load_b64 v[8:9], v3, s[36:37]
	s_wait_loadcnt 0x0
	v_add_nc_u64_e32 v[8:9], s[14:15], v[8:9]
	s_cbranch_vccnz .LBB525_15
; %bb.12:                               ;   in Loop: Header=BB525_4 Depth=1
	s_wait_xcnt 0x0
	s_mov_b32 s36, 0
	s_mov_b32 s35, 0
                                        ; implicit-def: $vgpr14
	s_and_saveexec_b32 s37, s0
	s_cbranch_execz .LBB525_16
; %bb.13:                               ;   in Loop: Header=BB525_4 Depth=1
	s_and_not1_b32 vcc_lo, exec_lo, s34
	s_cbranch_vccnz .LBB525_17
; %bb.14:                               ;   in Loop: Header=BB525_4 Depth=1
	v_add_nc_u64_e32 v[14:15], s[26:27], v[8:9]
	flat_load_b32 v14, v[14:15]
	s_wait_loadcnt_dscnt 0x0
	s_wait_xcnt 0x0
	v_mul_f32_e32 v14, s30, v14
	s_branch .LBB525_18
.LBB525_15:                             ;   in Loop: Header=BB525_4 Depth=1
	s_wait_xcnt 0x0
	s_mov_b32 s35, 0
                                        ; implicit-def: $vgpr14
	s_cbranch_execnz .LBB525_19
	s_branch .LBB525_38
.LBB525_16:                             ;   in Loop: Header=BB525_4 Depth=1
	s_or_b32 exec_lo, exec_lo, s37
	s_delay_alu instid0(SALU_CYCLE_1)
	s_and_b32 vcc_lo, exec_lo, s36
	s_cbranch_vccnz .LBB525_19
	s_branch .LBB525_38
.LBB525_17:                             ;   in Loop: Header=BB525_4 Depth=1
	v_mov_b32_e32 v14, 0
.LBB525_18:                             ;   in Loop: Header=BB525_4 Depth=1
	s_mov_b32 s35, exec_lo
	s_or_b32 exec_lo, exec_lo, s37
	s_delay_alu instid0(SALU_CYCLE_1)
	s_and_b32 vcc_lo, exec_lo, s36
	s_cbranch_vccz .LBB525_38
.LBB525_19:                             ;   in Loop: Header=BB525_4 Depth=1
	v_add_nc_u64_e32 v[12:13], v[12:13], v[2:3]
	v_mov_b32_e32 v22, 0
	s_delay_alu instid0(VALU_DEP_2)
	v_lshl_add_u64 v[12:13], s[22:23], 1, v[12:13]
	s_and_saveexec_b32 s36, s1
	s_cbranch_execnz .LBB525_28
; %bb.20:                               ;   in Loop: Header=BB525_4 Depth=1
	s_or_b32 exec_lo, exec_lo, s36
	s_and_saveexec_b32 s36, s2
	s_cbranch_execnz .LBB525_31
.LBB525_21:                             ;   in Loop: Header=BB525_4 Depth=1
	s_or_b32 exec_lo, exec_lo, s36
	s_and_saveexec_b32 s36, s3
.LBB525_22:                             ;   in Loop: Header=BB525_4 Depth=1
	ds_store_b32 v1, v3
.LBB525_23:                             ;   in Loop: Header=BB525_4 Depth=1
	s_or_b32 exec_lo, exec_lo, s36
	ds_bpermute_b32 v10, v21, v22
	v_cmp_gt_u32_e32 vcc_lo, 24, v20
	s_wait_dscnt 0x0
	s_barrier_signal -1
	s_barrier_wait -1
	v_cndmask_b32_e64 v11, 0, 8, vcc_lo
	v_cmp_gt_u32_e32 vcc_lo, 28, v20
	s_delay_alu instid0(VALU_DEP_2)
	v_add_lshl_u32 v11, v11, v20, 2
	v_add_f32_e32 v12, v22, v10
	v_cndmask_b32_e64 v10, 0, 4, vcc_lo
	v_cmp_gt_u32_e32 vcc_lo, 30, v20
	ds_bpermute_b32 v11, v11, v12
	v_add_lshl_u32 v10, v10, v20, 2
	s_wait_dscnt 0x0
	v_add_f32_e32 v12, v12, v11
	v_cndmask_b32_e64 v11, 0, 2, vcc_lo
	v_cmp_ne_u32_e32 vcc_lo, 31, v20
	ds_bpermute_b32 v13, v10, v12
	v_add_lshl_u32 v11, v11, v20, 2
	v_add_co_ci_u32_e64 v14, null, 0, v20, vcc_lo
	s_wait_dscnt 0x0
	v_add_f32_e32 v12, v12, v13
	ds_bpermute_b32 v13, v11, v12
	s_wait_dscnt 0x0
	v_dual_add_f32 v13, v12, v13 :: v_dual_lshlrev_b32 v12, 2, v14
	ds_bpermute_b32 v14, v12, v13
	s_and_saveexec_b32 s36, s4
	s_cbranch_execz .LBB525_25
; %bb.24:                               ;   in Loop: Header=BB525_4 Depth=1
	s_wait_dscnt 0x0
	v_add_f32_e32 v13, v13, v14
	ds_store_b32 v19, v13
.LBB525_25:                             ;   in Loop: Header=BB525_4 Depth=1
	s_or_b32 exec_lo, exec_lo, s36
	v_mov_b32_e32 v13, 0
	s_wait_dscnt 0x0
	s_barrier_signal -1
	s_barrier_wait -1
	s_and_saveexec_b32 s36, s5
	s_cbranch_execnz .LBB525_32
; %bb.26:                               ;   in Loop: Header=BB525_4 Depth=1
	s_or_b32 exec_lo, exec_lo, s36
	s_and_saveexec_b32 s36, s3
	s_cbranch_execnz .LBB525_33
.LBB525_27:                             ;   in Loop: Header=BB525_4 Depth=1
	s_or_b32 exec_lo, exec_lo, s36
                                        ; implicit-def: $vgpr14
	s_and_saveexec_b32 s36, s0
	s_cbranch_execnz .LBB525_34
	s_branch .LBB525_37
.LBB525_28:                             ;   in Loop: Header=BB525_4 Depth=1
	v_add_nc_u64_e32 v[14:15], v[10:11], v[6:7]
	s_delay_alu instid0(VALU_DEP_2)
	v_mov_b64_e32 v[16:17], v[12:13]
	v_dual_mov_b32 v22, 0 :: v_dual_mov_b32 v23, v0
	s_mov_b32 s37, 0
.LBB525_29:                             ;   Parent Loop BB525_4 Depth=1
                                        ; =>  This Inner Loop Header: Depth=2
	flat_load_u16 v24, v[16:17]
	flat_load_u16 v25, v[14:15]
	s_wait_xcnt 0x1
	v_add_nc_u64_e32 v[16:17], 0x200, v[16:17]
	s_wait_xcnt 0x0
	v_add_nc_u64_e32 v[14:15], s[24:25], v[14:15]
	s_wait_loadcnt_dscnt 0x0
	v_mul_f16_e32 v24, v24, v25
	s_delay_alu instid0(VALU_DEP_1) | instskip(NEXT) | instid1(VALU_DEP_1)
	v_cvt_f32_f16_e32 v24, v24
	v_dual_add_f32 v22, v22, v24 :: v_dual_add_nc_u32 v23, 0x100, v23
	s_delay_alu instid0(VALU_DEP_1) | instskip(SKIP_1) | instid1(SALU_CYCLE_1)
	v_cmp_le_i32_e32 vcc_lo, s20, v23
	s_or_b32 s37, vcc_lo, s37
	s_and_not1_b32 exec_lo, exec_lo, s37
	s_cbranch_execnz .LBB525_29
; %bb.30:                               ;   in Loop: Header=BB525_4 Depth=1
	s_or_b32 exec_lo, exec_lo, s37
	s_delay_alu instid0(SALU_CYCLE_1)
	s_or_b32 exec_lo, exec_lo, s36
	s_and_saveexec_b32 s36, s2
	s_cbranch_execz .LBB525_21
.LBB525_31:                             ;   in Loop: Header=BB525_4 Depth=1
	v_lshl_add_u64 v[12:13], s[20:21], 1, v[12:13]
	v_lshl_add_u64 v[10:11], v[4:5], 1, v[10:11]
	flat_load_u16 v14, v[12:13]
	flat_load_u16 v15, v[10:11]
	s_wait_loadcnt_dscnt 0x0
	s_wait_xcnt 0x0
	v_mul_f16_e32 v10, v14, v15
	s_delay_alu instid0(VALU_DEP_1) | instskip(NEXT) | instid1(VALU_DEP_1)
	v_cvt_f32_f16_e32 v10, v10
	v_add_f32_e32 v22, v22, v10
	s_or_b32 exec_lo, exec_lo, s36
	s_and_saveexec_b32 s36, s3
	s_cbranch_execnz .LBB525_22
	s_branch .LBB525_23
.LBB525_32:                             ;   in Loop: Header=BB525_4 Depth=1
	ds_load_b32 v13, v1
	s_or_b32 exec_lo, exec_lo, s36
	s_and_saveexec_b32 s36, s3
	s_cbranch_execz .LBB525_27
.LBB525_33:                             ;   in Loop: Header=BB525_4 Depth=1
	s_wait_dscnt 0x0
	ds_bpermute_b32 v10, v10, v13
	s_wait_dscnt 0x0
	v_add_f32_e32 v10, v13, v10
	ds_bpermute_b32 v11, v11, v10
	s_wait_dscnt 0x0
	v_add_f32_e32 v10, v10, v11
	;; [unrolled: 3-line block ×3, first 2 shown]
	s_or_b32 exec_lo, exec_lo, s36
                                        ; implicit-def: $vgpr14
	s_and_saveexec_b32 s36, s0
	s_cbranch_execz .LBB525_37
.LBB525_34:                             ;   in Loop: Header=BB525_4 Depth=1
	s_wait_dscnt 0x0
	v_mul_f32_e32 v14, s29, v13
	s_and_not1_b32 vcc_lo, exec_lo, s34
	s_cbranch_vccnz .LBB525_36
; %bb.35:                               ;   in Loop: Header=BB525_4 Depth=1
	v_add_nc_u64_e32 v[10:11], s[26:27], v[8:9]
	flat_load_b32 v10, v[10:11]
	s_wait_loadcnt_dscnt 0x0
	v_fmac_f32_e32 v14, s30, v10
.LBB525_36:                             ;   in Loop: Header=BB525_4 Depth=1
	s_or_b32 s35, s35, exec_lo
.LBB525_37:                             ;   in Loop: Header=BB525_4 Depth=1
	s_wait_xcnt 0x0
	s_or_b32 exec_lo, exec_lo, s36
.LBB525_38:                             ;   in Loop: Header=BB525_4 Depth=1
	s_and_saveexec_b32 s36, s35
	s_cbranch_execz .LBB525_2
; %bb.39:                               ;   in Loop: Header=BB525_4 Depth=1
	v_add_nc_u64_e32 v[8:9], s[26:27], v[8:9]
	flat_store_b32 v[8:9], v14
	s_branch .LBB525_2
.LBB525_40:
	s_endpgm
	.section	.rodata,"a",@progbits
	.p2align	6, 0x0
	.amdhsa_kernel _ZL32rocblas_gemvt_warp_reduce_kernelILb0ELi256ElPKDF16_fKPfEviiT3_lPKT2_lT1_lS7_lS8_lS4_lPT4_lS8_li
		.amdhsa_group_segment_fixed_size 128
		.amdhsa_private_segment_fixed_size 0
		.amdhsa_kernarg_size 140
		.amdhsa_user_sgpr_count 2
		.amdhsa_user_sgpr_dispatch_ptr 0
		.amdhsa_user_sgpr_queue_ptr 0
		.amdhsa_user_sgpr_kernarg_segment_ptr 1
		.amdhsa_user_sgpr_dispatch_id 0
		.amdhsa_user_sgpr_kernarg_preload_length 0
		.amdhsa_user_sgpr_kernarg_preload_offset 0
		.amdhsa_user_sgpr_private_segment_size 0
		.amdhsa_wavefront_size32 1
		.amdhsa_uses_dynamic_stack 0
		.amdhsa_enable_private_segment 0
		.amdhsa_system_sgpr_workgroup_id_x 1
		.amdhsa_system_sgpr_workgroup_id_y 0
		.amdhsa_system_sgpr_workgroup_id_z 1
		.amdhsa_system_sgpr_workgroup_info 0
		.amdhsa_system_vgpr_workitem_id 0
		.amdhsa_next_free_vgpr 26
		.amdhsa_next_free_sgpr 38
		.amdhsa_named_barrier_count 0
		.amdhsa_reserve_vcc 1
		.amdhsa_float_round_mode_32 0
		.amdhsa_float_round_mode_16_64 0
		.amdhsa_float_denorm_mode_32 3
		.amdhsa_float_denorm_mode_16_64 3
		.amdhsa_fp16_overflow 0
		.amdhsa_memory_ordered 1
		.amdhsa_forward_progress 1
		.amdhsa_inst_pref_size 12
		.amdhsa_round_robin_scheduling 0
		.amdhsa_exception_fp_ieee_invalid_op 0
		.amdhsa_exception_fp_denorm_src 0
		.amdhsa_exception_fp_ieee_div_zero 0
		.amdhsa_exception_fp_ieee_overflow 0
		.amdhsa_exception_fp_ieee_underflow 0
		.amdhsa_exception_fp_ieee_inexact 0
		.amdhsa_exception_int_div_zero 0
	.end_amdhsa_kernel
	.section	.text._ZL32rocblas_gemvt_warp_reduce_kernelILb0ELi256ElPKDF16_fKPfEviiT3_lPKT2_lT1_lS7_lS8_lS4_lPT4_lS8_li,"axG",@progbits,_ZL32rocblas_gemvt_warp_reduce_kernelILb0ELi256ElPKDF16_fKPfEviiT3_lPKT2_lT1_lS7_lS8_lS4_lPT4_lS8_li,comdat
.Lfunc_end525:
	.size	_ZL32rocblas_gemvt_warp_reduce_kernelILb0ELi256ElPKDF16_fKPfEviiT3_lPKT2_lT1_lS7_lS8_lS4_lPT4_lS8_li, .Lfunc_end525-_ZL32rocblas_gemvt_warp_reduce_kernelILb0ELi256ElPKDF16_fKPfEviiT3_lPKT2_lT1_lS7_lS8_lS4_lPT4_lS8_li
                                        ; -- End function
	.set _ZL32rocblas_gemvt_warp_reduce_kernelILb0ELi256ElPKDF16_fKPfEviiT3_lPKT2_lT1_lS7_lS8_lS4_lPT4_lS8_li.num_vgpr, 26
	.set _ZL32rocblas_gemvt_warp_reduce_kernelILb0ELi256ElPKDF16_fKPfEviiT3_lPKT2_lT1_lS7_lS8_lS4_lPT4_lS8_li.num_agpr, 0
	.set _ZL32rocblas_gemvt_warp_reduce_kernelILb0ELi256ElPKDF16_fKPfEviiT3_lPKT2_lT1_lS7_lS8_lS4_lPT4_lS8_li.numbered_sgpr, 38
	.set _ZL32rocblas_gemvt_warp_reduce_kernelILb0ELi256ElPKDF16_fKPfEviiT3_lPKT2_lT1_lS7_lS8_lS4_lPT4_lS8_li.num_named_barrier, 0
	.set _ZL32rocblas_gemvt_warp_reduce_kernelILb0ELi256ElPKDF16_fKPfEviiT3_lPKT2_lT1_lS7_lS8_lS4_lPT4_lS8_li.private_seg_size, 0
	.set _ZL32rocblas_gemvt_warp_reduce_kernelILb0ELi256ElPKDF16_fKPfEviiT3_lPKT2_lT1_lS7_lS8_lS4_lPT4_lS8_li.uses_vcc, 1
	.set _ZL32rocblas_gemvt_warp_reduce_kernelILb0ELi256ElPKDF16_fKPfEviiT3_lPKT2_lT1_lS7_lS8_lS4_lPT4_lS8_li.uses_flat_scratch, 0
	.set _ZL32rocblas_gemvt_warp_reduce_kernelILb0ELi256ElPKDF16_fKPfEviiT3_lPKT2_lT1_lS7_lS8_lS4_lPT4_lS8_li.has_dyn_sized_stack, 0
	.set _ZL32rocblas_gemvt_warp_reduce_kernelILb0ELi256ElPKDF16_fKPfEviiT3_lPKT2_lT1_lS7_lS8_lS4_lPT4_lS8_li.has_recursion, 0
	.set _ZL32rocblas_gemvt_warp_reduce_kernelILb0ELi256ElPKDF16_fKPfEviiT3_lPKT2_lT1_lS7_lS8_lS4_lPT4_lS8_li.has_indirect_call, 0
	.section	.AMDGPU.csdata,"",@progbits
; Kernel info:
; codeLenInByte = 1444
; TotalNumSgprs: 40
; NumVgprs: 26
; ScratchSize: 0
; MemoryBound: 0
; FloatMode: 240
; IeeeMode: 1
; LDSByteSize: 128 bytes/workgroup (compile time only)
; SGPRBlocks: 0
; VGPRBlocks: 1
; NumSGPRsForWavesPerEU: 40
; NumVGPRsForWavesPerEU: 26
; NamedBarCnt: 0
; Occupancy: 16
; WaveLimiterHint : 1
; COMPUTE_PGM_RSRC2:SCRATCH_EN: 0
; COMPUTE_PGM_RSRC2:USER_SGPR: 2
; COMPUTE_PGM_RSRC2:TRAP_HANDLER: 0
; COMPUTE_PGM_RSRC2:TGID_X_EN: 1
; COMPUTE_PGM_RSRC2:TGID_Y_EN: 0
; COMPUTE_PGM_RSRC2:TGID_Z_EN: 1
; COMPUTE_PGM_RSRC2:TIDIG_COMP_CNT: 0
	.section	.text._ZL20rocblas_gemvt_kernelILb0ELi256EPKDF16_PKfKPfEviiT2_lPKT1_lilS9_lilS6_lPT3_lili,"axG",@progbits,_ZL20rocblas_gemvt_kernelILb0ELi256EPKDF16_PKfKPfEviiT2_lPKT1_lilS9_lilS6_lPT3_lili,comdat
	.globl	_ZL20rocblas_gemvt_kernelILb0ELi256EPKDF16_PKfKPfEviiT2_lPKT1_lilS9_lilS6_lPT3_lili ; -- Begin function _ZL20rocblas_gemvt_kernelILb0ELi256EPKDF16_PKfKPfEviiT2_lPKT1_lilS9_lilS6_lPT3_lili
	.p2align	8
	.type	_ZL20rocblas_gemvt_kernelILb0ELi256EPKDF16_PKfKPfEviiT2_lPKT1_lilS9_lilS6_lPT3_lili,@function
_ZL20rocblas_gemvt_kernelILb0ELi256EPKDF16_PKfKPfEviiT2_lPKT1_lilS9_lilS6_lPT3_lili: ; @_ZL20rocblas_gemvt_kernelILb0ELi256EPKDF16_PKfKPfEviiT2_lPKT1_lilS9_lilS6_lPT3_lili
; %bb.0:
	s_load_b32 s11, s[0:1], 0x88
	s_bfe_u32 s2, ttmp6, 0x40014
	s_lshr_b32 s3, ttmp7, 16
	s_add_co_i32 s2, s2, 1
	s_bfe_u32 s5, ttmp6, 0x40008
	s_mul_i32 s4, s3, s2
	s_getreg_b32 s2, hwreg(HW_REG_IB_STS2, 6, 4)
	s_add_co_i32 s5, s5, s4
	s_cmp_eq_u32 s2, 0
	s_mov_b32 s35, 0
	s_cselect_b32 s34, s3, s5
	s_wait_kmcnt 0x0
	s_cmp_ge_u32 s34, s11
	s_cbranch_scc1 .LBB526_45
; %bb.1:
	s_clause 0x3
	s_load_b32 s4, s[0:1], 0x28
	s_load_b32 s40, s[0:1], 0x48
	;; [unrolled: 1-line block ×4, first 2 shown]
	s_bfe_u32 s3, ttmp6, 0x4000c
	s_and_b32 s5, ttmp6, 15
	s_add_co_i32 s3, s3, 1
	s_load_b128 s[28:31], s[0:1], 0x38
	s_mul_i32 s3, ttmp9, s3
	s_clause 0x1
	s_load_b256 s[12:19], s[0:1], 0x8
	s_load_b256 s[20:27], s[0:1], 0x58
	s_add_co_i32 s3, s5, s3
	s_wait_xcnt 0x0
	v_cmp_eq_u32_e64 s0, 0, v0
	v_lshlrev_b32_e32 v16, 2, v0
	s_wait_kmcnt 0x0
	s_ashr_i32 s5, s4, 31
	s_ashr_i32 s41, s40, 31
	;; [unrolled: 1-line block ×3, first 2 shown]
	s_cmp_eq_u32 s2, 0
	v_cmp_gt_i32_e32 vcc_lo, s8, v0
	s_cselect_b32 s2, ttmp9, s3
	s_ashr_i32 s3, s8, 31
	s_delay_alu instid0(SALU_CYCLE_1) | instskip(SKIP_2) | instid1(SALU_CYCLE_1)
	s_lshr_b32 s3, s3, 24
	v_cndmask_b32_e32 v8, 0, v0, vcc_lo
	s_add_co_i32 s3, s8, s3
	s_and_b32 s36, s3, 0xffffff00
	s_delay_alu instid0(SALU_CYCLE_1) | instskip(SKIP_3) | instid1(VALU_DEP_1)
	v_dual_mov_b32 v1, 0 :: v_dual_bitop2_b32 v4, s36, v0 bitop3:0x54
	s_ashr_i32 s3, s2, 31
	s_cmp_gt_i32 s8, 0xff
	s_mul_u64 s[42:43], s[6:7], s[2:3]
	v_mul_u64_e32 v[6:7], s[40:41], v[0:1]
	v_ashrrev_i32_e32 v5, 31, v4
	v_cmp_gt_i32_e64 s1, s8, v4
	s_mul_u64 s[38:39], s[4:5], s[2:3]
	v_cmp_gt_u32_e64 s2, 0x80, v0
	v_cmp_gt_u32_e64 s3, 64, v0
	v_mul_u64_e32 v[2:3], s[40:41], v[4:5]
	v_cmp_gt_u32_e64 s4, 32, v0
	v_cmp_gt_u32_e64 s5, 16, v0
	;; [unrolled: 1-line block ×5, first 2 shown]
	v_lshlrev_b32_e32 v0, 1, v8
	s_cselect_b32 s33, -1, 0
	s_ashr_i32 s37, s36, 31
	s_lshl_b64 s[40:41], s[40:41], 9
	s_lshl_b64 s[18:19], s[18:19], 1
	;; [unrolled: 1-line block ×5, first 2 shown]
	v_lshlrev_b64_e32 v[4:5], 1, v[6:7]
	s_branch .LBB526_4
.LBB526_2:                              ;   in Loop: Header=BB526_4 Depth=1
	s_wait_xcnt 0x0
	s_or_b32 exec_lo, exec_lo, s10
.LBB526_3:                              ;   in Loop: Header=BB526_4 Depth=1
	s_add_co_i32 s34, s34, 0x10000
	s_delay_alu instid0(SALU_CYCLE_1)
	s_cmp_lt_u32 s34, s11
	s_cbranch_scc0 .LBB526_45
.LBB526_4:                              ; =>This Loop Header: Depth=1
                                        ;     Child Loop BB526_19 Depth 2
	s_mul_u64 s[44:45], s[14:15], s[34:35]
	s_wait_xcnt 0x0
	s_mul_u64 s[46:47], s[22:23], s[34:35]
	s_lshl_b64 s[44:45], s[44:45], 2
	s_lshl_b64 s[46:47], s[46:47], 2
	s_add_nc_u64 s[44:45], s[12:13], s[44:45]
	s_add_nc_u64 s[46:47], s[20:21], s[46:47]
	s_clause 0x1
	global_load_b32 v17, v1, s[44:45]
	global_load_b32 v6, v1, s[46:47]
	s_wait_loadcnt 0x1
	v_cmp_eq_f32_e64 s9, 0, v17
	s_wait_loadcnt 0x0
	v_cmp_eq_f32_e32 vcc_lo, 1.0, v6
	s_wait_xcnt 0x1
	v_readfirstlane_b32 s44, v6
	s_and_b32 s10, s9, vcc_lo
	s_delay_alu instid0(SALU_CYCLE_1)
	s_and_b32 vcc_lo, exec_lo, s10
	s_cbranch_vccnz .LBB526_3
; %bb.5:                                ;   in Loop: Header=BB526_4 Depth=1
	v_mov_b64_e32 v[8:9], 0
	v_mov_b64_e32 v[10:11], 0
	v_cmp_neq_f32_e64 s10, 0, v17
	s_and_b32 vcc_lo, exec_lo, s9
	s_cbranch_vccnz .LBB526_7
; %bb.6:                                ;   in Loop: Header=BB526_4 Depth=1
	s_wait_xcnt 0x0
	s_lshl_b64 s[46:47], s[34:35], 3
	s_delay_alu instid0(SALU_CYCLE_1)
	s_add_nc_u64 s[46:47], s[16:17], s[46:47]
	global_load_b64 v[6:7], v1, s[46:47]
	s_wait_loadcnt 0x0
	v_add_nc_u64_e32 v[10:11], s[18:19], v[6:7]
.LBB526_7:                              ;   in Loop: Header=BB526_4 Depth=1
	s_and_not1_b32 vcc_lo, exec_lo, s10
	s_cbranch_vccnz .LBB526_9
; %bb.8:                                ;   in Loop: Header=BB526_4 Depth=1
	s_wait_xcnt 0x0
	s_lshl_b64 s[46:47], s[34:35], 3
	s_delay_alu instid0(SALU_CYCLE_1)
	s_add_nc_u64 s[46:47], s[28:29], s[46:47]
	global_load_b64 v[6:7], v1, s[46:47]
	s_wait_loadcnt 0x0
	v_add_nc_u64_e32 v[8:9], s[30:31], v[6:7]
.LBB526_9:                              ;   in Loop: Header=BB526_4 Depth=1
	s_wait_xcnt 0x0
	s_lshl_b64 s[46:47], s[34:35], 3
	s_and_not1_b32 vcc_lo, exec_lo, s9
	s_add_nc_u64 s[46:47], s[24:25], s[46:47]
	global_load_b64 v[6:7], v1, s[46:47]
	s_wait_loadcnt 0x0
	v_add_nc_u64_e32 v[6:7], s[26:27], v[6:7]
	s_cbranch_vccnz .LBB526_13
; %bb.10:                               ;   in Loop: Header=BB526_4 Depth=1
	s_mov_b32 s10, 0
	s_mov_b32 s9, 0
                                        ; implicit-def: $vgpr12
	s_wait_xcnt 0x0
	s_and_saveexec_b32 s45, s0
	s_cbranch_execz .LBB526_14
; %bb.11:                               ;   in Loop: Header=BB526_4 Depth=1
	s_cmp_eq_f32 s44, 0
	s_cbranch_scc1 .LBB526_15
; %bb.12:                               ;   in Loop: Header=BB526_4 Depth=1
	v_add_nc_u64_e32 v[12:13], s[42:43], v[6:7]
	flat_load_b32 v12, v[12:13]
	s_wait_loadcnt_dscnt 0x0
	s_wait_xcnt 0x0
	v_mul_f32_e32 v12, s44, v12
	s_branch .LBB526_16
.LBB526_13:                             ;   in Loop: Header=BB526_4 Depth=1
	s_mov_b32 s9, 0
                                        ; implicit-def: $vgpr12
	s_cbranch_execnz .LBB526_17
	s_branch .LBB526_43
.LBB526_14:                             ;   in Loop: Header=BB526_4 Depth=1
	s_or_b32 exec_lo, exec_lo, s45
	s_delay_alu instid0(SALU_CYCLE_1)
	s_and_b32 vcc_lo, exec_lo, s10
	s_cbranch_vccnz .LBB526_17
	s_branch .LBB526_43
.LBB526_15:                             ;   in Loop: Header=BB526_4 Depth=1
	v_mov_b32_e32 v12, 0
.LBB526_16:                             ;   in Loop: Header=BB526_4 Depth=1
	s_mov_b32 s9, exec_lo
	s_or_b32 exec_lo, exec_lo, s45
	s_delay_alu instid0(SALU_CYCLE_1)
	s_and_b32 vcc_lo, exec_lo, s10
	s_cbranch_vccz .LBB526_43
.LBB526_17:                             ;   in Loop: Header=BB526_4 Depth=1
	v_add_nc_u64_e32 v[10:11], v[10:11], v[0:1]
	v_mov_b32_e32 v18, 0
	s_and_not1_b32 vcc_lo, exec_lo, s33
	s_delay_alu instid0(VALU_DEP_2)
	v_lshl_add_u64 v[10:11], s[38:39], 1, v[10:11]
	s_cbranch_vccnz .LBB526_20
; %bb.18:                               ;   in Loop: Header=BB526_4 Depth=1
	v_add_nc_u64_e32 v[12:13], v[8:9], v[4:5]
	s_delay_alu instid0(VALU_DEP_2)
	v_mov_b64_e32 v[14:15], v[10:11]
	v_mov_b32_e32 v18, 0
	s_mov_b32 s10, 0
.LBB526_19:                             ;   Parent Loop BB526_4 Depth=1
                                        ; =>  This Inner Loop Header: Depth=2
	flat_load_u16 v19, v[14:15]
	flat_load_u16 v20, v[12:13]
	s_wait_xcnt 0x0
	v_add_nc_u64_e32 v[12:13], s[40:41], v[12:13]
	v_add_nc_u64_e32 v[14:15], 0x200, v[14:15]
	s_addk_co_i32 s10, 0x100
	s_delay_alu instid0(SALU_CYCLE_1) | instskip(SKIP_2) | instid1(VALU_DEP_1)
	s_cmp_ge_i32 s10, s36
	s_wait_loadcnt_dscnt 0x0
	v_mul_f16_e32 v19, v19, v20
	v_cvt_f32_f16_e32 v19, v19
	s_delay_alu instid0(VALU_DEP_1)
	v_add_f32_e32 v18, v18, v19
	s_cbranch_scc0 .LBB526_19
.LBB526_20:                             ;   in Loop: Header=BB526_4 Depth=1
	s_wait_xcnt 0x0
	s_and_saveexec_b32 s10, s1
	s_cbranch_execz .LBB526_22
; %bb.21:                               ;   in Loop: Header=BB526_4 Depth=1
	v_lshl_add_u64 v[10:11], s[36:37], 1, v[10:11]
	v_lshl_add_u64 v[8:9], v[2:3], 1, v[8:9]
	flat_load_u16 v12, v[10:11]
	flat_load_u16 v13, v[8:9]
	s_wait_loadcnt_dscnt 0x0
	s_wait_xcnt 0x0
	v_mul_f16_e32 v8, v12, v13
	s_delay_alu instid0(VALU_DEP_1) | instskip(NEXT) | instid1(VALU_DEP_1)
	v_cvt_f32_f16_e32 v8, v8
	v_add_f32_e32 v18, v18, v8
.LBB526_22:                             ;   in Loop: Header=BB526_4 Depth=1
	s_or_b32 exec_lo, exec_lo, s10
	ds_store_b32 v16, v18
	s_wait_dscnt 0x0
	s_barrier_signal -1
	s_barrier_wait -1
	s_and_saveexec_b32 s10, s2
	s_cbranch_execz .LBB526_24
; %bb.23:                               ;   in Loop: Header=BB526_4 Depth=1
	ds_load_2addr_stride64_b32 v[8:9], v16 offset1:2
	s_wait_dscnt 0x0
	v_add_f32_e32 v8, v9, v8
	ds_store_b32 v16, v8
.LBB526_24:                             ;   in Loop: Header=BB526_4 Depth=1
	s_or_b32 exec_lo, exec_lo, s10
	s_wait_dscnt 0x0
	s_barrier_signal -1
	s_barrier_wait -1
	s_and_saveexec_b32 s10, s3
	s_cbranch_execz .LBB526_26
; %bb.25:                               ;   in Loop: Header=BB526_4 Depth=1
	ds_load_2addr_stride64_b32 v[8:9], v16 offset1:1
	s_wait_dscnt 0x0
	v_add_f32_e32 v8, v9, v8
	ds_store_b32 v16, v8
.LBB526_26:                             ;   in Loop: Header=BB526_4 Depth=1
	s_or_b32 exec_lo, exec_lo, s10
	s_wait_dscnt 0x0
	s_barrier_signal -1
	s_barrier_wait -1
	s_and_saveexec_b32 s10, s4
	s_cbranch_execz .LBB526_28
; %bb.27:                               ;   in Loop: Header=BB526_4 Depth=1
	ds_load_2addr_b32 v[8:9], v16 offset1:32
	s_wait_dscnt 0x0
	v_add_f32_e32 v8, v9, v8
	ds_store_b32 v16, v8
.LBB526_28:                             ;   in Loop: Header=BB526_4 Depth=1
	s_or_b32 exec_lo, exec_lo, s10
	s_wait_dscnt 0x0
	s_barrier_signal -1
	s_barrier_wait -1
	s_and_saveexec_b32 s10, s5
	s_cbranch_execz .LBB526_30
; %bb.29:                               ;   in Loop: Header=BB526_4 Depth=1
	ds_load_2addr_b32 v[8:9], v16 offset1:16
	s_wait_dscnt 0x0
	v_add_f32_e32 v8, v9, v8
	ds_store_b32 v16, v8
.LBB526_30:                             ;   in Loop: Header=BB526_4 Depth=1
	;; [unrolled: 12-line block ×5, first 2 shown]
	s_or_b32 exec_lo, exec_lo, s10
	s_wait_dscnt 0x0
	s_barrier_signal -1
	s_barrier_wait -1
	s_and_saveexec_b32 s10, s0
	s_cbranch_execz .LBB526_38
; %bb.37:                               ;   in Loop: Header=BB526_4 Depth=1
	ds_load_b64 v[8:9], v1
	s_wait_dscnt 0x0
	v_add_f32_e32 v8, v9, v8
	ds_store_b32 v1, v8
.LBB526_38:                             ;   in Loop: Header=BB526_4 Depth=1
	s_or_b32 exec_lo, exec_lo, s10
	s_wait_dscnt 0x0
	s_barrier_signal -1
	s_barrier_wait -1
                                        ; implicit-def: $vgpr12
	s_and_saveexec_b32 s10, s0
	s_cbranch_execz .LBB526_42
; %bb.39:                               ;   in Loop: Header=BB526_4 Depth=1
	ds_load_b32 v8, v1
	s_cmp_eq_f32 s44, 0
	s_wait_dscnt 0x0
	v_mul_f32_e32 v12, v17, v8
	s_cbranch_scc1 .LBB526_41
; %bb.40:                               ;   in Loop: Header=BB526_4 Depth=1
	v_add_nc_u64_e32 v[8:9], s[42:43], v[6:7]
	flat_load_b32 v8, v[8:9]
	s_wait_loadcnt_dscnt 0x0
	v_fmac_f32_e32 v12, s44, v8
.LBB526_41:                             ;   in Loop: Header=BB526_4 Depth=1
	s_or_b32 s9, s9, exec_lo
.LBB526_42:                             ;   in Loop: Header=BB526_4 Depth=1
	s_wait_xcnt 0x0
	s_or_b32 exec_lo, exec_lo, s10
.LBB526_43:                             ;   in Loop: Header=BB526_4 Depth=1
	s_wait_xcnt 0x0
	s_and_saveexec_b32 s10, s9
	s_cbranch_execz .LBB526_2
; %bb.44:                               ;   in Loop: Header=BB526_4 Depth=1
	v_add_nc_u64_e32 v[6:7], s[42:43], v[6:7]
	flat_store_b32 v[6:7], v12
	s_branch .LBB526_2
.LBB526_45:
	s_endpgm
	.section	.rodata,"a",@progbits
	.p2align	6, 0x0
	.amdhsa_kernel _ZL20rocblas_gemvt_kernelILb0ELi256EPKDF16_PKfKPfEviiT2_lPKT1_lilS9_lilS6_lPT3_lili
		.amdhsa_group_segment_fixed_size 1024
		.amdhsa_private_segment_fixed_size 0
		.amdhsa_kernarg_size 140
		.amdhsa_user_sgpr_count 2
		.amdhsa_user_sgpr_dispatch_ptr 0
		.amdhsa_user_sgpr_queue_ptr 0
		.amdhsa_user_sgpr_kernarg_segment_ptr 1
		.amdhsa_user_sgpr_dispatch_id 0
		.amdhsa_user_sgpr_kernarg_preload_length 0
		.amdhsa_user_sgpr_kernarg_preload_offset 0
		.amdhsa_user_sgpr_private_segment_size 0
		.amdhsa_wavefront_size32 1
		.amdhsa_uses_dynamic_stack 0
		.amdhsa_enable_private_segment 0
		.amdhsa_system_sgpr_workgroup_id_x 1
		.amdhsa_system_sgpr_workgroup_id_y 0
		.amdhsa_system_sgpr_workgroup_id_z 1
		.amdhsa_system_sgpr_workgroup_info 0
		.amdhsa_system_vgpr_workitem_id 0
		.amdhsa_next_free_vgpr 21
		.amdhsa_next_free_sgpr 48
		.amdhsa_named_barrier_count 0
		.amdhsa_reserve_vcc 1
		.amdhsa_float_round_mode_32 0
		.amdhsa_float_round_mode_16_64 0
		.amdhsa_float_denorm_mode_32 3
		.amdhsa_float_denorm_mode_16_64 3
		.amdhsa_fp16_overflow 0
		.amdhsa_memory_ordered 1
		.amdhsa_forward_progress 1
		.amdhsa_inst_pref_size 12
		.amdhsa_round_robin_scheduling 0
		.amdhsa_exception_fp_ieee_invalid_op 0
		.amdhsa_exception_fp_denorm_src 0
		.amdhsa_exception_fp_ieee_div_zero 0
		.amdhsa_exception_fp_ieee_overflow 0
		.amdhsa_exception_fp_ieee_underflow 0
		.amdhsa_exception_fp_ieee_inexact 0
		.amdhsa_exception_int_div_zero 0
	.end_amdhsa_kernel
	.section	.text._ZL20rocblas_gemvt_kernelILb0ELi256EPKDF16_PKfKPfEviiT2_lPKT1_lilS9_lilS6_lPT3_lili,"axG",@progbits,_ZL20rocblas_gemvt_kernelILb0ELi256EPKDF16_PKfKPfEviiT2_lPKT1_lilS9_lilS6_lPT3_lili,comdat
.Lfunc_end526:
	.size	_ZL20rocblas_gemvt_kernelILb0ELi256EPKDF16_PKfKPfEviiT2_lPKT1_lilS9_lilS6_lPT3_lili, .Lfunc_end526-_ZL20rocblas_gemvt_kernelILb0ELi256EPKDF16_PKfKPfEviiT2_lPKT1_lilS9_lilS6_lPT3_lili
                                        ; -- End function
	.set _ZL20rocblas_gemvt_kernelILb0ELi256EPKDF16_PKfKPfEviiT2_lPKT1_lilS9_lilS6_lPT3_lili.num_vgpr, 21
	.set _ZL20rocblas_gemvt_kernelILb0ELi256EPKDF16_PKfKPfEviiT2_lPKT1_lilS9_lilS6_lPT3_lili.num_agpr, 0
	.set _ZL20rocblas_gemvt_kernelILb0ELi256EPKDF16_PKfKPfEviiT2_lPKT1_lilS9_lilS6_lPT3_lili.numbered_sgpr, 48
	.set _ZL20rocblas_gemvt_kernelILb0ELi256EPKDF16_PKfKPfEviiT2_lPKT1_lilS9_lilS6_lPT3_lili.num_named_barrier, 0
	.set _ZL20rocblas_gemvt_kernelILb0ELi256EPKDF16_PKfKPfEviiT2_lPKT1_lilS9_lilS6_lPT3_lili.private_seg_size, 0
	.set _ZL20rocblas_gemvt_kernelILb0ELi256EPKDF16_PKfKPfEviiT2_lPKT1_lilS9_lilS6_lPT3_lili.uses_vcc, 1
	.set _ZL20rocblas_gemvt_kernelILb0ELi256EPKDF16_PKfKPfEviiT2_lPKT1_lilS9_lilS6_lPT3_lili.uses_flat_scratch, 0
	.set _ZL20rocblas_gemvt_kernelILb0ELi256EPKDF16_PKfKPfEviiT2_lPKT1_lilS9_lilS6_lPT3_lili.has_dyn_sized_stack, 0
	.set _ZL20rocblas_gemvt_kernelILb0ELi256EPKDF16_PKfKPfEviiT2_lPKT1_lilS9_lilS6_lPT3_lili.has_recursion, 0
	.set _ZL20rocblas_gemvt_kernelILb0ELi256EPKDF16_PKfKPfEviiT2_lPKT1_lilS9_lilS6_lPT3_lili.has_indirect_call, 0
	.section	.AMDGPU.csdata,"",@progbits
; Kernel info:
; codeLenInByte = 1484
; TotalNumSgprs: 50
; NumVgprs: 21
; ScratchSize: 0
; MemoryBound: 0
; FloatMode: 240
; IeeeMode: 1
; LDSByteSize: 1024 bytes/workgroup (compile time only)
; SGPRBlocks: 0
; VGPRBlocks: 1
; NumSGPRsForWavesPerEU: 50
; NumVGPRsForWavesPerEU: 21
; NamedBarCnt: 0
; Occupancy: 16
; WaveLimiterHint : 1
; COMPUTE_PGM_RSRC2:SCRATCH_EN: 0
; COMPUTE_PGM_RSRC2:USER_SGPR: 2
; COMPUTE_PGM_RSRC2:TRAP_HANDLER: 0
; COMPUTE_PGM_RSRC2:TGID_X_EN: 1
; COMPUTE_PGM_RSRC2:TGID_Y_EN: 0
; COMPUTE_PGM_RSRC2:TGID_Z_EN: 1
; COMPUTE_PGM_RSRC2:TIDIG_COMP_CNT: 0
	.section	.text._ZL20rocblas_gemvt_kernelILb0ELi256EPKDF16_fKPfEviiT2_lPKT1_lilS7_lilS4_lPT3_lili,"axG",@progbits,_ZL20rocblas_gemvt_kernelILb0ELi256EPKDF16_fKPfEviiT2_lPKT1_lilS7_lilS4_lPT3_lili,comdat
	.globl	_ZL20rocblas_gemvt_kernelILb0ELi256EPKDF16_fKPfEviiT2_lPKT1_lilS7_lilS4_lPT3_lili ; -- Begin function _ZL20rocblas_gemvt_kernelILb0ELi256EPKDF16_fKPfEviiT2_lPKT1_lilS7_lilS4_lPT3_lili
	.p2align	8
	.type	_ZL20rocblas_gemvt_kernelILb0ELi256EPKDF16_fKPfEviiT2_lPKT1_lilS7_lilS4_lPT3_lili,@function
_ZL20rocblas_gemvt_kernelILb0ELi256EPKDF16_fKPfEviiT2_lPKT1_lilS7_lilS4_lPT3_lili: ; @_ZL20rocblas_gemvt_kernelILb0ELi256EPKDF16_fKPfEviiT2_lPKT1_lilS7_lilS4_lPT3_lili
; %bb.0:
	s_load_b32 s9, s[0:1], 0x88
	s_bfe_u32 s2, ttmp6, 0x40014
	s_lshr_b32 s3, ttmp7, 16
	s_add_co_i32 s2, s2, 1
	s_bfe_u32 s5, ttmp6, 0x40008
	s_mul_i32 s2, s3, s2
	s_getreg_b32 s4, hwreg(HW_REG_IB_STS2, 6, 4)
	s_add_co_i32 s5, s5, s2
	s_cmp_eq_u32 s4, 0
	s_mov_b32 s11, 0
	s_cselect_b32 s10, s3, s5
	s_wait_kmcnt 0x0
	s_cmp_ge_u32 s10, s9
	s_cbranch_scc1 .LBB527_47
; %bb.1:
	s_clause 0x7
	s_load_b32 s2, s[0:1], 0x28
	s_load_b32 s28, s[0:1], 0x48
	;; [unrolled: 1-line block ×5, first 2 shown]
	s_load_b128 s[12:15], s[0:1], 0x18
	s_load_b32 s8, s[0:1], 0x0
	s_load_b128 s[20:23], s[0:1], 0x68
	v_lshlrev_b32_e32 v17, 2, v0
	s_wait_kmcnt 0x0
	s_ashr_i32 s3, s2, 31
	s_ashr_i32 s29, s28, 31
	;; [unrolled: 1-line block ×3, first 2 shown]
	s_cmp_eq_f32 s33, 0
	s_cselect_b32 s35, -1, 0
	s_cmp_neq_f32 s34, 1.0
	s_cselect_b32 s5, -1, 0
	s_cmp_neq_f32 s33, 0
	s_cselect_b32 s16, -1, 0
	s_delay_alu instid0(SALU_CYCLE_1)
	s_or_b32 s36, s16, s5
	s_cmp_neq_f32 s34, 0
	v_cndmask_b32_e64 v16, 0, 1, s16
	s_cselect_b32 s37, -1, 0
	s_bfe_u32 s5, ttmp6, 0x4000c
	s_and_b32 s16, ttmp6, 15
	s_add_co_i32 s5, s5, 1
	s_delay_alu instid0(SALU_CYCLE_1) | instskip(NEXT) | instid1(SALU_CYCLE_1)
	s_mul_i32 s5, ttmp9, s5
	s_add_co_i32 s16, s16, s5
	s_cmp_eq_u32 s4, 0
	s_cselect_b32 s4, ttmp9, s16
	s_load_b128 s[16:19], s[0:1], 0x38
	s_ashr_i32 s5, s8, 31
	v_cmp_gt_i32_e32 vcc_lo, s8, v0
	s_lshr_b32 s5, s5, 24
	s_wait_xcnt 0x0
	v_cmp_eq_u32_e64 s0, 0, v0
	s_add_co_i32 s5, s8, s5
	s_delay_alu instid0(SALU_CYCLE_1) | instskip(NEXT) | instid1(SALU_CYCLE_1)
	s_and_b32 s24, s5, 0xffffff00
	v_dual_mov_b32 v1, 0 :: v_dual_bitop2_b32 v6, s24, v0 bitop3:0x54
	v_cndmask_b32_e32 v8, 0, v0, vcc_lo
	s_ashr_i32 s5, s4, 31
	s_cmp_gt_i32 s8, 0xff
	s_delay_alu instid0(VALU_DEP_2)
	v_mul_u64_e32 v[4:5], s[28:29], v[0:1]
	v_ashrrev_i32_e32 v7, 31, v6
	s_mul_u64 s[30:31], s[6:7], s[4:5]
	s_mul_u64 s[26:27], s[2:3], s[4:5]
	v_cmp_gt_i32_e64 s1, s8, v6
	v_cmp_gt_u32_e64 s2, 0x80, v0
	v_mul_u64_e32 v[2:3], s[28:29], v[6:7]
	v_cmp_gt_u32_e64 s3, 64, v0
	v_cmp_gt_u32_e64 s4, 32, v0
	;; [unrolled: 1-line block ×6, first 2 shown]
	v_lshlrev_b32_e32 v0, 1, v8
	s_cselect_b32 s38, -1, 0
	s_ashr_i32 s25, s24, 31
	s_lshl_b64 s[28:29], s[28:29], 9
	s_lshl_b64 s[14:15], s[14:15], 1
	s_wait_kmcnt 0x0
	s_lshl_b64 s[18:19], s[18:19], 1
	s_lshl_b64 s[22:23], s[22:23], 2
	;; [unrolled: 1-line block ×3, first 2 shown]
	v_lshlrev_b64_e32 v[4:5], 1, v[4:5]
	s_branch .LBB527_4
.LBB527_2:                              ;   in Loop: Header=BB527_4 Depth=1
	s_wait_xcnt 0x0
	s_or_b32 exec_lo, exec_lo, s40
.LBB527_3:                              ;   in Loop: Header=BB527_4 Depth=1
	s_add_co_i32 s10, s10, 0x10000
	s_delay_alu instid0(SALU_CYCLE_1)
	s_cmp_lt_u32 s10, s9
	s_cbranch_scc0 .LBB527_47
.LBB527_4:                              ; =>This Loop Header: Depth=1
                                        ;     Child Loop BB527_21 Depth 2
	s_and_not1_b32 vcc_lo, exec_lo, s36
	s_cbranch_vccnz .LBB527_3
; %bb.5:                                ;   in Loop: Header=BB527_4 Depth=1
	s_and_not1_b32 vcc_lo, exec_lo, s35
	s_cbranch_vccnz .LBB527_7
; %bb.6:                                ;   in Loop: Header=BB527_4 Depth=1
	v_mov_b64_e32 v[8:9], 0
	v_mov_b64_e32 v[10:11], 0
	s_cbranch_execz .LBB527_8
	s_branch .LBB527_9
.LBB527_7:                              ;   in Loop: Header=BB527_4 Depth=1
	v_mov_b64_e32 v[8:9], 0
	v_mov_b64_e32 v[10:11], 0
.LBB527_8:                              ;   in Loop: Header=BB527_4 Depth=1
	s_lshl_b64 s[40:41], s[10:11], 3
	s_delay_alu instid0(SALU_CYCLE_1)
	s_add_nc_u64 s[40:41], s[12:13], s[40:41]
	global_load_b64 v[6:7], v1, s[40:41]
	s_wait_loadcnt 0x0
	v_add_nc_u64_e32 v[10:11], s[14:15], v[6:7]
.LBB527_9:                              ;   in Loop: Header=BB527_4 Depth=1
	v_cmp_ne_u32_e32 vcc_lo, 1, v16
	s_cbranch_vccnz .LBB527_11
; %bb.10:                               ;   in Loop: Header=BB527_4 Depth=1
	s_wait_xcnt 0x0
	s_lshl_b64 s[40:41], s[10:11], 3
	s_delay_alu instid0(SALU_CYCLE_1)
	s_add_nc_u64 s[40:41], s[16:17], s[40:41]
	global_load_b64 v[6:7], v1, s[40:41]
	s_wait_loadcnt 0x0
	v_add_nc_u64_e32 v[8:9], s[18:19], v[6:7]
.LBB527_11:                             ;   in Loop: Header=BB527_4 Depth=1
	s_wait_xcnt 0x0
	s_lshl_b64 s[40:41], s[10:11], 3
	s_and_not1_b32 vcc_lo, exec_lo, s35
	s_add_nc_u64 s[40:41], s[20:21], s[40:41]
	global_load_b64 v[6:7], v1, s[40:41]
	s_wait_loadcnt 0x0
	v_add_nc_u64_e32 v[6:7], s[22:23], v[6:7]
	s_cbranch_vccnz .LBB527_15
; %bb.12:                               ;   in Loop: Header=BB527_4 Depth=1
	s_wait_xcnt 0x0
	s_mov_b32 s40, 0
	s_mov_b32 s39, 0
                                        ; implicit-def: $vgpr12
	s_and_saveexec_b32 s41, s0
	s_cbranch_execz .LBB527_16
; %bb.13:                               ;   in Loop: Header=BB527_4 Depth=1
	s_and_not1_b32 vcc_lo, exec_lo, s37
	s_cbranch_vccnz .LBB527_17
; %bb.14:                               ;   in Loop: Header=BB527_4 Depth=1
	v_add_nc_u64_e32 v[12:13], s[30:31], v[6:7]
	flat_load_b32 v12, v[12:13]
	s_wait_loadcnt_dscnt 0x0
	s_wait_xcnt 0x0
	v_mul_f32_e32 v12, s34, v12
	s_branch .LBB527_18
.LBB527_15:                             ;   in Loop: Header=BB527_4 Depth=1
	s_wait_xcnt 0x0
	s_mov_b32 s39, 0
                                        ; implicit-def: $vgpr12
	s_cbranch_execnz .LBB527_19
	s_branch .LBB527_45
.LBB527_16:                             ;   in Loop: Header=BB527_4 Depth=1
	s_or_b32 exec_lo, exec_lo, s41
	s_delay_alu instid0(SALU_CYCLE_1)
	s_and_b32 vcc_lo, exec_lo, s40
	s_cbranch_vccnz .LBB527_19
	s_branch .LBB527_45
.LBB527_17:                             ;   in Loop: Header=BB527_4 Depth=1
	v_mov_b32_e32 v12, 0
.LBB527_18:                             ;   in Loop: Header=BB527_4 Depth=1
	s_mov_b32 s39, exec_lo
	s_or_b32 exec_lo, exec_lo, s41
	s_delay_alu instid0(SALU_CYCLE_1)
	s_and_b32 vcc_lo, exec_lo, s40
	s_cbranch_vccz .LBB527_45
.LBB527_19:                             ;   in Loop: Header=BB527_4 Depth=1
	v_add_nc_u64_e32 v[10:11], v[10:11], v[0:1]
	v_mov_b32_e32 v18, 0
	s_and_not1_b32 vcc_lo, exec_lo, s38
	s_delay_alu instid0(VALU_DEP_2)
	v_lshl_add_u64 v[10:11], s[26:27], 1, v[10:11]
	s_cbranch_vccnz .LBB527_22
; %bb.20:                               ;   in Loop: Header=BB527_4 Depth=1
	v_add_nc_u64_e32 v[12:13], v[8:9], v[4:5]
	s_delay_alu instid0(VALU_DEP_2)
	v_mov_b64_e32 v[14:15], v[10:11]
	v_mov_b32_e32 v18, 0
	s_mov_b32 s40, 0
.LBB527_21:                             ;   Parent Loop BB527_4 Depth=1
                                        ; =>  This Inner Loop Header: Depth=2
	flat_load_u16 v19, v[14:15]
	flat_load_u16 v20, v[12:13]
	s_wait_xcnt 0x0
	v_add_nc_u64_e32 v[12:13], s[28:29], v[12:13]
	v_add_nc_u64_e32 v[14:15], 0x200, v[14:15]
	s_addk_co_i32 s40, 0x100
	s_delay_alu instid0(SALU_CYCLE_1) | instskip(SKIP_2) | instid1(VALU_DEP_1)
	s_cmp_ge_i32 s40, s24
	s_wait_loadcnt_dscnt 0x0
	v_mul_f16_e32 v19, v19, v20
	v_cvt_f32_f16_e32 v19, v19
	s_delay_alu instid0(VALU_DEP_1)
	v_add_f32_e32 v18, v18, v19
	s_cbranch_scc0 .LBB527_21
.LBB527_22:                             ;   in Loop: Header=BB527_4 Depth=1
	s_and_saveexec_b32 s40, s1
	s_cbranch_execz .LBB527_24
; %bb.23:                               ;   in Loop: Header=BB527_4 Depth=1
	s_delay_alu instid0(VALU_DEP_1)
	v_lshl_add_u64 v[10:11], s[24:25], 1, v[10:11]
	v_lshl_add_u64 v[8:9], v[2:3], 1, v[8:9]
	flat_load_u16 v12, v[10:11]
	flat_load_u16 v13, v[8:9]
	s_wait_loadcnt_dscnt 0x0
	s_wait_xcnt 0x0
	v_mul_f16_e32 v8, v12, v13
	s_delay_alu instid0(VALU_DEP_1) | instskip(NEXT) | instid1(VALU_DEP_1)
	v_cvt_f32_f16_e32 v8, v8
	v_add_f32_e32 v18, v18, v8
.LBB527_24:                             ;   in Loop: Header=BB527_4 Depth=1
	s_or_b32 exec_lo, exec_lo, s40
	ds_store_b32 v17, v18
	s_wait_dscnt 0x0
	s_barrier_signal -1
	s_barrier_wait -1
	s_and_saveexec_b32 s40, s2
	s_cbranch_execz .LBB527_26
; %bb.25:                               ;   in Loop: Header=BB527_4 Depth=1
	ds_load_2addr_stride64_b32 v[8:9], v17 offset1:2
	s_wait_dscnt 0x0
	v_add_f32_e32 v8, v9, v8
	ds_store_b32 v17, v8
.LBB527_26:                             ;   in Loop: Header=BB527_4 Depth=1
	s_or_b32 exec_lo, exec_lo, s40
	s_wait_dscnt 0x0
	s_barrier_signal -1
	s_barrier_wait -1
	s_and_saveexec_b32 s40, s3
	s_cbranch_execz .LBB527_28
; %bb.27:                               ;   in Loop: Header=BB527_4 Depth=1
	ds_load_2addr_stride64_b32 v[8:9], v17 offset1:1
	s_wait_dscnt 0x0
	v_add_f32_e32 v8, v9, v8
	ds_store_b32 v17, v8
.LBB527_28:                             ;   in Loop: Header=BB527_4 Depth=1
	s_or_b32 exec_lo, exec_lo, s40
	s_wait_dscnt 0x0
	s_barrier_signal -1
	s_barrier_wait -1
	s_and_saveexec_b32 s40, s4
	s_cbranch_execz .LBB527_30
; %bb.29:                               ;   in Loop: Header=BB527_4 Depth=1
	ds_load_2addr_b32 v[8:9], v17 offset1:32
	s_wait_dscnt 0x0
	v_add_f32_e32 v8, v9, v8
	ds_store_b32 v17, v8
.LBB527_30:                             ;   in Loop: Header=BB527_4 Depth=1
	s_or_b32 exec_lo, exec_lo, s40
	s_wait_dscnt 0x0
	s_barrier_signal -1
	s_barrier_wait -1
	s_and_saveexec_b32 s40, s5
	s_cbranch_execz .LBB527_32
; %bb.31:                               ;   in Loop: Header=BB527_4 Depth=1
	ds_load_2addr_b32 v[8:9], v17 offset1:16
	s_wait_dscnt 0x0
	v_add_f32_e32 v8, v9, v8
	ds_store_b32 v17, v8
.LBB527_32:                             ;   in Loop: Header=BB527_4 Depth=1
	;; [unrolled: 12-line block ×5, first 2 shown]
	s_or_b32 exec_lo, exec_lo, s40
	s_wait_dscnt 0x0
	s_barrier_signal -1
	s_barrier_wait -1
	s_and_saveexec_b32 s40, s0
	s_cbranch_execz .LBB527_40
; %bb.39:                               ;   in Loop: Header=BB527_4 Depth=1
	ds_load_b64 v[8:9], v1
	s_wait_dscnt 0x0
	v_add_f32_e32 v8, v9, v8
	ds_store_b32 v1, v8
.LBB527_40:                             ;   in Loop: Header=BB527_4 Depth=1
	s_or_b32 exec_lo, exec_lo, s40
	s_wait_dscnt 0x0
	s_barrier_signal -1
	s_barrier_wait -1
                                        ; implicit-def: $vgpr12
	s_and_saveexec_b32 s40, s0
	s_cbranch_execz .LBB527_44
; %bb.41:                               ;   in Loop: Header=BB527_4 Depth=1
	ds_load_b32 v8, v1
	s_and_not1_b32 vcc_lo, exec_lo, s37
	s_wait_dscnt 0x0
	v_mul_f32_e32 v12, s33, v8
	s_cbranch_vccnz .LBB527_43
; %bb.42:                               ;   in Loop: Header=BB527_4 Depth=1
	v_add_nc_u64_e32 v[8:9], s[30:31], v[6:7]
	flat_load_b32 v8, v[8:9]
	s_wait_loadcnt_dscnt 0x0
	v_fmac_f32_e32 v12, s34, v8
.LBB527_43:                             ;   in Loop: Header=BB527_4 Depth=1
	s_or_b32 s39, s39, exec_lo
.LBB527_44:                             ;   in Loop: Header=BB527_4 Depth=1
	s_wait_xcnt 0x0
	s_or_b32 exec_lo, exec_lo, s40
.LBB527_45:                             ;   in Loop: Header=BB527_4 Depth=1
	s_and_saveexec_b32 s40, s39
	s_cbranch_execz .LBB527_2
; %bb.46:                               ;   in Loop: Header=BB527_4 Depth=1
	v_add_nc_u64_e32 v[6:7], s[30:31], v[6:7]
	flat_store_b32 v[6:7], v12
	s_branch .LBB527_2
.LBB527_47:
	s_endpgm
	.section	.rodata,"a",@progbits
	.p2align	6, 0x0
	.amdhsa_kernel _ZL20rocblas_gemvt_kernelILb0ELi256EPKDF16_fKPfEviiT2_lPKT1_lilS7_lilS4_lPT3_lili
		.amdhsa_group_segment_fixed_size 1024
		.amdhsa_private_segment_fixed_size 0
		.amdhsa_kernarg_size 140
		.amdhsa_user_sgpr_count 2
		.amdhsa_user_sgpr_dispatch_ptr 0
		.amdhsa_user_sgpr_queue_ptr 0
		.amdhsa_user_sgpr_kernarg_segment_ptr 1
		.amdhsa_user_sgpr_dispatch_id 0
		.amdhsa_user_sgpr_kernarg_preload_length 0
		.amdhsa_user_sgpr_kernarg_preload_offset 0
		.amdhsa_user_sgpr_private_segment_size 0
		.amdhsa_wavefront_size32 1
		.amdhsa_uses_dynamic_stack 0
		.amdhsa_enable_private_segment 0
		.amdhsa_system_sgpr_workgroup_id_x 1
		.amdhsa_system_sgpr_workgroup_id_y 0
		.amdhsa_system_sgpr_workgroup_id_z 1
		.amdhsa_system_sgpr_workgroup_info 0
		.amdhsa_system_vgpr_workitem_id 0
		.amdhsa_next_free_vgpr 21
		.amdhsa_next_free_sgpr 42
		.amdhsa_named_barrier_count 0
		.amdhsa_reserve_vcc 1
		.amdhsa_float_round_mode_32 0
		.amdhsa_float_round_mode_16_64 0
		.amdhsa_float_denorm_mode_32 3
		.amdhsa_float_denorm_mode_16_64 3
		.amdhsa_fp16_overflow 0
		.amdhsa_memory_ordered 1
		.amdhsa_forward_progress 1
		.amdhsa_inst_pref_size 12
		.amdhsa_round_robin_scheduling 0
		.amdhsa_exception_fp_ieee_invalid_op 0
		.amdhsa_exception_fp_denorm_src 0
		.amdhsa_exception_fp_ieee_div_zero 0
		.amdhsa_exception_fp_ieee_overflow 0
		.amdhsa_exception_fp_ieee_underflow 0
		.amdhsa_exception_fp_ieee_inexact 0
		.amdhsa_exception_int_div_zero 0
	.end_amdhsa_kernel
	.section	.text._ZL20rocblas_gemvt_kernelILb0ELi256EPKDF16_fKPfEviiT2_lPKT1_lilS7_lilS4_lPT3_lili,"axG",@progbits,_ZL20rocblas_gemvt_kernelILb0ELi256EPKDF16_fKPfEviiT2_lPKT1_lilS7_lilS4_lPT3_lili,comdat
.Lfunc_end527:
	.size	_ZL20rocblas_gemvt_kernelILb0ELi256EPKDF16_fKPfEviiT2_lPKT1_lilS7_lilS4_lPT3_lili, .Lfunc_end527-_ZL20rocblas_gemvt_kernelILb0ELi256EPKDF16_fKPfEviiT2_lPKT1_lilS7_lilS4_lPT3_lili
                                        ; -- End function
	.set _ZL20rocblas_gemvt_kernelILb0ELi256EPKDF16_fKPfEviiT2_lPKT1_lilS7_lilS4_lPT3_lili.num_vgpr, 21
	.set _ZL20rocblas_gemvt_kernelILb0ELi256EPKDF16_fKPfEviiT2_lPKT1_lilS7_lilS4_lPT3_lili.num_agpr, 0
	.set _ZL20rocblas_gemvt_kernelILb0ELi256EPKDF16_fKPfEviiT2_lPKT1_lilS7_lilS4_lPT3_lili.numbered_sgpr, 42
	.set _ZL20rocblas_gemvt_kernelILb0ELi256EPKDF16_fKPfEviiT2_lPKT1_lilS7_lilS4_lPT3_lili.num_named_barrier, 0
	.set _ZL20rocblas_gemvt_kernelILb0ELi256EPKDF16_fKPfEviiT2_lPKT1_lilS7_lilS4_lPT3_lili.private_seg_size, 0
	.set _ZL20rocblas_gemvt_kernelILb0ELi256EPKDF16_fKPfEviiT2_lPKT1_lilS7_lilS4_lPT3_lili.uses_vcc, 1
	.set _ZL20rocblas_gemvt_kernelILb0ELi256EPKDF16_fKPfEviiT2_lPKT1_lilS7_lilS4_lPT3_lili.uses_flat_scratch, 0
	.set _ZL20rocblas_gemvt_kernelILb0ELi256EPKDF16_fKPfEviiT2_lPKT1_lilS7_lilS4_lPT3_lili.has_dyn_sized_stack, 0
	.set _ZL20rocblas_gemvt_kernelILb0ELi256EPKDF16_fKPfEviiT2_lPKT1_lilS7_lilS4_lPT3_lili.has_recursion, 0
	.set _ZL20rocblas_gemvt_kernelILb0ELi256EPKDF16_fKPfEviiT2_lPKT1_lilS7_lilS4_lPT3_lili.has_indirect_call, 0
	.section	.AMDGPU.csdata,"",@progbits
; Kernel info:
; codeLenInByte = 1464
; TotalNumSgprs: 44
; NumVgprs: 21
; ScratchSize: 0
; MemoryBound: 0
; FloatMode: 240
; IeeeMode: 1
; LDSByteSize: 1024 bytes/workgroup (compile time only)
; SGPRBlocks: 0
; VGPRBlocks: 1
; NumSGPRsForWavesPerEU: 44
; NumVGPRsForWavesPerEU: 21
; NamedBarCnt: 0
; Occupancy: 16
; WaveLimiterHint : 1
; COMPUTE_PGM_RSRC2:SCRATCH_EN: 0
; COMPUTE_PGM_RSRC2:USER_SGPR: 2
; COMPUTE_PGM_RSRC2:TRAP_HANDLER: 0
; COMPUTE_PGM_RSRC2:TGID_X_EN: 1
; COMPUTE_PGM_RSRC2:TGID_Y_EN: 0
; COMPUTE_PGM_RSRC2:TGID_Z_EN: 1
; COMPUTE_PGM_RSRC2:TIDIG_COMP_CNT: 0
	.section	.text._ZL32rocblas_gemvt_warp_reduce_kernelILb0ELi1024EiPKDF16_PKfKPfEviiT3_lPKT2_lT1_lS9_lSA_lS6_lPT4_lSA_li,"axG",@progbits,_ZL32rocblas_gemvt_warp_reduce_kernelILb0ELi1024EiPKDF16_PKfKPfEviiT3_lPKT2_lT1_lS9_lSA_lS6_lPT4_lSA_li,comdat
	.globl	_ZL32rocblas_gemvt_warp_reduce_kernelILb0ELi1024EiPKDF16_PKfKPfEviiT3_lPKT2_lT1_lS9_lSA_lS6_lPT4_lSA_li ; -- Begin function _ZL32rocblas_gemvt_warp_reduce_kernelILb0ELi1024EiPKDF16_PKfKPfEviiT3_lPKT2_lT1_lS9_lSA_lS6_lPT4_lSA_li
	.p2align	8
	.type	_ZL32rocblas_gemvt_warp_reduce_kernelILb0ELi1024EiPKDF16_PKfKPfEviiT3_lPKT2_lT1_lS9_lSA_lS6_lPT4_lSA_li,@function
_ZL32rocblas_gemvt_warp_reduce_kernelILb0ELi1024EiPKDF16_PKfKPfEviiT3_lPKT2_lT1_lS9_lSA_lS6_lPT4_lSA_li: ; @_ZL32rocblas_gemvt_warp_reduce_kernelILb0ELi1024EiPKDF16_PKfKPfEviiT3_lPKT2_lT1_lS9_lSA_lS6_lPT4_lSA_li
; %bb.0:
	s_load_b32 s7, s[0:1], 0x88
	s_bfe_u32 s2, ttmp6, 0x40014
	s_lshr_b32 s3, ttmp7, 16
	s_add_co_i32 s2, s2, 1
	s_bfe_u32 s5, ttmp6, 0x40008
	s_mul_i32 s4, s3, s2
	s_getreg_b32 s2, hwreg(HW_REG_IB_STS2, 6, 4)
	s_add_co_i32 s5, s5, s4
	s_cmp_eq_u32 s2, 0
	s_mov_b32 s29, 0
	s_cselect_b32 s28, s3, s5
	s_wait_kmcnt 0x0
	s_cmp_ge_u32 s28, s7
	s_cbranch_scc1 .LBB528_38
; %bb.1:
	s_clause 0x6
	s_load_b32 s4, s[0:1], 0x0
	s_load_b256 s[8:15], s[0:1], 0x8
	s_load_b32 s3, s[0:1], 0x28
	s_load_b128 s[24:27], s[0:1], 0x38
	s_load_b32 s5, s[0:1], 0x48
	s_load_b256 s[16:23], s[0:1], 0x58
	s_load_b32 s6, s[0:1], 0x78
	s_wait_xcnt 0x0
	s_bfe_u32 s1, ttmp6, 0x4000c
	s_and_b32 s30, ttmp6, 15
	s_add_co_i32 s1, s1, 1
	v_dual_mov_b32 v3, 0 :: v_dual_bitop2_b32 v2, 31, v0 bitop3:0x40
	s_mul_i32 s1, ttmp9, s1
	v_lshrrev_b32_e32 v4, 3, v0
	s_add_co_i32 s30, s30, s1
	s_cmp_eq_u32 s2, 0
	v_lshlrev_b32_e32 v14, 2, v2
	s_cselect_b32 s31, ttmp9, s30
	v_and_b32_e32 v15, 0x7c, v4
	v_mbcnt_lo_u32_b32 v1, -1, 0
	s_wait_kmcnt 0x0
	s_ashr_i32 s2, s4, 31
	v_cmp_gt_i32_e32 vcc_lo, s4, v0
	s_lshr_b32 s2, s2, 22
	v_cmp_eq_u32_e64 s0, 0, v0
	s_add_co_i32 s2, s4, s2
	v_mul_lo_u32 v16, v0, s5
	s_and_b32 s30, s2, 0xfffffc00
	v_cmp_eq_u32_e64 s2, 0, v2
	v_dual_cndmask_b32 v2, 0, v0, vcc_lo :: v_dual_bitop2_b32 v5, s30, v0 bitop3:0x54
	s_mul_i32 s36, s6, s31
	v_cmp_gt_u32_e64 s1, 32, v0
	s_mul_i32 s34, s3, s31
	v_mul_lo_u32 v4, s5, v5
	v_lshlrev_b32_e32 v2, 1, v2
	v_cmp_gt_i32_e64 s3, s30, v0
	v_cmp_gt_i32_e64 s4, s4, v5
	v_lshl_or_b32 v17, v1, 2, 64
	s_ashr_i32 s37, s36, 31
	s_lshl_b32 s33, s5, 10
	s_lshl_b64 s[14:15], s[14:15], 1
	s_ashr_i32 s35, s34, 31
	s_ashr_i32 s31, s30, 31
	s_lshl_b64 s[26:27], s[26:27], 1
	v_ashrrev_i32_e32 v5, 31, v4
	s_lshl_b64 s[22:23], s[22:23], 2
	s_lshl_b64 s[36:37], s[36:37], 2
	s_branch .LBB528_4
.LBB528_2:                              ;   in Loop: Header=BB528_4 Depth=1
	s_wait_xcnt 0x0
	s_or_b32 exec_lo, exec_lo, s6
.LBB528_3:                              ;   in Loop: Header=BB528_4 Depth=1
	s_add_co_i32 s28, s28, 0x10000
	s_delay_alu instid0(SALU_CYCLE_1)
	s_cmp_lt_u32 s28, s7
	s_cbranch_scc0 .LBB528_38
.LBB528_4:                              ; =>This Loop Header: Depth=1
                                        ;     Child Loop BB528_27 Depth 2
	s_mul_u64 s[38:39], s[10:11], s[28:29]
	s_wait_xcnt 0x0
	s_mul_u64 s[40:41], s[18:19], s[28:29]
	s_lshl_b64 s[38:39], s[38:39], 2
	s_lshl_b64 s[40:41], s[40:41], 2
	s_add_nc_u64 s[38:39], s[8:9], s[38:39]
	s_add_nc_u64 s[40:41], s[16:17], s[40:41]
	s_clause 0x1
	global_load_b32 v18, v3, s[38:39]
	global_load_b32 v6, v3, s[40:41]
	s_wait_loadcnt 0x1
	v_cmp_eq_f32_e64 s5, 0, v18
	s_wait_loadcnt 0x0
	v_cmp_eq_f32_e32 vcc_lo, 1.0, v6
	s_wait_xcnt 0x1
	v_readfirstlane_b32 s38, v6
	s_and_b32 s6, s5, vcc_lo
	s_delay_alu instid0(SALU_CYCLE_1)
	s_and_b32 vcc_lo, exec_lo, s6
	s_cbranch_vccnz .LBB528_3
; %bb.5:                                ;   in Loop: Header=BB528_4 Depth=1
	v_mov_b64_e32 v[8:9], 0
	v_mov_b64_e32 v[10:11], 0
	v_cmp_neq_f32_e64 s6, 0, v18
	s_and_b32 vcc_lo, exec_lo, s5
	s_cbranch_vccnz .LBB528_7
; %bb.6:                                ;   in Loop: Header=BB528_4 Depth=1
	s_wait_xcnt 0x0
	s_lshl_b64 s[40:41], s[28:29], 3
	s_delay_alu instid0(SALU_CYCLE_1)
	s_add_nc_u64 s[40:41], s[12:13], s[40:41]
	global_load_b64 v[6:7], v3, s[40:41]
	s_wait_loadcnt 0x0
	v_add_nc_u64_e32 v[10:11], s[14:15], v[6:7]
.LBB528_7:                              ;   in Loop: Header=BB528_4 Depth=1
	s_and_not1_b32 vcc_lo, exec_lo, s6
	s_cbranch_vccnz .LBB528_9
; %bb.8:                                ;   in Loop: Header=BB528_4 Depth=1
	s_wait_xcnt 0x0
	s_lshl_b64 s[40:41], s[28:29], 3
	s_delay_alu instid0(SALU_CYCLE_1)
	s_add_nc_u64 s[40:41], s[24:25], s[40:41]
	global_load_b64 v[6:7], v3, s[40:41]
	s_wait_loadcnt 0x0
	v_add_nc_u64_e32 v[8:9], s[26:27], v[6:7]
.LBB528_9:                              ;   in Loop: Header=BB528_4 Depth=1
	s_wait_xcnt 0x0
	s_lshl_b64 s[40:41], s[28:29], 3
	s_and_not1_b32 vcc_lo, exec_lo, s5
	s_add_nc_u64 s[40:41], s[20:21], s[40:41]
	global_load_b64 v[6:7], v3, s[40:41]
	s_wait_loadcnt 0x0
	v_add_nc_u64_e32 v[6:7], s[22:23], v[6:7]
	s_cbranch_vccnz .LBB528_13
; %bb.10:                               ;   in Loop: Header=BB528_4 Depth=1
	s_mov_b32 s6, 0
	s_mov_b32 s5, 0
                                        ; implicit-def: $vgpr12
	s_wait_xcnt 0x0
	s_and_saveexec_b32 s39, s0
	s_cbranch_execz .LBB528_14
; %bb.11:                               ;   in Loop: Header=BB528_4 Depth=1
	s_cmp_eq_f32 s38, 0
	s_cbranch_scc1 .LBB528_15
; %bb.12:                               ;   in Loop: Header=BB528_4 Depth=1
	s_wait_dscnt 0x0
	v_add_nc_u64_e32 v[12:13], s[36:37], v[6:7]
	flat_load_b32 v12, v[12:13]
	s_wait_loadcnt_dscnt 0x0
	s_wait_xcnt 0x0
	v_mul_f32_e32 v12, s38, v12
	s_branch .LBB528_16
.LBB528_13:                             ;   in Loop: Header=BB528_4 Depth=1
	s_mov_b32 s5, 0
                                        ; implicit-def: $vgpr12
	s_cbranch_execnz .LBB528_17
	s_branch .LBB528_36
.LBB528_14:                             ;   in Loop: Header=BB528_4 Depth=1
	s_or_b32 exec_lo, exec_lo, s39
	s_delay_alu instid0(SALU_CYCLE_1)
	s_and_b32 vcc_lo, exec_lo, s6
	s_cbranch_vccnz .LBB528_17
	s_branch .LBB528_36
.LBB528_15:                             ;   in Loop: Header=BB528_4 Depth=1
	v_mov_b32_e32 v12, 0
.LBB528_16:                             ;   in Loop: Header=BB528_4 Depth=1
	s_mov_b32 s5, exec_lo
	s_or_b32 exec_lo, exec_lo, s39
	s_delay_alu instid0(SALU_CYCLE_1)
	s_and_b32 vcc_lo, exec_lo, s6
	s_cbranch_vccz .LBB528_36
.LBB528_17:                             ;   in Loop: Header=BB528_4 Depth=1
	v_add_nc_u64_e32 v[10:11], v[10:11], v[2:3]
	v_mov_b32_e32 v19, 0
	s_delay_alu instid0(VALU_DEP_2)
	v_lshl_add_u64 v[10:11], s[34:35], 1, v[10:11]
	s_wait_xcnt 0x0
	s_and_saveexec_b32 s6, s3
	s_cbranch_execnz .LBB528_26
; %bb.18:                               ;   in Loop: Header=BB528_4 Depth=1
	s_or_b32 exec_lo, exec_lo, s6
	s_and_saveexec_b32 s6, s4
	s_cbranch_execnz .LBB528_29
.LBB528_19:                             ;   in Loop: Header=BB528_4 Depth=1
	s_or_b32 exec_lo, exec_lo, s6
	s_and_saveexec_b32 s6, s1
.LBB528_20:                             ;   in Loop: Header=BB528_4 Depth=1
	ds_store_b32 v14, v3
.LBB528_21:                             ;   in Loop: Header=BB528_4 Depth=1
	s_or_b32 exec_lo, exec_lo, s6
	ds_bpermute_b32 v9, v17, v19
	v_cmp_gt_u32_e32 vcc_lo, 24, v1
	s_wait_dscnt 0x0
	s_barrier_signal -1
	s_barrier_wait -1
	v_cndmask_b32_e64 v8, 0, 8, vcc_lo
	v_cmp_gt_u32_e32 vcc_lo, 28, v1
	s_delay_alu instid0(VALU_DEP_2)
	v_add_lshl_u32 v8, v8, v1, 2
	v_add_f32_e32 v10, v19, v9
	v_cndmask_b32_e64 v9, 0, 4, vcc_lo
	v_cmp_gt_u32_e32 vcc_lo, 30, v1
	ds_bpermute_b32 v11, v8, v10
	v_add_lshl_u32 v9, v9, v1, 2
	s_wait_dscnt 0x0
	v_add_f32_e32 v11, v10, v11
	v_cndmask_b32_e64 v10, 0, 2, vcc_lo
	v_cmp_ne_u32_e32 vcc_lo, 31, v1
	ds_bpermute_b32 v12, v9, v11
	v_add_lshl_u32 v10, v10, v1, 2
	v_add_co_ci_u32_e64 v13, null, 0, v1, vcc_lo
	s_wait_dscnt 0x0
	v_add_f32_e32 v11, v11, v12
	ds_bpermute_b32 v12, v10, v11
	s_wait_dscnt 0x0
	v_dual_add_f32 v12, v11, v12 :: v_dual_lshlrev_b32 v11, 2, v13
	ds_bpermute_b32 v13, v11, v12
	s_and_saveexec_b32 s6, s2
	s_cbranch_execz .LBB528_23
; %bb.22:                               ;   in Loop: Header=BB528_4 Depth=1
	s_wait_dscnt 0x0
	v_add_f32_e32 v12, v12, v13
	ds_store_b32 v15, v12
.LBB528_23:                             ;   in Loop: Header=BB528_4 Depth=1
	s_or_b32 exec_lo, exec_lo, s6
	s_wait_dscnt 0x0
	v_mov_b32_e32 v13, 0
	s_barrier_signal -1
	s_barrier_wait -1
	s_and_saveexec_b32 s6, s1
	s_cbranch_execnz .LBB528_30
; %bb.24:                               ;   in Loop: Header=BB528_4 Depth=1
	s_or_b32 exec_lo, exec_lo, s6
	s_and_saveexec_b32 s6, s1
	s_cbranch_execnz .LBB528_31
.LBB528_25:                             ;   in Loop: Header=BB528_4 Depth=1
	s_or_b32 exec_lo, exec_lo, s6
                                        ; implicit-def: $vgpr12
	s_and_saveexec_b32 s6, s0
	s_cbranch_execnz .LBB528_32
	s_branch .LBB528_35
.LBB528_26:                             ;   in Loop: Header=BB528_4 Depth=1
	s_wait_dscnt 0x0
	v_mov_b64_e32 v[12:13], v[10:11]
	v_dual_mov_b32 v19, 0 :: v_dual_mov_b32 v20, v0
	v_mov_b32_e32 v21, v16
	s_mov_b32 s39, 0
.LBB528_27:                             ;   Parent Loop BB528_4 Depth=1
                                        ; =>  This Inner Loop Header: Depth=2
	v_readfirstlane_b32 s40, v8
	v_readfirstlane_b32 s41, v9
	flat_load_u16 v22, v[12:13]
	flat_load_u16 v23, v21, s[40:41] scale_offset
	s_wait_xcnt 0x1
	v_add_nc_u64_e32 v[12:13], 0x800, v[12:13]
	s_wait_xcnt 0x0
	v_add_nc_u32_e32 v21, s33, v21
	s_wait_loadcnt_dscnt 0x0
	v_mul_f16_e32 v22, v22, v23
	s_delay_alu instid0(VALU_DEP_1) | instskip(NEXT) | instid1(VALU_DEP_1)
	v_cvt_f32_f16_e32 v22, v22
	v_dual_add_f32 v19, v19, v22 :: v_dual_add_nc_u32 v20, 0x400, v20
	s_delay_alu instid0(VALU_DEP_1) | instskip(SKIP_1) | instid1(SALU_CYCLE_1)
	v_cmp_le_i32_e32 vcc_lo, s30, v20
	s_or_b32 s39, vcc_lo, s39
	s_and_not1_b32 exec_lo, exec_lo, s39
	s_cbranch_execnz .LBB528_27
; %bb.28:                               ;   in Loop: Header=BB528_4 Depth=1
	s_or_b32 exec_lo, exec_lo, s39
	s_delay_alu instid0(SALU_CYCLE_1)
	s_or_b32 exec_lo, exec_lo, s6
	s_and_saveexec_b32 s6, s4
	s_cbranch_execz .LBB528_19
.LBB528_29:                             ;   in Loop: Header=BB528_4 Depth=1
	v_lshl_add_u64 v[10:11], s[30:31], 1, v[10:11]
	v_lshl_add_u64 v[8:9], v[4:5], 1, v[8:9]
	flat_load_u16 v12, v[10:11]
	s_wait_dscnt 0x1
	flat_load_u16 v13, v[8:9]
	s_wait_loadcnt_dscnt 0x0
	s_wait_xcnt 0x0
	v_mul_f16_e32 v8, v12, v13
	s_delay_alu instid0(VALU_DEP_1) | instskip(NEXT) | instid1(VALU_DEP_1)
	v_cvt_f32_f16_e32 v8, v8
	v_add_f32_e32 v19, v19, v8
	s_or_b32 exec_lo, exec_lo, s6
	s_and_saveexec_b32 s6, s1
	s_cbranch_execnz .LBB528_20
	s_branch .LBB528_21
.LBB528_30:                             ;   in Loop: Header=BB528_4 Depth=1
	ds_load_b32 v13, v14
	s_or_b32 exec_lo, exec_lo, s6
	s_and_saveexec_b32 s6, s1
	s_cbranch_execz .LBB528_25
.LBB528_31:                             ;   in Loop: Header=BB528_4 Depth=1
	s_wait_dscnt 0x0
	ds_bpermute_b32 v12, v17, v13
	s_wait_dscnt 0x0
	v_add_f32_e32 v12, v13, v12
	ds_bpermute_b32 v8, v8, v12
	s_wait_dscnt 0x0
	v_add_f32_e32 v8, v12, v8
	ds_bpermute_b32 v9, v9, v8
	s_wait_dscnt 0x0
	v_add_f32_e32 v8, v8, v9
	ds_bpermute_b32 v9, v10, v8
	s_wait_dscnt 0x0
	v_add_f32_e32 v8, v8, v9
	ds_bpermute_b32 v9, v11, v8
	s_wait_dscnt 0x0
	v_add_f32_e32 v13, v8, v9
	s_or_b32 exec_lo, exec_lo, s6
                                        ; implicit-def: $vgpr12
	s_and_saveexec_b32 s6, s0
	s_cbranch_execz .LBB528_35
.LBB528_32:                             ;   in Loop: Header=BB528_4 Depth=1
	s_wait_dscnt 0x0
	v_mul_f32_e32 v12, v18, v13
	s_cmp_eq_f32 s38, 0
	s_cbranch_scc1 .LBB528_34
; %bb.33:                               ;   in Loop: Header=BB528_4 Depth=1
	v_add_nc_u64_e32 v[8:9], s[36:37], v[6:7]
	flat_load_b32 v8, v[8:9]
	s_wait_loadcnt_dscnt 0x0
	v_fmac_f32_e32 v12, s38, v8
.LBB528_34:                             ;   in Loop: Header=BB528_4 Depth=1
	s_or_b32 s5, s5, exec_lo
.LBB528_35:                             ;   in Loop: Header=BB528_4 Depth=1
	s_wait_xcnt 0x0
	s_or_b32 exec_lo, exec_lo, s6
.LBB528_36:                             ;   in Loop: Header=BB528_4 Depth=1
	s_wait_xcnt 0x0
	s_and_saveexec_b32 s6, s5
	s_cbranch_execz .LBB528_2
; %bb.37:                               ;   in Loop: Header=BB528_4 Depth=1
	v_add_nc_u64_e32 v[6:7], s[36:37], v[6:7]
	flat_store_b32 v[6:7], v12
	s_branch .LBB528_2
.LBB528_38:
	s_endpgm
	.section	.rodata,"a",@progbits
	.p2align	6, 0x0
	.amdhsa_kernel _ZL32rocblas_gemvt_warp_reduce_kernelILb0ELi1024EiPKDF16_PKfKPfEviiT3_lPKT2_lT1_lS9_lSA_lS6_lPT4_lSA_li
		.amdhsa_group_segment_fixed_size 128
		.amdhsa_private_segment_fixed_size 0
		.amdhsa_kernarg_size 140
		.amdhsa_user_sgpr_count 2
		.amdhsa_user_sgpr_dispatch_ptr 0
		.amdhsa_user_sgpr_queue_ptr 0
		.amdhsa_user_sgpr_kernarg_segment_ptr 1
		.amdhsa_user_sgpr_dispatch_id 0
		.amdhsa_user_sgpr_kernarg_preload_length 0
		.amdhsa_user_sgpr_kernarg_preload_offset 0
		.amdhsa_user_sgpr_private_segment_size 0
		.amdhsa_wavefront_size32 1
		.amdhsa_uses_dynamic_stack 0
		.amdhsa_enable_private_segment 0
		.amdhsa_system_sgpr_workgroup_id_x 1
		.amdhsa_system_sgpr_workgroup_id_y 0
		.amdhsa_system_sgpr_workgroup_id_z 1
		.amdhsa_system_sgpr_workgroup_info 0
		.amdhsa_system_vgpr_workitem_id 0
		.amdhsa_next_free_vgpr 24
		.amdhsa_next_free_sgpr 42
		.amdhsa_named_barrier_count 0
		.amdhsa_reserve_vcc 1
		.amdhsa_float_round_mode_32 0
		.amdhsa_float_round_mode_16_64 0
		.amdhsa_float_denorm_mode_32 3
		.amdhsa_float_denorm_mode_16_64 3
		.amdhsa_fp16_overflow 0
		.amdhsa_memory_ordered 1
		.amdhsa_forward_progress 1
		.amdhsa_inst_pref_size 12
		.amdhsa_round_robin_scheduling 0
		.amdhsa_exception_fp_ieee_invalid_op 0
		.amdhsa_exception_fp_denorm_src 0
		.amdhsa_exception_fp_ieee_div_zero 0
		.amdhsa_exception_fp_ieee_overflow 0
		.amdhsa_exception_fp_ieee_underflow 0
		.amdhsa_exception_fp_ieee_inexact 0
		.amdhsa_exception_int_div_zero 0
	.end_amdhsa_kernel
	.section	.text._ZL32rocblas_gemvt_warp_reduce_kernelILb0ELi1024EiPKDF16_PKfKPfEviiT3_lPKT2_lT1_lS9_lSA_lS6_lPT4_lSA_li,"axG",@progbits,_ZL32rocblas_gemvt_warp_reduce_kernelILb0ELi1024EiPKDF16_PKfKPfEviiT3_lPKT2_lT1_lS9_lSA_lS6_lPT4_lSA_li,comdat
.Lfunc_end528:
	.size	_ZL32rocblas_gemvt_warp_reduce_kernelILb0ELi1024EiPKDF16_PKfKPfEviiT3_lPKT2_lT1_lS9_lSA_lS6_lPT4_lSA_li, .Lfunc_end528-_ZL32rocblas_gemvt_warp_reduce_kernelILb0ELi1024EiPKDF16_PKfKPfEviiT3_lPKT2_lT1_lS9_lSA_lS6_lPT4_lSA_li
                                        ; -- End function
	.set _ZL32rocblas_gemvt_warp_reduce_kernelILb0ELi1024EiPKDF16_PKfKPfEviiT3_lPKT2_lT1_lS9_lSA_lS6_lPT4_lSA_li.num_vgpr, 24
	.set _ZL32rocblas_gemvt_warp_reduce_kernelILb0ELi1024EiPKDF16_PKfKPfEviiT3_lPKT2_lT1_lS9_lSA_lS6_lPT4_lSA_li.num_agpr, 0
	.set _ZL32rocblas_gemvt_warp_reduce_kernelILb0ELi1024EiPKDF16_PKfKPfEviiT3_lPKT2_lT1_lS9_lSA_lS6_lPT4_lSA_li.numbered_sgpr, 42
	.set _ZL32rocblas_gemvt_warp_reduce_kernelILb0ELi1024EiPKDF16_PKfKPfEviiT3_lPKT2_lT1_lS9_lSA_lS6_lPT4_lSA_li.num_named_barrier, 0
	.set _ZL32rocblas_gemvt_warp_reduce_kernelILb0ELi1024EiPKDF16_PKfKPfEviiT3_lPKT2_lT1_lS9_lSA_lS6_lPT4_lSA_li.private_seg_size, 0
	.set _ZL32rocblas_gemvt_warp_reduce_kernelILb0ELi1024EiPKDF16_PKfKPfEviiT3_lPKT2_lT1_lS9_lSA_lS6_lPT4_lSA_li.uses_vcc, 1
	.set _ZL32rocblas_gemvt_warp_reduce_kernelILb0ELi1024EiPKDF16_PKfKPfEviiT3_lPKT2_lT1_lS9_lSA_lS6_lPT4_lSA_li.uses_flat_scratch, 0
	.set _ZL32rocblas_gemvt_warp_reduce_kernelILb0ELi1024EiPKDF16_PKfKPfEviiT3_lPKT2_lT1_lS9_lSA_lS6_lPT4_lSA_li.has_dyn_sized_stack, 0
	.set _ZL32rocblas_gemvt_warp_reduce_kernelILb0ELi1024EiPKDF16_PKfKPfEviiT3_lPKT2_lT1_lS9_lSA_lS6_lPT4_lSA_li.has_recursion, 0
	.set _ZL32rocblas_gemvt_warp_reduce_kernelILb0ELi1024EiPKDF16_PKfKPfEviiT3_lPKT2_lT1_lS9_lSA_lS6_lPT4_lSA_li.has_indirect_call, 0
	.section	.AMDGPU.csdata,"",@progbits
; Kernel info:
; codeLenInByte = 1484
; TotalNumSgprs: 44
; NumVgprs: 24
; ScratchSize: 0
; MemoryBound: 0
; FloatMode: 240
; IeeeMode: 1
; LDSByteSize: 128 bytes/workgroup (compile time only)
; SGPRBlocks: 0
; VGPRBlocks: 1
; NumSGPRsForWavesPerEU: 44
; NumVGPRsForWavesPerEU: 24
; NamedBarCnt: 0
; Occupancy: 16
; WaveLimiterHint : 1
; COMPUTE_PGM_RSRC2:SCRATCH_EN: 0
; COMPUTE_PGM_RSRC2:USER_SGPR: 2
; COMPUTE_PGM_RSRC2:TRAP_HANDLER: 0
; COMPUTE_PGM_RSRC2:TGID_X_EN: 1
; COMPUTE_PGM_RSRC2:TGID_Y_EN: 0
; COMPUTE_PGM_RSRC2:TGID_Z_EN: 1
; COMPUTE_PGM_RSRC2:TIDIG_COMP_CNT: 0
	.section	.text._ZL32rocblas_gemvt_warp_reduce_kernelILb0ELi1024ElPKDF16_PKfKPfEviiT3_lPKT2_lT1_lS9_lSA_lS6_lPT4_lSA_li,"axG",@progbits,_ZL32rocblas_gemvt_warp_reduce_kernelILb0ELi1024ElPKDF16_PKfKPfEviiT3_lPKT2_lT1_lS9_lSA_lS6_lPT4_lSA_li,comdat
	.globl	_ZL32rocblas_gemvt_warp_reduce_kernelILb0ELi1024ElPKDF16_PKfKPfEviiT3_lPKT2_lT1_lS9_lSA_lS6_lPT4_lSA_li ; -- Begin function _ZL32rocblas_gemvt_warp_reduce_kernelILb0ELi1024ElPKDF16_PKfKPfEviiT3_lPKT2_lT1_lS9_lSA_lS6_lPT4_lSA_li
	.p2align	8
	.type	_ZL32rocblas_gemvt_warp_reduce_kernelILb0ELi1024ElPKDF16_PKfKPfEviiT3_lPKT2_lT1_lS9_lSA_lS6_lPT4_lSA_li,@function
_ZL32rocblas_gemvt_warp_reduce_kernelILb0ELi1024ElPKDF16_PKfKPfEviiT3_lPKT2_lT1_lS9_lSA_lS6_lPT4_lSA_li: ; @_ZL32rocblas_gemvt_warp_reduce_kernelILb0ELi1024ElPKDF16_PKfKPfEviiT3_lPKT2_lT1_lS9_lSA_lS6_lPT4_lSA_li
; %bb.0:
	s_load_b32 s7, s[0:1], 0x88
	s_bfe_u32 s2, ttmp6, 0x40014
	s_lshr_b32 s3, ttmp7, 16
	s_add_co_i32 s2, s2, 1
	s_bfe_u32 s5, ttmp6, 0x40008
	s_mul_i32 s4, s3, s2
	s_getreg_b32 s2, hwreg(HW_REG_IB_STS2, 6, 4)
	s_add_co_i32 s5, s5, s4
	s_cmp_eq_u32 s2, 0
	s_mov_b32 s29, 0
	s_cselect_b32 s28, s3, s5
	s_wait_kmcnt 0x0
	s_cmp_ge_u32 s28, s7
	s_cbranch_scc1 .LBB529_38
; %bb.1:
	s_clause 0x1
	s_load_b32 s6, s[0:1], 0x0
	s_load_b64 s[36:37], s[0:1], 0x48
	s_bfe_u32 s3, ttmp6, 0x4000c
	s_and_b32 s4, ttmp6, 15
	s_add_co_i32 s3, s3, 1
	s_clause 0x2
	s_load_b256 s[8:15], s[0:1], 0x8
	s_load_b128 s[24:27], s[0:1], 0x38
	s_load_b256 s[16:23], s[0:1], 0x58
	s_mul_i32 s3, ttmp9, s3
	v_mbcnt_lo_u32_b32 v19, -1, 0
	s_add_co_i32 s4, s4, s3
	s_cmp_eq_u32 s2, 0
	s_load_b64 s[34:35], s[0:1], 0x28
	s_cselect_b32 s2, ttmp9, s4
	s_load_b64 s[4:5], s[0:1], 0x78
	s_wait_xcnt 0x0
	v_cmp_eq_u32_e64 s0, 0, v0
	v_lshl_or_b32 v20, v19, 2, 64
	s_wait_kmcnt 0x0
	s_ashr_i32 s3, s6, 31
	v_cmp_gt_i32_e32 vcc_lo, s6, v0
	s_lshr_b32 s3, s3, 22
	s_lshl_b64 s[14:15], s[14:15], 1
	s_add_co_i32 s3, s6, s3
	s_lshl_b64 s[26:27], s[26:27], 1
	s_and_b32 s30, s3, 0xfffffc00
	s_delay_alu instid0(SALU_CYCLE_1) | instskip(SKIP_3) | instid1(VALU_DEP_2)
	v_dual_mov_b32 v3, 0 :: v_dual_bitop2_b32 v6, s30, v0 bitop3:0x54
	s_ashr_i32 s3, s2, 31
	v_cndmask_b32_e32 v2, 0, v0, vcc_lo
	s_mul_u64 s[34:35], s[34:35], s[2:3]
	v_dual_mov_b32 v1, v3 :: v_dual_ashrrev_i32 v7, 31, v6
	s_mul_u64 s[38:39], s[4:5], s[2:3]
	v_cmp_gt_i32_e64 s2, s6, v6
	v_cmp_gt_i32_e64 s1, s30, v0
	s_delay_alu instid0(VALU_DEP_3)
	v_mul_u64_e32 v[8:9], s[36:37], v[0:1]
	v_mul_u64_e32 v[4:5], s[36:37], v[6:7]
	v_dual_lshrrev_b32 v6, 3, v0 :: v_dual_bitop2_b32 v7, 31, v0 bitop3:0x40
	v_cmp_gt_u32_e64 s3, 32, v0
	v_lshlrev_b32_e32 v2, 1, v2
	s_ashr_i32 s31, s30, 31
	v_lshlrev_b32_e32 v1, 2, v7
	v_cmp_eq_u32_e64 s4, 0, v7
	v_and_b32_e32 v18, 0x7c, v6
	s_lshl_b64 s[36:37], s[36:37], 11
	s_lshl_b64 s[22:23], s[22:23], 2
	;; [unrolled: 1-line block ×3, first 2 shown]
	v_lshlrev_b64_e32 v[6:7], 1, v[8:9]
	s_branch .LBB529_4
.LBB529_2:                              ;   in Loop: Header=BB529_4 Depth=1
	s_wait_xcnt 0x0
	s_or_b32 exec_lo, exec_lo, s6
.LBB529_3:                              ;   in Loop: Header=BB529_4 Depth=1
	s_add_co_i32 s28, s28, 0x10000
	s_delay_alu instid0(SALU_CYCLE_1)
	s_cmp_lt_u32 s28, s7
	s_cbranch_scc0 .LBB529_38
.LBB529_4:                              ; =>This Loop Header: Depth=1
                                        ;     Child Loop BB529_27 Depth 2
	s_wait_xcnt 0x1
	s_mul_u64 s[40:41], s[10:11], s[28:29]
	s_wait_xcnt 0x0
	s_mul_u64 s[42:43], s[18:19], s[28:29]
	s_lshl_b64 s[40:41], s[40:41], 2
	s_lshl_b64 s[42:43], s[42:43], 2
	s_add_nc_u64 s[40:41], s[8:9], s[40:41]
	s_add_nc_u64 s[42:43], s[16:17], s[42:43]
	s_clause 0x1
	global_load_b32 v21, v3, s[40:41]
	global_load_b32 v8, v3, s[42:43]
	s_wait_loadcnt 0x1
	v_cmp_eq_f32_e64 s5, 0, v21
	s_wait_loadcnt 0x0
	v_cmp_eq_f32_e32 vcc_lo, 1.0, v8
	v_readfirstlane_b32 s33, v8
	s_and_b32 s6, s5, vcc_lo
	s_delay_alu instid0(SALU_CYCLE_1)
	s_and_b32 vcc_lo, exec_lo, s6
	s_cbranch_vccnz .LBB529_3
; %bb.5:                                ;   in Loop: Header=BB529_4 Depth=1
	v_mov_b64_e32 v[10:11], 0
	v_mov_b64_e32 v[12:13], 0
	v_cmp_neq_f32_e64 s6, 0, v21
	s_and_b32 vcc_lo, exec_lo, s5
	s_cbranch_vccnz .LBB529_7
; %bb.6:                                ;   in Loop: Header=BB529_4 Depth=1
	s_wait_xcnt 0x1
	s_lshl_b64 s[40:41], s[28:29], 3
	s_delay_alu instid0(SALU_CYCLE_1)
	s_add_nc_u64 s[40:41], s[12:13], s[40:41]
	global_load_b64 v[8:9], v3, s[40:41]
	s_wait_loadcnt 0x0
	v_add_nc_u64_e32 v[12:13], s[14:15], v[8:9]
.LBB529_7:                              ;   in Loop: Header=BB529_4 Depth=1
	s_and_not1_b32 vcc_lo, exec_lo, s6
	s_cbranch_vccnz .LBB529_9
; %bb.8:                                ;   in Loop: Header=BB529_4 Depth=1
	s_wait_xcnt 0x0
	s_lshl_b64 s[40:41], s[28:29], 3
	s_delay_alu instid0(SALU_CYCLE_1)
	s_add_nc_u64 s[40:41], s[24:25], s[40:41]
	global_load_b64 v[8:9], v3, s[40:41]
	s_wait_loadcnt 0x0
	v_add_nc_u64_e32 v[10:11], s[26:27], v[8:9]
.LBB529_9:                              ;   in Loop: Header=BB529_4 Depth=1
	s_wait_xcnt 0x0
	s_lshl_b64 s[40:41], s[28:29], 3
	s_and_not1_b32 vcc_lo, exec_lo, s5
	s_add_nc_u64 s[40:41], s[20:21], s[40:41]
	global_load_b64 v[8:9], v3, s[40:41]
	s_wait_loadcnt 0x0
	v_add_nc_u64_e32 v[8:9], s[22:23], v[8:9]
	s_cbranch_vccnz .LBB529_13
; %bb.10:                               ;   in Loop: Header=BB529_4 Depth=1
	s_mov_b32 s6, 0
	s_mov_b32 s5, 0
                                        ; implicit-def: $vgpr14
	s_wait_xcnt 0x0
	s_and_saveexec_b32 s40, s0
	s_cbranch_execz .LBB529_14
; %bb.11:                               ;   in Loop: Header=BB529_4 Depth=1
	s_cmp_eq_f32 s33, 0
	s_cbranch_scc1 .LBB529_15
; %bb.12:                               ;   in Loop: Header=BB529_4 Depth=1
	s_wait_dscnt 0x0
	v_add_nc_u64_e32 v[14:15], s[38:39], v[8:9]
	flat_load_b32 v14, v[14:15]
	s_wait_loadcnt_dscnt 0x0
	s_wait_xcnt 0x0
	v_mul_f32_e32 v14, s33, v14
	s_branch .LBB529_16
.LBB529_13:                             ;   in Loop: Header=BB529_4 Depth=1
	s_mov_b32 s5, 0
                                        ; implicit-def: $vgpr14
	s_cbranch_execnz .LBB529_17
	s_branch .LBB529_36
.LBB529_14:                             ;   in Loop: Header=BB529_4 Depth=1
	s_or_b32 exec_lo, exec_lo, s40
	s_delay_alu instid0(SALU_CYCLE_1)
	s_and_b32 vcc_lo, exec_lo, s6
	s_cbranch_vccnz .LBB529_17
	s_branch .LBB529_36
.LBB529_15:                             ;   in Loop: Header=BB529_4 Depth=1
	v_mov_b32_e32 v14, 0
.LBB529_16:                             ;   in Loop: Header=BB529_4 Depth=1
	s_mov_b32 s5, exec_lo
	s_or_b32 exec_lo, exec_lo, s40
	s_delay_alu instid0(SALU_CYCLE_1)
	s_and_b32 vcc_lo, exec_lo, s6
	s_cbranch_vccz .LBB529_36
.LBB529_17:                             ;   in Loop: Header=BB529_4 Depth=1
	v_add_nc_u64_e32 v[12:13], v[12:13], v[2:3]
	v_mov_b32_e32 v22, 0
	s_delay_alu instid0(VALU_DEP_2)
	v_lshl_add_u64 v[12:13], s[34:35], 1, v[12:13]
	s_wait_xcnt 0x0
	s_and_saveexec_b32 s6, s1
	s_cbranch_execnz .LBB529_26
; %bb.18:                               ;   in Loop: Header=BB529_4 Depth=1
	s_or_b32 exec_lo, exec_lo, s6
	s_and_saveexec_b32 s6, s2
	s_cbranch_execnz .LBB529_29
.LBB529_19:                             ;   in Loop: Header=BB529_4 Depth=1
	s_or_b32 exec_lo, exec_lo, s6
	s_and_saveexec_b32 s6, s3
.LBB529_20:                             ;   in Loop: Header=BB529_4 Depth=1
	ds_store_b32 v1, v3
.LBB529_21:                             ;   in Loop: Header=BB529_4 Depth=1
	s_or_b32 exec_lo, exec_lo, s6
	ds_bpermute_b32 v11, v20, v22
	v_cmp_gt_u32_e32 vcc_lo, 24, v19
	s_wait_dscnt 0x0
	s_barrier_signal -1
	s_barrier_wait -1
	v_cndmask_b32_e64 v10, 0, 8, vcc_lo
	v_cmp_gt_u32_e32 vcc_lo, 28, v19
	s_delay_alu instid0(VALU_DEP_2)
	v_add_lshl_u32 v10, v10, v19, 2
	v_add_f32_e32 v12, v22, v11
	v_cndmask_b32_e64 v11, 0, 4, vcc_lo
	v_cmp_gt_u32_e32 vcc_lo, 30, v19
	ds_bpermute_b32 v13, v10, v12
	v_add_lshl_u32 v11, v11, v19, 2
	s_wait_dscnt 0x0
	v_add_f32_e32 v13, v12, v13
	v_cndmask_b32_e64 v12, 0, 2, vcc_lo
	v_cmp_ne_u32_e32 vcc_lo, 31, v19
	ds_bpermute_b32 v14, v11, v13
	v_add_lshl_u32 v12, v12, v19, 2
	v_add_co_ci_u32_e64 v15, null, 0, v19, vcc_lo
	s_wait_dscnt 0x0
	v_add_f32_e32 v13, v13, v14
	ds_bpermute_b32 v14, v12, v13
	s_wait_dscnt 0x0
	v_dual_add_f32 v14, v13, v14 :: v_dual_lshlrev_b32 v13, 2, v15
	ds_bpermute_b32 v15, v13, v14
	s_and_saveexec_b32 s6, s4
	s_cbranch_execz .LBB529_23
; %bb.22:                               ;   in Loop: Header=BB529_4 Depth=1
	s_wait_dscnt 0x0
	v_add_f32_e32 v14, v14, v15
	ds_store_b32 v18, v14
.LBB529_23:                             ;   in Loop: Header=BB529_4 Depth=1
	s_or_b32 exec_lo, exec_lo, s6
	s_wait_dscnt 0x0
	v_mov_b32_e32 v15, 0
	s_barrier_signal -1
	s_barrier_wait -1
	s_and_saveexec_b32 s6, s3
	s_cbranch_execnz .LBB529_30
; %bb.24:                               ;   in Loop: Header=BB529_4 Depth=1
	s_or_b32 exec_lo, exec_lo, s6
	s_and_saveexec_b32 s6, s3
	s_cbranch_execnz .LBB529_31
.LBB529_25:                             ;   in Loop: Header=BB529_4 Depth=1
	s_or_b32 exec_lo, exec_lo, s6
                                        ; implicit-def: $vgpr14
	s_and_saveexec_b32 s6, s0
	s_cbranch_execnz .LBB529_32
	s_branch .LBB529_35
.LBB529_26:                             ;   in Loop: Header=BB529_4 Depth=1
	s_wait_dscnt 0x0
	v_add_nc_u64_e32 v[14:15], v[10:11], v[6:7]
	v_mov_b64_e32 v[16:17], v[12:13]
	v_dual_mov_b32 v22, 0 :: v_dual_mov_b32 v23, v0
	s_mov_b32 s40, 0
.LBB529_27:                             ;   Parent Loop BB529_4 Depth=1
                                        ; =>  This Inner Loop Header: Depth=2
	flat_load_u16 v24, v[16:17]
	flat_load_u16 v25, v[14:15]
	s_wait_xcnt 0x1
	v_add_nc_u64_e32 v[16:17], 0x800, v[16:17]
	s_wait_xcnt 0x0
	v_add_nc_u64_e32 v[14:15], s[36:37], v[14:15]
	s_wait_loadcnt_dscnt 0x0
	v_mul_f16_e32 v24, v24, v25
	s_delay_alu instid0(VALU_DEP_1) | instskip(NEXT) | instid1(VALU_DEP_1)
	v_cvt_f32_f16_e32 v24, v24
	v_dual_add_f32 v22, v22, v24 :: v_dual_add_nc_u32 v23, 0x400, v23
	s_delay_alu instid0(VALU_DEP_1) | instskip(SKIP_1) | instid1(SALU_CYCLE_1)
	v_cmp_le_i32_e32 vcc_lo, s30, v23
	s_or_b32 s40, vcc_lo, s40
	s_and_not1_b32 exec_lo, exec_lo, s40
	s_cbranch_execnz .LBB529_27
; %bb.28:                               ;   in Loop: Header=BB529_4 Depth=1
	s_or_b32 exec_lo, exec_lo, s40
	s_delay_alu instid0(SALU_CYCLE_1)
	s_or_b32 exec_lo, exec_lo, s6
	s_and_saveexec_b32 s6, s2
	s_cbranch_execz .LBB529_19
.LBB529_29:                             ;   in Loop: Header=BB529_4 Depth=1
	v_lshl_add_u64 v[12:13], s[30:31], 1, v[12:13]
	v_lshl_add_u64 v[10:11], v[4:5], 1, v[10:11]
	flat_load_u16 v14, v[12:13]
	s_wait_dscnt 0x1
	flat_load_u16 v15, v[10:11]
	s_wait_loadcnt_dscnt 0x0
	s_wait_xcnt 0x0
	v_mul_f16_e32 v10, v14, v15
	s_delay_alu instid0(VALU_DEP_1) | instskip(NEXT) | instid1(VALU_DEP_1)
	v_cvt_f32_f16_e32 v10, v10
	v_add_f32_e32 v22, v22, v10
	s_or_b32 exec_lo, exec_lo, s6
	s_and_saveexec_b32 s6, s3
	s_cbranch_execnz .LBB529_20
	s_branch .LBB529_21
.LBB529_30:                             ;   in Loop: Header=BB529_4 Depth=1
	ds_load_b32 v15, v1
	s_or_b32 exec_lo, exec_lo, s6
	s_and_saveexec_b32 s6, s3
	s_cbranch_execz .LBB529_25
.LBB529_31:                             ;   in Loop: Header=BB529_4 Depth=1
	s_wait_dscnt 0x0
	ds_bpermute_b32 v14, v20, v15
	s_wait_dscnt 0x0
	v_add_f32_e32 v14, v15, v14
	ds_bpermute_b32 v10, v10, v14
	s_wait_dscnt 0x0
	v_add_f32_e32 v10, v14, v10
	;; [unrolled: 3-line block ×5, first 2 shown]
	s_or_b32 exec_lo, exec_lo, s6
                                        ; implicit-def: $vgpr14
	s_and_saveexec_b32 s6, s0
	s_cbranch_execz .LBB529_35
.LBB529_32:                             ;   in Loop: Header=BB529_4 Depth=1
	s_wait_dscnt 0x0
	v_mul_f32_e32 v14, v21, v15
	s_cmp_eq_f32 s33, 0
	s_cbranch_scc1 .LBB529_34
; %bb.33:                               ;   in Loop: Header=BB529_4 Depth=1
	v_add_nc_u64_e32 v[10:11], s[38:39], v[8:9]
	flat_load_b32 v10, v[10:11]
	s_wait_loadcnt_dscnt 0x0
	v_fmac_f32_e32 v14, s33, v10
.LBB529_34:                             ;   in Loop: Header=BB529_4 Depth=1
	s_or_b32 s5, s5, exec_lo
.LBB529_35:                             ;   in Loop: Header=BB529_4 Depth=1
	s_wait_xcnt 0x0
	s_or_b32 exec_lo, exec_lo, s6
.LBB529_36:                             ;   in Loop: Header=BB529_4 Depth=1
	s_wait_xcnt 0x0
	s_and_saveexec_b32 s6, s5
	s_cbranch_execz .LBB529_2
; %bb.37:                               ;   in Loop: Header=BB529_4 Depth=1
	v_add_nc_u64_e32 v[8:9], s[38:39], v[8:9]
	flat_store_b32 v[8:9], v14
	s_branch .LBB529_2
.LBB529_38:
	s_endpgm
	.section	.rodata,"a",@progbits
	.p2align	6, 0x0
	.amdhsa_kernel _ZL32rocblas_gemvt_warp_reduce_kernelILb0ELi1024ElPKDF16_PKfKPfEviiT3_lPKT2_lT1_lS9_lSA_lS6_lPT4_lSA_li
		.amdhsa_group_segment_fixed_size 128
		.amdhsa_private_segment_fixed_size 0
		.amdhsa_kernarg_size 140
		.amdhsa_user_sgpr_count 2
		.amdhsa_user_sgpr_dispatch_ptr 0
		.amdhsa_user_sgpr_queue_ptr 0
		.amdhsa_user_sgpr_kernarg_segment_ptr 1
		.amdhsa_user_sgpr_dispatch_id 0
		.amdhsa_user_sgpr_kernarg_preload_length 0
		.amdhsa_user_sgpr_kernarg_preload_offset 0
		.amdhsa_user_sgpr_private_segment_size 0
		.amdhsa_wavefront_size32 1
		.amdhsa_uses_dynamic_stack 0
		.amdhsa_enable_private_segment 0
		.amdhsa_system_sgpr_workgroup_id_x 1
		.amdhsa_system_sgpr_workgroup_id_y 0
		.amdhsa_system_sgpr_workgroup_id_z 1
		.amdhsa_system_sgpr_workgroup_info 0
		.amdhsa_system_vgpr_workitem_id 0
		.amdhsa_next_free_vgpr 26
		.amdhsa_next_free_sgpr 44
		.amdhsa_named_barrier_count 0
		.amdhsa_reserve_vcc 1
		.amdhsa_float_round_mode_32 0
		.amdhsa_float_round_mode_16_64 0
		.amdhsa_float_denorm_mode_32 3
		.amdhsa_float_denorm_mode_16_64 3
		.amdhsa_fp16_overflow 0
		.amdhsa_memory_ordered 1
		.amdhsa_forward_progress 1
		.amdhsa_inst_pref_size 12
		.amdhsa_round_robin_scheduling 0
		.amdhsa_exception_fp_ieee_invalid_op 0
		.amdhsa_exception_fp_denorm_src 0
		.amdhsa_exception_fp_ieee_div_zero 0
		.amdhsa_exception_fp_ieee_overflow 0
		.amdhsa_exception_fp_ieee_underflow 0
		.amdhsa_exception_fp_ieee_inexact 0
		.amdhsa_exception_int_div_zero 0
	.end_amdhsa_kernel
	.section	.text._ZL32rocblas_gemvt_warp_reduce_kernelILb0ELi1024ElPKDF16_PKfKPfEviiT3_lPKT2_lT1_lS9_lSA_lS6_lPT4_lSA_li,"axG",@progbits,_ZL32rocblas_gemvt_warp_reduce_kernelILb0ELi1024ElPKDF16_PKfKPfEviiT3_lPKT2_lT1_lS9_lSA_lS6_lPT4_lSA_li,comdat
.Lfunc_end529:
	.size	_ZL32rocblas_gemvt_warp_reduce_kernelILb0ELi1024ElPKDF16_PKfKPfEviiT3_lPKT2_lT1_lS9_lSA_lS6_lPT4_lSA_li, .Lfunc_end529-_ZL32rocblas_gemvt_warp_reduce_kernelILb0ELi1024ElPKDF16_PKfKPfEviiT3_lPKT2_lT1_lS9_lSA_lS6_lPT4_lSA_li
                                        ; -- End function
	.set _ZL32rocblas_gemvt_warp_reduce_kernelILb0ELi1024ElPKDF16_PKfKPfEviiT3_lPKT2_lT1_lS9_lSA_lS6_lPT4_lSA_li.num_vgpr, 26
	.set _ZL32rocblas_gemvt_warp_reduce_kernelILb0ELi1024ElPKDF16_PKfKPfEviiT3_lPKT2_lT1_lS9_lSA_lS6_lPT4_lSA_li.num_agpr, 0
	.set _ZL32rocblas_gemvt_warp_reduce_kernelILb0ELi1024ElPKDF16_PKfKPfEviiT3_lPKT2_lT1_lS9_lSA_lS6_lPT4_lSA_li.numbered_sgpr, 44
	.set _ZL32rocblas_gemvt_warp_reduce_kernelILb0ELi1024ElPKDF16_PKfKPfEviiT3_lPKT2_lT1_lS9_lSA_lS6_lPT4_lSA_li.num_named_barrier, 0
	.set _ZL32rocblas_gemvt_warp_reduce_kernelILb0ELi1024ElPKDF16_PKfKPfEviiT3_lPKT2_lT1_lS9_lSA_lS6_lPT4_lSA_li.private_seg_size, 0
	.set _ZL32rocblas_gemvt_warp_reduce_kernelILb0ELi1024ElPKDF16_PKfKPfEviiT3_lPKT2_lT1_lS9_lSA_lS6_lPT4_lSA_li.uses_vcc, 1
	.set _ZL32rocblas_gemvt_warp_reduce_kernelILb0ELi1024ElPKDF16_PKfKPfEviiT3_lPKT2_lT1_lS9_lSA_lS6_lPT4_lSA_li.uses_flat_scratch, 0
	.set _ZL32rocblas_gemvt_warp_reduce_kernelILb0ELi1024ElPKDF16_PKfKPfEviiT3_lPKT2_lT1_lS9_lSA_lS6_lPT4_lSA_li.has_dyn_sized_stack, 0
	.set _ZL32rocblas_gemvt_warp_reduce_kernelILb0ELi1024ElPKDF16_PKfKPfEviiT3_lPKT2_lT1_lS9_lSA_lS6_lPT4_lSA_li.has_recursion, 0
	.set _ZL32rocblas_gemvt_warp_reduce_kernelILb0ELi1024ElPKDF16_PKfKPfEviiT3_lPKT2_lT1_lS9_lSA_lS6_lPT4_lSA_li.has_indirect_call, 0
	.section	.AMDGPU.csdata,"",@progbits
; Kernel info:
; codeLenInByte = 1488
; TotalNumSgprs: 46
; NumVgprs: 26
; ScratchSize: 0
; MemoryBound: 0
; FloatMode: 240
; IeeeMode: 1
; LDSByteSize: 128 bytes/workgroup (compile time only)
; SGPRBlocks: 0
; VGPRBlocks: 1
; NumSGPRsForWavesPerEU: 46
; NumVGPRsForWavesPerEU: 26
; NamedBarCnt: 0
; Occupancy: 16
; WaveLimiterHint : 1
; COMPUTE_PGM_RSRC2:SCRATCH_EN: 0
; COMPUTE_PGM_RSRC2:USER_SGPR: 2
; COMPUTE_PGM_RSRC2:TRAP_HANDLER: 0
; COMPUTE_PGM_RSRC2:TGID_X_EN: 1
; COMPUTE_PGM_RSRC2:TGID_Y_EN: 0
; COMPUTE_PGM_RSRC2:TGID_Z_EN: 1
; COMPUTE_PGM_RSRC2:TIDIG_COMP_CNT: 0
	.section	.text._ZL32rocblas_gemvt_warp_reduce_kernelILb0ELi1024EiPKDF16_fKPfEviiT3_lPKT2_lT1_lS7_lS8_lS4_lPT4_lS8_li,"axG",@progbits,_ZL32rocblas_gemvt_warp_reduce_kernelILb0ELi1024EiPKDF16_fKPfEviiT3_lPKT2_lT1_lS7_lS8_lS4_lPT4_lS8_li,comdat
	.globl	_ZL32rocblas_gemvt_warp_reduce_kernelILb0ELi1024EiPKDF16_fKPfEviiT3_lPKT2_lT1_lS7_lS8_lS4_lPT4_lS8_li ; -- Begin function _ZL32rocblas_gemvt_warp_reduce_kernelILb0ELi1024EiPKDF16_fKPfEviiT3_lPKT2_lT1_lS7_lS8_lS4_lPT4_lS8_li
	.p2align	8
	.type	_ZL32rocblas_gemvt_warp_reduce_kernelILb0ELi1024EiPKDF16_fKPfEviiT3_lPKT2_lT1_lS7_lS8_lS4_lPT4_lS8_li,@function
_ZL32rocblas_gemvt_warp_reduce_kernelILb0ELi1024EiPKDF16_fKPfEviiT3_lPKT2_lT1_lS7_lS8_lS4_lPT4_lS8_li: ; @_ZL32rocblas_gemvt_warp_reduce_kernelILb0ELi1024EiPKDF16_fKPfEviiT3_lPKT2_lT1_lS7_lS8_lS4_lPT4_lS8_li
; %bb.0:
	s_load_b32 s5, s[0:1], 0x88
	s_bfe_u32 s2, ttmp6, 0x40014
	s_lshr_b32 s3, ttmp7, 16
	s_add_co_i32 s2, s2, 1
	s_bfe_u32 s6, ttmp6, 0x40008
	s_mul_i32 s4, s3, s2
	s_getreg_b32 s2, hwreg(HW_REG_IB_STS2, 6, 4)
	s_add_co_i32 s6, s6, s4
	s_cmp_eq_u32 s2, 0
	s_mov_b32 s7, 0
	s_cselect_b32 s6, s3, s6
	s_wait_kmcnt 0x0
	s_cmp_ge_u32 s6, s5
	s_cbranch_scc1 .LBB530_40
; %bb.1:
	s_clause 0x8
	s_load_b32 s26, s[0:1], 0x8
	s_load_b32 s27, s[0:1], 0x58
	s_load_b128 s[8:11], s[0:1], 0x18
	s_load_b32 s3, s[0:1], 0x28
	s_load_b32 s4, s[0:1], 0x0
	s_load_b128 s[12:15], s[0:1], 0x38
	s_load_b32 s21, s[0:1], 0x48
	s_load_b128 s[16:19], s[0:1], 0x68
	s_load_b32 s22, s[0:1], 0x78
	v_dual_mov_b32 v3, 0 :: v_dual_bitop2_b32 v2, 31, v0 bitop3:0x40
	v_lshrrev_b32_e32 v4, 3, v0
	v_mbcnt_lo_u32_b32 v14, -1, 0
	s_wait_xcnt 0x0
	v_cmp_gt_u32_e64 s1, 32, v0
	v_lshlrev_b32_e32 v15, 2, v2
	v_and_b32_e32 v16, 0x7c, v4
	v_lshl_or_b32 v18, v14, 2, 64
	s_wait_kmcnt 0x0
	s_cmp_eq_f32 s26, 0
	v_mul_lo_u32 v17, v0, s21
	s_cselect_b32 s28, -1, 0
	s_cmp_neq_f32 s27, 1.0
	v_cmp_gt_i32_e32 vcc_lo, s4, v0
	s_cselect_b32 s20, -1, 0
	s_cmp_neq_f32 s26, 0
	s_cselect_b32 s0, -1, 0
	s_delay_alu instid0(SALU_CYCLE_1)
	s_or_b32 s29, s0, s20
	s_cmp_neq_f32 s27, 0
	v_cndmask_b32_e64 v1, 0, 1, s0
	v_cmp_eq_u32_e64 s0, 0, v0
	s_cselect_b32 s30, -1, 0
	s_bfe_u32 s20, ttmp6, 0x4000c
	s_and_b32 s23, ttmp6, 15
	s_add_co_i32 s20, s20, 1
	s_delay_alu instid0(SALU_CYCLE_1) | instskip(NEXT) | instid1(SALU_CYCLE_1)
	s_mul_i32 s20, ttmp9, s20
	s_add_co_i32 s23, s23, s20
	s_cmp_eq_u32 s2, 0
	s_cselect_b32 s23, ttmp9, s23
	s_ashr_i32 s2, s4, 31
	s_mul_i32 s24, s22, s23
	s_lshr_b32 s20, s2, 22
	v_cmp_eq_u32_e64 s2, 0, v2
	s_add_co_i32 s20, s4, s20
	s_mul_i32 s22, s3, s23
	s_and_b32 s20, s20, 0xfffffc00
	s_delay_alu instid0(SALU_CYCLE_1)
	v_dual_cndmask_b32 v2, 0, v0, vcc_lo :: v_dual_bitop2_b32 v5, s20, v0 bitop3:0x54
	v_cmp_gt_i32_e64 s3, s20, v0
	s_ashr_i32 s25, s24, 31
	s_lshl_b32 s31, s21, 10
	s_lshl_b64 s[10:11], s[10:11], 1
	v_mul_lo_u32 v4, s21, v5
	v_lshlrev_b32_e32 v2, 1, v2
	v_cmp_gt_i32_e64 s4, s4, v5
	s_ashr_i32 s23, s22, 31
	s_ashr_i32 s21, s20, 31
	s_lshl_b64 s[14:15], s[14:15], 1
	s_lshl_b64 s[18:19], s[18:19], 2
	;; [unrolled: 1-line block ×3, first 2 shown]
	v_ashrrev_i32_e32 v5, 31, v4
	s_branch .LBB530_4
.LBB530_2:                              ;   in Loop: Header=BB530_4 Depth=1
	s_wait_xcnt 0x0
	s_or_b32 exec_lo, exec_lo, s34
.LBB530_3:                              ;   in Loop: Header=BB530_4 Depth=1
	s_add_co_i32 s6, s6, 0x10000
	s_delay_alu instid0(SALU_CYCLE_1)
	s_cmp_lt_u32 s6, s5
	s_cbranch_scc0 .LBB530_40
.LBB530_4:                              ; =>This Loop Header: Depth=1
                                        ;     Child Loop BB530_29 Depth 2
	s_and_not1_b32 vcc_lo, exec_lo, s29
	s_cbranch_vccnz .LBB530_3
; %bb.5:                                ;   in Loop: Header=BB530_4 Depth=1
	s_and_not1_b32 vcc_lo, exec_lo, s28
	s_cbranch_vccnz .LBB530_7
; %bb.6:                                ;   in Loop: Header=BB530_4 Depth=1
	v_mov_b64_e32 v[8:9], 0
	v_mov_b64_e32 v[10:11], 0
	s_cbranch_execz .LBB530_8
	s_branch .LBB530_9
.LBB530_7:                              ;   in Loop: Header=BB530_4 Depth=1
	v_mov_b64_e32 v[8:9], 0
	v_mov_b64_e32 v[10:11], 0
.LBB530_8:                              ;   in Loop: Header=BB530_4 Depth=1
	s_lshl_b64 s[34:35], s[6:7], 3
	s_delay_alu instid0(SALU_CYCLE_1)
	s_add_nc_u64 s[34:35], s[8:9], s[34:35]
	global_load_b64 v[6:7], v3, s[34:35]
	s_wait_loadcnt 0x0
	v_add_nc_u64_e32 v[10:11], s[10:11], v[6:7]
.LBB530_9:                              ;   in Loop: Header=BB530_4 Depth=1
	v_cmp_ne_u32_e32 vcc_lo, 1, v1
	s_cbranch_vccnz .LBB530_11
; %bb.10:                               ;   in Loop: Header=BB530_4 Depth=1
	s_wait_xcnt 0x0
	s_lshl_b64 s[34:35], s[6:7], 3
	s_delay_alu instid0(SALU_CYCLE_1)
	s_add_nc_u64 s[34:35], s[12:13], s[34:35]
	global_load_b64 v[6:7], v3, s[34:35]
	s_wait_loadcnt 0x0
	v_add_nc_u64_e32 v[8:9], s[14:15], v[6:7]
.LBB530_11:                             ;   in Loop: Header=BB530_4 Depth=1
	s_wait_xcnt 0x0
	s_lshl_b64 s[34:35], s[6:7], 3
	s_and_not1_b32 vcc_lo, exec_lo, s28
	s_add_nc_u64 s[34:35], s[16:17], s[34:35]
	global_load_b64 v[6:7], v3, s[34:35]
	s_wait_loadcnt 0x0
	v_add_nc_u64_e32 v[6:7], s[18:19], v[6:7]
	s_cbranch_vccnz .LBB530_15
; %bb.12:                               ;   in Loop: Header=BB530_4 Depth=1
	s_wait_xcnt 0x0
	s_mov_b32 s34, 0
	s_mov_b32 s33, 0
                                        ; implicit-def: $vgpr12
	s_and_saveexec_b32 s35, s0
	s_cbranch_execz .LBB530_16
; %bb.13:                               ;   in Loop: Header=BB530_4 Depth=1
	s_and_not1_b32 vcc_lo, exec_lo, s30
	s_cbranch_vccnz .LBB530_17
; %bb.14:                               ;   in Loop: Header=BB530_4 Depth=1
	s_wait_dscnt 0x0
	v_add_nc_u64_e32 v[12:13], s[24:25], v[6:7]
	flat_load_b32 v12, v[12:13]
	s_wait_loadcnt_dscnt 0x0
	s_wait_xcnt 0x0
	v_mul_f32_e32 v12, s27, v12
	s_branch .LBB530_18
.LBB530_15:                             ;   in Loop: Header=BB530_4 Depth=1
	s_wait_xcnt 0x0
	s_mov_b32 s33, 0
                                        ; implicit-def: $vgpr12
	s_cbranch_execnz .LBB530_19
	s_branch .LBB530_38
.LBB530_16:                             ;   in Loop: Header=BB530_4 Depth=1
	s_or_b32 exec_lo, exec_lo, s35
	s_delay_alu instid0(SALU_CYCLE_1)
	s_and_b32 vcc_lo, exec_lo, s34
	s_cbranch_vccnz .LBB530_19
	s_branch .LBB530_38
.LBB530_17:                             ;   in Loop: Header=BB530_4 Depth=1
	v_mov_b32_e32 v12, 0
.LBB530_18:                             ;   in Loop: Header=BB530_4 Depth=1
	s_mov_b32 s33, exec_lo
	s_or_b32 exec_lo, exec_lo, s35
	s_delay_alu instid0(SALU_CYCLE_1)
	s_and_b32 vcc_lo, exec_lo, s34
	s_cbranch_vccz .LBB530_38
.LBB530_19:                             ;   in Loop: Header=BB530_4 Depth=1
	v_add_nc_u64_e32 v[10:11], v[10:11], v[2:3]
	v_mov_b32_e32 v19, 0
	s_delay_alu instid0(VALU_DEP_2)
	v_lshl_add_u64 v[10:11], s[22:23], 1, v[10:11]
	s_and_saveexec_b32 s34, s3
	s_cbranch_execnz .LBB530_28
; %bb.20:                               ;   in Loop: Header=BB530_4 Depth=1
	s_or_b32 exec_lo, exec_lo, s34
	s_and_saveexec_b32 s34, s4
	s_cbranch_execnz .LBB530_31
.LBB530_21:                             ;   in Loop: Header=BB530_4 Depth=1
	s_or_b32 exec_lo, exec_lo, s34
	s_and_saveexec_b32 s34, s1
.LBB530_22:                             ;   in Loop: Header=BB530_4 Depth=1
	ds_store_b32 v15, v3
.LBB530_23:                             ;   in Loop: Header=BB530_4 Depth=1
	s_or_b32 exec_lo, exec_lo, s34
	ds_bpermute_b32 v9, v18, v19
	v_cmp_gt_u32_e32 vcc_lo, 24, v14
	s_wait_dscnt 0x0
	s_barrier_signal -1
	s_barrier_wait -1
	v_cndmask_b32_e64 v8, 0, 8, vcc_lo
	v_cmp_gt_u32_e32 vcc_lo, 28, v14
	s_delay_alu instid0(VALU_DEP_2)
	v_add_lshl_u32 v8, v8, v14, 2
	v_add_f32_e32 v10, v19, v9
	v_cndmask_b32_e64 v9, 0, 4, vcc_lo
	v_cmp_gt_u32_e32 vcc_lo, 30, v14
	ds_bpermute_b32 v11, v8, v10
	v_add_lshl_u32 v9, v9, v14, 2
	s_wait_dscnt 0x0
	v_add_f32_e32 v11, v10, v11
	v_cndmask_b32_e64 v10, 0, 2, vcc_lo
	v_cmp_ne_u32_e32 vcc_lo, 31, v14
	ds_bpermute_b32 v12, v9, v11
	v_add_lshl_u32 v10, v10, v14, 2
	v_add_co_ci_u32_e64 v13, null, 0, v14, vcc_lo
	s_wait_dscnt 0x0
	v_add_f32_e32 v11, v11, v12
	ds_bpermute_b32 v12, v10, v11
	s_wait_dscnt 0x0
	v_dual_add_f32 v12, v11, v12 :: v_dual_lshlrev_b32 v11, 2, v13
	ds_bpermute_b32 v13, v11, v12
	s_and_saveexec_b32 s34, s2
	s_cbranch_execz .LBB530_25
; %bb.24:                               ;   in Loop: Header=BB530_4 Depth=1
	s_wait_dscnt 0x0
	v_add_f32_e32 v12, v12, v13
	ds_store_b32 v16, v12
.LBB530_25:                             ;   in Loop: Header=BB530_4 Depth=1
	s_or_b32 exec_lo, exec_lo, s34
	s_wait_dscnt 0x0
	v_mov_b32_e32 v13, 0
	s_barrier_signal -1
	s_barrier_wait -1
	s_and_saveexec_b32 s34, s1
	s_cbranch_execnz .LBB530_32
; %bb.26:                               ;   in Loop: Header=BB530_4 Depth=1
	s_or_b32 exec_lo, exec_lo, s34
	s_and_saveexec_b32 s34, s1
	s_cbranch_execnz .LBB530_33
.LBB530_27:                             ;   in Loop: Header=BB530_4 Depth=1
	s_or_b32 exec_lo, exec_lo, s34
                                        ; implicit-def: $vgpr12
	s_and_saveexec_b32 s34, s0
	s_cbranch_execnz .LBB530_34
	s_branch .LBB530_37
.LBB530_28:                             ;   in Loop: Header=BB530_4 Depth=1
	s_wait_dscnt 0x0
	s_delay_alu instid0(VALU_DEP_1)
	v_mov_b64_e32 v[12:13], v[10:11]
	v_dual_mov_b32 v19, 0 :: v_dual_mov_b32 v20, v0
	v_mov_b32_e32 v21, v17
	s_mov_b32 s35, 0
.LBB530_29:                             ;   Parent Loop BB530_4 Depth=1
                                        ; =>  This Inner Loop Header: Depth=2
	v_readfirstlane_b32 s36, v8
	v_readfirstlane_b32 s37, v9
	flat_load_u16 v22, v[12:13]
	flat_load_u16 v23, v21, s[36:37] scale_offset
	s_wait_xcnt 0x1
	v_add_nc_u64_e32 v[12:13], 0x800, v[12:13]
	s_wait_xcnt 0x0
	v_add_nc_u32_e32 v21, s31, v21
	s_wait_loadcnt_dscnt 0x0
	v_mul_f16_e32 v22, v22, v23
	s_delay_alu instid0(VALU_DEP_1) | instskip(NEXT) | instid1(VALU_DEP_1)
	v_cvt_f32_f16_e32 v22, v22
	v_dual_add_f32 v19, v19, v22 :: v_dual_add_nc_u32 v20, 0x400, v20
	s_delay_alu instid0(VALU_DEP_1) | instskip(SKIP_1) | instid1(SALU_CYCLE_1)
	v_cmp_le_i32_e32 vcc_lo, s20, v20
	s_or_b32 s35, vcc_lo, s35
	s_and_not1_b32 exec_lo, exec_lo, s35
	s_cbranch_execnz .LBB530_29
; %bb.30:                               ;   in Loop: Header=BB530_4 Depth=1
	s_or_b32 exec_lo, exec_lo, s35
	s_delay_alu instid0(SALU_CYCLE_1)
	s_or_b32 exec_lo, exec_lo, s34
	s_and_saveexec_b32 s34, s4
	s_cbranch_execz .LBB530_21
.LBB530_31:                             ;   in Loop: Header=BB530_4 Depth=1
	v_lshl_add_u64 v[10:11], s[20:21], 1, v[10:11]
	v_lshl_add_u64 v[8:9], v[4:5], 1, v[8:9]
	flat_load_u16 v12, v[10:11]
	s_wait_dscnt 0x1
	flat_load_u16 v13, v[8:9]
	s_wait_loadcnt_dscnt 0x0
	s_wait_xcnt 0x0
	v_mul_f16_e32 v8, v12, v13
	s_delay_alu instid0(VALU_DEP_1) | instskip(NEXT) | instid1(VALU_DEP_1)
	v_cvt_f32_f16_e32 v8, v8
	v_add_f32_e32 v19, v19, v8
	s_or_b32 exec_lo, exec_lo, s34
	s_and_saveexec_b32 s34, s1
	s_cbranch_execnz .LBB530_22
	s_branch .LBB530_23
.LBB530_32:                             ;   in Loop: Header=BB530_4 Depth=1
	ds_load_b32 v13, v15
	s_or_b32 exec_lo, exec_lo, s34
	s_and_saveexec_b32 s34, s1
	s_cbranch_execz .LBB530_27
.LBB530_33:                             ;   in Loop: Header=BB530_4 Depth=1
	s_wait_dscnt 0x0
	ds_bpermute_b32 v12, v18, v13
	s_wait_dscnt 0x0
	v_add_f32_e32 v12, v13, v12
	ds_bpermute_b32 v8, v8, v12
	s_wait_dscnt 0x0
	v_add_f32_e32 v8, v12, v8
	;; [unrolled: 3-line block ×5, first 2 shown]
	s_or_b32 exec_lo, exec_lo, s34
                                        ; implicit-def: $vgpr12
	s_and_saveexec_b32 s34, s0
	s_cbranch_execz .LBB530_37
.LBB530_34:                             ;   in Loop: Header=BB530_4 Depth=1
	s_wait_dscnt 0x0
	v_mul_f32_e32 v12, s26, v13
	s_and_not1_b32 vcc_lo, exec_lo, s30
	s_cbranch_vccnz .LBB530_36
; %bb.35:                               ;   in Loop: Header=BB530_4 Depth=1
	v_add_nc_u64_e32 v[8:9], s[24:25], v[6:7]
	flat_load_b32 v8, v[8:9]
	s_wait_loadcnt_dscnt 0x0
	v_fmac_f32_e32 v12, s27, v8
.LBB530_36:                             ;   in Loop: Header=BB530_4 Depth=1
	s_or_b32 s33, s33, exec_lo
.LBB530_37:                             ;   in Loop: Header=BB530_4 Depth=1
	s_wait_xcnt 0x0
	s_or_b32 exec_lo, exec_lo, s34
.LBB530_38:                             ;   in Loop: Header=BB530_4 Depth=1
	s_and_saveexec_b32 s34, s33
	s_cbranch_execz .LBB530_2
; %bb.39:                               ;   in Loop: Header=BB530_4 Depth=1
	v_add_nc_u64_e32 v[6:7], s[24:25], v[6:7]
	flat_store_b32 v[6:7], v12
	s_branch .LBB530_2
.LBB530_40:
	s_endpgm
	.section	.rodata,"a",@progbits
	.p2align	6, 0x0
	.amdhsa_kernel _ZL32rocblas_gemvt_warp_reduce_kernelILb0ELi1024EiPKDF16_fKPfEviiT3_lPKT2_lT1_lS7_lS8_lS4_lPT4_lS8_li
		.amdhsa_group_segment_fixed_size 128
		.amdhsa_private_segment_fixed_size 0
		.amdhsa_kernarg_size 140
		.amdhsa_user_sgpr_count 2
		.amdhsa_user_sgpr_dispatch_ptr 0
		.amdhsa_user_sgpr_queue_ptr 0
		.amdhsa_user_sgpr_kernarg_segment_ptr 1
		.amdhsa_user_sgpr_dispatch_id 0
		.amdhsa_user_sgpr_kernarg_preload_length 0
		.amdhsa_user_sgpr_kernarg_preload_offset 0
		.amdhsa_user_sgpr_private_segment_size 0
		.amdhsa_wavefront_size32 1
		.amdhsa_uses_dynamic_stack 0
		.amdhsa_enable_private_segment 0
		.amdhsa_system_sgpr_workgroup_id_x 1
		.amdhsa_system_sgpr_workgroup_id_y 0
		.amdhsa_system_sgpr_workgroup_id_z 1
		.amdhsa_system_sgpr_workgroup_info 0
		.amdhsa_system_vgpr_workitem_id 0
		.amdhsa_next_free_vgpr 24
		.amdhsa_next_free_sgpr 38
		.amdhsa_named_barrier_count 0
		.amdhsa_reserve_vcc 1
		.amdhsa_float_round_mode_32 0
		.amdhsa_float_round_mode_16_64 0
		.amdhsa_float_denorm_mode_32 3
		.amdhsa_float_denorm_mode_16_64 3
		.amdhsa_fp16_overflow 0
		.amdhsa_memory_ordered 1
		.amdhsa_forward_progress 1
		.amdhsa_inst_pref_size 12
		.amdhsa_round_robin_scheduling 0
		.amdhsa_exception_fp_ieee_invalid_op 0
		.amdhsa_exception_fp_denorm_src 0
		.amdhsa_exception_fp_ieee_div_zero 0
		.amdhsa_exception_fp_ieee_overflow 0
		.amdhsa_exception_fp_ieee_underflow 0
		.amdhsa_exception_fp_ieee_inexact 0
		.amdhsa_exception_int_div_zero 0
	.end_amdhsa_kernel
	.section	.text._ZL32rocblas_gemvt_warp_reduce_kernelILb0ELi1024EiPKDF16_fKPfEviiT3_lPKT2_lT1_lS7_lS8_lS4_lPT4_lS8_li,"axG",@progbits,_ZL32rocblas_gemvt_warp_reduce_kernelILb0ELi1024EiPKDF16_fKPfEviiT3_lPKT2_lT1_lS7_lS8_lS4_lPT4_lS8_li,comdat
.Lfunc_end530:
	.size	_ZL32rocblas_gemvt_warp_reduce_kernelILb0ELi1024EiPKDF16_fKPfEviiT3_lPKT2_lT1_lS7_lS8_lS4_lPT4_lS8_li, .Lfunc_end530-_ZL32rocblas_gemvt_warp_reduce_kernelILb0ELi1024EiPKDF16_fKPfEviiT3_lPKT2_lT1_lS7_lS8_lS4_lPT4_lS8_li
                                        ; -- End function
	.set _ZL32rocblas_gemvt_warp_reduce_kernelILb0ELi1024EiPKDF16_fKPfEviiT3_lPKT2_lT1_lS7_lS8_lS4_lPT4_lS8_li.num_vgpr, 24
	.set _ZL32rocblas_gemvt_warp_reduce_kernelILb0ELi1024EiPKDF16_fKPfEviiT3_lPKT2_lT1_lS7_lS8_lS4_lPT4_lS8_li.num_agpr, 0
	.set _ZL32rocblas_gemvt_warp_reduce_kernelILb0ELi1024EiPKDF16_fKPfEviiT3_lPKT2_lT1_lS7_lS8_lS4_lPT4_lS8_li.numbered_sgpr, 38
	.set _ZL32rocblas_gemvt_warp_reduce_kernelILb0ELi1024EiPKDF16_fKPfEviiT3_lPKT2_lT1_lS7_lS8_lS4_lPT4_lS8_li.num_named_barrier, 0
	.set _ZL32rocblas_gemvt_warp_reduce_kernelILb0ELi1024EiPKDF16_fKPfEviiT3_lPKT2_lT1_lS7_lS8_lS4_lPT4_lS8_li.private_seg_size, 0
	.set _ZL32rocblas_gemvt_warp_reduce_kernelILb0ELi1024EiPKDF16_fKPfEviiT3_lPKT2_lT1_lS7_lS8_lS4_lPT4_lS8_li.uses_vcc, 1
	.set _ZL32rocblas_gemvt_warp_reduce_kernelILb0ELi1024EiPKDF16_fKPfEviiT3_lPKT2_lT1_lS7_lS8_lS4_lPT4_lS8_li.uses_flat_scratch, 0
	.set _ZL32rocblas_gemvt_warp_reduce_kernelILb0ELi1024EiPKDF16_fKPfEviiT3_lPKT2_lT1_lS7_lS8_lS4_lPT4_lS8_li.has_dyn_sized_stack, 0
	.set _ZL32rocblas_gemvt_warp_reduce_kernelILb0ELi1024EiPKDF16_fKPfEviiT3_lPKT2_lT1_lS7_lS8_lS4_lPT4_lS8_li.has_recursion, 0
	.set _ZL32rocblas_gemvt_warp_reduce_kernelILb0ELi1024EiPKDF16_fKPfEviiT3_lPKT2_lT1_lS7_lS8_lS4_lPT4_lS8_li.has_indirect_call, 0
	.section	.AMDGPU.csdata,"",@progbits
; Kernel info:
; codeLenInByte = 1468
; TotalNumSgprs: 40
; NumVgprs: 24
; ScratchSize: 0
; MemoryBound: 0
; FloatMode: 240
; IeeeMode: 1
; LDSByteSize: 128 bytes/workgroup (compile time only)
; SGPRBlocks: 0
; VGPRBlocks: 1
; NumSGPRsForWavesPerEU: 40
; NumVGPRsForWavesPerEU: 24
; NamedBarCnt: 0
; Occupancy: 16
; WaveLimiterHint : 1
; COMPUTE_PGM_RSRC2:SCRATCH_EN: 0
; COMPUTE_PGM_RSRC2:USER_SGPR: 2
; COMPUTE_PGM_RSRC2:TRAP_HANDLER: 0
; COMPUTE_PGM_RSRC2:TGID_X_EN: 1
; COMPUTE_PGM_RSRC2:TGID_Y_EN: 0
; COMPUTE_PGM_RSRC2:TGID_Z_EN: 1
; COMPUTE_PGM_RSRC2:TIDIG_COMP_CNT: 0
	.section	.text._ZL32rocblas_gemvt_warp_reduce_kernelILb0ELi1024ElPKDF16_fKPfEviiT3_lPKT2_lT1_lS7_lS8_lS4_lPT4_lS8_li,"axG",@progbits,_ZL32rocblas_gemvt_warp_reduce_kernelILb0ELi1024ElPKDF16_fKPfEviiT3_lPKT2_lT1_lS7_lS8_lS4_lPT4_lS8_li,comdat
	.globl	_ZL32rocblas_gemvt_warp_reduce_kernelILb0ELi1024ElPKDF16_fKPfEviiT3_lPKT2_lT1_lS7_lS8_lS4_lPT4_lS8_li ; -- Begin function _ZL32rocblas_gemvt_warp_reduce_kernelILb0ELi1024ElPKDF16_fKPfEviiT3_lPKT2_lT1_lS7_lS8_lS4_lPT4_lS8_li
	.p2align	8
	.type	_ZL32rocblas_gemvt_warp_reduce_kernelILb0ELi1024ElPKDF16_fKPfEviiT3_lPKT2_lT1_lS7_lS8_lS4_lPT4_lS8_li,@function
_ZL32rocblas_gemvt_warp_reduce_kernelILb0ELi1024ElPKDF16_fKPfEviiT3_lPKT2_lT1_lS7_lS8_lS4_lPT4_lS8_li: ; @_ZL32rocblas_gemvt_warp_reduce_kernelILb0ELi1024ElPKDF16_fKPfEviiT3_lPKT2_lT1_lS7_lS8_lS4_lPT4_lS8_li
; %bb.0:
	s_load_b32 s5, s[0:1], 0x88
	s_bfe_u32 s2, ttmp6, 0x40014
	s_lshr_b32 s3, ttmp7, 16
	s_add_co_i32 s2, s2, 1
	s_bfe_u32 s6, ttmp6, 0x40008
	s_mul_i32 s4, s3, s2
	s_getreg_b32 s2, hwreg(HW_REG_IB_STS2, 6, 4)
	s_add_co_i32 s6, s6, s4
	s_cmp_eq_u32 s2, 0
	s_mov_b32 s7, 0
	s_cselect_b32 s6, s3, s6
	s_wait_kmcnt 0x0
	s_cmp_ge_u32 s6, s5
	s_cbranch_scc1 .LBB531_40
; %bb.1:
	s_clause 0x7
	s_load_b32 s28, s[0:1], 0x8
	s_load_b32 s29, s[0:1], 0x58
	s_load_b128 s[8:11], s[0:1], 0x18
	s_load_b64 s[22:23], s[0:1], 0x28
	s_load_b32 s4, s[0:1], 0x0
	s_load_b128 s[12:15], s[0:1], 0x68
	s_load_b64 s[24:25], s[0:1], 0x48
	s_load_b64 s[26:27], s[0:1], 0x78
	v_mbcnt_lo_u32_b32 v20, -1, 0
	s_delay_alu instid0(VALU_DEP_1)
	v_lshl_or_b32 v21, v20, 2, 64
	s_wait_kmcnt 0x0
	s_cmp_eq_f32 s28, 0
	s_cselect_b32 s30, -1, 0
	s_cmp_neq_f32 s29, 1.0
	s_cselect_b32 s3, -1, 0
	s_cmp_neq_f32 s28, 0
	s_cselect_b32 s16, -1, 0
	s_delay_alu instid0(SALU_CYCLE_1)
	s_or_b32 s31, s16, s3
	s_cmp_neq_f32 s29, 0
	v_cndmask_b32_e64 v18, 0, 1, s16
	s_cselect_b32 s33, -1, 0
	s_bfe_u32 s3, ttmp6, 0x4000c
	s_and_b32 s16, ttmp6, 15
	s_add_co_i32 s3, s3, 1
	s_delay_alu instid0(SALU_CYCLE_1) | instskip(NEXT) | instid1(SALU_CYCLE_1)
	s_mul_i32 s3, ttmp9, s3
	s_add_co_i32 s16, s16, s3
	s_cmp_eq_u32 s2, 0
	s_cselect_b32 s2, ttmp9, s16
	s_load_b128 s[16:19], s[0:1], 0x38
	s_ashr_i32 s3, s4, 31
	v_cmp_gt_i32_e32 vcc_lo, s4, v0
	s_lshr_b32 s3, s3, 22
	s_wait_xcnt 0x0
	v_cmp_eq_u32_e64 s0, 0, v0
	s_add_co_i32 s3, s4, s3
	s_lshl_b64 s[10:11], s[10:11], 1
	s_and_b32 s20, s3, 0xfffffc00
	s_delay_alu instid0(SALU_CYCLE_1) | instskip(SKIP_3) | instid1(VALU_DEP_2)
	v_dual_mov_b32 v3, 0 :: v_dual_bitop2_b32 v8, s20, v0 bitop3:0x54
	s_ashr_i32 s3, s2, 31
	v_cndmask_b32_e32 v2, 0, v0, vcc_lo
	s_mul_u64 s[26:27], s[26:27], s[2:3]
	v_dual_mov_b32 v1, v3 :: v_dual_ashrrev_i32 v9, 31, v8
	s_mul_u64 s[22:23], s[22:23], s[2:3]
	v_cmp_gt_i32_e64 s2, s4, v8
	v_cmp_gt_i32_e64 s1, s20, v0
	s_delay_alu instid0(VALU_DEP_3)
	v_mul_u64_e32 v[6:7], s[24:25], v[0:1]
	v_mul_u64_e32 v[4:5], s[24:25], v[8:9]
	v_dual_lshrrev_b32 v8, 3, v0 :: v_dual_bitop2_b32 v9, 31, v0 bitop3:0x40
	v_cmp_gt_u32_e64 s3, 32, v0
	v_lshlrev_b32_e32 v2, 1, v2
	s_ashr_i32 s21, s20, 31
	v_lshlrev_b32_e32 v1, 2, v9
	v_cmp_eq_u32_e64 s4, 0, v9
	v_and_b32_e32 v19, 0x7c, v8
	s_lshl_b64 s[24:25], s[24:25], 11
	s_wait_kmcnt 0x0
	s_lshl_b64 s[18:19], s[18:19], 1
	s_lshl_b64 s[14:15], s[14:15], 2
	;; [unrolled: 1-line block ×3, first 2 shown]
	v_lshlrev_b64_e32 v[6:7], 1, v[6:7]
	s_branch .LBB531_4
.LBB531_2:                              ;   in Loop: Header=BB531_4 Depth=1
	s_wait_xcnt 0x0
	s_or_b32 exec_lo, exec_lo, s35
.LBB531_3:                              ;   in Loop: Header=BB531_4 Depth=1
	s_add_co_i32 s6, s6, 0x10000
	s_delay_alu instid0(SALU_CYCLE_1)
	s_cmp_lt_u32 s6, s5
	s_cbranch_scc0 .LBB531_40
.LBB531_4:                              ; =>This Loop Header: Depth=1
                                        ;     Child Loop BB531_29 Depth 2
	s_and_not1_b32 vcc_lo, exec_lo, s31
	s_cbranch_vccnz .LBB531_3
; %bb.5:                                ;   in Loop: Header=BB531_4 Depth=1
	s_and_not1_b32 vcc_lo, exec_lo, s30
	s_cbranch_vccnz .LBB531_7
; %bb.6:                                ;   in Loop: Header=BB531_4 Depth=1
	v_mov_b64_e32 v[10:11], 0
	v_mov_b64_e32 v[12:13], 0
	s_cbranch_execz .LBB531_8
	s_branch .LBB531_9
.LBB531_7:                              ;   in Loop: Header=BB531_4 Depth=1
	v_mov_b64_e32 v[10:11], 0
	v_mov_b64_e32 v[12:13], 0
.LBB531_8:                              ;   in Loop: Header=BB531_4 Depth=1
	s_lshl_b64 s[34:35], s[6:7], 3
	s_delay_alu instid0(SALU_CYCLE_1)
	s_add_nc_u64 s[34:35], s[8:9], s[34:35]
	global_load_b64 v[8:9], v3, s[34:35]
	s_wait_loadcnt 0x0
	v_add_nc_u64_e32 v[12:13], s[10:11], v[8:9]
.LBB531_9:                              ;   in Loop: Header=BB531_4 Depth=1
	v_cmp_ne_u32_e32 vcc_lo, 1, v18
	s_cbranch_vccnz .LBB531_11
; %bb.10:                               ;   in Loop: Header=BB531_4 Depth=1
	s_wait_xcnt 0x0
	s_lshl_b64 s[34:35], s[6:7], 3
	s_delay_alu instid0(SALU_CYCLE_1)
	s_add_nc_u64 s[34:35], s[16:17], s[34:35]
	global_load_b64 v[8:9], v3, s[34:35]
	s_wait_loadcnt 0x0
	v_add_nc_u64_e32 v[10:11], s[18:19], v[8:9]
.LBB531_11:                             ;   in Loop: Header=BB531_4 Depth=1
	s_wait_xcnt 0x0
	s_lshl_b64 s[34:35], s[6:7], 3
	s_and_not1_b32 vcc_lo, exec_lo, s30
	s_add_nc_u64 s[34:35], s[12:13], s[34:35]
	global_load_b64 v[8:9], v3, s[34:35]
	s_wait_loadcnt 0x0
	v_add_nc_u64_e32 v[8:9], s[14:15], v[8:9]
	s_cbranch_vccnz .LBB531_15
; %bb.12:                               ;   in Loop: Header=BB531_4 Depth=1
	s_wait_xcnt 0x0
	s_mov_b32 s35, 0
	s_mov_b32 s34, 0
                                        ; implicit-def: $vgpr14
	s_and_saveexec_b32 s36, s0
	s_cbranch_execz .LBB531_16
; %bb.13:                               ;   in Loop: Header=BB531_4 Depth=1
	s_and_not1_b32 vcc_lo, exec_lo, s33
	s_cbranch_vccnz .LBB531_17
; %bb.14:                               ;   in Loop: Header=BB531_4 Depth=1
	s_wait_dscnt 0x0
	v_add_nc_u64_e32 v[14:15], s[26:27], v[8:9]
	flat_load_b32 v14, v[14:15]
	s_wait_loadcnt_dscnt 0x0
	s_wait_xcnt 0x0
	v_mul_f32_e32 v14, s29, v14
	s_branch .LBB531_18
.LBB531_15:                             ;   in Loop: Header=BB531_4 Depth=1
	s_wait_xcnt 0x0
	s_mov_b32 s34, 0
                                        ; implicit-def: $vgpr14
	s_cbranch_execnz .LBB531_19
	s_branch .LBB531_38
.LBB531_16:                             ;   in Loop: Header=BB531_4 Depth=1
	s_or_b32 exec_lo, exec_lo, s36
	s_delay_alu instid0(SALU_CYCLE_1)
	s_and_b32 vcc_lo, exec_lo, s35
	s_cbranch_vccnz .LBB531_19
	s_branch .LBB531_38
.LBB531_17:                             ;   in Loop: Header=BB531_4 Depth=1
	v_mov_b32_e32 v14, 0
.LBB531_18:                             ;   in Loop: Header=BB531_4 Depth=1
	s_mov_b32 s34, exec_lo
	s_or_b32 exec_lo, exec_lo, s36
	s_delay_alu instid0(SALU_CYCLE_1)
	s_and_b32 vcc_lo, exec_lo, s35
	s_cbranch_vccz .LBB531_38
.LBB531_19:                             ;   in Loop: Header=BB531_4 Depth=1
	v_add_nc_u64_e32 v[12:13], v[12:13], v[2:3]
	v_mov_b32_e32 v22, 0
	s_delay_alu instid0(VALU_DEP_2)
	v_lshl_add_u64 v[12:13], s[22:23], 1, v[12:13]
	s_and_saveexec_b32 s35, s1
	s_cbranch_execnz .LBB531_28
; %bb.20:                               ;   in Loop: Header=BB531_4 Depth=1
	s_or_b32 exec_lo, exec_lo, s35
	s_and_saveexec_b32 s35, s2
	s_cbranch_execnz .LBB531_31
.LBB531_21:                             ;   in Loop: Header=BB531_4 Depth=1
	s_or_b32 exec_lo, exec_lo, s35
	s_and_saveexec_b32 s35, s3
.LBB531_22:                             ;   in Loop: Header=BB531_4 Depth=1
	ds_store_b32 v1, v3
.LBB531_23:                             ;   in Loop: Header=BB531_4 Depth=1
	s_or_b32 exec_lo, exec_lo, s35
	ds_bpermute_b32 v11, v21, v22
	v_cmp_gt_u32_e32 vcc_lo, 24, v20
	s_wait_dscnt 0x0
	s_barrier_signal -1
	s_barrier_wait -1
	v_cndmask_b32_e64 v10, 0, 8, vcc_lo
	v_cmp_gt_u32_e32 vcc_lo, 28, v20
	s_delay_alu instid0(VALU_DEP_2)
	v_add_lshl_u32 v10, v10, v20, 2
	v_add_f32_e32 v12, v22, v11
	v_cndmask_b32_e64 v11, 0, 4, vcc_lo
	v_cmp_gt_u32_e32 vcc_lo, 30, v20
	ds_bpermute_b32 v13, v10, v12
	v_add_lshl_u32 v11, v11, v20, 2
	s_wait_dscnt 0x0
	v_add_f32_e32 v13, v12, v13
	v_cndmask_b32_e64 v12, 0, 2, vcc_lo
	v_cmp_ne_u32_e32 vcc_lo, 31, v20
	ds_bpermute_b32 v14, v11, v13
	v_add_lshl_u32 v12, v12, v20, 2
	v_add_co_ci_u32_e64 v15, null, 0, v20, vcc_lo
	s_wait_dscnt 0x0
	v_add_f32_e32 v13, v13, v14
	ds_bpermute_b32 v14, v12, v13
	s_wait_dscnt 0x0
	v_dual_add_f32 v14, v13, v14 :: v_dual_lshlrev_b32 v13, 2, v15
	ds_bpermute_b32 v15, v13, v14
	s_and_saveexec_b32 s35, s4
	s_cbranch_execz .LBB531_25
; %bb.24:                               ;   in Loop: Header=BB531_4 Depth=1
	s_wait_dscnt 0x0
	v_add_f32_e32 v14, v14, v15
	ds_store_b32 v19, v14
.LBB531_25:                             ;   in Loop: Header=BB531_4 Depth=1
	s_or_b32 exec_lo, exec_lo, s35
	s_wait_dscnt 0x0
	v_mov_b32_e32 v15, 0
	s_barrier_signal -1
	s_barrier_wait -1
	s_and_saveexec_b32 s35, s3
	s_cbranch_execnz .LBB531_32
; %bb.26:                               ;   in Loop: Header=BB531_4 Depth=1
	s_or_b32 exec_lo, exec_lo, s35
	s_and_saveexec_b32 s35, s3
	s_cbranch_execnz .LBB531_33
.LBB531_27:                             ;   in Loop: Header=BB531_4 Depth=1
	s_or_b32 exec_lo, exec_lo, s35
                                        ; implicit-def: $vgpr14
	s_and_saveexec_b32 s35, s0
	s_cbranch_execnz .LBB531_34
	s_branch .LBB531_37
.LBB531_28:                             ;   in Loop: Header=BB531_4 Depth=1
	s_wait_dscnt 0x0
	v_add_nc_u64_e32 v[14:15], v[10:11], v[6:7]
	v_mov_b64_e32 v[16:17], v[12:13]
	v_dual_mov_b32 v22, 0 :: v_dual_mov_b32 v23, v0
	s_mov_b32 s36, 0
.LBB531_29:                             ;   Parent Loop BB531_4 Depth=1
                                        ; =>  This Inner Loop Header: Depth=2
	flat_load_u16 v24, v[16:17]
	flat_load_u16 v25, v[14:15]
	s_wait_xcnt 0x1
	v_add_nc_u64_e32 v[16:17], 0x800, v[16:17]
	s_wait_xcnt 0x0
	v_add_nc_u64_e32 v[14:15], s[24:25], v[14:15]
	s_wait_loadcnt_dscnt 0x0
	v_mul_f16_e32 v24, v24, v25
	s_delay_alu instid0(VALU_DEP_1) | instskip(NEXT) | instid1(VALU_DEP_1)
	v_cvt_f32_f16_e32 v24, v24
	v_dual_add_f32 v22, v22, v24 :: v_dual_add_nc_u32 v23, 0x400, v23
	s_delay_alu instid0(VALU_DEP_1) | instskip(SKIP_1) | instid1(SALU_CYCLE_1)
	v_cmp_le_i32_e32 vcc_lo, s20, v23
	s_or_b32 s36, vcc_lo, s36
	s_and_not1_b32 exec_lo, exec_lo, s36
	s_cbranch_execnz .LBB531_29
; %bb.30:                               ;   in Loop: Header=BB531_4 Depth=1
	s_or_b32 exec_lo, exec_lo, s36
	s_delay_alu instid0(SALU_CYCLE_1)
	s_or_b32 exec_lo, exec_lo, s35
	s_and_saveexec_b32 s35, s2
	s_cbranch_execz .LBB531_21
.LBB531_31:                             ;   in Loop: Header=BB531_4 Depth=1
	v_lshl_add_u64 v[12:13], s[20:21], 1, v[12:13]
	v_lshl_add_u64 v[10:11], v[4:5], 1, v[10:11]
	flat_load_u16 v14, v[12:13]
	s_wait_dscnt 0x1
	flat_load_u16 v15, v[10:11]
	s_wait_loadcnt_dscnt 0x0
	s_wait_xcnt 0x0
	v_mul_f16_e32 v10, v14, v15
	s_delay_alu instid0(VALU_DEP_1) | instskip(NEXT) | instid1(VALU_DEP_1)
	v_cvt_f32_f16_e32 v10, v10
	v_add_f32_e32 v22, v22, v10
	s_or_b32 exec_lo, exec_lo, s35
	s_and_saveexec_b32 s35, s3
	s_cbranch_execnz .LBB531_22
	s_branch .LBB531_23
.LBB531_32:                             ;   in Loop: Header=BB531_4 Depth=1
	ds_load_b32 v15, v1
	s_or_b32 exec_lo, exec_lo, s35
	s_and_saveexec_b32 s35, s3
	s_cbranch_execz .LBB531_27
.LBB531_33:                             ;   in Loop: Header=BB531_4 Depth=1
	s_wait_dscnt 0x0
	ds_bpermute_b32 v14, v21, v15
	s_wait_dscnt 0x0
	v_add_f32_e32 v14, v15, v14
	ds_bpermute_b32 v10, v10, v14
	s_wait_dscnt 0x0
	v_add_f32_e32 v10, v14, v10
	;; [unrolled: 3-line block ×5, first 2 shown]
	s_or_b32 exec_lo, exec_lo, s35
                                        ; implicit-def: $vgpr14
	s_and_saveexec_b32 s35, s0
	s_cbranch_execz .LBB531_37
.LBB531_34:                             ;   in Loop: Header=BB531_4 Depth=1
	s_wait_dscnt 0x0
	v_mul_f32_e32 v14, s28, v15
	s_and_not1_b32 vcc_lo, exec_lo, s33
	s_cbranch_vccnz .LBB531_36
; %bb.35:                               ;   in Loop: Header=BB531_4 Depth=1
	v_add_nc_u64_e32 v[10:11], s[26:27], v[8:9]
	flat_load_b32 v10, v[10:11]
	s_wait_loadcnt_dscnt 0x0
	v_fmac_f32_e32 v14, s29, v10
.LBB531_36:                             ;   in Loop: Header=BB531_4 Depth=1
	s_or_b32 s34, s34, exec_lo
.LBB531_37:                             ;   in Loop: Header=BB531_4 Depth=1
	s_wait_xcnt 0x0
	s_or_b32 exec_lo, exec_lo, s35
.LBB531_38:                             ;   in Loop: Header=BB531_4 Depth=1
	s_and_saveexec_b32 s35, s34
	s_cbranch_execz .LBB531_2
; %bb.39:                               ;   in Loop: Header=BB531_4 Depth=1
	v_add_nc_u64_e32 v[8:9], s[26:27], v[8:9]
	flat_store_b32 v[8:9], v14
	s_branch .LBB531_2
.LBB531_40:
	s_endpgm
	.section	.rodata,"a",@progbits
	.p2align	6, 0x0
	.amdhsa_kernel _ZL32rocblas_gemvt_warp_reduce_kernelILb0ELi1024ElPKDF16_fKPfEviiT3_lPKT2_lT1_lS7_lS8_lS4_lPT4_lS8_li
		.amdhsa_group_segment_fixed_size 128
		.amdhsa_private_segment_fixed_size 0
		.amdhsa_kernarg_size 140
		.amdhsa_user_sgpr_count 2
		.amdhsa_user_sgpr_dispatch_ptr 0
		.amdhsa_user_sgpr_queue_ptr 0
		.amdhsa_user_sgpr_kernarg_segment_ptr 1
		.amdhsa_user_sgpr_dispatch_id 0
		.amdhsa_user_sgpr_kernarg_preload_length 0
		.amdhsa_user_sgpr_kernarg_preload_offset 0
		.amdhsa_user_sgpr_private_segment_size 0
		.amdhsa_wavefront_size32 1
		.amdhsa_uses_dynamic_stack 0
		.amdhsa_enable_private_segment 0
		.amdhsa_system_sgpr_workgroup_id_x 1
		.amdhsa_system_sgpr_workgroup_id_y 0
		.amdhsa_system_sgpr_workgroup_id_z 1
		.amdhsa_system_sgpr_workgroup_info 0
		.amdhsa_system_vgpr_workitem_id 0
		.amdhsa_next_free_vgpr 26
		.amdhsa_next_free_sgpr 37
		.amdhsa_named_barrier_count 0
		.amdhsa_reserve_vcc 1
		.amdhsa_float_round_mode_32 0
		.amdhsa_float_round_mode_16_64 0
		.amdhsa_float_denorm_mode_32 3
		.amdhsa_float_denorm_mode_16_64 3
		.amdhsa_fp16_overflow 0
		.amdhsa_memory_ordered 1
		.amdhsa_forward_progress 1
		.amdhsa_inst_pref_size 12
		.amdhsa_round_robin_scheduling 0
		.amdhsa_exception_fp_ieee_invalid_op 0
		.amdhsa_exception_fp_denorm_src 0
		.amdhsa_exception_fp_ieee_div_zero 0
		.amdhsa_exception_fp_ieee_overflow 0
		.amdhsa_exception_fp_ieee_underflow 0
		.amdhsa_exception_fp_ieee_inexact 0
		.amdhsa_exception_int_div_zero 0
	.end_amdhsa_kernel
	.section	.text._ZL32rocblas_gemvt_warp_reduce_kernelILb0ELi1024ElPKDF16_fKPfEviiT3_lPKT2_lT1_lS7_lS8_lS4_lPT4_lS8_li,"axG",@progbits,_ZL32rocblas_gemvt_warp_reduce_kernelILb0ELi1024ElPKDF16_fKPfEviiT3_lPKT2_lT1_lS7_lS8_lS4_lPT4_lS8_li,comdat
.Lfunc_end531:
	.size	_ZL32rocblas_gemvt_warp_reduce_kernelILb0ELi1024ElPKDF16_fKPfEviiT3_lPKT2_lT1_lS7_lS8_lS4_lPT4_lS8_li, .Lfunc_end531-_ZL32rocblas_gemvt_warp_reduce_kernelILb0ELi1024ElPKDF16_fKPfEviiT3_lPKT2_lT1_lS7_lS8_lS4_lPT4_lS8_li
                                        ; -- End function
	.set _ZL32rocblas_gemvt_warp_reduce_kernelILb0ELi1024ElPKDF16_fKPfEviiT3_lPKT2_lT1_lS7_lS8_lS4_lPT4_lS8_li.num_vgpr, 26
	.set _ZL32rocblas_gemvt_warp_reduce_kernelILb0ELi1024ElPKDF16_fKPfEviiT3_lPKT2_lT1_lS7_lS8_lS4_lPT4_lS8_li.num_agpr, 0
	.set _ZL32rocblas_gemvt_warp_reduce_kernelILb0ELi1024ElPKDF16_fKPfEviiT3_lPKT2_lT1_lS7_lS8_lS4_lPT4_lS8_li.numbered_sgpr, 37
	.set _ZL32rocblas_gemvt_warp_reduce_kernelILb0ELi1024ElPKDF16_fKPfEviiT3_lPKT2_lT1_lS7_lS8_lS4_lPT4_lS8_li.num_named_barrier, 0
	.set _ZL32rocblas_gemvt_warp_reduce_kernelILb0ELi1024ElPKDF16_fKPfEviiT3_lPKT2_lT1_lS7_lS8_lS4_lPT4_lS8_li.private_seg_size, 0
	.set _ZL32rocblas_gemvt_warp_reduce_kernelILb0ELi1024ElPKDF16_fKPfEviiT3_lPKT2_lT1_lS7_lS8_lS4_lPT4_lS8_li.uses_vcc, 1
	.set _ZL32rocblas_gemvt_warp_reduce_kernelILb0ELi1024ElPKDF16_fKPfEviiT3_lPKT2_lT1_lS7_lS8_lS4_lPT4_lS8_li.uses_flat_scratch, 0
	.set _ZL32rocblas_gemvt_warp_reduce_kernelILb0ELi1024ElPKDF16_fKPfEviiT3_lPKT2_lT1_lS7_lS8_lS4_lPT4_lS8_li.has_dyn_sized_stack, 0
	.set _ZL32rocblas_gemvt_warp_reduce_kernelILb0ELi1024ElPKDF16_fKPfEviiT3_lPKT2_lT1_lS7_lS8_lS4_lPT4_lS8_li.has_recursion, 0
	.set _ZL32rocblas_gemvt_warp_reduce_kernelILb0ELi1024ElPKDF16_fKPfEviiT3_lPKT2_lT1_lS7_lS8_lS4_lPT4_lS8_li.has_indirect_call, 0
	.section	.AMDGPU.csdata,"",@progbits
; Kernel info:
; codeLenInByte = 1468
; TotalNumSgprs: 39
; NumVgprs: 26
; ScratchSize: 0
; MemoryBound: 0
; FloatMode: 240
; IeeeMode: 1
; LDSByteSize: 128 bytes/workgroup (compile time only)
; SGPRBlocks: 0
; VGPRBlocks: 1
; NumSGPRsForWavesPerEU: 39
; NumVGPRsForWavesPerEU: 26
; NamedBarCnt: 0
; Occupancy: 16
; WaveLimiterHint : 1
; COMPUTE_PGM_RSRC2:SCRATCH_EN: 0
; COMPUTE_PGM_RSRC2:USER_SGPR: 2
; COMPUTE_PGM_RSRC2:TRAP_HANDLER: 0
; COMPUTE_PGM_RSRC2:TGID_X_EN: 1
; COMPUTE_PGM_RSRC2:TGID_Y_EN: 0
; COMPUTE_PGM_RSRC2:TGID_Z_EN: 1
; COMPUTE_PGM_RSRC2:TIDIG_COMP_CNT: 0
	.section	.text._ZL22rocblas_gemvtsm_kernelILb1ELi256EPKDF16_PKfKPfEviiT2_lPKT1_lilS9_lilS6_lPT3_lil,"axG",@progbits,_ZL22rocblas_gemvtsm_kernelILb1ELi256EPKDF16_PKfKPfEviiT2_lPKT1_lilS9_lilS6_lPT3_lil,comdat
	.globl	_ZL22rocblas_gemvtsm_kernelILb1ELi256EPKDF16_PKfKPfEviiT2_lPKT1_lilS9_lilS6_lPT3_lil ; -- Begin function _ZL22rocblas_gemvtsm_kernelILb1ELi256EPKDF16_PKfKPfEviiT2_lPKT1_lilS9_lilS6_lPT3_lil
	.p2align	8
	.type	_ZL22rocblas_gemvtsm_kernelILb1ELi256EPKDF16_PKfKPfEviiT2_lPKT1_lilS9_lilS6_lPT3_lil,@function
_ZL22rocblas_gemvtsm_kernelILb1ELi256EPKDF16_PKfKPfEviiT2_lPKT1_lilS9_lilS6_lPT3_lil: ; @_ZL22rocblas_gemvtsm_kernelILb1ELi256EPKDF16_PKfKPfEviiT2_lPKT1_lilS9_lilS6_lPT3_lil
; %bb.0:
	s_clause 0x1
	s_load_b256 s[12:19], s[0:1], 0x8
	s_load_b256 s[4:11], s[0:1], 0x58
	s_bfe_u32 s2, ttmp6, 0x4000c
	s_and_b32 s3, ttmp6, 15
	s_add_co_i32 s2, s2, 1
	s_getreg_b32 s20, hwreg(HW_REG_IB_STS2, 6, 4)
	s_mul_i32 s2, ttmp9, s2
	s_delay_alu instid0(SALU_CYCLE_1)
	s_add_co_i32 s2, s3, s2
	s_cmp_eq_u32 s20, 0
	s_mov_b32 s3, 0
	s_cselect_b32 s2, ttmp9, s2
	s_wait_kmcnt 0x0
	s_mul_u64 s[14:15], s[14:15], s[2:3]
	s_mul_u64 s[6:7], s[6:7], s[2:3]
	s_lshl_b64 s[14:15], s[14:15], 2
	s_lshl_b64 s[6:7], s[6:7], 2
	s_add_nc_u64 s[12:13], s[12:13], s[14:15]
	s_add_nc_u64 s[4:5], s[4:5], s[6:7]
	s_load_b32 s21, s[12:13], 0x0
	s_load_b32 s20, s[4:5], 0x0
	s_wait_kmcnt 0x0
	s_cmp_eq_f32 s21, 0
	s_cselect_b32 s4, -1, 0
	s_cmp_eq_f32 s20, 1.0
	s_cselect_b32 s5, -1, 0
	s_delay_alu instid0(SALU_CYCLE_1) | instskip(NEXT) | instid1(SALU_CYCLE_1)
	s_and_b32 s4, s4, s5
	s_and_b32 vcc_lo, exec_lo, s4
	s_cbranch_vccnz .LBB532_38
; %bb.1:
	s_cmp_neq_f32 s21, 0
	s_mov_b64 s[12:13], 0
	s_mov_b64 s[6:7], 0
	s_cselect_b32 s4, -1, 0
	s_cmp_eq_f32 s21, 0
	s_cselect_b32 s5, -1, 0
	s_delay_alu instid0(SALU_CYCLE_1)
	s_and_b32 vcc_lo, exec_lo, s5
	s_cbranch_vccnz .LBB532_3
; %bb.2:
	s_lshl_b64 s[6:7], s[2:3], 3
	s_lshl_b64 s[14:15], s[18:19], 1
	s_add_nc_u64 s[6:7], s[16:17], s[6:7]
	s_load_b64 s[6:7], s[6:7], 0x0
	s_wait_kmcnt 0x0
	s_add_nc_u64 s[6:7], s[6:7], s[14:15]
.LBB532_3:
	s_and_not1_b32 vcc_lo, exec_lo, s4
	s_cbranch_vccnz .LBB532_5
; %bb.4:
	s_load_b128 s[12:15], s[0:1], 0x38
	s_lshl_b64 s[16:17], s[2:3], 3
	s_wait_kmcnt 0x0
	s_add_nc_u64 s[12:13], s[12:13], s[16:17]
	s_lshl_b64 s[14:15], s[14:15], 1
	s_load_b64 s[12:13], s[12:13], 0x0
	s_wait_kmcnt 0x0
	s_add_nc_u64 s[12:13], s[12:13], s[14:15]
.LBB532_5:
	s_lshl_b64 s[2:3], s[2:3], 3
	s_and_not1_b32 vcc_lo, exec_lo, s5
	s_add_nc_u64 s[14:15], s[8:9], s[2:3]
	s_clause 0x1
	s_load_b64 s[2:3], s[0:1], 0x0
	s_load_b32 s4, s[0:1], 0x78
	s_load_b64 s[8:9], s[14:15], 0x0
	s_mov_b32 s5, -1
	s_cbranch_vccnz .LBB532_20
; %bb.6:
	s_wait_kmcnt 0x0
	s_cmp_gt_i32 s3, 0
	s_cselect_b32 s16, -1, 0
	s_cmp_neq_f32 s20, 0
	v_cndmask_b32_e64 v1, 0, 1, s16
	s_delay_alu instid0(VALU_DEP_1)
	v_cmp_ne_u32_e32 vcc_lo, 1, v1
	s_cbranch_scc1 .LBB532_13
; %bb.7:
	s_and_b32 vcc_lo, exec_lo, vcc_lo
	s_cbranch_vccnz .LBB532_12
; %bb.8:
	v_mov_b32_e32 v1, 0
	s_ashr_i32 s5, s4, 31
	s_lshl_b64 s[14:15], s[10:11], 2
	s_delay_alu instid0(SALU_CYCLE_1) | instskip(NEXT) | instid1(VALU_DEP_1)
	s_add_nc_u64 s[14:15], s[8:9], s[14:15]
	v_mul_u64_e32 v[2:3], s[4:5], v[0:1]
	s_delay_alu instid0(VALU_DEP_1)
	v_lshl_add_u64 v[2:3], v[2:3], 2, s[14:15]
	s_lshl_b64 s[14:15], s[4:5], 10
	s_mov_b32 s5, 0
	s_branch .LBB532_10
.LBB532_9:                              ;   in Loop: Header=BB532_10 Depth=1
	s_wait_xcnt 0x0
	s_or_b32 exec_lo, exec_lo, s17
	v_add_nc_u64_e32 v[2:3], s[14:15], v[2:3]
	s_addk_co_i32 s5, 0x100
	s_delay_alu instid0(SALU_CYCLE_1)
	s_cmp_ge_i32 s5, s3
	s_cbranch_scc1 .LBB532_12
.LBB532_10:                             ; =>This Inner Loop Header: Depth=1
	v_add_nc_u32_e32 v4, s5, v0
	s_mov_b32 s17, exec_lo
	s_delay_alu instid0(VALU_DEP_1)
	v_cmpx_gt_i32_e64 s3, v4
	s_cbranch_execz .LBB532_9
; %bb.11:                               ;   in Loop: Header=BB532_10 Depth=1
	flat_store_b32 v[2:3], v1
	s_branch .LBB532_9
.LBB532_12:
	s_mov_b32 s5, 0
.LBB532_13:
	s_delay_alu instid0(SALU_CYCLE_1)
	s_and_not1_b32 vcc_lo, exec_lo, s5
	s_cbranch_vccnz .LBB532_19
; %bb.14:
	s_and_not1_b32 vcc_lo, exec_lo, s16
	s_cbranch_vccnz .LBB532_19
; %bb.15:
	v_mov_b32_e32 v1, 0
	s_ashr_i32 s5, s4, 31
	s_lshl_b64 s[14:15], s[10:11], 2
	s_delay_alu instid0(SALU_CYCLE_1) | instskip(NEXT) | instid1(VALU_DEP_1)
	s_add_nc_u64 s[14:15], s[8:9], s[14:15]
	v_mul_u64_e32 v[2:3], s[4:5], v[0:1]
	s_delay_alu instid0(VALU_DEP_1)
	v_lshl_add_u64 v[2:3], v[2:3], 2, s[14:15]
	s_lshl_b64 s[14:15], s[4:5], 10
	s_mov_b32 s5, 0
	s_branch .LBB532_17
.LBB532_16:                             ;   in Loop: Header=BB532_17 Depth=1
	s_wait_xcnt 0x0
	s_or_b32 exec_lo, exec_lo, s16
	v_add_nc_u64_e32 v[2:3], s[14:15], v[2:3]
	s_addk_co_i32 s5, 0x100
	s_delay_alu instid0(SALU_CYCLE_1)
	s_cmp_ge_i32 s5, s3
	s_cbranch_scc1 .LBB532_19
.LBB532_17:                             ; =>This Inner Loop Header: Depth=1
	v_add_nc_u32_e32 v1, s5, v0
	s_mov_b32 s16, exec_lo
	s_delay_alu instid0(VALU_DEP_1)
	v_cmpx_gt_i32_e64 s3, v1
	s_cbranch_execz .LBB532_16
; %bb.18:                               ;   in Loop: Header=BB532_17 Depth=1
	flat_load_b32 v1, v[2:3]
	s_wait_loadcnt_dscnt 0x0
	v_mul_f32_e32 v1, s20, v1
	flat_store_b32 v[2:3], v1
	s_branch .LBB532_16
.LBB532_19:
	s_mov_b32 s5, 0
.LBB532_20:
	s_delay_alu instid0(SALU_CYCLE_1)
	s_and_not1_b32 vcc_lo, exec_lo, s5
	s_cbranch_vccnz .LBB532_38
; %bb.21:
	s_mov_b32 s5, exec_lo
	s_wait_kmcnt 0x0
	v_cmpx_gt_i32_e64 s2, v0
	s_cbranch_execz .LBB532_23
; %bb.22:
	s_load_b32 s14, s[0:1], 0x48
	v_mov_b32_e32 v1, 0
	s_wait_kmcnt 0x0
	s_ashr_i32 s15, s14, 31
	s_delay_alu instid0(VALU_DEP_1) | instid1(SALU_CYCLE_1)
	v_mul_u64_e32 v[2:3], s[14:15], v[0:1]
	s_delay_alu instid0(VALU_DEP_1)
	v_lshl_add_u64 v[2:3], v[2:3], 1, s[12:13]
	flat_load_u16 v1, v[2:3]
	s_wait_xcnt 0x0
	v_lshlrev_b32_e32 v2, 2, v0
	s_wait_loadcnt_dscnt 0x0
	v_cvt_f32_f16_e32 v1, v1
	s_delay_alu instid0(VALU_DEP_1)
	v_mul_f32_e32 v1, s21, v1
	ds_store_b32 v2, v1
.LBB532_23:
	s_or_b32 exec_lo, exec_lo, s5
	s_cmp_lt_i32 s3, 1
	s_wait_storecnt_dscnt 0x0
	s_barrier_signal -1
	s_barrier_wait -1
	s_cbranch_scc1 .LBB532_38
; %bb.24:
	s_load_b32 s16, s[0:1], 0x28
	v_mov_b32_e32 v3, 0
	s_wait_xcnt 0x0
	s_lshl_b64 s[0:1], s[10:11], 2
	s_ashr_i32 s5, s4, 31
	s_add_nc_u64 s[0:1], s[8:9], s[0:1]
	s_mov_b32 s15, 0
	v_mov_b32_e32 v1, v3
	s_wait_kmcnt 0x0
	s_ashr_i32 s17, s16, 31
	s_cmp_neq_f32 s20, 0
	s_delay_alu instid0(VALU_DEP_1)
	v_mul_u64_e32 v[4:5], s[16:17], v[0:1]
	s_cselect_b32 s10, -1, 0
	s_cmp_gt_i32 s2, 0
	s_cselect_b32 s11, -1, 0
	s_and_b32 s12, s2, 7
	s_cmp_gt_u32 s2, 7
	s_cselect_b32 s13, -1, 0
	s_and_b32 s2, s2, 0x7ffffff8
	s_cmp_lg_u32 s12, 0
	s_cselect_b32 s14, -1, 0
	s_lshl_b64 s[8:9], s[16:17], 9
	s_delay_alu instid0(VALU_DEP_1) | instskip(SKIP_1) | instid1(VALU_DEP_1)
	v_lshl_add_u64 v[4:5], v[4:5], 1, s[6:7]
	s_mov_b32 s7, 0
	v_add_nc_u64_e32 v[6:7], 14, v[4:5]
	s_branch .LBB532_27
.LBB532_25:                             ;   in Loop: Header=BB532_27 Depth=1
	flat_store_b32 v[8:9], v1
.LBB532_26:                             ;   in Loop: Header=BB532_27 Depth=1
	s_wait_xcnt 0x0
	s_or_b32 exec_lo, exec_lo, s16
	v_add_nc_u64_e32 v[6:7], s[8:9], v[6:7]
	v_add_nc_u64_e32 v[4:5], s[8:9], v[4:5]
	s_addk_co_i32 s15, 0x100
	s_delay_alu instid0(SALU_CYCLE_1)
	s_cmp_ge_i32 s15, s3
	s_cbranch_scc1 .LBB532_38
.LBB532_27:                             ; =>This Loop Header: Depth=1
                                        ;     Child Loop BB532_33 Depth 2
                                        ;     Child Loop BB532_37 Depth 2
	v_add_nc_u32_e32 v2, s15, v0
	s_mov_b32 s16, exec_lo
	s_delay_alu instid0(VALU_DEP_1)
	v_cmpx_gt_i32_e64 s3, v2
	s_cbranch_execz .LBB532_26
; %bb.28:                               ;   in Loop: Header=BB532_27 Depth=1
	v_mul_u64_e32 v[8:9], s[4:5], v[2:3]
	s_and_not1_b32 vcc_lo, exec_lo, s10
	s_delay_alu instid0(VALU_DEP_1)
	v_lshl_add_u64 v[8:9], v[8:9], 2, s[0:1]
	s_cbranch_vccnz .LBB532_30
; %bb.29:                               ;   in Loop: Header=BB532_27 Depth=1
	flat_load_b32 v1, v[8:9]
	s_wait_loadcnt_dscnt 0x0
	v_mul_f32_e32 v1, s20, v1
	s_and_not1_b32 vcc_lo, exec_lo, s11
	s_cbranch_vccz .LBB532_31
	s_branch .LBB532_25
.LBB532_30:                             ;   in Loop: Header=BB532_27 Depth=1
	v_mov_b32_e32 v1, 0
	s_and_not1_b32 vcc_lo, exec_lo, s11
	s_cbranch_vccnz .LBB532_25
.LBB532_31:                             ;   in Loop: Header=BB532_27 Depth=1
	s_and_not1_b32 vcc_lo, exec_lo, s13
	s_mov_b32 s17, 0
	s_cbranch_vccnz .LBB532_35
; %bb.32:                               ;   in Loop: Header=BB532_27 Depth=1
	v_mov_b64_e32 v[10:11], v[6:7]
	s_mov_b32 s6, 0
.LBB532_33:                             ;   Parent Loop BB532_27 Depth=1
                                        ; =>  This Inner Loop Header: Depth=2
	flat_load_b128 v[12:15], v[10:11] offset:-14
	v_mov_b32_e32 v2, s6
	s_wait_xcnt 0x0
	v_add_nc_u64_e32 v[10:11], 16, v[10:11]
	s_add_co_i32 s17, s17, 8
	s_add_co_i32 s6, s6, 32
	ds_load_b128 v[16:19], v2
	ds_load_b128 v[20:23], v2 offset:16
	s_cmp_eq_u32 s2, s17
	s_wait_loadcnt_dscnt 0x1
	v_fma_mix_f32 v1, v16, v12, v1 op_sel_hi:[0,1,0]
	s_delay_alu instid0(VALU_DEP_1) | instskip(NEXT) | instid1(VALU_DEP_1)
	v_fma_mix_f32 v1, v17, v12, v1 op_sel:[0,1,0] op_sel_hi:[0,1,0]
	v_fma_mix_f32 v1, v18, v13, v1 op_sel_hi:[0,1,0]
	s_delay_alu instid0(VALU_DEP_1) | instskip(SKIP_1) | instid1(VALU_DEP_1)
	v_fma_mix_f32 v1, v19, v13, v1 op_sel:[0,1,0] op_sel_hi:[0,1,0]
	s_wait_dscnt 0x0
	v_fma_mix_f32 v1, v20, v14, v1 op_sel_hi:[0,1,0]
	s_delay_alu instid0(VALU_DEP_1) | instskip(NEXT) | instid1(VALU_DEP_1)
	v_fma_mix_f32 v1, v21, v14, v1 op_sel:[0,1,0] op_sel_hi:[0,1,0]
	v_fma_mix_f32 v1, v22, v15, v1 op_sel_hi:[0,1,0]
	s_delay_alu instid0(VALU_DEP_1)
	v_fma_mix_f32 v1, v23, v15, v1 op_sel:[0,1,0] op_sel_hi:[0,1,0]
	s_cbranch_scc0 .LBB532_33
; %bb.34:                               ;   in Loop: Header=BB532_27 Depth=1
	s_mov_b32 s17, s2
.LBB532_35:                             ;   in Loop: Header=BB532_27 Depth=1
	s_and_not1_b32 vcc_lo, exec_lo, s14
	s_cbranch_vccnz .LBB532_25
; %bb.36:                               ;   in Loop: Header=BB532_27 Depth=1
	s_lshl_b32 s6, s17, 1
	s_delay_alu instid0(SALU_CYCLE_1)
	v_add_nc_u64_e32 v[10:11], s[6:7], v[4:5]
	s_lshl_b32 s6, s17, 2
	s_mov_b32 s17, s12
.LBB532_37:                             ;   Parent Loop BB532_27 Depth=1
                                        ; =>  This Inner Loop Header: Depth=2
	flat_load_u16 v2, v[10:11]
	v_mov_b32_e32 v12, s6
	s_wait_xcnt 0x0
	v_add_nc_u64_e32 v[10:11], 2, v[10:11]
	s_add_co_i32 s17, s17, -1
	s_add_co_i32 s6, s6, 4
	s_cmp_lg_u32 s17, 0
	ds_load_b32 v12, v12
	s_wait_loadcnt_dscnt 0x0
	v_fma_mix_f32 v1, v12, v2, v1 op_sel_hi:[0,1,0]
	s_cbranch_scc1 .LBB532_37
	s_branch .LBB532_25
.LBB532_38:
	s_endpgm
	.section	.rodata,"a",@progbits
	.p2align	6, 0x0
	.amdhsa_kernel _ZL22rocblas_gemvtsm_kernelILb1ELi256EPKDF16_PKfKPfEviiT2_lPKT1_lilS9_lilS6_lPT3_lil
		.amdhsa_group_segment_fixed_size 256
		.amdhsa_private_segment_fixed_size 0
		.amdhsa_kernarg_size 136
		.amdhsa_user_sgpr_count 2
		.amdhsa_user_sgpr_dispatch_ptr 0
		.amdhsa_user_sgpr_queue_ptr 0
		.amdhsa_user_sgpr_kernarg_segment_ptr 1
		.amdhsa_user_sgpr_dispatch_id 0
		.amdhsa_user_sgpr_kernarg_preload_length 0
		.amdhsa_user_sgpr_kernarg_preload_offset 0
		.amdhsa_user_sgpr_private_segment_size 0
		.amdhsa_wavefront_size32 1
		.amdhsa_uses_dynamic_stack 0
		.amdhsa_enable_private_segment 0
		.amdhsa_system_sgpr_workgroup_id_x 1
		.amdhsa_system_sgpr_workgroup_id_y 0
		.amdhsa_system_sgpr_workgroup_id_z 0
		.amdhsa_system_sgpr_workgroup_info 0
		.amdhsa_system_vgpr_workitem_id 0
		.amdhsa_next_free_vgpr 24
		.amdhsa_next_free_sgpr 22
		.amdhsa_named_barrier_count 0
		.amdhsa_reserve_vcc 1
		.amdhsa_float_round_mode_32 0
		.amdhsa_float_round_mode_16_64 0
		.amdhsa_float_denorm_mode_32 3
		.amdhsa_float_denorm_mode_16_64 3
		.amdhsa_fp16_overflow 0
		.amdhsa_memory_ordered 1
		.amdhsa_forward_progress 1
		.amdhsa_inst_pref_size 11
		.amdhsa_round_robin_scheduling 0
		.amdhsa_exception_fp_ieee_invalid_op 0
		.amdhsa_exception_fp_denorm_src 0
		.amdhsa_exception_fp_ieee_div_zero 0
		.amdhsa_exception_fp_ieee_overflow 0
		.amdhsa_exception_fp_ieee_underflow 0
		.amdhsa_exception_fp_ieee_inexact 0
		.amdhsa_exception_int_div_zero 0
	.end_amdhsa_kernel
	.section	.text._ZL22rocblas_gemvtsm_kernelILb1ELi256EPKDF16_PKfKPfEviiT2_lPKT1_lilS9_lilS6_lPT3_lil,"axG",@progbits,_ZL22rocblas_gemvtsm_kernelILb1ELi256EPKDF16_PKfKPfEviiT2_lPKT1_lilS9_lilS6_lPT3_lil,comdat
.Lfunc_end532:
	.size	_ZL22rocblas_gemvtsm_kernelILb1ELi256EPKDF16_PKfKPfEviiT2_lPKT1_lilS9_lilS6_lPT3_lil, .Lfunc_end532-_ZL22rocblas_gemvtsm_kernelILb1ELi256EPKDF16_PKfKPfEviiT2_lPKT1_lilS9_lilS6_lPT3_lil
                                        ; -- End function
	.set _ZL22rocblas_gemvtsm_kernelILb1ELi256EPKDF16_PKfKPfEviiT2_lPKT1_lilS9_lilS6_lPT3_lil.num_vgpr, 24
	.set _ZL22rocblas_gemvtsm_kernelILb1ELi256EPKDF16_PKfKPfEviiT2_lPKT1_lilS9_lilS6_lPT3_lil.num_agpr, 0
	.set _ZL22rocblas_gemvtsm_kernelILb1ELi256EPKDF16_PKfKPfEviiT2_lPKT1_lilS9_lilS6_lPT3_lil.numbered_sgpr, 22
	.set _ZL22rocblas_gemvtsm_kernelILb1ELi256EPKDF16_PKfKPfEviiT2_lPKT1_lilS9_lilS6_lPT3_lil.num_named_barrier, 0
	.set _ZL22rocblas_gemvtsm_kernelILb1ELi256EPKDF16_PKfKPfEviiT2_lPKT1_lilS9_lilS6_lPT3_lil.private_seg_size, 0
	.set _ZL22rocblas_gemvtsm_kernelILb1ELi256EPKDF16_PKfKPfEviiT2_lPKT1_lilS9_lilS6_lPT3_lil.uses_vcc, 1
	.set _ZL22rocblas_gemvtsm_kernelILb1ELi256EPKDF16_PKfKPfEviiT2_lPKT1_lilS9_lilS6_lPT3_lil.uses_flat_scratch, 0
	.set _ZL22rocblas_gemvtsm_kernelILb1ELi256EPKDF16_PKfKPfEviiT2_lPKT1_lilS9_lilS6_lPT3_lil.has_dyn_sized_stack, 0
	.set _ZL22rocblas_gemvtsm_kernelILb1ELi256EPKDF16_PKfKPfEviiT2_lPKT1_lilS9_lilS6_lPT3_lil.has_recursion, 0
	.set _ZL22rocblas_gemvtsm_kernelILb1ELi256EPKDF16_PKfKPfEviiT2_lPKT1_lilS9_lilS6_lPT3_lil.has_indirect_call, 0
	.section	.AMDGPU.csdata,"",@progbits
; Kernel info:
; codeLenInByte = 1292
; TotalNumSgprs: 24
; NumVgprs: 24
; ScratchSize: 0
; MemoryBound: 0
; FloatMode: 240
; IeeeMode: 1
; LDSByteSize: 256 bytes/workgroup (compile time only)
; SGPRBlocks: 0
; VGPRBlocks: 1
; NumSGPRsForWavesPerEU: 24
; NumVGPRsForWavesPerEU: 24
; NamedBarCnt: 0
; Occupancy: 16
; WaveLimiterHint : 1
; COMPUTE_PGM_RSRC2:SCRATCH_EN: 0
; COMPUTE_PGM_RSRC2:USER_SGPR: 2
; COMPUTE_PGM_RSRC2:TRAP_HANDLER: 0
; COMPUTE_PGM_RSRC2:TGID_X_EN: 1
; COMPUTE_PGM_RSRC2:TGID_Y_EN: 0
; COMPUTE_PGM_RSRC2:TGID_Z_EN: 0
; COMPUTE_PGM_RSRC2:TIDIG_COMP_CNT: 0
	.section	.text._ZL22rocblas_gemvtsm_kernelILb1ELi256EPKDF16_fKPfEviiT2_lPKT1_lilS7_lilS4_lPT3_lil,"axG",@progbits,_ZL22rocblas_gemvtsm_kernelILb1ELi256EPKDF16_fKPfEviiT2_lPKT1_lilS7_lilS4_lPT3_lil,comdat
	.globl	_ZL22rocblas_gemvtsm_kernelILb1ELi256EPKDF16_fKPfEviiT2_lPKT1_lilS7_lilS4_lPT3_lil ; -- Begin function _ZL22rocblas_gemvtsm_kernelILb1ELi256EPKDF16_fKPfEviiT2_lPKT1_lilS7_lilS4_lPT3_lil
	.p2align	8
	.type	_ZL22rocblas_gemvtsm_kernelILb1ELi256EPKDF16_fKPfEviiT2_lPKT1_lilS7_lilS4_lPT3_lil,@function
_ZL22rocblas_gemvtsm_kernelILb1ELi256EPKDF16_fKPfEviiT2_lPKT1_lilS7_lilS4_lPT3_lil: ; @_ZL22rocblas_gemvtsm_kernelILb1ELi256EPKDF16_fKPfEviiT2_lPKT1_lilS7_lilS4_lPT3_lil
; %bb.0:
	s_clause 0x1
	s_load_b96 s[8:10], s[0:1], 0x0
	s_load_b32 s11, s[0:1], 0x58
	s_mov_b32 s5, 0
	s_wait_kmcnt 0x0
	s_cmp_eq_f32 s10, 0
	s_cselect_b32 s2, -1, 0
	s_cmp_eq_f32 s11, 1.0
	s_cselect_b32 s3, -1, 0
	s_delay_alu instid0(SALU_CYCLE_1) | instskip(NEXT) | instid1(SALU_CYCLE_1)
	s_and_b32 s2, s2, s3
	s_and_b32 vcc_lo, exec_lo, s2
	s_cbranch_vccnz .LBB533_40
; %bb.1:
	s_bfe_u32 s2, ttmp6, 0x4000c
	s_and_b32 s3, ttmp6, 15
	s_add_co_i32 s2, s2, 1
	s_getreg_b32 s4, hwreg(HW_REG_IB_STS2, 6, 4)
	s_mul_i32 s2, ttmp9, s2
	s_delay_alu instid0(SALU_CYCLE_1)
	s_add_co_i32 s3, s3, s2
	s_cmp_eq_u32 s4, 0
	s_cselect_b32 s4, ttmp9, s3
	s_cmp_neq_f32 s10, 0
	s_cselect_b32 s6, -1, 0
	s_cmp_eq_f32 s10, 0
	s_cselect_b32 s16, -1, 0
	s_and_b32 vcc_lo, exec_lo, s6
	s_cbranch_vccnz .LBB533_3
; %bb.2:
	s_mov_b32 s3, 0
	s_mov_b32 s2, s4
	;; [unrolled: 1-line block ×3, first 2 shown]
	s_mov_b64 s[14:15], 0
	s_and_not1_b32 vcc_lo, exec_lo, s7
	s_mov_b64 s[12:13], 0
	s_cbranch_vccz .LBB533_4
	s_branch .LBB533_5
.LBB533_3:
	s_mov_b64 s[2:3], s[4:5]
	s_mov_b64 s[14:15], 0
	;; [unrolled: 1-line block ×3, first 2 shown]
.LBB533_4:
	s_load_b128 s[20:23], s[0:1], 0x18
	s_lshl_b64 s[4:5], s[4:5], 3
	s_wait_kmcnt 0x0
	s_add_nc_u64 s[4:5], s[20:21], s[4:5]
	s_lshl_b64 s[12:13], s[22:23], 1
	s_load_b64 s[4:5], s[4:5], 0x0
	s_wait_kmcnt 0x0
	s_add_nc_u64 s[12:13], s[4:5], s[12:13]
.LBB533_5:
	s_and_not1_b32 vcc_lo, exec_lo, s6
	s_cbranch_vccnz .LBB533_7
; %bb.6:
	s_load_b128 s[4:7], s[0:1], 0x38
	s_lshl_b64 s[14:15], s[2:3], 3
	s_wait_kmcnt 0x0
	s_add_nc_u64 s[4:5], s[4:5], s[14:15]
	s_lshl_b64 s[6:7], s[6:7], 1
	s_load_b64 s[4:5], s[4:5], 0x0
	s_wait_kmcnt 0x0
	s_add_nc_u64 s[14:15], s[4:5], s[6:7]
.LBB533_7:
	s_load_b128 s[4:7], s[0:1], 0x68
	s_lshl_b64 s[18:19], s[2:3], 3
	s_load_b32 s2, s[0:1], 0x78
	s_and_not1_b32 vcc_lo, exec_lo, s16
	s_mov_b32 s3, -1
	s_wait_kmcnt 0x0
	s_add_nc_u64 s[4:5], s[4:5], s[18:19]
	s_load_b64 s[4:5], s[4:5], 0x0
	s_cbranch_vccnz .LBB533_22
; %bb.8:
	s_cmp_gt_i32 s9, 0
	s_cselect_b32 s18, -1, 0
	s_cmp_neq_f32 s11, 0
	v_cndmask_b32_e64 v1, 0, 1, s18
	s_delay_alu instid0(VALU_DEP_1)
	v_cmp_ne_u32_e32 vcc_lo, 1, v1
	s_cbranch_scc1 .LBB533_15
; %bb.9:
	s_and_b32 vcc_lo, exec_lo, vcc_lo
	s_cbranch_vccnz .LBB533_14
; %bb.10:
	v_mov_b32_e32 v1, 0
	s_ashr_i32 s3, s2, 31
	s_lshl_b64 s[16:17], s[6:7], 2
	s_wait_kmcnt 0x0
	s_add_nc_u64 s[16:17], s[4:5], s[16:17]
	v_mul_u64_e32 v[2:3], s[2:3], v[0:1]
	s_delay_alu instid0(VALU_DEP_1)
	v_lshl_add_u64 v[2:3], v[2:3], 2, s[16:17]
	s_lshl_b64 s[16:17], s[2:3], 10
	s_mov_b32 s3, 0
	s_branch .LBB533_12
.LBB533_11:                             ;   in Loop: Header=BB533_12 Depth=1
	s_wait_xcnt 0x0
	s_or_b32 exec_lo, exec_lo, s19
	v_add_nc_u64_e32 v[2:3], s[16:17], v[2:3]
	s_addk_co_i32 s3, 0x100
	s_delay_alu instid0(SALU_CYCLE_1)
	s_cmp_ge_i32 s3, s9
	s_cbranch_scc1 .LBB533_14
.LBB533_12:                             ; =>This Inner Loop Header: Depth=1
	v_add_nc_u32_e32 v4, s3, v0
	s_mov_b32 s19, exec_lo
	s_delay_alu instid0(VALU_DEP_1)
	v_cmpx_gt_i32_e64 s9, v4
	s_cbranch_execz .LBB533_11
; %bb.13:                               ;   in Loop: Header=BB533_12 Depth=1
	flat_store_b32 v[2:3], v1
	s_branch .LBB533_11
.LBB533_14:
	s_mov_b32 s3, 0
.LBB533_15:
	s_delay_alu instid0(SALU_CYCLE_1)
	s_and_not1_b32 vcc_lo, exec_lo, s3
	s_cbranch_vccnz .LBB533_21
; %bb.16:
	s_and_not1_b32 vcc_lo, exec_lo, s18
	s_cbranch_vccnz .LBB533_21
; %bb.17:
	v_mov_b32_e32 v1, 0
	s_ashr_i32 s3, s2, 31
	s_lshl_b64 s[16:17], s[6:7], 2
	s_wait_kmcnt 0x0
	s_add_nc_u64 s[16:17], s[4:5], s[16:17]
	v_mul_u64_e32 v[2:3], s[2:3], v[0:1]
	s_delay_alu instid0(VALU_DEP_1)
	v_lshl_add_u64 v[2:3], v[2:3], 2, s[16:17]
	s_lshl_b64 s[16:17], s[2:3], 10
	s_mov_b32 s3, 0
	s_branch .LBB533_19
.LBB533_18:                             ;   in Loop: Header=BB533_19 Depth=1
	s_wait_xcnt 0x0
	s_or_b32 exec_lo, exec_lo, s18
	v_add_nc_u64_e32 v[2:3], s[16:17], v[2:3]
	s_addk_co_i32 s3, 0x100
	s_delay_alu instid0(SALU_CYCLE_1)
	s_cmp_ge_i32 s3, s9
	s_cbranch_scc1 .LBB533_21
.LBB533_19:                             ; =>This Inner Loop Header: Depth=1
	v_add_nc_u32_e32 v1, s3, v0
	s_mov_b32 s18, exec_lo
	s_delay_alu instid0(VALU_DEP_1)
	v_cmpx_gt_i32_e64 s9, v1
	s_cbranch_execz .LBB533_18
; %bb.20:                               ;   in Loop: Header=BB533_19 Depth=1
	flat_load_b32 v1, v[2:3]
	s_wait_loadcnt_dscnt 0x0
	v_mul_f32_e32 v1, s11, v1
	flat_store_b32 v[2:3], v1
	s_branch .LBB533_18
.LBB533_21:
	s_mov_b32 s3, 0
.LBB533_22:
	s_delay_alu instid0(SALU_CYCLE_1)
	s_and_not1_b32 vcc_lo, exec_lo, s3
	s_cbranch_vccnz .LBB533_40
; %bb.23:
	s_mov_b32 s3, exec_lo
	v_cmpx_gt_i32_e64 s8, v0
	s_cbranch_execz .LBB533_25
; %bb.24:
	s_load_b32 s16, s[0:1], 0x48
	v_mov_b32_e32 v1, 0
	s_wait_kmcnt 0x0
	s_ashr_i32 s17, s16, 31
	s_delay_alu instid0(VALU_DEP_1) | instid1(SALU_CYCLE_1)
	v_mul_u64_e32 v[2:3], s[16:17], v[0:1]
	s_delay_alu instid0(VALU_DEP_1)
	v_lshl_add_u64 v[2:3], v[2:3], 1, s[14:15]
	flat_load_u16 v1, v[2:3]
	s_wait_xcnt 0x0
	v_lshlrev_b32_e32 v2, 2, v0
	s_wait_loadcnt_dscnt 0x0
	v_cvt_f32_f16_e32 v1, v1
	s_delay_alu instid0(VALU_DEP_1)
	v_mul_f32_e32 v1, s10, v1
	ds_store_b32 v2, v1
.LBB533_25:
	s_or_b32 exec_lo, exec_lo, s3
	s_cmp_lt_i32 s9, 1
	s_wait_storecnt_dscnt 0x0
	s_barrier_signal -1
	s_barrier_wait -1
	s_cbranch_scc1 .LBB533_40
; %bb.26:
	s_load_b32 s16, s[0:1], 0x28
	v_mov_b32_e32 v3, 0
	s_wait_xcnt 0x0
	s_lshl_b64 s[0:1], s[6:7], 2
	s_ashr_i32 s3, s2, 31
	s_wait_kmcnt 0x0
	s_add_nc_u64 s[0:1], s[4:5], s[0:1]
	s_mov_b32 s5, 0
	v_mov_b32_e32 v1, v3
	s_ashr_i32 s17, s16, 31
	s_cmp_neq_f32 s11, 0
	s_delay_alu instid0(VALU_DEP_1)
	v_mul_u64_e32 v[4:5], s[16:17], v[0:1]
	s_cselect_b32 s10, -1, 0
	s_cmp_gt_i32 s8, 0
	s_cselect_b32 s14, -1, 0
	s_and_b32 s15, s8, 7
	s_cmp_gt_u32 s8, 7
	s_delay_alu instid0(VALU_DEP_1)
	v_lshl_add_u64 v[4:5], v[4:5], 1, s[12:13]
	s_cselect_b32 s12, -1, 0
	s_and_b32 s8, s8, 0x7ffffff8
	s_cmp_lg_u32 s15, 0
	s_cselect_b32 s13, -1, 0
	v_add_nc_u64_e32 v[6:7], 14, v[4:5]
	s_lshl_b64 s[6:7], s[16:17], 9
	s_mov_b32 s16, 0
	s_branch .LBB533_29
.LBB533_27:                             ;   in Loop: Header=BB533_29 Depth=1
	flat_store_b32 v[8:9], v1
.LBB533_28:                             ;   in Loop: Header=BB533_29 Depth=1
	s_wait_xcnt 0x0
	s_or_b32 exec_lo, exec_lo, s17
	v_add_nc_u64_e32 v[6:7], s[6:7], v[6:7]
	v_add_nc_u64_e32 v[4:5], s[6:7], v[4:5]
	s_addk_co_i32 s16, 0x100
	s_delay_alu instid0(SALU_CYCLE_1)
	s_cmp_ge_i32 s16, s9
	s_cbranch_scc1 .LBB533_40
.LBB533_29:                             ; =>This Loop Header: Depth=1
                                        ;     Child Loop BB533_35 Depth 2
                                        ;     Child Loop BB533_39 Depth 2
	v_add_nc_u32_e32 v2, s16, v0
	s_mov_b32 s17, exec_lo
	s_delay_alu instid0(VALU_DEP_1)
	v_cmpx_gt_i32_e64 s9, v2
	s_cbranch_execz .LBB533_28
; %bb.30:                               ;   in Loop: Header=BB533_29 Depth=1
	v_mul_u64_e32 v[8:9], s[2:3], v[2:3]
	s_and_not1_b32 vcc_lo, exec_lo, s10
	s_delay_alu instid0(VALU_DEP_1)
	v_lshl_add_u64 v[8:9], v[8:9], 2, s[0:1]
	s_cbranch_vccnz .LBB533_32
; %bb.31:                               ;   in Loop: Header=BB533_29 Depth=1
	flat_load_b32 v1, v[8:9]
	s_wait_loadcnt_dscnt 0x0
	v_mul_f32_e32 v1, s11, v1
	s_and_not1_b32 vcc_lo, exec_lo, s14
	s_cbranch_vccz .LBB533_33
	s_branch .LBB533_27
.LBB533_32:                             ;   in Loop: Header=BB533_29 Depth=1
	v_mov_b32_e32 v1, 0
	s_and_not1_b32 vcc_lo, exec_lo, s14
	s_cbranch_vccnz .LBB533_27
.LBB533_33:                             ;   in Loop: Header=BB533_29 Depth=1
	s_and_not1_b32 vcc_lo, exec_lo, s12
	s_mov_b32 s18, 0
	s_cbranch_vccnz .LBB533_37
; %bb.34:                               ;   in Loop: Header=BB533_29 Depth=1
	v_mov_b64_e32 v[10:11], v[6:7]
	s_mov_b32 s4, 0
.LBB533_35:                             ;   Parent Loop BB533_29 Depth=1
                                        ; =>  This Inner Loop Header: Depth=2
	flat_load_b128 v[12:15], v[10:11] offset:-14
	v_mov_b32_e32 v2, s4
	s_wait_xcnt 0x0
	v_add_nc_u64_e32 v[10:11], 16, v[10:11]
	s_add_co_i32 s18, s18, 8
	s_add_co_i32 s4, s4, 32
	ds_load_b128 v[16:19], v2
	ds_load_b128 v[20:23], v2 offset:16
	s_cmp_eq_u32 s8, s18
	s_wait_loadcnt_dscnt 0x1
	v_fma_mix_f32 v1, v16, v12, v1 op_sel_hi:[0,1,0]
	s_delay_alu instid0(VALU_DEP_1) | instskip(NEXT) | instid1(VALU_DEP_1)
	v_fma_mix_f32 v1, v17, v12, v1 op_sel:[0,1,0] op_sel_hi:[0,1,0]
	v_fma_mix_f32 v1, v18, v13, v1 op_sel_hi:[0,1,0]
	s_delay_alu instid0(VALU_DEP_1) | instskip(SKIP_1) | instid1(VALU_DEP_1)
	v_fma_mix_f32 v1, v19, v13, v1 op_sel:[0,1,0] op_sel_hi:[0,1,0]
	s_wait_dscnt 0x0
	v_fma_mix_f32 v1, v20, v14, v1 op_sel_hi:[0,1,0]
	s_delay_alu instid0(VALU_DEP_1) | instskip(NEXT) | instid1(VALU_DEP_1)
	v_fma_mix_f32 v1, v21, v14, v1 op_sel:[0,1,0] op_sel_hi:[0,1,0]
	v_fma_mix_f32 v1, v22, v15, v1 op_sel_hi:[0,1,0]
	s_delay_alu instid0(VALU_DEP_1)
	v_fma_mix_f32 v1, v23, v15, v1 op_sel:[0,1,0] op_sel_hi:[0,1,0]
	s_cbranch_scc0 .LBB533_35
; %bb.36:                               ;   in Loop: Header=BB533_29 Depth=1
	s_mov_b32 s18, s8
.LBB533_37:                             ;   in Loop: Header=BB533_29 Depth=1
	s_and_not1_b32 vcc_lo, exec_lo, s13
	s_cbranch_vccnz .LBB533_27
; %bb.38:                               ;   in Loop: Header=BB533_29 Depth=1
	s_lshl_b32 s4, s18, 1
	s_delay_alu instid0(SALU_CYCLE_1)
	v_add_nc_u64_e32 v[10:11], s[4:5], v[4:5]
	s_lshl_b32 s4, s18, 2
	s_mov_b32 s18, s15
.LBB533_39:                             ;   Parent Loop BB533_29 Depth=1
                                        ; =>  This Inner Loop Header: Depth=2
	flat_load_u16 v2, v[10:11]
	v_mov_b32_e32 v12, s4
	s_wait_xcnt 0x0
	v_add_nc_u64_e32 v[10:11], 2, v[10:11]
	s_add_co_i32 s18, s18, -1
	s_add_co_i32 s4, s4, 4
	s_cmp_lg_u32 s18, 0
	ds_load_b32 v12, v12
	s_wait_loadcnt_dscnt 0x0
	v_fma_mix_f32 v1, v12, v2, v1 op_sel_hi:[0,1,0]
	s_cbranch_scc1 .LBB533_39
	s_branch .LBB533_27
.LBB533_40:
	s_endpgm
	.section	.rodata,"a",@progbits
	.p2align	6, 0x0
	.amdhsa_kernel _ZL22rocblas_gemvtsm_kernelILb1ELi256EPKDF16_fKPfEviiT2_lPKT1_lilS7_lilS4_lPT3_lil
		.amdhsa_group_segment_fixed_size 256
		.amdhsa_private_segment_fixed_size 0
		.amdhsa_kernarg_size 136
		.amdhsa_user_sgpr_count 2
		.amdhsa_user_sgpr_dispatch_ptr 0
		.amdhsa_user_sgpr_queue_ptr 0
		.amdhsa_user_sgpr_kernarg_segment_ptr 1
		.amdhsa_user_sgpr_dispatch_id 0
		.amdhsa_user_sgpr_kernarg_preload_length 0
		.amdhsa_user_sgpr_kernarg_preload_offset 0
		.amdhsa_user_sgpr_private_segment_size 0
		.amdhsa_wavefront_size32 1
		.amdhsa_uses_dynamic_stack 0
		.amdhsa_enable_private_segment 0
		.amdhsa_system_sgpr_workgroup_id_x 1
		.amdhsa_system_sgpr_workgroup_id_y 0
		.amdhsa_system_sgpr_workgroup_id_z 0
		.amdhsa_system_sgpr_workgroup_info 0
		.amdhsa_system_vgpr_workitem_id 0
		.amdhsa_next_free_vgpr 24
		.amdhsa_next_free_sgpr 24
		.amdhsa_named_barrier_count 0
		.amdhsa_reserve_vcc 1
		.amdhsa_float_round_mode_32 0
		.amdhsa_float_round_mode_16_64 0
		.amdhsa_float_denorm_mode_32 3
		.amdhsa_float_denorm_mode_16_64 3
		.amdhsa_fp16_overflow 0
		.amdhsa_memory_ordered 1
		.amdhsa_forward_progress 1
		.amdhsa_inst_pref_size 11
		.amdhsa_round_robin_scheduling 0
		.amdhsa_exception_fp_ieee_invalid_op 0
		.amdhsa_exception_fp_denorm_src 0
		.amdhsa_exception_fp_ieee_div_zero 0
		.amdhsa_exception_fp_ieee_overflow 0
		.amdhsa_exception_fp_ieee_underflow 0
		.amdhsa_exception_fp_ieee_inexact 0
		.amdhsa_exception_int_div_zero 0
	.end_amdhsa_kernel
	.section	.text._ZL22rocblas_gemvtsm_kernelILb1ELi256EPKDF16_fKPfEviiT2_lPKT1_lilS7_lilS4_lPT3_lil,"axG",@progbits,_ZL22rocblas_gemvtsm_kernelILb1ELi256EPKDF16_fKPfEviiT2_lPKT1_lilS7_lilS4_lPT3_lil,comdat
.Lfunc_end533:
	.size	_ZL22rocblas_gemvtsm_kernelILb1ELi256EPKDF16_fKPfEviiT2_lPKT1_lilS7_lilS4_lPT3_lil, .Lfunc_end533-_ZL22rocblas_gemvtsm_kernelILb1ELi256EPKDF16_fKPfEviiT2_lPKT1_lilS7_lilS4_lPT3_lil
                                        ; -- End function
	.set _ZL22rocblas_gemvtsm_kernelILb1ELi256EPKDF16_fKPfEviiT2_lPKT1_lilS7_lilS4_lPT3_lil.num_vgpr, 24
	.set _ZL22rocblas_gemvtsm_kernelILb1ELi256EPKDF16_fKPfEviiT2_lPKT1_lilS7_lilS4_lPT3_lil.num_agpr, 0
	.set _ZL22rocblas_gemvtsm_kernelILb1ELi256EPKDF16_fKPfEviiT2_lPKT1_lilS7_lilS4_lPT3_lil.numbered_sgpr, 24
	.set _ZL22rocblas_gemvtsm_kernelILb1ELi256EPKDF16_fKPfEviiT2_lPKT1_lilS7_lilS4_lPT3_lil.num_named_barrier, 0
	.set _ZL22rocblas_gemvtsm_kernelILb1ELi256EPKDF16_fKPfEviiT2_lPKT1_lilS7_lilS4_lPT3_lil.private_seg_size, 0
	.set _ZL22rocblas_gemvtsm_kernelILb1ELi256EPKDF16_fKPfEviiT2_lPKT1_lilS7_lilS4_lPT3_lil.uses_vcc, 1
	.set _ZL22rocblas_gemvtsm_kernelILb1ELi256EPKDF16_fKPfEviiT2_lPKT1_lilS7_lilS4_lPT3_lil.uses_flat_scratch, 0
	.set _ZL22rocblas_gemvtsm_kernelILb1ELi256EPKDF16_fKPfEviiT2_lPKT1_lilS7_lilS4_lPT3_lil.has_dyn_sized_stack, 0
	.set _ZL22rocblas_gemvtsm_kernelILb1ELi256EPKDF16_fKPfEviiT2_lPKT1_lilS7_lilS4_lPT3_lil.has_recursion, 0
	.set _ZL22rocblas_gemvtsm_kernelILb1ELi256EPKDF16_fKPfEviiT2_lPKT1_lilS7_lilS4_lPT3_lil.has_indirect_call, 0
	.section	.AMDGPU.csdata,"",@progbits
; Kernel info:
; codeLenInByte = 1284
; TotalNumSgprs: 26
; NumVgprs: 24
; ScratchSize: 0
; MemoryBound: 0
; FloatMode: 240
; IeeeMode: 1
; LDSByteSize: 256 bytes/workgroup (compile time only)
; SGPRBlocks: 0
; VGPRBlocks: 1
; NumSGPRsForWavesPerEU: 26
; NumVGPRsForWavesPerEU: 24
; NamedBarCnt: 0
; Occupancy: 16
; WaveLimiterHint : 1
; COMPUTE_PGM_RSRC2:SCRATCH_EN: 0
; COMPUTE_PGM_RSRC2:USER_SGPR: 2
; COMPUTE_PGM_RSRC2:TRAP_HANDLER: 0
; COMPUTE_PGM_RSRC2:TGID_X_EN: 1
; COMPUTE_PGM_RSRC2:TGID_Y_EN: 0
; COMPUTE_PGM_RSRC2:TGID_Z_EN: 0
; COMPUTE_PGM_RSRC2:TIDIG_COMP_CNT: 0
	.section	.text._ZL20rocblas_gemvt_kernelILb1ELi256EPKDF16_PKfKPfEviiT2_lPKT1_lilS9_lilS6_lPT3_lili,"axG",@progbits,_ZL20rocblas_gemvt_kernelILb1ELi256EPKDF16_PKfKPfEviiT2_lPKT1_lilS9_lilS6_lPT3_lili,comdat
	.globl	_ZL20rocblas_gemvt_kernelILb1ELi256EPKDF16_PKfKPfEviiT2_lPKT1_lilS9_lilS6_lPT3_lili ; -- Begin function _ZL20rocblas_gemvt_kernelILb1ELi256EPKDF16_PKfKPfEviiT2_lPKT1_lilS9_lilS6_lPT3_lili
	.p2align	8
	.type	_ZL20rocblas_gemvt_kernelILb1ELi256EPKDF16_PKfKPfEviiT2_lPKT1_lilS9_lilS6_lPT3_lili,@function
_ZL20rocblas_gemvt_kernelILb1ELi256EPKDF16_PKfKPfEviiT2_lPKT1_lilS9_lilS6_lPT3_lili: ; @_ZL20rocblas_gemvt_kernelILb1ELi256EPKDF16_PKfKPfEviiT2_lPKT1_lilS9_lilS6_lPT3_lili
; %bb.0:
	s_load_b32 s11, s[0:1], 0x88
	s_bfe_u32 s2, ttmp6, 0x40014
	s_lshr_b32 s3, ttmp7, 16
	s_add_co_i32 s2, s2, 1
	s_bfe_u32 s5, ttmp6, 0x40008
	s_mul_i32 s4, s3, s2
	s_getreg_b32 s2, hwreg(HW_REG_IB_STS2, 6, 4)
	s_add_co_i32 s5, s5, s4
	s_cmp_eq_u32 s2, 0
	s_mov_b32 s35, 0
	s_cselect_b32 s34, s3, s5
	s_wait_kmcnt 0x0
	s_cmp_ge_u32 s34, s11
	s_cbranch_scc1 .LBB534_45
; %bb.1:
	s_clause 0x3
	s_load_b32 s4, s[0:1], 0x28
	s_load_b32 s40, s[0:1], 0x48
	;; [unrolled: 1-line block ×4, first 2 shown]
	s_bfe_u32 s3, ttmp6, 0x4000c
	s_and_b32 s5, ttmp6, 15
	s_add_co_i32 s3, s3, 1
	s_load_b128 s[28:31], s[0:1], 0x38
	s_mul_i32 s3, ttmp9, s3
	s_clause 0x1
	s_load_b256 s[12:19], s[0:1], 0x8
	s_load_b256 s[20:27], s[0:1], 0x58
	s_add_co_i32 s3, s5, s3
	s_wait_xcnt 0x0
	v_cmp_eq_u32_e64 s0, 0, v0
	v_lshlrev_b32_e32 v16, 2, v0
	s_wait_kmcnt 0x0
	s_ashr_i32 s5, s4, 31
	s_ashr_i32 s41, s40, 31
	;; [unrolled: 1-line block ×3, first 2 shown]
	s_cmp_eq_u32 s2, 0
	v_cmp_gt_i32_e32 vcc_lo, s8, v0
	s_cselect_b32 s2, ttmp9, s3
	s_ashr_i32 s3, s8, 31
	s_delay_alu instid0(SALU_CYCLE_1) | instskip(SKIP_2) | instid1(SALU_CYCLE_1)
	s_lshr_b32 s3, s3, 24
	v_cndmask_b32_e32 v8, 0, v0, vcc_lo
	s_add_co_i32 s3, s8, s3
	s_and_b32 s36, s3, 0xffffff00
	s_delay_alu instid0(SALU_CYCLE_1) | instskip(SKIP_3) | instid1(VALU_DEP_1)
	v_dual_mov_b32 v1, 0 :: v_dual_bitop2_b32 v4, s36, v0 bitop3:0x54
	s_ashr_i32 s3, s2, 31
	s_cmp_gt_i32 s8, 0xff
	s_mul_u64 s[42:43], s[6:7], s[2:3]
	v_mul_u64_e32 v[6:7], s[40:41], v[0:1]
	v_ashrrev_i32_e32 v5, 31, v4
	v_cmp_gt_i32_e64 s1, s8, v4
	s_mul_u64 s[38:39], s[4:5], s[2:3]
	v_cmp_gt_u32_e64 s2, 0x80, v0
	v_cmp_gt_u32_e64 s3, 64, v0
	v_mul_u64_e32 v[2:3], s[40:41], v[4:5]
	v_cmp_gt_u32_e64 s4, 32, v0
	v_cmp_gt_u32_e64 s5, 16, v0
	;; [unrolled: 1-line block ×5, first 2 shown]
	v_lshlrev_b32_e32 v0, 1, v8
	s_cselect_b32 s33, -1, 0
	s_ashr_i32 s37, s36, 31
	s_lshl_b64 s[40:41], s[40:41], 9
	s_lshl_b64 s[18:19], s[18:19], 1
	;; [unrolled: 1-line block ×5, first 2 shown]
	v_lshlrev_b64_e32 v[4:5], 1, v[6:7]
	s_branch .LBB534_4
.LBB534_2:                              ;   in Loop: Header=BB534_4 Depth=1
	s_wait_xcnt 0x0
	s_or_b32 exec_lo, exec_lo, s10
.LBB534_3:                              ;   in Loop: Header=BB534_4 Depth=1
	s_add_co_i32 s34, s34, 0x10000
	s_delay_alu instid0(SALU_CYCLE_1)
	s_cmp_lt_u32 s34, s11
	s_cbranch_scc0 .LBB534_45
.LBB534_4:                              ; =>This Loop Header: Depth=1
                                        ;     Child Loop BB534_19 Depth 2
	s_mul_u64 s[44:45], s[14:15], s[34:35]
	s_wait_xcnt 0x0
	s_mul_u64 s[46:47], s[22:23], s[34:35]
	s_lshl_b64 s[44:45], s[44:45], 2
	s_lshl_b64 s[46:47], s[46:47], 2
	s_add_nc_u64 s[44:45], s[12:13], s[44:45]
	s_add_nc_u64 s[46:47], s[20:21], s[46:47]
	s_clause 0x1
	global_load_b32 v17, v1, s[44:45]
	global_load_b32 v6, v1, s[46:47]
	s_wait_loadcnt 0x1
	v_cmp_eq_f32_e64 s9, 0, v17
	s_wait_loadcnt 0x0
	v_cmp_eq_f32_e32 vcc_lo, 1.0, v6
	s_wait_xcnt 0x1
	v_readfirstlane_b32 s44, v6
	s_and_b32 s10, s9, vcc_lo
	s_delay_alu instid0(SALU_CYCLE_1)
	s_and_b32 vcc_lo, exec_lo, s10
	s_cbranch_vccnz .LBB534_3
; %bb.5:                                ;   in Loop: Header=BB534_4 Depth=1
	v_mov_b64_e32 v[8:9], 0
	v_mov_b64_e32 v[10:11], 0
	v_cmp_neq_f32_e64 s10, 0, v17
	s_and_b32 vcc_lo, exec_lo, s9
	s_cbranch_vccnz .LBB534_7
; %bb.6:                                ;   in Loop: Header=BB534_4 Depth=1
	s_wait_xcnt 0x0
	s_lshl_b64 s[46:47], s[34:35], 3
	s_delay_alu instid0(SALU_CYCLE_1)
	s_add_nc_u64 s[46:47], s[16:17], s[46:47]
	global_load_b64 v[6:7], v1, s[46:47]
	s_wait_loadcnt 0x0
	v_add_nc_u64_e32 v[10:11], s[18:19], v[6:7]
.LBB534_7:                              ;   in Loop: Header=BB534_4 Depth=1
	s_and_not1_b32 vcc_lo, exec_lo, s10
	s_cbranch_vccnz .LBB534_9
; %bb.8:                                ;   in Loop: Header=BB534_4 Depth=1
	s_wait_xcnt 0x0
	s_lshl_b64 s[46:47], s[34:35], 3
	s_delay_alu instid0(SALU_CYCLE_1)
	s_add_nc_u64 s[46:47], s[28:29], s[46:47]
	global_load_b64 v[6:7], v1, s[46:47]
	s_wait_loadcnt 0x0
	v_add_nc_u64_e32 v[8:9], s[30:31], v[6:7]
.LBB534_9:                              ;   in Loop: Header=BB534_4 Depth=1
	s_wait_xcnt 0x0
	s_lshl_b64 s[46:47], s[34:35], 3
	s_and_not1_b32 vcc_lo, exec_lo, s9
	s_add_nc_u64 s[46:47], s[24:25], s[46:47]
	global_load_b64 v[6:7], v1, s[46:47]
	s_wait_loadcnt 0x0
	v_add_nc_u64_e32 v[6:7], s[26:27], v[6:7]
	s_cbranch_vccnz .LBB534_13
; %bb.10:                               ;   in Loop: Header=BB534_4 Depth=1
	s_mov_b32 s10, 0
	s_mov_b32 s9, 0
                                        ; implicit-def: $vgpr12
	s_wait_xcnt 0x0
	s_and_saveexec_b32 s45, s0
	s_cbranch_execz .LBB534_14
; %bb.11:                               ;   in Loop: Header=BB534_4 Depth=1
	s_cmp_eq_f32 s44, 0
	s_cbranch_scc1 .LBB534_15
; %bb.12:                               ;   in Loop: Header=BB534_4 Depth=1
	v_add_nc_u64_e32 v[12:13], s[42:43], v[6:7]
	flat_load_b32 v12, v[12:13]
	s_wait_loadcnt_dscnt 0x0
	s_wait_xcnt 0x0
	v_mul_f32_e32 v12, s44, v12
	s_branch .LBB534_16
.LBB534_13:                             ;   in Loop: Header=BB534_4 Depth=1
	s_mov_b32 s9, 0
                                        ; implicit-def: $vgpr12
	s_cbranch_execnz .LBB534_17
	s_branch .LBB534_43
.LBB534_14:                             ;   in Loop: Header=BB534_4 Depth=1
	s_or_b32 exec_lo, exec_lo, s45
	s_delay_alu instid0(SALU_CYCLE_1)
	s_and_b32 vcc_lo, exec_lo, s10
	s_cbranch_vccnz .LBB534_17
	s_branch .LBB534_43
.LBB534_15:                             ;   in Loop: Header=BB534_4 Depth=1
	v_mov_b32_e32 v12, 0
.LBB534_16:                             ;   in Loop: Header=BB534_4 Depth=1
	s_mov_b32 s9, exec_lo
	s_or_b32 exec_lo, exec_lo, s45
	s_delay_alu instid0(SALU_CYCLE_1)
	s_and_b32 vcc_lo, exec_lo, s10
	s_cbranch_vccz .LBB534_43
.LBB534_17:                             ;   in Loop: Header=BB534_4 Depth=1
	v_add_nc_u64_e32 v[10:11], v[10:11], v[0:1]
	v_mov_b32_e32 v18, 0
	s_and_not1_b32 vcc_lo, exec_lo, s33
	s_delay_alu instid0(VALU_DEP_2)
	v_lshl_add_u64 v[10:11], s[38:39], 1, v[10:11]
	s_cbranch_vccnz .LBB534_20
; %bb.18:                               ;   in Loop: Header=BB534_4 Depth=1
	v_add_nc_u64_e32 v[12:13], v[8:9], v[4:5]
	s_delay_alu instid0(VALU_DEP_2)
	v_mov_b64_e32 v[14:15], v[10:11]
	v_mov_b32_e32 v18, 0
	s_mov_b32 s10, 0
.LBB534_19:                             ;   Parent Loop BB534_4 Depth=1
                                        ; =>  This Inner Loop Header: Depth=2
	flat_load_u16 v19, v[14:15]
	flat_load_u16 v20, v[12:13]
	s_wait_xcnt 0x0
	v_add_nc_u64_e32 v[12:13], s[40:41], v[12:13]
	v_add_nc_u64_e32 v[14:15], 0x200, v[14:15]
	s_addk_co_i32 s10, 0x100
	s_delay_alu instid0(SALU_CYCLE_1) | instskip(SKIP_2) | instid1(VALU_DEP_1)
	s_cmp_ge_i32 s10, s36
	s_wait_loadcnt_dscnt 0x0
	v_mul_f16_e32 v19, v19, v20
	v_cvt_f32_f16_e32 v19, v19
	s_delay_alu instid0(VALU_DEP_1)
	v_add_f32_e32 v18, v18, v19
	s_cbranch_scc0 .LBB534_19
.LBB534_20:                             ;   in Loop: Header=BB534_4 Depth=1
	s_wait_xcnt 0x0
	s_and_saveexec_b32 s10, s1
	s_cbranch_execz .LBB534_22
; %bb.21:                               ;   in Loop: Header=BB534_4 Depth=1
	v_lshl_add_u64 v[10:11], s[36:37], 1, v[10:11]
	v_lshl_add_u64 v[8:9], v[2:3], 1, v[8:9]
	flat_load_u16 v12, v[10:11]
	flat_load_u16 v13, v[8:9]
	s_wait_loadcnt_dscnt 0x0
	s_wait_xcnt 0x0
	v_mul_f16_e32 v8, v12, v13
	s_delay_alu instid0(VALU_DEP_1) | instskip(NEXT) | instid1(VALU_DEP_1)
	v_cvt_f32_f16_e32 v8, v8
	v_add_f32_e32 v18, v18, v8
.LBB534_22:                             ;   in Loop: Header=BB534_4 Depth=1
	s_or_b32 exec_lo, exec_lo, s10
	ds_store_b32 v16, v18
	s_wait_dscnt 0x0
	s_barrier_signal -1
	s_barrier_wait -1
	s_and_saveexec_b32 s10, s2
	s_cbranch_execz .LBB534_24
; %bb.23:                               ;   in Loop: Header=BB534_4 Depth=1
	ds_load_2addr_stride64_b32 v[8:9], v16 offset1:2
	s_wait_dscnt 0x0
	v_add_f32_e32 v8, v9, v8
	ds_store_b32 v16, v8
.LBB534_24:                             ;   in Loop: Header=BB534_4 Depth=1
	s_or_b32 exec_lo, exec_lo, s10
	s_wait_dscnt 0x0
	s_barrier_signal -1
	s_barrier_wait -1
	s_and_saveexec_b32 s10, s3
	s_cbranch_execz .LBB534_26
; %bb.25:                               ;   in Loop: Header=BB534_4 Depth=1
	ds_load_2addr_stride64_b32 v[8:9], v16 offset1:1
	s_wait_dscnt 0x0
	v_add_f32_e32 v8, v9, v8
	ds_store_b32 v16, v8
.LBB534_26:                             ;   in Loop: Header=BB534_4 Depth=1
	s_or_b32 exec_lo, exec_lo, s10
	s_wait_dscnt 0x0
	s_barrier_signal -1
	s_barrier_wait -1
	s_and_saveexec_b32 s10, s4
	s_cbranch_execz .LBB534_28
; %bb.27:                               ;   in Loop: Header=BB534_4 Depth=1
	ds_load_2addr_b32 v[8:9], v16 offset1:32
	s_wait_dscnt 0x0
	v_add_f32_e32 v8, v9, v8
	ds_store_b32 v16, v8
.LBB534_28:                             ;   in Loop: Header=BB534_4 Depth=1
	s_or_b32 exec_lo, exec_lo, s10
	s_wait_dscnt 0x0
	s_barrier_signal -1
	s_barrier_wait -1
	s_and_saveexec_b32 s10, s5
	s_cbranch_execz .LBB534_30
; %bb.29:                               ;   in Loop: Header=BB534_4 Depth=1
	ds_load_2addr_b32 v[8:9], v16 offset1:16
	s_wait_dscnt 0x0
	v_add_f32_e32 v8, v9, v8
	ds_store_b32 v16, v8
.LBB534_30:                             ;   in Loop: Header=BB534_4 Depth=1
	;; [unrolled: 12-line block ×5, first 2 shown]
	s_or_b32 exec_lo, exec_lo, s10
	s_wait_dscnt 0x0
	s_barrier_signal -1
	s_barrier_wait -1
	s_and_saveexec_b32 s10, s0
	s_cbranch_execz .LBB534_38
; %bb.37:                               ;   in Loop: Header=BB534_4 Depth=1
	ds_load_b64 v[8:9], v1
	s_wait_dscnt 0x0
	v_add_f32_e32 v8, v9, v8
	ds_store_b32 v1, v8
.LBB534_38:                             ;   in Loop: Header=BB534_4 Depth=1
	s_or_b32 exec_lo, exec_lo, s10
	s_wait_dscnt 0x0
	s_barrier_signal -1
	s_barrier_wait -1
                                        ; implicit-def: $vgpr12
	s_and_saveexec_b32 s10, s0
	s_cbranch_execz .LBB534_42
; %bb.39:                               ;   in Loop: Header=BB534_4 Depth=1
	ds_load_b32 v8, v1
	s_cmp_eq_f32 s44, 0
	s_wait_dscnt 0x0
	v_mul_f32_e32 v12, v17, v8
	s_cbranch_scc1 .LBB534_41
; %bb.40:                               ;   in Loop: Header=BB534_4 Depth=1
	v_add_nc_u64_e32 v[8:9], s[42:43], v[6:7]
	flat_load_b32 v8, v[8:9]
	s_wait_loadcnt_dscnt 0x0
	v_fmac_f32_e32 v12, s44, v8
.LBB534_41:                             ;   in Loop: Header=BB534_4 Depth=1
	s_or_b32 s9, s9, exec_lo
.LBB534_42:                             ;   in Loop: Header=BB534_4 Depth=1
	s_wait_xcnt 0x0
	s_or_b32 exec_lo, exec_lo, s10
.LBB534_43:                             ;   in Loop: Header=BB534_4 Depth=1
	s_wait_xcnt 0x0
	s_and_saveexec_b32 s10, s9
	s_cbranch_execz .LBB534_2
; %bb.44:                               ;   in Loop: Header=BB534_4 Depth=1
	v_add_nc_u64_e32 v[6:7], s[42:43], v[6:7]
	flat_store_b32 v[6:7], v12
	s_branch .LBB534_2
.LBB534_45:
	s_endpgm
	.section	.rodata,"a",@progbits
	.p2align	6, 0x0
	.amdhsa_kernel _ZL20rocblas_gemvt_kernelILb1ELi256EPKDF16_PKfKPfEviiT2_lPKT1_lilS9_lilS6_lPT3_lili
		.amdhsa_group_segment_fixed_size 1024
		.amdhsa_private_segment_fixed_size 0
		.amdhsa_kernarg_size 140
		.amdhsa_user_sgpr_count 2
		.amdhsa_user_sgpr_dispatch_ptr 0
		.amdhsa_user_sgpr_queue_ptr 0
		.amdhsa_user_sgpr_kernarg_segment_ptr 1
		.amdhsa_user_sgpr_dispatch_id 0
		.amdhsa_user_sgpr_kernarg_preload_length 0
		.amdhsa_user_sgpr_kernarg_preload_offset 0
		.amdhsa_user_sgpr_private_segment_size 0
		.amdhsa_wavefront_size32 1
		.amdhsa_uses_dynamic_stack 0
		.amdhsa_enable_private_segment 0
		.amdhsa_system_sgpr_workgroup_id_x 1
		.amdhsa_system_sgpr_workgroup_id_y 0
		.amdhsa_system_sgpr_workgroup_id_z 1
		.amdhsa_system_sgpr_workgroup_info 0
		.amdhsa_system_vgpr_workitem_id 0
		.amdhsa_next_free_vgpr 21
		.amdhsa_next_free_sgpr 48
		.amdhsa_named_barrier_count 0
		.amdhsa_reserve_vcc 1
		.amdhsa_float_round_mode_32 0
		.amdhsa_float_round_mode_16_64 0
		.amdhsa_float_denorm_mode_32 3
		.amdhsa_float_denorm_mode_16_64 3
		.amdhsa_fp16_overflow 0
		.amdhsa_memory_ordered 1
		.amdhsa_forward_progress 1
		.amdhsa_inst_pref_size 12
		.amdhsa_round_robin_scheduling 0
		.amdhsa_exception_fp_ieee_invalid_op 0
		.amdhsa_exception_fp_denorm_src 0
		.amdhsa_exception_fp_ieee_div_zero 0
		.amdhsa_exception_fp_ieee_overflow 0
		.amdhsa_exception_fp_ieee_underflow 0
		.amdhsa_exception_fp_ieee_inexact 0
		.amdhsa_exception_int_div_zero 0
	.end_amdhsa_kernel
	.section	.text._ZL20rocblas_gemvt_kernelILb1ELi256EPKDF16_PKfKPfEviiT2_lPKT1_lilS9_lilS6_lPT3_lili,"axG",@progbits,_ZL20rocblas_gemvt_kernelILb1ELi256EPKDF16_PKfKPfEviiT2_lPKT1_lilS9_lilS6_lPT3_lili,comdat
.Lfunc_end534:
	.size	_ZL20rocblas_gemvt_kernelILb1ELi256EPKDF16_PKfKPfEviiT2_lPKT1_lilS9_lilS6_lPT3_lili, .Lfunc_end534-_ZL20rocblas_gemvt_kernelILb1ELi256EPKDF16_PKfKPfEviiT2_lPKT1_lilS9_lilS6_lPT3_lili
                                        ; -- End function
	.set _ZL20rocblas_gemvt_kernelILb1ELi256EPKDF16_PKfKPfEviiT2_lPKT1_lilS9_lilS6_lPT3_lili.num_vgpr, 21
	.set _ZL20rocblas_gemvt_kernelILb1ELi256EPKDF16_PKfKPfEviiT2_lPKT1_lilS9_lilS6_lPT3_lili.num_agpr, 0
	.set _ZL20rocblas_gemvt_kernelILb1ELi256EPKDF16_PKfKPfEviiT2_lPKT1_lilS9_lilS6_lPT3_lili.numbered_sgpr, 48
	.set _ZL20rocblas_gemvt_kernelILb1ELi256EPKDF16_PKfKPfEviiT2_lPKT1_lilS9_lilS6_lPT3_lili.num_named_barrier, 0
	.set _ZL20rocblas_gemvt_kernelILb1ELi256EPKDF16_PKfKPfEviiT2_lPKT1_lilS9_lilS6_lPT3_lili.private_seg_size, 0
	.set _ZL20rocblas_gemvt_kernelILb1ELi256EPKDF16_PKfKPfEviiT2_lPKT1_lilS9_lilS6_lPT3_lili.uses_vcc, 1
	.set _ZL20rocblas_gemvt_kernelILb1ELi256EPKDF16_PKfKPfEviiT2_lPKT1_lilS9_lilS6_lPT3_lili.uses_flat_scratch, 0
	.set _ZL20rocblas_gemvt_kernelILb1ELi256EPKDF16_PKfKPfEviiT2_lPKT1_lilS9_lilS6_lPT3_lili.has_dyn_sized_stack, 0
	.set _ZL20rocblas_gemvt_kernelILb1ELi256EPKDF16_PKfKPfEviiT2_lPKT1_lilS9_lilS6_lPT3_lili.has_recursion, 0
	.set _ZL20rocblas_gemvt_kernelILb1ELi256EPKDF16_PKfKPfEviiT2_lPKT1_lilS9_lilS6_lPT3_lili.has_indirect_call, 0
	.section	.AMDGPU.csdata,"",@progbits
; Kernel info:
; codeLenInByte = 1484
; TotalNumSgprs: 50
; NumVgprs: 21
; ScratchSize: 0
; MemoryBound: 0
; FloatMode: 240
; IeeeMode: 1
; LDSByteSize: 1024 bytes/workgroup (compile time only)
; SGPRBlocks: 0
; VGPRBlocks: 1
; NumSGPRsForWavesPerEU: 50
; NumVGPRsForWavesPerEU: 21
; NamedBarCnt: 0
; Occupancy: 16
; WaveLimiterHint : 1
; COMPUTE_PGM_RSRC2:SCRATCH_EN: 0
; COMPUTE_PGM_RSRC2:USER_SGPR: 2
; COMPUTE_PGM_RSRC2:TRAP_HANDLER: 0
; COMPUTE_PGM_RSRC2:TGID_X_EN: 1
; COMPUTE_PGM_RSRC2:TGID_Y_EN: 0
; COMPUTE_PGM_RSRC2:TGID_Z_EN: 1
; COMPUTE_PGM_RSRC2:TIDIG_COMP_CNT: 0
	.section	.text._ZL20rocblas_gemvt_kernelILb1ELi256EPKDF16_fKPfEviiT2_lPKT1_lilS7_lilS4_lPT3_lili,"axG",@progbits,_ZL20rocblas_gemvt_kernelILb1ELi256EPKDF16_fKPfEviiT2_lPKT1_lilS7_lilS4_lPT3_lili,comdat
	.globl	_ZL20rocblas_gemvt_kernelILb1ELi256EPKDF16_fKPfEviiT2_lPKT1_lilS7_lilS4_lPT3_lili ; -- Begin function _ZL20rocblas_gemvt_kernelILb1ELi256EPKDF16_fKPfEviiT2_lPKT1_lilS7_lilS4_lPT3_lili
	.p2align	8
	.type	_ZL20rocblas_gemvt_kernelILb1ELi256EPKDF16_fKPfEviiT2_lPKT1_lilS7_lilS4_lPT3_lili,@function
_ZL20rocblas_gemvt_kernelILb1ELi256EPKDF16_fKPfEviiT2_lPKT1_lilS7_lilS4_lPT3_lili: ; @_ZL20rocblas_gemvt_kernelILb1ELi256EPKDF16_fKPfEviiT2_lPKT1_lilS7_lilS4_lPT3_lili
; %bb.0:
	s_load_b32 s9, s[0:1], 0x88
	s_bfe_u32 s2, ttmp6, 0x40014
	s_lshr_b32 s3, ttmp7, 16
	s_add_co_i32 s2, s2, 1
	s_bfe_u32 s5, ttmp6, 0x40008
	s_mul_i32 s2, s3, s2
	s_getreg_b32 s4, hwreg(HW_REG_IB_STS2, 6, 4)
	s_add_co_i32 s5, s5, s2
	s_cmp_eq_u32 s4, 0
	s_mov_b32 s11, 0
	s_cselect_b32 s10, s3, s5
	s_wait_kmcnt 0x0
	s_cmp_ge_u32 s10, s9
	s_cbranch_scc1 .LBB535_47
; %bb.1:
	s_clause 0x7
	s_load_b32 s2, s[0:1], 0x28
	s_load_b32 s28, s[0:1], 0x48
	;; [unrolled: 1-line block ×5, first 2 shown]
	s_load_b128 s[12:15], s[0:1], 0x18
	s_load_b32 s8, s[0:1], 0x0
	s_load_b128 s[20:23], s[0:1], 0x68
	v_lshlrev_b32_e32 v17, 2, v0
	s_wait_kmcnt 0x0
	s_ashr_i32 s3, s2, 31
	s_ashr_i32 s29, s28, 31
	;; [unrolled: 1-line block ×3, first 2 shown]
	s_cmp_eq_f32 s33, 0
	s_cselect_b32 s35, -1, 0
	s_cmp_neq_f32 s34, 1.0
	s_cselect_b32 s5, -1, 0
	s_cmp_neq_f32 s33, 0
	s_cselect_b32 s16, -1, 0
	s_delay_alu instid0(SALU_CYCLE_1)
	s_or_b32 s36, s16, s5
	s_cmp_neq_f32 s34, 0
	v_cndmask_b32_e64 v16, 0, 1, s16
	s_cselect_b32 s37, -1, 0
	s_bfe_u32 s5, ttmp6, 0x4000c
	s_and_b32 s16, ttmp6, 15
	s_add_co_i32 s5, s5, 1
	s_delay_alu instid0(SALU_CYCLE_1) | instskip(NEXT) | instid1(SALU_CYCLE_1)
	s_mul_i32 s5, ttmp9, s5
	s_add_co_i32 s16, s16, s5
	s_cmp_eq_u32 s4, 0
	s_cselect_b32 s4, ttmp9, s16
	s_load_b128 s[16:19], s[0:1], 0x38
	s_ashr_i32 s5, s8, 31
	v_cmp_gt_i32_e32 vcc_lo, s8, v0
	s_lshr_b32 s5, s5, 24
	s_wait_xcnt 0x0
	v_cmp_eq_u32_e64 s0, 0, v0
	s_add_co_i32 s5, s8, s5
	s_delay_alu instid0(SALU_CYCLE_1) | instskip(NEXT) | instid1(SALU_CYCLE_1)
	s_and_b32 s24, s5, 0xffffff00
	v_dual_mov_b32 v1, 0 :: v_dual_bitop2_b32 v6, s24, v0 bitop3:0x54
	v_cndmask_b32_e32 v8, 0, v0, vcc_lo
	s_ashr_i32 s5, s4, 31
	s_cmp_gt_i32 s8, 0xff
	s_delay_alu instid0(VALU_DEP_2)
	v_mul_u64_e32 v[4:5], s[28:29], v[0:1]
	v_ashrrev_i32_e32 v7, 31, v6
	s_mul_u64 s[30:31], s[6:7], s[4:5]
	s_mul_u64 s[26:27], s[2:3], s[4:5]
	v_cmp_gt_i32_e64 s1, s8, v6
	v_cmp_gt_u32_e64 s2, 0x80, v0
	v_mul_u64_e32 v[2:3], s[28:29], v[6:7]
	v_cmp_gt_u32_e64 s3, 64, v0
	v_cmp_gt_u32_e64 s4, 32, v0
	;; [unrolled: 1-line block ×6, first 2 shown]
	v_lshlrev_b32_e32 v0, 1, v8
	s_cselect_b32 s38, -1, 0
	s_ashr_i32 s25, s24, 31
	s_lshl_b64 s[28:29], s[28:29], 9
	s_lshl_b64 s[14:15], s[14:15], 1
	s_wait_kmcnt 0x0
	s_lshl_b64 s[18:19], s[18:19], 1
	s_lshl_b64 s[22:23], s[22:23], 2
	;; [unrolled: 1-line block ×3, first 2 shown]
	v_lshlrev_b64_e32 v[4:5], 1, v[4:5]
	s_branch .LBB535_4
.LBB535_2:                              ;   in Loop: Header=BB535_4 Depth=1
	s_wait_xcnt 0x0
	s_or_b32 exec_lo, exec_lo, s40
.LBB535_3:                              ;   in Loop: Header=BB535_4 Depth=1
	s_add_co_i32 s10, s10, 0x10000
	s_delay_alu instid0(SALU_CYCLE_1)
	s_cmp_lt_u32 s10, s9
	s_cbranch_scc0 .LBB535_47
.LBB535_4:                              ; =>This Loop Header: Depth=1
                                        ;     Child Loop BB535_21 Depth 2
	s_and_not1_b32 vcc_lo, exec_lo, s36
	s_cbranch_vccnz .LBB535_3
; %bb.5:                                ;   in Loop: Header=BB535_4 Depth=1
	s_and_not1_b32 vcc_lo, exec_lo, s35
	s_cbranch_vccnz .LBB535_7
; %bb.6:                                ;   in Loop: Header=BB535_4 Depth=1
	v_mov_b64_e32 v[8:9], 0
	v_mov_b64_e32 v[10:11], 0
	s_cbranch_execz .LBB535_8
	s_branch .LBB535_9
.LBB535_7:                              ;   in Loop: Header=BB535_4 Depth=1
	v_mov_b64_e32 v[8:9], 0
	v_mov_b64_e32 v[10:11], 0
.LBB535_8:                              ;   in Loop: Header=BB535_4 Depth=1
	s_lshl_b64 s[40:41], s[10:11], 3
	s_delay_alu instid0(SALU_CYCLE_1)
	s_add_nc_u64 s[40:41], s[12:13], s[40:41]
	global_load_b64 v[6:7], v1, s[40:41]
	s_wait_loadcnt 0x0
	v_add_nc_u64_e32 v[10:11], s[14:15], v[6:7]
.LBB535_9:                              ;   in Loop: Header=BB535_4 Depth=1
	v_cmp_ne_u32_e32 vcc_lo, 1, v16
	s_cbranch_vccnz .LBB535_11
; %bb.10:                               ;   in Loop: Header=BB535_4 Depth=1
	s_wait_xcnt 0x0
	s_lshl_b64 s[40:41], s[10:11], 3
	s_delay_alu instid0(SALU_CYCLE_1)
	s_add_nc_u64 s[40:41], s[16:17], s[40:41]
	global_load_b64 v[6:7], v1, s[40:41]
	s_wait_loadcnt 0x0
	v_add_nc_u64_e32 v[8:9], s[18:19], v[6:7]
.LBB535_11:                             ;   in Loop: Header=BB535_4 Depth=1
	s_wait_xcnt 0x0
	s_lshl_b64 s[40:41], s[10:11], 3
	s_and_not1_b32 vcc_lo, exec_lo, s35
	s_add_nc_u64 s[40:41], s[20:21], s[40:41]
	global_load_b64 v[6:7], v1, s[40:41]
	s_wait_loadcnt 0x0
	v_add_nc_u64_e32 v[6:7], s[22:23], v[6:7]
	s_cbranch_vccnz .LBB535_15
; %bb.12:                               ;   in Loop: Header=BB535_4 Depth=1
	s_wait_xcnt 0x0
	s_mov_b32 s40, 0
	s_mov_b32 s39, 0
                                        ; implicit-def: $vgpr12
	s_and_saveexec_b32 s41, s0
	s_cbranch_execz .LBB535_16
; %bb.13:                               ;   in Loop: Header=BB535_4 Depth=1
	s_and_not1_b32 vcc_lo, exec_lo, s37
	s_cbranch_vccnz .LBB535_17
; %bb.14:                               ;   in Loop: Header=BB535_4 Depth=1
	v_add_nc_u64_e32 v[12:13], s[30:31], v[6:7]
	flat_load_b32 v12, v[12:13]
	s_wait_loadcnt_dscnt 0x0
	s_wait_xcnt 0x0
	v_mul_f32_e32 v12, s34, v12
	s_branch .LBB535_18
.LBB535_15:                             ;   in Loop: Header=BB535_4 Depth=1
	s_wait_xcnt 0x0
	s_mov_b32 s39, 0
                                        ; implicit-def: $vgpr12
	s_cbranch_execnz .LBB535_19
	s_branch .LBB535_45
.LBB535_16:                             ;   in Loop: Header=BB535_4 Depth=1
	s_or_b32 exec_lo, exec_lo, s41
	s_delay_alu instid0(SALU_CYCLE_1)
	s_and_b32 vcc_lo, exec_lo, s40
	s_cbranch_vccnz .LBB535_19
	s_branch .LBB535_45
.LBB535_17:                             ;   in Loop: Header=BB535_4 Depth=1
	v_mov_b32_e32 v12, 0
.LBB535_18:                             ;   in Loop: Header=BB535_4 Depth=1
	s_mov_b32 s39, exec_lo
	s_or_b32 exec_lo, exec_lo, s41
	s_delay_alu instid0(SALU_CYCLE_1)
	s_and_b32 vcc_lo, exec_lo, s40
	s_cbranch_vccz .LBB535_45
.LBB535_19:                             ;   in Loop: Header=BB535_4 Depth=1
	v_add_nc_u64_e32 v[10:11], v[10:11], v[0:1]
	v_mov_b32_e32 v18, 0
	s_and_not1_b32 vcc_lo, exec_lo, s38
	s_delay_alu instid0(VALU_DEP_2)
	v_lshl_add_u64 v[10:11], s[26:27], 1, v[10:11]
	s_cbranch_vccnz .LBB535_22
; %bb.20:                               ;   in Loop: Header=BB535_4 Depth=1
	v_add_nc_u64_e32 v[12:13], v[8:9], v[4:5]
	s_delay_alu instid0(VALU_DEP_2)
	v_mov_b64_e32 v[14:15], v[10:11]
	v_mov_b32_e32 v18, 0
	s_mov_b32 s40, 0
.LBB535_21:                             ;   Parent Loop BB535_4 Depth=1
                                        ; =>  This Inner Loop Header: Depth=2
	flat_load_u16 v19, v[14:15]
	flat_load_u16 v20, v[12:13]
	s_wait_xcnt 0x0
	v_add_nc_u64_e32 v[12:13], s[28:29], v[12:13]
	v_add_nc_u64_e32 v[14:15], 0x200, v[14:15]
	s_addk_co_i32 s40, 0x100
	s_delay_alu instid0(SALU_CYCLE_1) | instskip(SKIP_2) | instid1(VALU_DEP_1)
	s_cmp_ge_i32 s40, s24
	s_wait_loadcnt_dscnt 0x0
	v_mul_f16_e32 v19, v19, v20
	v_cvt_f32_f16_e32 v19, v19
	s_delay_alu instid0(VALU_DEP_1)
	v_add_f32_e32 v18, v18, v19
	s_cbranch_scc0 .LBB535_21
.LBB535_22:                             ;   in Loop: Header=BB535_4 Depth=1
	s_and_saveexec_b32 s40, s1
	s_cbranch_execz .LBB535_24
; %bb.23:                               ;   in Loop: Header=BB535_4 Depth=1
	s_delay_alu instid0(VALU_DEP_1)
	v_lshl_add_u64 v[10:11], s[24:25], 1, v[10:11]
	v_lshl_add_u64 v[8:9], v[2:3], 1, v[8:9]
	flat_load_u16 v12, v[10:11]
	flat_load_u16 v13, v[8:9]
	s_wait_loadcnt_dscnt 0x0
	s_wait_xcnt 0x0
	v_mul_f16_e32 v8, v12, v13
	s_delay_alu instid0(VALU_DEP_1) | instskip(NEXT) | instid1(VALU_DEP_1)
	v_cvt_f32_f16_e32 v8, v8
	v_add_f32_e32 v18, v18, v8
.LBB535_24:                             ;   in Loop: Header=BB535_4 Depth=1
	s_or_b32 exec_lo, exec_lo, s40
	ds_store_b32 v17, v18
	s_wait_dscnt 0x0
	s_barrier_signal -1
	s_barrier_wait -1
	s_and_saveexec_b32 s40, s2
	s_cbranch_execz .LBB535_26
; %bb.25:                               ;   in Loop: Header=BB535_4 Depth=1
	ds_load_2addr_stride64_b32 v[8:9], v17 offset1:2
	s_wait_dscnt 0x0
	v_add_f32_e32 v8, v9, v8
	ds_store_b32 v17, v8
.LBB535_26:                             ;   in Loop: Header=BB535_4 Depth=1
	s_or_b32 exec_lo, exec_lo, s40
	s_wait_dscnt 0x0
	s_barrier_signal -1
	s_barrier_wait -1
	s_and_saveexec_b32 s40, s3
	s_cbranch_execz .LBB535_28
; %bb.27:                               ;   in Loop: Header=BB535_4 Depth=1
	ds_load_2addr_stride64_b32 v[8:9], v17 offset1:1
	s_wait_dscnt 0x0
	v_add_f32_e32 v8, v9, v8
	ds_store_b32 v17, v8
.LBB535_28:                             ;   in Loop: Header=BB535_4 Depth=1
	s_or_b32 exec_lo, exec_lo, s40
	s_wait_dscnt 0x0
	s_barrier_signal -1
	s_barrier_wait -1
	s_and_saveexec_b32 s40, s4
	s_cbranch_execz .LBB535_30
; %bb.29:                               ;   in Loop: Header=BB535_4 Depth=1
	ds_load_2addr_b32 v[8:9], v17 offset1:32
	s_wait_dscnt 0x0
	v_add_f32_e32 v8, v9, v8
	ds_store_b32 v17, v8
.LBB535_30:                             ;   in Loop: Header=BB535_4 Depth=1
	s_or_b32 exec_lo, exec_lo, s40
	s_wait_dscnt 0x0
	s_barrier_signal -1
	s_barrier_wait -1
	s_and_saveexec_b32 s40, s5
	s_cbranch_execz .LBB535_32
; %bb.31:                               ;   in Loop: Header=BB535_4 Depth=1
	ds_load_2addr_b32 v[8:9], v17 offset1:16
	s_wait_dscnt 0x0
	v_add_f32_e32 v8, v9, v8
	ds_store_b32 v17, v8
.LBB535_32:                             ;   in Loop: Header=BB535_4 Depth=1
	;; [unrolled: 12-line block ×5, first 2 shown]
	s_or_b32 exec_lo, exec_lo, s40
	s_wait_dscnt 0x0
	s_barrier_signal -1
	s_barrier_wait -1
	s_and_saveexec_b32 s40, s0
	s_cbranch_execz .LBB535_40
; %bb.39:                               ;   in Loop: Header=BB535_4 Depth=1
	ds_load_b64 v[8:9], v1
	s_wait_dscnt 0x0
	v_add_f32_e32 v8, v9, v8
	ds_store_b32 v1, v8
.LBB535_40:                             ;   in Loop: Header=BB535_4 Depth=1
	s_or_b32 exec_lo, exec_lo, s40
	s_wait_dscnt 0x0
	s_barrier_signal -1
	s_barrier_wait -1
                                        ; implicit-def: $vgpr12
	s_and_saveexec_b32 s40, s0
	s_cbranch_execz .LBB535_44
; %bb.41:                               ;   in Loop: Header=BB535_4 Depth=1
	ds_load_b32 v8, v1
	s_and_not1_b32 vcc_lo, exec_lo, s37
	s_wait_dscnt 0x0
	v_mul_f32_e32 v12, s33, v8
	s_cbranch_vccnz .LBB535_43
; %bb.42:                               ;   in Loop: Header=BB535_4 Depth=1
	v_add_nc_u64_e32 v[8:9], s[30:31], v[6:7]
	flat_load_b32 v8, v[8:9]
	s_wait_loadcnt_dscnt 0x0
	v_fmac_f32_e32 v12, s34, v8
.LBB535_43:                             ;   in Loop: Header=BB535_4 Depth=1
	s_or_b32 s39, s39, exec_lo
.LBB535_44:                             ;   in Loop: Header=BB535_4 Depth=1
	s_wait_xcnt 0x0
	s_or_b32 exec_lo, exec_lo, s40
.LBB535_45:                             ;   in Loop: Header=BB535_4 Depth=1
	s_and_saveexec_b32 s40, s39
	s_cbranch_execz .LBB535_2
; %bb.46:                               ;   in Loop: Header=BB535_4 Depth=1
	v_add_nc_u64_e32 v[6:7], s[30:31], v[6:7]
	flat_store_b32 v[6:7], v12
	s_branch .LBB535_2
.LBB535_47:
	s_endpgm
	.section	.rodata,"a",@progbits
	.p2align	6, 0x0
	.amdhsa_kernel _ZL20rocblas_gemvt_kernelILb1ELi256EPKDF16_fKPfEviiT2_lPKT1_lilS7_lilS4_lPT3_lili
		.amdhsa_group_segment_fixed_size 1024
		.amdhsa_private_segment_fixed_size 0
		.amdhsa_kernarg_size 140
		.amdhsa_user_sgpr_count 2
		.amdhsa_user_sgpr_dispatch_ptr 0
		.amdhsa_user_sgpr_queue_ptr 0
		.amdhsa_user_sgpr_kernarg_segment_ptr 1
		.amdhsa_user_sgpr_dispatch_id 0
		.amdhsa_user_sgpr_kernarg_preload_length 0
		.amdhsa_user_sgpr_kernarg_preload_offset 0
		.amdhsa_user_sgpr_private_segment_size 0
		.amdhsa_wavefront_size32 1
		.amdhsa_uses_dynamic_stack 0
		.amdhsa_enable_private_segment 0
		.amdhsa_system_sgpr_workgroup_id_x 1
		.amdhsa_system_sgpr_workgroup_id_y 0
		.amdhsa_system_sgpr_workgroup_id_z 1
		.amdhsa_system_sgpr_workgroup_info 0
		.amdhsa_system_vgpr_workitem_id 0
		.amdhsa_next_free_vgpr 21
		.amdhsa_next_free_sgpr 42
		.amdhsa_named_barrier_count 0
		.amdhsa_reserve_vcc 1
		.amdhsa_float_round_mode_32 0
		.amdhsa_float_round_mode_16_64 0
		.amdhsa_float_denorm_mode_32 3
		.amdhsa_float_denorm_mode_16_64 3
		.amdhsa_fp16_overflow 0
		.amdhsa_memory_ordered 1
		.amdhsa_forward_progress 1
		.amdhsa_inst_pref_size 12
		.amdhsa_round_robin_scheduling 0
		.amdhsa_exception_fp_ieee_invalid_op 0
		.amdhsa_exception_fp_denorm_src 0
		.amdhsa_exception_fp_ieee_div_zero 0
		.amdhsa_exception_fp_ieee_overflow 0
		.amdhsa_exception_fp_ieee_underflow 0
		.amdhsa_exception_fp_ieee_inexact 0
		.amdhsa_exception_int_div_zero 0
	.end_amdhsa_kernel
	.section	.text._ZL20rocblas_gemvt_kernelILb1ELi256EPKDF16_fKPfEviiT2_lPKT1_lilS7_lilS4_lPT3_lili,"axG",@progbits,_ZL20rocblas_gemvt_kernelILb1ELi256EPKDF16_fKPfEviiT2_lPKT1_lilS7_lilS4_lPT3_lili,comdat
.Lfunc_end535:
	.size	_ZL20rocblas_gemvt_kernelILb1ELi256EPKDF16_fKPfEviiT2_lPKT1_lilS7_lilS4_lPT3_lili, .Lfunc_end535-_ZL20rocblas_gemvt_kernelILb1ELi256EPKDF16_fKPfEviiT2_lPKT1_lilS7_lilS4_lPT3_lili
                                        ; -- End function
	.set _ZL20rocblas_gemvt_kernelILb1ELi256EPKDF16_fKPfEviiT2_lPKT1_lilS7_lilS4_lPT3_lili.num_vgpr, 21
	.set _ZL20rocblas_gemvt_kernelILb1ELi256EPKDF16_fKPfEviiT2_lPKT1_lilS7_lilS4_lPT3_lili.num_agpr, 0
	.set _ZL20rocblas_gemvt_kernelILb1ELi256EPKDF16_fKPfEviiT2_lPKT1_lilS7_lilS4_lPT3_lili.numbered_sgpr, 42
	.set _ZL20rocblas_gemvt_kernelILb1ELi256EPKDF16_fKPfEviiT2_lPKT1_lilS7_lilS4_lPT3_lili.num_named_barrier, 0
	.set _ZL20rocblas_gemvt_kernelILb1ELi256EPKDF16_fKPfEviiT2_lPKT1_lilS7_lilS4_lPT3_lili.private_seg_size, 0
	.set _ZL20rocblas_gemvt_kernelILb1ELi256EPKDF16_fKPfEviiT2_lPKT1_lilS7_lilS4_lPT3_lili.uses_vcc, 1
	.set _ZL20rocblas_gemvt_kernelILb1ELi256EPKDF16_fKPfEviiT2_lPKT1_lilS7_lilS4_lPT3_lili.uses_flat_scratch, 0
	.set _ZL20rocblas_gemvt_kernelILb1ELi256EPKDF16_fKPfEviiT2_lPKT1_lilS7_lilS4_lPT3_lili.has_dyn_sized_stack, 0
	.set _ZL20rocblas_gemvt_kernelILb1ELi256EPKDF16_fKPfEviiT2_lPKT1_lilS7_lilS4_lPT3_lili.has_recursion, 0
	.set _ZL20rocblas_gemvt_kernelILb1ELi256EPKDF16_fKPfEviiT2_lPKT1_lilS7_lilS4_lPT3_lili.has_indirect_call, 0
	.section	.AMDGPU.csdata,"",@progbits
; Kernel info:
; codeLenInByte = 1464
; TotalNumSgprs: 44
; NumVgprs: 21
; ScratchSize: 0
; MemoryBound: 0
; FloatMode: 240
; IeeeMode: 1
; LDSByteSize: 1024 bytes/workgroup (compile time only)
; SGPRBlocks: 0
; VGPRBlocks: 1
; NumSGPRsForWavesPerEU: 44
; NumVGPRsForWavesPerEU: 21
; NamedBarCnt: 0
; Occupancy: 16
; WaveLimiterHint : 1
; COMPUTE_PGM_RSRC2:SCRATCH_EN: 0
; COMPUTE_PGM_RSRC2:USER_SGPR: 2
; COMPUTE_PGM_RSRC2:TRAP_HANDLER: 0
; COMPUTE_PGM_RSRC2:TGID_X_EN: 1
; COMPUTE_PGM_RSRC2:TGID_Y_EN: 0
; COMPUTE_PGM_RSRC2:TGID_Z_EN: 1
; COMPUTE_PGM_RSRC2:TIDIG_COMP_CNT: 0
	.section	.text._ZL32rocblas_gemvt_warp_reduce_kernelILb1ELi1024EiPKDF16_PKfKPfEviiT3_lPKT2_lT1_lS9_lSA_lS6_lPT4_lSA_li,"axG",@progbits,_ZL32rocblas_gemvt_warp_reduce_kernelILb1ELi1024EiPKDF16_PKfKPfEviiT3_lPKT2_lT1_lS9_lSA_lS6_lPT4_lSA_li,comdat
	.globl	_ZL32rocblas_gemvt_warp_reduce_kernelILb1ELi1024EiPKDF16_PKfKPfEviiT3_lPKT2_lT1_lS9_lSA_lS6_lPT4_lSA_li ; -- Begin function _ZL32rocblas_gemvt_warp_reduce_kernelILb1ELi1024EiPKDF16_PKfKPfEviiT3_lPKT2_lT1_lS9_lSA_lS6_lPT4_lSA_li
	.p2align	8
	.type	_ZL32rocblas_gemvt_warp_reduce_kernelILb1ELi1024EiPKDF16_PKfKPfEviiT3_lPKT2_lT1_lS9_lSA_lS6_lPT4_lSA_li,@function
_ZL32rocblas_gemvt_warp_reduce_kernelILb1ELi1024EiPKDF16_PKfKPfEviiT3_lPKT2_lT1_lS9_lSA_lS6_lPT4_lSA_li: ; @_ZL32rocblas_gemvt_warp_reduce_kernelILb1ELi1024EiPKDF16_PKfKPfEviiT3_lPKT2_lT1_lS9_lSA_lS6_lPT4_lSA_li
; %bb.0:
	s_load_b32 s7, s[0:1], 0x88
	s_bfe_u32 s2, ttmp6, 0x40014
	s_lshr_b32 s3, ttmp7, 16
	s_add_co_i32 s2, s2, 1
	s_bfe_u32 s5, ttmp6, 0x40008
	s_mul_i32 s4, s3, s2
	s_getreg_b32 s2, hwreg(HW_REG_IB_STS2, 6, 4)
	s_add_co_i32 s5, s5, s4
	s_cmp_eq_u32 s2, 0
	s_mov_b32 s29, 0
	s_cselect_b32 s28, s3, s5
	s_wait_kmcnt 0x0
	s_cmp_ge_u32 s28, s7
	s_cbranch_scc1 .LBB536_38
; %bb.1:
	s_clause 0x6
	s_load_b32 s4, s[0:1], 0x0
	s_load_b256 s[8:15], s[0:1], 0x8
	s_load_b32 s3, s[0:1], 0x28
	s_load_b128 s[24:27], s[0:1], 0x38
	s_load_b32 s5, s[0:1], 0x48
	s_load_b256 s[16:23], s[0:1], 0x58
	s_load_b32 s6, s[0:1], 0x78
	s_wait_xcnt 0x0
	s_bfe_u32 s1, ttmp6, 0x4000c
	s_and_b32 s30, ttmp6, 15
	s_add_co_i32 s1, s1, 1
	v_dual_mov_b32 v3, 0 :: v_dual_bitop2_b32 v2, 31, v0 bitop3:0x40
	s_mul_i32 s1, ttmp9, s1
	v_lshrrev_b32_e32 v4, 3, v0
	s_add_co_i32 s30, s30, s1
	s_cmp_eq_u32 s2, 0
	v_lshlrev_b32_e32 v14, 2, v2
	s_cselect_b32 s31, ttmp9, s30
	v_and_b32_e32 v15, 0x7c, v4
	v_mbcnt_lo_u32_b32 v1, -1, 0
	s_wait_kmcnt 0x0
	s_ashr_i32 s2, s4, 31
	v_cmp_gt_i32_e32 vcc_lo, s4, v0
	s_lshr_b32 s2, s2, 22
	v_cmp_eq_u32_e64 s0, 0, v0
	s_add_co_i32 s2, s4, s2
	v_mul_lo_u32 v16, v0, s5
	s_and_b32 s30, s2, 0xfffffc00
	v_cmp_eq_u32_e64 s2, 0, v2
	v_dual_cndmask_b32 v2, 0, v0, vcc_lo :: v_dual_bitop2_b32 v5, s30, v0 bitop3:0x54
	s_mul_i32 s36, s6, s31
	v_cmp_gt_u32_e64 s1, 32, v0
	s_mul_i32 s34, s3, s31
	v_mul_lo_u32 v4, s5, v5
	v_lshlrev_b32_e32 v2, 1, v2
	v_cmp_gt_i32_e64 s3, s30, v0
	v_cmp_gt_i32_e64 s4, s4, v5
	v_lshl_or_b32 v17, v1, 2, 64
	s_ashr_i32 s37, s36, 31
	s_lshl_b32 s33, s5, 10
	s_lshl_b64 s[14:15], s[14:15], 1
	s_ashr_i32 s35, s34, 31
	s_ashr_i32 s31, s30, 31
	s_lshl_b64 s[26:27], s[26:27], 1
	v_ashrrev_i32_e32 v5, 31, v4
	s_lshl_b64 s[22:23], s[22:23], 2
	s_lshl_b64 s[36:37], s[36:37], 2
	s_branch .LBB536_4
.LBB536_2:                              ;   in Loop: Header=BB536_4 Depth=1
	s_wait_xcnt 0x0
	s_or_b32 exec_lo, exec_lo, s6
.LBB536_3:                              ;   in Loop: Header=BB536_4 Depth=1
	s_add_co_i32 s28, s28, 0x10000
	s_delay_alu instid0(SALU_CYCLE_1)
	s_cmp_lt_u32 s28, s7
	s_cbranch_scc0 .LBB536_38
.LBB536_4:                              ; =>This Loop Header: Depth=1
                                        ;     Child Loop BB536_27 Depth 2
	s_mul_u64 s[38:39], s[10:11], s[28:29]
	s_wait_xcnt 0x0
	s_mul_u64 s[40:41], s[18:19], s[28:29]
	s_lshl_b64 s[38:39], s[38:39], 2
	s_lshl_b64 s[40:41], s[40:41], 2
	s_add_nc_u64 s[38:39], s[8:9], s[38:39]
	s_add_nc_u64 s[40:41], s[16:17], s[40:41]
	s_clause 0x1
	global_load_b32 v18, v3, s[38:39]
	global_load_b32 v6, v3, s[40:41]
	s_wait_loadcnt 0x1
	v_cmp_eq_f32_e64 s5, 0, v18
	s_wait_loadcnt 0x0
	v_cmp_eq_f32_e32 vcc_lo, 1.0, v6
	s_wait_xcnt 0x1
	v_readfirstlane_b32 s38, v6
	s_and_b32 s6, s5, vcc_lo
	s_delay_alu instid0(SALU_CYCLE_1)
	s_and_b32 vcc_lo, exec_lo, s6
	s_cbranch_vccnz .LBB536_3
; %bb.5:                                ;   in Loop: Header=BB536_4 Depth=1
	v_mov_b64_e32 v[8:9], 0
	v_mov_b64_e32 v[10:11], 0
	v_cmp_neq_f32_e64 s6, 0, v18
	s_and_b32 vcc_lo, exec_lo, s5
	s_cbranch_vccnz .LBB536_7
; %bb.6:                                ;   in Loop: Header=BB536_4 Depth=1
	s_wait_xcnt 0x0
	s_lshl_b64 s[40:41], s[28:29], 3
	s_delay_alu instid0(SALU_CYCLE_1)
	s_add_nc_u64 s[40:41], s[12:13], s[40:41]
	global_load_b64 v[6:7], v3, s[40:41]
	s_wait_loadcnt 0x0
	v_add_nc_u64_e32 v[10:11], s[14:15], v[6:7]
.LBB536_7:                              ;   in Loop: Header=BB536_4 Depth=1
	s_and_not1_b32 vcc_lo, exec_lo, s6
	s_cbranch_vccnz .LBB536_9
; %bb.8:                                ;   in Loop: Header=BB536_4 Depth=1
	s_wait_xcnt 0x0
	s_lshl_b64 s[40:41], s[28:29], 3
	s_delay_alu instid0(SALU_CYCLE_1)
	s_add_nc_u64 s[40:41], s[24:25], s[40:41]
	global_load_b64 v[6:7], v3, s[40:41]
	s_wait_loadcnt 0x0
	v_add_nc_u64_e32 v[8:9], s[26:27], v[6:7]
.LBB536_9:                              ;   in Loop: Header=BB536_4 Depth=1
	s_wait_xcnt 0x0
	s_lshl_b64 s[40:41], s[28:29], 3
	s_and_not1_b32 vcc_lo, exec_lo, s5
	s_add_nc_u64 s[40:41], s[20:21], s[40:41]
	global_load_b64 v[6:7], v3, s[40:41]
	s_wait_loadcnt 0x0
	v_add_nc_u64_e32 v[6:7], s[22:23], v[6:7]
	s_cbranch_vccnz .LBB536_13
; %bb.10:                               ;   in Loop: Header=BB536_4 Depth=1
	s_mov_b32 s6, 0
	s_mov_b32 s5, 0
                                        ; implicit-def: $vgpr12
	s_wait_xcnt 0x0
	s_and_saveexec_b32 s39, s0
	s_cbranch_execz .LBB536_14
; %bb.11:                               ;   in Loop: Header=BB536_4 Depth=1
	s_cmp_eq_f32 s38, 0
	s_cbranch_scc1 .LBB536_15
; %bb.12:                               ;   in Loop: Header=BB536_4 Depth=1
	s_wait_dscnt 0x0
	v_add_nc_u64_e32 v[12:13], s[36:37], v[6:7]
	flat_load_b32 v12, v[12:13]
	s_wait_loadcnt_dscnt 0x0
	s_wait_xcnt 0x0
	v_mul_f32_e32 v12, s38, v12
	s_branch .LBB536_16
.LBB536_13:                             ;   in Loop: Header=BB536_4 Depth=1
	s_mov_b32 s5, 0
                                        ; implicit-def: $vgpr12
	s_cbranch_execnz .LBB536_17
	s_branch .LBB536_36
.LBB536_14:                             ;   in Loop: Header=BB536_4 Depth=1
	s_or_b32 exec_lo, exec_lo, s39
	s_delay_alu instid0(SALU_CYCLE_1)
	s_and_b32 vcc_lo, exec_lo, s6
	s_cbranch_vccnz .LBB536_17
	s_branch .LBB536_36
.LBB536_15:                             ;   in Loop: Header=BB536_4 Depth=1
	v_mov_b32_e32 v12, 0
.LBB536_16:                             ;   in Loop: Header=BB536_4 Depth=1
	s_mov_b32 s5, exec_lo
	s_or_b32 exec_lo, exec_lo, s39
	s_delay_alu instid0(SALU_CYCLE_1)
	s_and_b32 vcc_lo, exec_lo, s6
	s_cbranch_vccz .LBB536_36
.LBB536_17:                             ;   in Loop: Header=BB536_4 Depth=1
	v_add_nc_u64_e32 v[10:11], v[10:11], v[2:3]
	v_mov_b32_e32 v19, 0
	s_delay_alu instid0(VALU_DEP_2)
	v_lshl_add_u64 v[10:11], s[34:35], 1, v[10:11]
	s_wait_xcnt 0x0
	s_and_saveexec_b32 s6, s3
	s_cbranch_execnz .LBB536_26
; %bb.18:                               ;   in Loop: Header=BB536_4 Depth=1
	s_or_b32 exec_lo, exec_lo, s6
	s_and_saveexec_b32 s6, s4
	s_cbranch_execnz .LBB536_29
.LBB536_19:                             ;   in Loop: Header=BB536_4 Depth=1
	s_or_b32 exec_lo, exec_lo, s6
	s_and_saveexec_b32 s6, s1
.LBB536_20:                             ;   in Loop: Header=BB536_4 Depth=1
	ds_store_b32 v14, v3
.LBB536_21:                             ;   in Loop: Header=BB536_4 Depth=1
	s_or_b32 exec_lo, exec_lo, s6
	ds_bpermute_b32 v9, v17, v19
	v_cmp_gt_u32_e32 vcc_lo, 24, v1
	s_wait_dscnt 0x0
	s_barrier_signal -1
	s_barrier_wait -1
	v_cndmask_b32_e64 v8, 0, 8, vcc_lo
	v_cmp_gt_u32_e32 vcc_lo, 28, v1
	s_delay_alu instid0(VALU_DEP_2)
	v_add_lshl_u32 v8, v8, v1, 2
	v_add_f32_e32 v10, v19, v9
	v_cndmask_b32_e64 v9, 0, 4, vcc_lo
	v_cmp_gt_u32_e32 vcc_lo, 30, v1
	ds_bpermute_b32 v11, v8, v10
	v_add_lshl_u32 v9, v9, v1, 2
	s_wait_dscnt 0x0
	v_add_f32_e32 v11, v10, v11
	v_cndmask_b32_e64 v10, 0, 2, vcc_lo
	v_cmp_ne_u32_e32 vcc_lo, 31, v1
	ds_bpermute_b32 v12, v9, v11
	v_add_lshl_u32 v10, v10, v1, 2
	v_add_co_ci_u32_e64 v13, null, 0, v1, vcc_lo
	s_wait_dscnt 0x0
	v_add_f32_e32 v11, v11, v12
	ds_bpermute_b32 v12, v10, v11
	s_wait_dscnt 0x0
	v_dual_add_f32 v12, v11, v12 :: v_dual_lshlrev_b32 v11, 2, v13
	ds_bpermute_b32 v13, v11, v12
	s_and_saveexec_b32 s6, s2
	s_cbranch_execz .LBB536_23
; %bb.22:                               ;   in Loop: Header=BB536_4 Depth=1
	s_wait_dscnt 0x0
	v_add_f32_e32 v12, v12, v13
	ds_store_b32 v15, v12
.LBB536_23:                             ;   in Loop: Header=BB536_4 Depth=1
	s_or_b32 exec_lo, exec_lo, s6
	s_wait_dscnt 0x0
	v_mov_b32_e32 v13, 0
	s_barrier_signal -1
	s_barrier_wait -1
	s_and_saveexec_b32 s6, s1
	s_cbranch_execnz .LBB536_30
; %bb.24:                               ;   in Loop: Header=BB536_4 Depth=1
	s_or_b32 exec_lo, exec_lo, s6
	s_and_saveexec_b32 s6, s1
	s_cbranch_execnz .LBB536_31
.LBB536_25:                             ;   in Loop: Header=BB536_4 Depth=1
	s_or_b32 exec_lo, exec_lo, s6
                                        ; implicit-def: $vgpr12
	s_and_saveexec_b32 s6, s0
	s_cbranch_execnz .LBB536_32
	s_branch .LBB536_35
.LBB536_26:                             ;   in Loop: Header=BB536_4 Depth=1
	s_wait_dscnt 0x0
	v_mov_b64_e32 v[12:13], v[10:11]
	v_dual_mov_b32 v19, 0 :: v_dual_mov_b32 v20, v0
	v_mov_b32_e32 v21, v16
	s_mov_b32 s39, 0
.LBB536_27:                             ;   Parent Loop BB536_4 Depth=1
                                        ; =>  This Inner Loop Header: Depth=2
	v_readfirstlane_b32 s40, v8
	v_readfirstlane_b32 s41, v9
	flat_load_u16 v22, v[12:13]
	flat_load_u16 v23, v21, s[40:41] scale_offset
	s_wait_xcnt 0x1
	v_add_nc_u64_e32 v[12:13], 0x800, v[12:13]
	s_wait_xcnt 0x0
	v_add_nc_u32_e32 v21, s33, v21
	s_wait_loadcnt_dscnt 0x0
	v_mul_f16_e32 v22, v22, v23
	s_delay_alu instid0(VALU_DEP_1) | instskip(NEXT) | instid1(VALU_DEP_1)
	v_cvt_f32_f16_e32 v22, v22
	v_dual_add_f32 v19, v19, v22 :: v_dual_add_nc_u32 v20, 0x400, v20
	s_delay_alu instid0(VALU_DEP_1) | instskip(SKIP_1) | instid1(SALU_CYCLE_1)
	v_cmp_le_i32_e32 vcc_lo, s30, v20
	s_or_b32 s39, vcc_lo, s39
	s_and_not1_b32 exec_lo, exec_lo, s39
	s_cbranch_execnz .LBB536_27
; %bb.28:                               ;   in Loop: Header=BB536_4 Depth=1
	s_or_b32 exec_lo, exec_lo, s39
	s_delay_alu instid0(SALU_CYCLE_1)
	s_or_b32 exec_lo, exec_lo, s6
	s_and_saveexec_b32 s6, s4
	s_cbranch_execz .LBB536_19
.LBB536_29:                             ;   in Loop: Header=BB536_4 Depth=1
	v_lshl_add_u64 v[10:11], s[30:31], 1, v[10:11]
	v_lshl_add_u64 v[8:9], v[4:5], 1, v[8:9]
	flat_load_u16 v12, v[10:11]
	s_wait_dscnt 0x1
	flat_load_u16 v13, v[8:9]
	s_wait_loadcnt_dscnt 0x0
	s_wait_xcnt 0x0
	v_mul_f16_e32 v8, v12, v13
	s_delay_alu instid0(VALU_DEP_1) | instskip(NEXT) | instid1(VALU_DEP_1)
	v_cvt_f32_f16_e32 v8, v8
	v_add_f32_e32 v19, v19, v8
	s_or_b32 exec_lo, exec_lo, s6
	s_and_saveexec_b32 s6, s1
	s_cbranch_execnz .LBB536_20
	s_branch .LBB536_21
.LBB536_30:                             ;   in Loop: Header=BB536_4 Depth=1
	ds_load_b32 v13, v14
	s_or_b32 exec_lo, exec_lo, s6
	s_and_saveexec_b32 s6, s1
	s_cbranch_execz .LBB536_25
.LBB536_31:                             ;   in Loop: Header=BB536_4 Depth=1
	s_wait_dscnt 0x0
	ds_bpermute_b32 v12, v17, v13
	s_wait_dscnt 0x0
	v_add_f32_e32 v12, v13, v12
	ds_bpermute_b32 v8, v8, v12
	s_wait_dscnt 0x0
	v_add_f32_e32 v8, v12, v8
	;; [unrolled: 3-line block ×5, first 2 shown]
	s_or_b32 exec_lo, exec_lo, s6
                                        ; implicit-def: $vgpr12
	s_and_saveexec_b32 s6, s0
	s_cbranch_execz .LBB536_35
.LBB536_32:                             ;   in Loop: Header=BB536_4 Depth=1
	s_wait_dscnt 0x0
	v_mul_f32_e32 v12, v18, v13
	s_cmp_eq_f32 s38, 0
	s_cbranch_scc1 .LBB536_34
; %bb.33:                               ;   in Loop: Header=BB536_4 Depth=1
	v_add_nc_u64_e32 v[8:9], s[36:37], v[6:7]
	flat_load_b32 v8, v[8:9]
	s_wait_loadcnt_dscnt 0x0
	v_fmac_f32_e32 v12, s38, v8
.LBB536_34:                             ;   in Loop: Header=BB536_4 Depth=1
	s_or_b32 s5, s5, exec_lo
.LBB536_35:                             ;   in Loop: Header=BB536_4 Depth=1
	s_wait_xcnt 0x0
	s_or_b32 exec_lo, exec_lo, s6
.LBB536_36:                             ;   in Loop: Header=BB536_4 Depth=1
	s_wait_xcnt 0x0
	s_and_saveexec_b32 s6, s5
	s_cbranch_execz .LBB536_2
; %bb.37:                               ;   in Loop: Header=BB536_4 Depth=1
	v_add_nc_u64_e32 v[6:7], s[36:37], v[6:7]
	flat_store_b32 v[6:7], v12
	s_branch .LBB536_2
.LBB536_38:
	s_endpgm
	.section	.rodata,"a",@progbits
	.p2align	6, 0x0
	.amdhsa_kernel _ZL32rocblas_gemvt_warp_reduce_kernelILb1ELi1024EiPKDF16_PKfKPfEviiT3_lPKT2_lT1_lS9_lSA_lS6_lPT4_lSA_li
		.amdhsa_group_segment_fixed_size 128
		.amdhsa_private_segment_fixed_size 0
		.amdhsa_kernarg_size 140
		.amdhsa_user_sgpr_count 2
		.amdhsa_user_sgpr_dispatch_ptr 0
		.amdhsa_user_sgpr_queue_ptr 0
		.amdhsa_user_sgpr_kernarg_segment_ptr 1
		.amdhsa_user_sgpr_dispatch_id 0
		.amdhsa_user_sgpr_kernarg_preload_length 0
		.amdhsa_user_sgpr_kernarg_preload_offset 0
		.amdhsa_user_sgpr_private_segment_size 0
		.amdhsa_wavefront_size32 1
		.amdhsa_uses_dynamic_stack 0
		.amdhsa_enable_private_segment 0
		.amdhsa_system_sgpr_workgroup_id_x 1
		.amdhsa_system_sgpr_workgroup_id_y 0
		.amdhsa_system_sgpr_workgroup_id_z 1
		.amdhsa_system_sgpr_workgroup_info 0
		.amdhsa_system_vgpr_workitem_id 0
		.amdhsa_next_free_vgpr 24
		.amdhsa_next_free_sgpr 42
		.amdhsa_named_barrier_count 0
		.amdhsa_reserve_vcc 1
		.amdhsa_float_round_mode_32 0
		.amdhsa_float_round_mode_16_64 0
		.amdhsa_float_denorm_mode_32 3
		.amdhsa_float_denorm_mode_16_64 3
		.amdhsa_fp16_overflow 0
		.amdhsa_memory_ordered 1
		.amdhsa_forward_progress 1
		.amdhsa_inst_pref_size 12
		.amdhsa_round_robin_scheduling 0
		.amdhsa_exception_fp_ieee_invalid_op 0
		.amdhsa_exception_fp_denorm_src 0
		.amdhsa_exception_fp_ieee_div_zero 0
		.amdhsa_exception_fp_ieee_overflow 0
		.amdhsa_exception_fp_ieee_underflow 0
		.amdhsa_exception_fp_ieee_inexact 0
		.amdhsa_exception_int_div_zero 0
	.end_amdhsa_kernel
	.section	.text._ZL32rocblas_gemvt_warp_reduce_kernelILb1ELi1024EiPKDF16_PKfKPfEviiT3_lPKT2_lT1_lS9_lSA_lS6_lPT4_lSA_li,"axG",@progbits,_ZL32rocblas_gemvt_warp_reduce_kernelILb1ELi1024EiPKDF16_PKfKPfEviiT3_lPKT2_lT1_lS9_lSA_lS6_lPT4_lSA_li,comdat
.Lfunc_end536:
	.size	_ZL32rocblas_gemvt_warp_reduce_kernelILb1ELi1024EiPKDF16_PKfKPfEviiT3_lPKT2_lT1_lS9_lSA_lS6_lPT4_lSA_li, .Lfunc_end536-_ZL32rocblas_gemvt_warp_reduce_kernelILb1ELi1024EiPKDF16_PKfKPfEviiT3_lPKT2_lT1_lS9_lSA_lS6_lPT4_lSA_li
                                        ; -- End function
	.set _ZL32rocblas_gemvt_warp_reduce_kernelILb1ELi1024EiPKDF16_PKfKPfEviiT3_lPKT2_lT1_lS9_lSA_lS6_lPT4_lSA_li.num_vgpr, 24
	.set _ZL32rocblas_gemvt_warp_reduce_kernelILb1ELi1024EiPKDF16_PKfKPfEviiT3_lPKT2_lT1_lS9_lSA_lS6_lPT4_lSA_li.num_agpr, 0
	.set _ZL32rocblas_gemvt_warp_reduce_kernelILb1ELi1024EiPKDF16_PKfKPfEviiT3_lPKT2_lT1_lS9_lSA_lS6_lPT4_lSA_li.numbered_sgpr, 42
	.set _ZL32rocblas_gemvt_warp_reduce_kernelILb1ELi1024EiPKDF16_PKfKPfEviiT3_lPKT2_lT1_lS9_lSA_lS6_lPT4_lSA_li.num_named_barrier, 0
	.set _ZL32rocblas_gemvt_warp_reduce_kernelILb1ELi1024EiPKDF16_PKfKPfEviiT3_lPKT2_lT1_lS9_lSA_lS6_lPT4_lSA_li.private_seg_size, 0
	.set _ZL32rocblas_gemvt_warp_reduce_kernelILb1ELi1024EiPKDF16_PKfKPfEviiT3_lPKT2_lT1_lS9_lSA_lS6_lPT4_lSA_li.uses_vcc, 1
	.set _ZL32rocblas_gemvt_warp_reduce_kernelILb1ELi1024EiPKDF16_PKfKPfEviiT3_lPKT2_lT1_lS9_lSA_lS6_lPT4_lSA_li.uses_flat_scratch, 0
	.set _ZL32rocblas_gemvt_warp_reduce_kernelILb1ELi1024EiPKDF16_PKfKPfEviiT3_lPKT2_lT1_lS9_lSA_lS6_lPT4_lSA_li.has_dyn_sized_stack, 0
	.set _ZL32rocblas_gemvt_warp_reduce_kernelILb1ELi1024EiPKDF16_PKfKPfEviiT3_lPKT2_lT1_lS9_lSA_lS6_lPT4_lSA_li.has_recursion, 0
	.set _ZL32rocblas_gemvt_warp_reduce_kernelILb1ELi1024EiPKDF16_PKfKPfEviiT3_lPKT2_lT1_lS9_lSA_lS6_lPT4_lSA_li.has_indirect_call, 0
	.section	.AMDGPU.csdata,"",@progbits
; Kernel info:
; codeLenInByte = 1484
; TotalNumSgprs: 44
; NumVgprs: 24
; ScratchSize: 0
; MemoryBound: 0
; FloatMode: 240
; IeeeMode: 1
; LDSByteSize: 128 bytes/workgroup (compile time only)
; SGPRBlocks: 0
; VGPRBlocks: 1
; NumSGPRsForWavesPerEU: 44
; NumVGPRsForWavesPerEU: 24
; NamedBarCnt: 0
; Occupancy: 16
; WaveLimiterHint : 1
; COMPUTE_PGM_RSRC2:SCRATCH_EN: 0
; COMPUTE_PGM_RSRC2:USER_SGPR: 2
; COMPUTE_PGM_RSRC2:TRAP_HANDLER: 0
; COMPUTE_PGM_RSRC2:TGID_X_EN: 1
; COMPUTE_PGM_RSRC2:TGID_Y_EN: 0
; COMPUTE_PGM_RSRC2:TGID_Z_EN: 1
; COMPUTE_PGM_RSRC2:TIDIG_COMP_CNT: 0
	.section	.text._ZL32rocblas_gemvt_warp_reduce_kernelILb1ELi1024ElPKDF16_PKfKPfEviiT3_lPKT2_lT1_lS9_lSA_lS6_lPT4_lSA_li,"axG",@progbits,_ZL32rocblas_gemvt_warp_reduce_kernelILb1ELi1024ElPKDF16_PKfKPfEviiT3_lPKT2_lT1_lS9_lSA_lS6_lPT4_lSA_li,comdat
	.globl	_ZL32rocblas_gemvt_warp_reduce_kernelILb1ELi1024ElPKDF16_PKfKPfEviiT3_lPKT2_lT1_lS9_lSA_lS6_lPT4_lSA_li ; -- Begin function _ZL32rocblas_gemvt_warp_reduce_kernelILb1ELi1024ElPKDF16_PKfKPfEviiT3_lPKT2_lT1_lS9_lSA_lS6_lPT4_lSA_li
	.p2align	8
	.type	_ZL32rocblas_gemvt_warp_reduce_kernelILb1ELi1024ElPKDF16_PKfKPfEviiT3_lPKT2_lT1_lS9_lSA_lS6_lPT4_lSA_li,@function
_ZL32rocblas_gemvt_warp_reduce_kernelILb1ELi1024ElPKDF16_PKfKPfEviiT3_lPKT2_lT1_lS9_lSA_lS6_lPT4_lSA_li: ; @_ZL32rocblas_gemvt_warp_reduce_kernelILb1ELi1024ElPKDF16_PKfKPfEviiT3_lPKT2_lT1_lS9_lSA_lS6_lPT4_lSA_li
; %bb.0:
	s_load_b32 s7, s[0:1], 0x88
	s_bfe_u32 s2, ttmp6, 0x40014
	s_lshr_b32 s3, ttmp7, 16
	s_add_co_i32 s2, s2, 1
	s_bfe_u32 s5, ttmp6, 0x40008
	s_mul_i32 s4, s3, s2
	s_getreg_b32 s2, hwreg(HW_REG_IB_STS2, 6, 4)
	s_add_co_i32 s5, s5, s4
	s_cmp_eq_u32 s2, 0
	s_mov_b32 s29, 0
	s_cselect_b32 s28, s3, s5
	s_wait_kmcnt 0x0
	s_cmp_ge_u32 s28, s7
	s_cbranch_scc1 .LBB537_38
; %bb.1:
	s_clause 0x1
	s_load_b32 s6, s[0:1], 0x0
	s_load_b64 s[36:37], s[0:1], 0x48
	s_bfe_u32 s3, ttmp6, 0x4000c
	s_and_b32 s4, ttmp6, 15
	s_add_co_i32 s3, s3, 1
	s_clause 0x2
	s_load_b256 s[8:15], s[0:1], 0x8
	s_load_b128 s[24:27], s[0:1], 0x38
	s_load_b256 s[16:23], s[0:1], 0x58
	s_mul_i32 s3, ttmp9, s3
	v_mbcnt_lo_u32_b32 v19, -1, 0
	s_add_co_i32 s4, s4, s3
	s_cmp_eq_u32 s2, 0
	s_load_b64 s[34:35], s[0:1], 0x28
	s_cselect_b32 s2, ttmp9, s4
	s_load_b64 s[4:5], s[0:1], 0x78
	s_wait_xcnt 0x0
	v_cmp_eq_u32_e64 s0, 0, v0
	v_lshl_or_b32 v20, v19, 2, 64
	s_wait_kmcnt 0x0
	s_ashr_i32 s3, s6, 31
	v_cmp_gt_i32_e32 vcc_lo, s6, v0
	s_lshr_b32 s3, s3, 22
	s_lshl_b64 s[14:15], s[14:15], 1
	s_add_co_i32 s3, s6, s3
	s_lshl_b64 s[26:27], s[26:27], 1
	s_and_b32 s30, s3, 0xfffffc00
	s_delay_alu instid0(SALU_CYCLE_1) | instskip(SKIP_3) | instid1(VALU_DEP_2)
	v_dual_mov_b32 v3, 0 :: v_dual_bitop2_b32 v6, s30, v0 bitop3:0x54
	s_ashr_i32 s3, s2, 31
	v_cndmask_b32_e32 v2, 0, v0, vcc_lo
	s_mul_u64 s[34:35], s[34:35], s[2:3]
	v_dual_mov_b32 v1, v3 :: v_dual_ashrrev_i32 v7, 31, v6
	s_mul_u64 s[38:39], s[4:5], s[2:3]
	v_cmp_gt_i32_e64 s2, s6, v6
	v_cmp_gt_i32_e64 s1, s30, v0
	s_delay_alu instid0(VALU_DEP_3)
	v_mul_u64_e32 v[8:9], s[36:37], v[0:1]
	v_mul_u64_e32 v[4:5], s[36:37], v[6:7]
	v_dual_lshrrev_b32 v6, 3, v0 :: v_dual_bitop2_b32 v7, 31, v0 bitop3:0x40
	v_cmp_gt_u32_e64 s3, 32, v0
	v_lshlrev_b32_e32 v2, 1, v2
	s_ashr_i32 s31, s30, 31
	v_lshlrev_b32_e32 v1, 2, v7
	v_cmp_eq_u32_e64 s4, 0, v7
	v_and_b32_e32 v18, 0x7c, v6
	s_lshl_b64 s[36:37], s[36:37], 11
	s_lshl_b64 s[22:23], s[22:23], 2
	;; [unrolled: 1-line block ×3, first 2 shown]
	v_lshlrev_b64_e32 v[6:7], 1, v[8:9]
	s_branch .LBB537_4
.LBB537_2:                              ;   in Loop: Header=BB537_4 Depth=1
	s_wait_xcnt 0x0
	s_or_b32 exec_lo, exec_lo, s6
.LBB537_3:                              ;   in Loop: Header=BB537_4 Depth=1
	s_add_co_i32 s28, s28, 0x10000
	s_delay_alu instid0(SALU_CYCLE_1)
	s_cmp_lt_u32 s28, s7
	s_cbranch_scc0 .LBB537_38
.LBB537_4:                              ; =>This Loop Header: Depth=1
                                        ;     Child Loop BB537_27 Depth 2
	s_wait_xcnt 0x1
	s_mul_u64 s[40:41], s[10:11], s[28:29]
	s_wait_xcnt 0x0
	s_mul_u64 s[42:43], s[18:19], s[28:29]
	s_lshl_b64 s[40:41], s[40:41], 2
	s_lshl_b64 s[42:43], s[42:43], 2
	s_add_nc_u64 s[40:41], s[8:9], s[40:41]
	s_add_nc_u64 s[42:43], s[16:17], s[42:43]
	s_clause 0x1
	global_load_b32 v21, v3, s[40:41]
	global_load_b32 v8, v3, s[42:43]
	s_wait_loadcnt 0x1
	v_cmp_eq_f32_e64 s5, 0, v21
	s_wait_loadcnt 0x0
	v_cmp_eq_f32_e32 vcc_lo, 1.0, v8
	v_readfirstlane_b32 s33, v8
	s_and_b32 s6, s5, vcc_lo
	s_delay_alu instid0(SALU_CYCLE_1)
	s_and_b32 vcc_lo, exec_lo, s6
	s_cbranch_vccnz .LBB537_3
; %bb.5:                                ;   in Loop: Header=BB537_4 Depth=1
	v_mov_b64_e32 v[10:11], 0
	v_mov_b64_e32 v[12:13], 0
	v_cmp_neq_f32_e64 s6, 0, v21
	s_and_b32 vcc_lo, exec_lo, s5
	s_cbranch_vccnz .LBB537_7
; %bb.6:                                ;   in Loop: Header=BB537_4 Depth=1
	s_wait_xcnt 0x1
	s_lshl_b64 s[40:41], s[28:29], 3
	s_delay_alu instid0(SALU_CYCLE_1)
	s_add_nc_u64 s[40:41], s[12:13], s[40:41]
	global_load_b64 v[8:9], v3, s[40:41]
	s_wait_loadcnt 0x0
	v_add_nc_u64_e32 v[12:13], s[14:15], v[8:9]
.LBB537_7:                              ;   in Loop: Header=BB537_4 Depth=1
	s_and_not1_b32 vcc_lo, exec_lo, s6
	s_cbranch_vccnz .LBB537_9
; %bb.8:                                ;   in Loop: Header=BB537_4 Depth=1
	s_wait_xcnt 0x0
	s_lshl_b64 s[40:41], s[28:29], 3
	s_delay_alu instid0(SALU_CYCLE_1)
	s_add_nc_u64 s[40:41], s[24:25], s[40:41]
	global_load_b64 v[8:9], v3, s[40:41]
	s_wait_loadcnt 0x0
	v_add_nc_u64_e32 v[10:11], s[26:27], v[8:9]
.LBB537_9:                              ;   in Loop: Header=BB537_4 Depth=1
	s_wait_xcnt 0x0
	s_lshl_b64 s[40:41], s[28:29], 3
	s_and_not1_b32 vcc_lo, exec_lo, s5
	s_add_nc_u64 s[40:41], s[20:21], s[40:41]
	global_load_b64 v[8:9], v3, s[40:41]
	s_wait_loadcnt 0x0
	v_add_nc_u64_e32 v[8:9], s[22:23], v[8:9]
	s_cbranch_vccnz .LBB537_13
; %bb.10:                               ;   in Loop: Header=BB537_4 Depth=1
	s_mov_b32 s6, 0
	s_mov_b32 s5, 0
                                        ; implicit-def: $vgpr14
	s_wait_xcnt 0x0
	s_and_saveexec_b32 s40, s0
	s_cbranch_execz .LBB537_14
; %bb.11:                               ;   in Loop: Header=BB537_4 Depth=1
	s_cmp_eq_f32 s33, 0
	s_cbranch_scc1 .LBB537_15
; %bb.12:                               ;   in Loop: Header=BB537_4 Depth=1
	s_wait_dscnt 0x0
	v_add_nc_u64_e32 v[14:15], s[38:39], v[8:9]
	flat_load_b32 v14, v[14:15]
	s_wait_loadcnt_dscnt 0x0
	s_wait_xcnt 0x0
	v_mul_f32_e32 v14, s33, v14
	s_branch .LBB537_16
.LBB537_13:                             ;   in Loop: Header=BB537_4 Depth=1
	s_mov_b32 s5, 0
                                        ; implicit-def: $vgpr14
	s_cbranch_execnz .LBB537_17
	s_branch .LBB537_36
.LBB537_14:                             ;   in Loop: Header=BB537_4 Depth=1
	s_or_b32 exec_lo, exec_lo, s40
	s_delay_alu instid0(SALU_CYCLE_1)
	s_and_b32 vcc_lo, exec_lo, s6
	s_cbranch_vccnz .LBB537_17
	s_branch .LBB537_36
.LBB537_15:                             ;   in Loop: Header=BB537_4 Depth=1
	v_mov_b32_e32 v14, 0
.LBB537_16:                             ;   in Loop: Header=BB537_4 Depth=1
	s_mov_b32 s5, exec_lo
	s_or_b32 exec_lo, exec_lo, s40
	s_delay_alu instid0(SALU_CYCLE_1)
	s_and_b32 vcc_lo, exec_lo, s6
	s_cbranch_vccz .LBB537_36
.LBB537_17:                             ;   in Loop: Header=BB537_4 Depth=1
	v_add_nc_u64_e32 v[12:13], v[12:13], v[2:3]
	v_mov_b32_e32 v22, 0
	s_delay_alu instid0(VALU_DEP_2)
	v_lshl_add_u64 v[12:13], s[34:35], 1, v[12:13]
	s_wait_xcnt 0x0
	s_and_saveexec_b32 s6, s1
	s_cbranch_execnz .LBB537_26
; %bb.18:                               ;   in Loop: Header=BB537_4 Depth=1
	s_or_b32 exec_lo, exec_lo, s6
	s_and_saveexec_b32 s6, s2
	s_cbranch_execnz .LBB537_29
.LBB537_19:                             ;   in Loop: Header=BB537_4 Depth=1
	s_or_b32 exec_lo, exec_lo, s6
	s_and_saveexec_b32 s6, s3
.LBB537_20:                             ;   in Loop: Header=BB537_4 Depth=1
	ds_store_b32 v1, v3
.LBB537_21:                             ;   in Loop: Header=BB537_4 Depth=1
	s_or_b32 exec_lo, exec_lo, s6
	ds_bpermute_b32 v11, v20, v22
	v_cmp_gt_u32_e32 vcc_lo, 24, v19
	s_wait_dscnt 0x0
	s_barrier_signal -1
	s_barrier_wait -1
	v_cndmask_b32_e64 v10, 0, 8, vcc_lo
	v_cmp_gt_u32_e32 vcc_lo, 28, v19
	s_delay_alu instid0(VALU_DEP_2)
	v_add_lshl_u32 v10, v10, v19, 2
	v_add_f32_e32 v12, v22, v11
	v_cndmask_b32_e64 v11, 0, 4, vcc_lo
	v_cmp_gt_u32_e32 vcc_lo, 30, v19
	ds_bpermute_b32 v13, v10, v12
	v_add_lshl_u32 v11, v11, v19, 2
	s_wait_dscnt 0x0
	v_add_f32_e32 v13, v12, v13
	v_cndmask_b32_e64 v12, 0, 2, vcc_lo
	v_cmp_ne_u32_e32 vcc_lo, 31, v19
	ds_bpermute_b32 v14, v11, v13
	v_add_lshl_u32 v12, v12, v19, 2
	v_add_co_ci_u32_e64 v15, null, 0, v19, vcc_lo
	s_wait_dscnt 0x0
	v_add_f32_e32 v13, v13, v14
	ds_bpermute_b32 v14, v12, v13
	s_wait_dscnt 0x0
	v_dual_add_f32 v14, v13, v14 :: v_dual_lshlrev_b32 v13, 2, v15
	ds_bpermute_b32 v15, v13, v14
	s_and_saveexec_b32 s6, s4
	s_cbranch_execz .LBB537_23
; %bb.22:                               ;   in Loop: Header=BB537_4 Depth=1
	s_wait_dscnt 0x0
	v_add_f32_e32 v14, v14, v15
	ds_store_b32 v18, v14
.LBB537_23:                             ;   in Loop: Header=BB537_4 Depth=1
	s_or_b32 exec_lo, exec_lo, s6
	s_wait_dscnt 0x0
	v_mov_b32_e32 v15, 0
	s_barrier_signal -1
	s_barrier_wait -1
	s_and_saveexec_b32 s6, s3
	s_cbranch_execnz .LBB537_30
; %bb.24:                               ;   in Loop: Header=BB537_4 Depth=1
	s_or_b32 exec_lo, exec_lo, s6
	s_and_saveexec_b32 s6, s3
	s_cbranch_execnz .LBB537_31
.LBB537_25:                             ;   in Loop: Header=BB537_4 Depth=1
	s_or_b32 exec_lo, exec_lo, s6
                                        ; implicit-def: $vgpr14
	s_and_saveexec_b32 s6, s0
	s_cbranch_execnz .LBB537_32
	s_branch .LBB537_35
.LBB537_26:                             ;   in Loop: Header=BB537_4 Depth=1
	s_wait_dscnt 0x0
	v_add_nc_u64_e32 v[14:15], v[10:11], v[6:7]
	v_mov_b64_e32 v[16:17], v[12:13]
	v_dual_mov_b32 v22, 0 :: v_dual_mov_b32 v23, v0
	s_mov_b32 s40, 0
.LBB537_27:                             ;   Parent Loop BB537_4 Depth=1
                                        ; =>  This Inner Loop Header: Depth=2
	flat_load_u16 v24, v[16:17]
	flat_load_u16 v25, v[14:15]
	s_wait_xcnt 0x1
	v_add_nc_u64_e32 v[16:17], 0x800, v[16:17]
	s_wait_xcnt 0x0
	v_add_nc_u64_e32 v[14:15], s[36:37], v[14:15]
	s_wait_loadcnt_dscnt 0x0
	v_mul_f16_e32 v24, v24, v25
	s_delay_alu instid0(VALU_DEP_1) | instskip(NEXT) | instid1(VALU_DEP_1)
	v_cvt_f32_f16_e32 v24, v24
	v_dual_add_f32 v22, v22, v24 :: v_dual_add_nc_u32 v23, 0x400, v23
	s_delay_alu instid0(VALU_DEP_1) | instskip(SKIP_1) | instid1(SALU_CYCLE_1)
	v_cmp_le_i32_e32 vcc_lo, s30, v23
	s_or_b32 s40, vcc_lo, s40
	s_and_not1_b32 exec_lo, exec_lo, s40
	s_cbranch_execnz .LBB537_27
; %bb.28:                               ;   in Loop: Header=BB537_4 Depth=1
	s_or_b32 exec_lo, exec_lo, s40
	s_delay_alu instid0(SALU_CYCLE_1)
	s_or_b32 exec_lo, exec_lo, s6
	s_and_saveexec_b32 s6, s2
	s_cbranch_execz .LBB537_19
.LBB537_29:                             ;   in Loop: Header=BB537_4 Depth=1
	v_lshl_add_u64 v[12:13], s[30:31], 1, v[12:13]
	v_lshl_add_u64 v[10:11], v[4:5], 1, v[10:11]
	flat_load_u16 v14, v[12:13]
	s_wait_dscnt 0x1
	flat_load_u16 v15, v[10:11]
	s_wait_loadcnt_dscnt 0x0
	s_wait_xcnt 0x0
	v_mul_f16_e32 v10, v14, v15
	s_delay_alu instid0(VALU_DEP_1) | instskip(NEXT) | instid1(VALU_DEP_1)
	v_cvt_f32_f16_e32 v10, v10
	v_add_f32_e32 v22, v22, v10
	s_or_b32 exec_lo, exec_lo, s6
	s_and_saveexec_b32 s6, s3
	s_cbranch_execnz .LBB537_20
	s_branch .LBB537_21
.LBB537_30:                             ;   in Loop: Header=BB537_4 Depth=1
	ds_load_b32 v15, v1
	s_or_b32 exec_lo, exec_lo, s6
	s_and_saveexec_b32 s6, s3
	s_cbranch_execz .LBB537_25
.LBB537_31:                             ;   in Loop: Header=BB537_4 Depth=1
	s_wait_dscnt 0x0
	ds_bpermute_b32 v14, v20, v15
	s_wait_dscnt 0x0
	v_add_f32_e32 v14, v15, v14
	ds_bpermute_b32 v10, v10, v14
	s_wait_dscnt 0x0
	v_add_f32_e32 v10, v14, v10
	;; [unrolled: 3-line block ×5, first 2 shown]
	s_or_b32 exec_lo, exec_lo, s6
                                        ; implicit-def: $vgpr14
	s_and_saveexec_b32 s6, s0
	s_cbranch_execz .LBB537_35
.LBB537_32:                             ;   in Loop: Header=BB537_4 Depth=1
	s_wait_dscnt 0x0
	v_mul_f32_e32 v14, v21, v15
	s_cmp_eq_f32 s33, 0
	s_cbranch_scc1 .LBB537_34
; %bb.33:                               ;   in Loop: Header=BB537_4 Depth=1
	v_add_nc_u64_e32 v[10:11], s[38:39], v[8:9]
	flat_load_b32 v10, v[10:11]
	s_wait_loadcnt_dscnt 0x0
	v_fmac_f32_e32 v14, s33, v10
.LBB537_34:                             ;   in Loop: Header=BB537_4 Depth=1
	s_or_b32 s5, s5, exec_lo
.LBB537_35:                             ;   in Loop: Header=BB537_4 Depth=1
	s_wait_xcnt 0x0
	s_or_b32 exec_lo, exec_lo, s6
.LBB537_36:                             ;   in Loop: Header=BB537_4 Depth=1
	s_wait_xcnt 0x0
	s_and_saveexec_b32 s6, s5
	s_cbranch_execz .LBB537_2
; %bb.37:                               ;   in Loop: Header=BB537_4 Depth=1
	v_add_nc_u64_e32 v[8:9], s[38:39], v[8:9]
	flat_store_b32 v[8:9], v14
	s_branch .LBB537_2
.LBB537_38:
	s_endpgm
	.section	.rodata,"a",@progbits
	.p2align	6, 0x0
	.amdhsa_kernel _ZL32rocblas_gemvt_warp_reduce_kernelILb1ELi1024ElPKDF16_PKfKPfEviiT3_lPKT2_lT1_lS9_lSA_lS6_lPT4_lSA_li
		.amdhsa_group_segment_fixed_size 128
		.amdhsa_private_segment_fixed_size 0
		.amdhsa_kernarg_size 140
		.amdhsa_user_sgpr_count 2
		.amdhsa_user_sgpr_dispatch_ptr 0
		.amdhsa_user_sgpr_queue_ptr 0
		.amdhsa_user_sgpr_kernarg_segment_ptr 1
		.amdhsa_user_sgpr_dispatch_id 0
		.amdhsa_user_sgpr_kernarg_preload_length 0
		.amdhsa_user_sgpr_kernarg_preload_offset 0
		.amdhsa_user_sgpr_private_segment_size 0
		.amdhsa_wavefront_size32 1
		.amdhsa_uses_dynamic_stack 0
		.amdhsa_enable_private_segment 0
		.amdhsa_system_sgpr_workgroup_id_x 1
		.amdhsa_system_sgpr_workgroup_id_y 0
		.amdhsa_system_sgpr_workgroup_id_z 1
		.amdhsa_system_sgpr_workgroup_info 0
		.amdhsa_system_vgpr_workitem_id 0
		.amdhsa_next_free_vgpr 26
		.amdhsa_next_free_sgpr 44
		.amdhsa_named_barrier_count 0
		.amdhsa_reserve_vcc 1
		.amdhsa_float_round_mode_32 0
		.amdhsa_float_round_mode_16_64 0
		.amdhsa_float_denorm_mode_32 3
		.amdhsa_float_denorm_mode_16_64 3
		.amdhsa_fp16_overflow 0
		.amdhsa_memory_ordered 1
		.amdhsa_forward_progress 1
		.amdhsa_inst_pref_size 12
		.amdhsa_round_robin_scheduling 0
		.amdhsa_exception_fp_ieee_invalid_op 0
		.amdhsa_exception_fp_denorm_src 0
		.amdhsa_exception_fp_ieee_div_zero 0
		.amdhsa_exception_fp_ieee_overflow 0
		.amdhsa_exception_fp_ieee_underflow 0
		.amdhsa_exception_fp_ieee_inexact 0
		.amdhsa_exception_int_div_zero 0
	.end_amdhsa_kernel
	.section	.text._ZL32rocblas_gemvt_warp_reduce_kernelILb1ELi1024ElPKDF16_PKfKPfEviiT3_lPKT2_lT1_lS9_lSA_lS6_lPT4_lSA_li,"axG",@progbits,_ZL32rocblas_gemvt_warp_reduce_kernelILb1ELi1024ElPKDF16_PKfKPfEviiT3_lPKT2_lT1_lS9_lSA_lS6_lPT4_lSA_li,comdat
.Lfunc_end537:
	.size	_ZL32rocblas_gemvt_warp_reduce_kernelILb1ELi1024ElPKDF16_PKfKPfEviiT3_lPKT2_lT1_lS9_lSA_lS6_lPT4_lSA_li, .Lfunc_end537-_ZL32rocblas_gemvt_warp_reduce_kernelILb1ELi1024ElPKDF16_PKfKPfEviiT3_lPKT2_lT1_lS9_lSA_lS6_lPT4_lSA_li
                                        ; -- End function
	.set _ZL32rocblas_gemvt_warp_reduce_kernelILb1ELi1024ElPKDF16_PKfKPfEviiT3_lPKT2_lT1_lS9_lSA_lS6_lPT4_lSA_li.num_vgpr, 26
	.set _ZL32rocblas_gemvt_warp_reduce_kernelILb1ELi1024ElPKDF16_PKfKPfEviiT3_lPKT2_lT1_lS9_lSA_lS6_lPT4_lSA_li.num_agpr, 0
	.set _ZL32rocblas_gemvt_warp_reduce_kernelILb1ELi1024ElPKDF16_PKfKPfEviiT3_lPKT2_lT1_lS9_lSA_lS6_lPT4_lSA_li.numbered_sgpr, 44
	.set _ZL32rocblas_gemvt_warp_reduce_kernelILb1ELi1024ElPKDF16_PKfKPfEviiT3_lPKT2_lT1_lS9_lSA_lS6_lPT4_lSA_li.num_named_barrier, 0
	.set _ZL32rocblas_gemvt_warp_reduce_kernelILb1ELi1024ElPKDF16_PKfKPfEviiT3_lPKT2_lT1_lS9_lSA_lS6_lPT4_lSA_li.private_seg_size, 0
	.set _ZL32rocblas_gemvt_warp_reduce_kernelILb1ELi1024ElPKDF16_PKfKPfEviiT3_lPKT2_lT1_lS9_lSA_lS6_lPT4_lSA_li.uses_vcc, 1
	.set _ZL32rocblas_gemvt_warp_reduce_kernelILb1ELi1024ElPKDF16_PKfKPfEviiT3_lPKT2_lT1_lS9_lSA_lS6_lPT4_lSA_li.uses_flat_scratch, 0
	.set _ZL32rocblas_gemvt_warp_reduce_kernelILb1ELi1024ElPKDF16_PKfKPfEviiT3_lPKT2_lT1_lS9_lSA_lS6_lPT4_lSA_li.has_dyn_sized_stack, 0
	.set _ZL32rocblas_gemvt_warp_reduce_kernelILb1ELi1024ElPKDF16_PKfKPfEviiT3_lPKT2_lT1_lS9_lSA_lS6_lPT4_lSA_li.has_recursion, 0
	.set _ZL32rocblas_gemvt_warp_reduce_kernelILb1ELi1024ElPKDF16_PKfKPfEviiT3_lPKT2_lT1_lS9_lSA_lS6_lPT4_lSA_li.has_indirect_call, 0
	.section	.AMDGPU.csdata,"",@progbits
; Kernel info:
; codeLenInByte = 1488
; TotalNumSgprs: 46
; NumVgprs: 26
; ScratchSize: 0
; MemoryBound: 0
; FloatMode: 240
; IeeeMode: 1
; LDSByteSize: 128 bytes/workgroup (compile time only)
; SGPRBlocks: 0
; VGPRBlocks: 1
; NumSGPRsForWavesPerEU: 46
; NumVGPRsForWavesPerEU: 26
; NamedBarCnt: 0
; Occupancy: 16
; WaveLimiterHint : 1
; COMPUTE_PGM_RSRC2:SCRATCH_EN: 0
; COMPUTE_PGM_RSRC2:USER_SGPR: 2
; COMPUTE_PGM_RSRC2:TRAP_HANDLER: 0
; COMPUTE_PGM_RSRC2:TGID_X_EN: 1
; COMPUTE_PGM_RSRC2:TGID_Y_EN: 0
; COMPUTE_PGM_RSRC2:TGID_Z_EN: 1
; COMPUTE_PGM_RSRC2:TIDIG_COMP_CNT: 0
	.section	.text._ZL32rocblas_gemvt_warp_reduce_kernelILb1ELi1024EiPKDF16_fKPfEviiT3_lPKT2_lT1_lS7_lS8_lS4_lPT4_lS8_li,"axG",@progbits,_ZL32rocblas_gemvt_warp_reduce_kernelILb1ELi1024EiPKDF16_fKPfEviiT3_lPKT2_lT1_lS7_lS8_lS4_lPT4_lS8_li,comdat
	.globl	_ZL32rocblas_gemvt_warp_reduce_kernelILb1ELi1024EiPKDF16_fKPfEviiT3_lPKT2_lT1_lS7_lS8_lS4_lPT4_lS8_li ; -- Begin function _ZL32rocblas_gemvt_warp_reduce_kernelILb1ELi1024EiPKDF16_fKPfEviiT3_lPKT2_lT1_lS7_lS8_lS4_lPT4_lS8_li
	.p2align	8
	.type	_ZL32rocblas_gemvt_warp_reduce_kernelILb1ELi1024EiPKDF16_fKPfEviiT3_lPKT2_lT1_lS7_lS8_lS4_lPT4_lS8_li,@function
_ZL32rocblas_gemvt_warp_reduce_kernelILb1ELi1024EiPKDF16_fKPfEviiT3_lPKT2_lT1_lS7_lS8_lS4_lPT4_lS8_li: ; @_ZL32rocblas_gemvt_warp_reduce_kernelILb1ELi1024EiPKDF16_fKPfEviiT3_lPKT2_lT1_lS7_lS8_lS4_lPT4_lS8_li
; %bb.0:
	s_load_b32 s5, s[0:1], 0x88
	s_bfe_u32 s2, ttmp6, 0x40014
	s_lshr_b32 s3, ttmp7, 16
	s_add_co_i32 s2, s2, 1
	s_bfe_u32 s6, ttmp6, 0x40008
	s_mul_i32 s4, s3, s2
	s_getreg_b32 s2, hwreg(HW_REG_IB_STS2, 6, 4)
	s_add_co_i32 s6, s6, s4
	s_cmp_eq_u32 s2, 0
	s_mov_b32 s7, 0
	s_cselect_b32 s6, s3, s6
	s_wait_kmcnt 0x0
	s_cmp_ge_u32 s6, s5
	s_cbranch_scc1 .LBB538_40
; %bb.1:
	s_clause 0x8
	s_load_b32 s26, s[0:1], 0x8
	s_load_b32 s27, s[0:1], 0x58
	s_load_b128 s[8:11], s[0:1], 0x18
	s_load_b32 s3, s[0:1], 0x28
	s_load_b32 s4, s[0:1], 0x0
	s_load_b128 s[12:15], s[0:1], 0x38
	s_load_b32 s21, s[0:1], 0x48
	s_load_b128 s[16:19], s[0:1], 0x68
	s_load_b32 s22, s[0:1], 0x78
	v_dual_mov_b32 v3, 0 :: v_dual_bitop2_b32 v2, 31, v0 bitop3:0x40
	v_lshrrev_b32_e32 v4, 3, v0
	v_mbcnt_lo_u32_b32 v14, -1, 0
	s_wait_xcnt 0x0
	v_cmp_gt_u32_e64 s1, 32, v0
	v_lshlrev_b32_e32 v15, 2, v2
	v_and_b32_e32 v16, 0x7c, v4
	v_lshl_or_b32 v18, v14, 2, 64
	s_wait_kmcnt 0x0
	s_cmp_eq_f32 s26, 0
	v_mul_lo_u32 v17, v0, s21
	s_cselect_b32 s28, -1, 0
	s_cmp_neq_f32 s27, 1.0
	v_cmp_gt_i32_e32 vcc_lo, s4, v0
	s_cselect_b32 s20, -1, 0
	s_cmp_neq_f32 s26, 0
	s_cselect_b32 s0, -1, 0
	s_delay_alu instid0(SALU_CYCLE_1)
	s_or_b32 s29, s0, s20
	s_cmp_neq_f32 s27, 0
	v_cndmask_b32_e64 v1, 0, 1, s0
	v_cmp_eq_u32_e64 s0, 0, v0
	s_cselect_b32 s30, -1, 0
	s_bfe_u32 s20, ttmp6, 0x4000c
	s_and_b32 s23, ttmp6, 15
	s_add_co_i32 s20, s20, 1
	s_delay_alu instid0(SALU_CYCLE_1) | instskip(NEXT) | instid1(SALU_CYCLE_1)
	s_mul_i32 s20, ttmp9, s20
	s_add_co_i32 s23, s23, s20
	s_cmp_eq_u32 s2, 0
	s_cselect_b32 s23, ttmp9, s23
	s_ashr_i32 s2, s4, 31
	s_mul_i32 s24, s22, s23
	s_lshr_b32 s20, s2, 22
	v_cmp_eq_u32_e64 s2, 0, v2
	s_add_co_i32 s20, s4, s20
	s_mul_i32 s22, s3, s23
	s_and_b32 s20, s20, 0xfffffc00
	s_delay_alu instid0(SALU_CYCLE_1)
	v_dual_cndmask_b32 v2, 0, v0, vcc_lo :: v_dual_bitop2_b32 v5, s20, v0 bitop3:0x54
	v_cmp_gt_i32_e64 s3, s20, v0
	s_ashr_i32 s25, s24, 31
	s_lshl_b32 s31, s21, 10
	s_lshl_b64 s[10:11], s[10:11], 1
	v_mul_lo_u32 v4, s21, v5
	v_lshlrev_b32_e32 v2, 1, v2
	v_cmp_gt_i32_e64 s4, s4, v5
	s_ashr_i32 s23, s22, 31
	s_ashr_i32 s21, s20, 31
	s_lshl_b64 s[14:15], s[14:15], 1
	s_lshl_b64 s[18:19], s[18:19], 2
	;; [unrolled: 1-line block ×3, first 2 shown]
	v_ashrrev_i32_e32 v5, 31, v4
	s_branch .LBB538_4
.LBB538_2:                              ;   in Loop: Header=BB538_4 Depth=1
	s_wait_xcnt 0x0
	s_or_b32 exec_lo, exec_lo, s34
.LBB538_3:                              ;   in Loop: Header=BB538_4 Depth=1
	s_add_co_i32 s6, s6, 0x10000
	s_delay_alu instid0(SALU_CYCLE_1)
	s_cmp_lt_u32 s6, s5
	s_cbranch_scc0 .LBB538_40
.LBB538_4:                              ; =>This Loop Header: Depth=1
                                        ;     Child Loop BB538_29 Depth 2
	s_and_not1_b32 vcc_lo, exec_lo, s29
	s_cbranch_vccnz .LBB538_3
; %bb.5:                                ;   in Loop: Header=BB538_4 Depth=1
	s_and_not1_b32 vcc_lo, exec_lo, s28
	s_cbranch_vccnz .LBB538_7
; %bb.6:                                ;   in Loop: Header=BB538_4 Depth=1
	v_mov_b64_e32 v[8:9], 0
	v_mov_b64_e32 v[10:11], 0
	s_cbranch_execz .LBB538_8
	s_branch .LBB538_9
.LBB538_7:                              ;   in Loop: Header=BB538_4 Depth=1
	v_mov_b64_e32 v[8:9], 0
	v_mov_b64_e32 v[10:11], 0
.LBB538_8:                              ;   in Loop: Header=BB538_4 Depth=1
	s_lshl_b64 s[34:35], s[6:7], 3
	s_delay_alu instid0(SALU_CYCLE_1)
	s_add_nc_u64 s[34:35], s[8:9], s[34:35]
	global_load_b64 v[6:7], v3, s[34:35]
	s_wait_loadcnt 0x0
	v_add_nc_u64_e32 v[10:11], s[10:11], v[6:7]
.LBB538_9:                              ;   in Loop: Header=BB538_4 Depth=1
	v_cmp_ne_u32_e32 vcc_lo, 1, v1
	s_cbranch_vccnz .LBB538_11
; %bb.10:                               ;   in Loop: Header=BB538_4 Depth=1
	s_wait_xcnt 0x0
	s_lshl_b64 s[34:35], s[6:7], 3
	s_delay_alu instid0(SALU_CYCLE_1)
	s_add_nc_u64 s[34:35], s[12:13], s[34:35]
	global_load_b64 v[6:7], v3, s[34:35]
	s_wait_loadcnt 0x0
	v_add_nc_u64_e32 v[8:9], s[14:15], v[6:7]
.LBB538_11:                             ;   in Loop: Header=BB538_4 Depth=1
	s_wait_xcnt 0x0
	s_lshl_b64 s[34:35], s[6:7], 3
	s_and_not1_b32 vcc_lo, exec_lo, s28
	s_add_nc_u64 s[34:35], s[16:17], s[34:35]
	global_load_b64 v[6:7], v3, s[34:35]
	s_wait_loadcnt 0x0
	v_add_nc_u64_e32 v[6:7], s[18:19], v[6:7]
	s_cbranch_vccnz .LBB538_15
; %bb.12:                               ;   in Loop: Header=BB538_4 Depth=1
	s_wait_xcnt 0x0
	s_mov_b32 s34, 0
	s_mov_b32 s33, 0
                                        ; implicit-def: $vgpr12
	s_and_saveexec_b32 s35, s0
	s_cbranch_execz .LBB538_16
; %bb.13:                               ;   in Loop: Header=BB538_4 Depth=1
	s_and_not1_b32 vcc_lo, exec_lo, s30
	s_cbranch_vccnz .LBB538_17
; %bb.14:                               ;   in Loop: Header=BB538_4 Depth=1
	s_wait_dscnt 0x0
	v_add_nc_u64_e32 v[12:13], s[24:25], v[6:7]
	flat_load_b32 v12, v[12:13]
	s_wait_loadcnt_dscnt 0x0
	s_wait_xcnt 0x0
	v_mul_f32_e32 v12, s27, v12
	s_branch .LBB538_18
.LBB538_15:                             ;   in Loop: Header=BB538_4 Depth=1
	s_wait_xcnt 0x0
	s_mov_b32 s33, 0
                                        ; implicit-def: $vgpr12
	s_cbranch_execnz .LBB538_19
	s_branch .LBB538_38
.LBB538_16:                             ;   in Loop: Header=BB538_4 Depth=1
	s_or_b32 exec_lo, exec_lo, s35
	s_delay_alu instid0(SALU_CYCLE_1)
	s_and_b32 vcc_lo, exec_lo, s34
	s_cbranch_vccnz .LBB538_19
	s_branch .LBB538_38
.LBB538_17:                             ;   in Loop: Header=BB538_4 Depth=1
	v_mov_b32_e32 v12, 0
.LBB538_18:                             ;   in Loop: Header=BB538_4 Depth=1
	s_mov_b32 s33, exec_lo
	s_or_b32 exec_lo, exec_lo, s35
	s_delay_alu instid0(SALU_CYCLE_1)
	s_and_b32 vcc_lo, exec_lo, s34
	s_cbranch_vccz .LBB538_38
.LBB538_19:                             ;   in Loop: Header=BB538_4 Depth=1
	v_add_nc_u64_e32 v[10:11], v[10:11], v[2:3]
	v_mov_b32_e32 v19, 0
	s_delay_alu instid0(VALU_DEP_2)
	v_lshl_add_u64 v[10:11], s[22:23], 1, v[10:11]
	s_and_saveexec_b32 s34, s3
	s_cbranch_execnz .LBB538_28
; %bb.20:                               ;   in Loop: Header=BB538_4 Depth=1
	s_or_b32 exec_lo, exec_lo, s34
	s_and_saveexec_b32 s34, s4
	s_cbranch_execnz .LBB538_31
.LBB538_21:                             ;   in Loop: Header=BB538_4 Depth=1
	s_or_b32 exec_lo, exec_lo, s34
	s_and_saveexec_b32 s34, s1
.LBB538_22:                             ;   in Loop: Header=BB538_4 Depth=1
	ds_store_b32 v15, v3
.LBB538_23:                             ;   in Loop: Header=BB538_4 Depth=1
	s_or_b32 exec_lo, exec_lo, s34
	ds_bpermute_b32 v9, v18, v19
	v_cmp_gt_u32_e32 vcc_lo, 24, v14
	s_wait_dscnt 0x0
	s_barrier_signal -1
	s_barrier_wait -1
	v_cndmask_b32_e64 v8, 0, 8, vcc_lo
	v_cmp_gt_u32_e32 vcc_lo, 28, v14
	s_delay_alu instid0(VALU_DEP_2)
	v_add_lshl_u32 v8, v8, v14, 2
	v_add_f32_e32 v10, v19, v9
	v_cndmask_b32_e64 v9, 0, 4, vcc_lo
	v_cmp_gt_u32_e32 vcc_lo, 30, v14
	ds_bpermute_b32 v11, v8, v10
	v_add_lshl_u32 v9, v9, v14, 2
	s_wait_dscnt 0x0
	v_add_f32_e32 v11, v10, v11
	v_cndmask_b32_e64 v10, 0, 2, vcc_lo
	v_cmp_ne_u32_e32 vcc_lo, 31, v14
	ds_bpermute_b32 v12, v9, v11
	v_add_lshl_u32 v10, v10, v14, 2
	v_add_co_ci_u32_e64 v13, null, 0, v14, vcc_lo
	s_wait_dscnt 0x0
	v_add_f32_e32 v11, v11, v12
	ds_bpermute_b32 v12, v10, v11
	s_wait_dscnt 0x0
	v_dual_add_f32 v12, v11, v12 :: v_dual_lshlrev_b32 v11, 2, v13
	ds_bpermute_b32 v13, v11, v12
	s_and_saveexec_b32 s34, s2
	s_cbranch_execz .LBB538_25
; %bb.24:                               ;   in Loop: Header=BB538_4 Depth=1
	s_wait_dscnt 0x0
	v_add_f32_e32 v12, v12, v13
	ds_store_b32 v16, v12
.LBB538_25:                             ;   in Loop: Header=BB538_4 Depth=1
	s_or_b32 exec_lo, exec_lo, s34
	s_wait_dscnt 0x0
	v_mov_b32_e32 v13, 0
	s_barrier_signal -1
	s_barrier_wait -1
	s_and_saveexec_b32 s34, s1
	s_cbranch_execnz .LBB538_32
; %bb.26:                               ;   in Loop: Header=BB538_4 Depth=1
	s_or_b32 exec_lo, exec_lo, s34
	s_and_saveexec_b32 s34, s1
	s_cbranch_execnz .LBB538_33
.LBB538_27:                             ;   in Loop: Header=BB538_4 Depth=1
	s_or_b32 exec_lo, exec_lo, s34
                                        ; implicit-def: $vgpr12
	s_and_saveexec_b32 s34, s0
	s_cbranch_execnz .LBB538_34
	s_branch .LBB538_37
.LBB538_28:                             ;   in Loop: Header=BB538_4 Depth=1
	s_wait_dscnt 0x0
	s_delay_alu instid0(VALU_DEP_1)
	v_mov_b64_e32 v[12:13], v[10:11]
	v_dual_mov_b32 v19, 0 :: v_dual_mov_b32 v20, v0
	v_mov_b32_e32 v21, v17
	s_mov_b32 s35, 0
.LBB538_29:                             ;   Parent Loop BB538_4 Depth=1
                                        ; =>  This Inner Loop Header: Depth=2
	v_readfirstlane_b32 s36, v8
	v_readfirstlane_b32 s37, v9
	flat_load_u16 v22, v[12:13]
	flat_load_u16 v23, v21, s[36:37] scale_offset
	s_wait_xcnt 0x1
	v_add_nc_u64_e32 v[12:13], 0x800, v[12:13]
	s_wait_xcnt 0x0
	v_add_nc_u32_e32 v21, s31, v21
	s_wait_loadcnt_dscnt 0x0
	v_mul_f16_e32 v22, v22, v23
	s_delay_alu instid0(VALU_DEP_1) | instskip(NEXT) | instid1(VALU_DEP_1)
	v_cvt_f32_f16_e32 v22, v22
	v_dual_add_f32 v19, v19, v22 :: v_dual_add_nc_u32 v20, 0x400, v20
	s_delay_alu instid0(VALU_DEP_1) | instskip(SKIP_1) | instid1(SALU_CYCLE_1)
	v_cmp_le_i32_e32 vcc_lo, s20, v20
	s_or_b32 s35, vcc_lo, s35
	s_and_not1_b32 exec_lo, exec_lo, s35
	s_cbranch_execnz .LBB538_29
; %bb.30:                               ;   in Loop: Header=BB538_4 Depth=1
	s_or_b32 exec_lo, exec_lo, s35
	s_delay_alu instid0(SALU_CYCLE_1)
	s_or_b32 exec_lo, exec_lo, s34
	s_and_saveexec_b32 s34, s4
	s_cbranch_execz .LBB538_21
.LBB538_31:                             ;   in Loop: Header=BB538_4 Depth=1
	v_lshl_add_u64 v[10:11], s[20:21], 1, v[10:11]
	v_lshl_add_u64 v[8:9], v[4:5], 1, v[8:9]
	flat_load_u16 v12, v[10:11]
	s_wait_dscnt 0x1
	flat_load_u16 v13, v[8:9]
	s_wait_loadcnt_dscnt 0x0
	s_wait_xcnt 0x0
	v_mul_f16_e32 v8, v12, v13
	s_delay_alu instid0(VALU_DEP_1) | instskip(NEXT) | instid1(VALU_DEP_1)
	v_cvt_f32_f16_e32 v8, v8
	v_add_f32_e32 v19, v19, v8
	s_or_b32 exec_lo, exec_lo, s34
	s_and_saveexec_b32 s34, s1
	s_cbranch_execnz .LBB538_22
	s_branch .LBB538_23
.LBB538_32:                             ;   in Loop: Header=BB538_4 Depth=1
	ds_load_b32 v13, v15
	s_or_b32 exec_lo, exec_lo, s34
	s_and_saveexec_b32 s34, s1
	s_cbranch_execz .LBB538_27
.LBB538_33:                             ;   in Loop: Header=BB538_4 Depth=1
	s_wait_dscnt 0x0
	ds_bpermute_b32 v12, v18, v13
	s_wait_dscnt 0x0
	v_add_f32_e32 v12, v13, v12
	ds_bpermute_b32 v8, v8, v12
	s_wait_dscnt 0x0
	v_add_f32_e32 v8, v12, v8
	;; [unrolled: 3-line block ×5, first 2 shown]
	s_or_b32 exec_lo, exec_lo, s34
                                        ; implicit-def: $vgpr12
	s_and_saveexec_b32 s34, s0
	s_cbranch_execz .LBB538_37
.LBB538_34:                             ;   in Loop: Header=BB538_4 Depth=1
	s_wait_dscnt 0x0
	v_mul_f32_e32 v12, s26, v13
	s_and_not1_b32 vcc_lo, exec_lo, s30
	s_cbranch_vccnz .LBB538_36
; %bb.35:                               ;   in Loop: Header=BB538_4 Depth=1
	v_add_nc_u64_e32 v[8:9], s[24:25], v[6:7]
	flat_load_b32 v8, v[8:9]
	s_wait_loadcnt_dscnt 0x0
	v_fmac_f32_e32 v12, s27, v8
.LBB538_36:                             ;   in Loop: Header=BB538_4 Depth=1
	s_or_b32 s33, s33, exec_lo
.LBB538_37:                             ;   in Loop: Header=BB538_4 Depth=1
	s_wait_xcnt 0x0
	s_or_b32 exec_lo, exec_lo, s34
.LBB538_38:                             ;   in Loop: Header=BB538_4 Depth=1
	s_and_saveexec_b32 s34, s33
	s_cbranch_execz .LBB538_2
; %bb.39:                               ;   in Loop: Header=BB538_4 Depth=1
	v_add_nc_u64_e32 v[6:7], s[24:25], v[6:7]
	flat_store_b32 v[6:7], v12
	s_branch .LBB538_2
.LBB538_40:
	s_endpgm
	.section	.rodata,"a",@progbits
	.p2align	6, 0x0
	.amdhsa_kernel _ZL32rocblas_gemvt_warp_reduce_kernelILb1ELi1024EiPKDF16_fKPfEviiT3_lPKT2_lT1_lS7_lS8_lS4_lPT4_lS8_li
		.amdhsa_group_segment_fixed_size 128
		.amdhsa_private_segment_fixed_size 0
		.amdhsa_kernarg_size 140
		.amdhsa_user_sgpr_count 2
		.amdhsa_user_sgpr_dispatch_ptr 0
		.amdhsa_user_sgpr_queue_ptr 0
		.amdhsa_user_sgpr_kernarg_segment_ptr 1
		.amdhsa_user_sgpr_dispatch_id 0
		.amdhsa_user_sgpr_kernarg_preload_length 0
		.amdhsa_user_sgpr_kernarg_preload_offset 0
		.amdhsa_user_sgpr_private_segment_size 0
		.amdhsa_wavefront_size32 1
		.amdhsa_uses_dynamic_stack 0
		.amdhsa_enable_private_segment 0
		.amdhsa_system_sgpr_workgroup_id_x 1
		.amdhsa_system_sgpr_workgroup_id_y 0
		.amdhsa_system_sgpr_workgroup_id_z 1
		.amdhsa_system_sgpr_workgroup_info 0
		.amdhsa_system_vgpr_workitem_id 0
		.amdhsa_next_free_vgpr 24
		.amdhsa_next_free_sgpr 38
		.amdhsa_named_barrier_count 0
		.amdhsa_reserve_vcc 1
		.amdhsa_float_round_mode_32 0
		.amdhsa_float_round_mode_16_64 0
		.amdhsa_float_denorm_mode_32 3
		.amdhsa_float_denorm_mode_16_64 3
		.amdhsa_fp16_overflow 0
		.amdhsa_memory_ordered 1
		.amdhsa_forward_progress 1
		.amdhsa_inst_pref_size 12
		.amdhsa_round_robin_scheduling 0
		.amdhsa_exception_fp_ieee_invalid_op 0
		.amdhsa_exception_fp_denorm_src 0
		.amdhsa_exception_fp_ieee_div_zero 0
		.amdhsa_exception_fp_ieee_overflow 0
		.amdhsa_exception_fp_ieee_underflow 0
		.amdhsa_exception_fp_ieee_inexact 0
		.amdhsa_exception_int_div_zero 0
	.end_amdhsa_kernel
	.section	.text._ZL32rocblas_gemvt_warp_reduce_kernelILb1ELi1024EiPKDF16_fKPfEviiT3_lPKT2_lT1_lS7_lS8_lS4_lPT4_lS8_li,"axG",@progbits,_ZL32rocblas_gemvt_warp_reduce_kernelILb1ELi1024EiPKDF16_fKPfEviiT3_lPKT2_lT1_lS7_lS8_lS4_lPT4_lS8_li,comdat
.Lfunc_end538:
	.size	_ZL32rocblas_gemvt_warp_reduce_kernelILb1ELi1024EiPKDF16_fKPfEviiT3_lPKT2_lT1_lS7_lS8_lS4_lPT4_lS8_li, .Lfunc_end538-_ZL32rocblas_gemvt_warp_reduce_kernelILb1ELi1024EiPKDF16_fKPfEviiT3_lPKT2_lT1_lS7_lS8_lS4_lPT4_lS8_li
                                        ; -- End function
	.set _ZL32rocblas_gemvt_warp_reduce_kernelILb1ELi1024EiPKDF16_fKPfEviiT3_lPKT2_lT1_lS7_lS8_lS4_lPT4_lS8_li.num_vgpr, 24
	.set _ZL32rocblas_gemvt_warp_reduce_kernelILb1ELi1024EiPKDF16_fKPfEviiT3_lPKT2_lT1_lS7_lS8_lS4_lPT4_lS8_li.num_agpr, 0
	.set _ZL32rocblas_gemvt_warp_reduce_kernelILb1ELi1024EiPKDF16_fKPfEviiT3_lPKT2_lT1_lS7_lS8_lS4_lPT4_lS8_li.numbered_sgpr, 38
	.set _ZL32rocblas_gemvt_warp_reduce_kernelILb1ELi1024EiPKDF16_fKPfEviiT3_lPKT2_lT1_lS7_lS8_lS4_lPT4_lS8_li.num_named_barrier, 0
	.set _ZL32rocblas_gemvt_warp_reduce_kernelILb1ELi1024EiPKDF16_fKPfEviiT3_lPKT2_lT1_lS7_lS8_lS4_lPT4_lS8_li.private_seg_size, 0
	.set _ZL32rocblas_gemvt_warp_reduce_kernelILb1ELi1024EiPKDF16_fKPfEviiT3_lPKT2_lT1_lS7_lS8_lS4_lPT4_lS8_li.uses_vcc, 1
	.set _ZL32rocblas_gemvt_warp_reduce_kernelILb1ELi1024EiPKDF16_fKPfEviiT3_lPKT2_lT1_lS7_lS8_lS4_lPT4_lS8_li.uses_flat_scratch, 0
	.set _ZL32rocblas_gemvt_warp_reduce_kernelILb1ELi1024EiPKDF16_fKPfEviiT3_lPKT2_lT1_lS7_lS8_lS4_lPT4_lS8_li.has_dyn_sized_stack, 0
	.set _ZL32rocblas_gemvt_warp_reduce_kernelILb1ELi1024EiPKDF16_fKPfEviiT3_lPKT2_lT1_lS7_lS8_lS4_lPT4_lS8_li.has_recursion, 0
	.set _ZL32rocblas_gemvt_warp_reduce_kernelILb1ELi1024EiPKDF16_fKPfEviiT3_lPKT2_lT1_lS7_lS8_lS4_lPT4_lS8_li.has_indirect_call, 0
	.section	.AMDGPU.csdata,"",@progbits
; Kernel info:
; codeLenInByte = 1468
; TotalNumSgprs: 40
; NumVgprs: 24
; ScratchSize: 0
; MemoryBound: 0
; FloatMode: 240
; IeeeMode: 1
; LDSByteSize: 128 bytes/workgroup (compile time only)
; SGPRBlocks: 0
; VGPRBlocks: 1
; NumSGPRsForWavesPerEU: 40
; NumVGPRsForWavesPerEU: 24
; NamedBarCnt: 0
; Occupancy: 16
; WaveLimiterHint : 1
; COMPUTE_PGM_RSRC2:SCRATCH_EN: 0
; COMPUTE_PGM_RSRC2:USER_SGPR: 2
; COMPUTE_PGM_RSRC2:TRAP_HANDLER: 0
; COMPUTE_PGM_RSRC2:TGID_X_EN: 1
; COMPUTE_PGM_RSRC2:TGID_Y_EN: 0
; COMPUTE_PGM_RSRC2:TGID_Z_EN: 1
; COMPUTE_PGM_RSRC2:TIDIG_COMP_CNT: 0
	.section	.text._ZL32rocblas_gemvt_warp_reduce_kernelILb1ELi1024ElPKDF16_fKPfEviiT3_lPKT2_lT1_lS7_lS8_lS4_lPT4_lS8_li,"axG",@progbits,_ZL32rocblas_gemvt_warp_reduce_kernelILb1ELi1024ElPKDF16_fKPfEviiT3_lPKT2_lT1_lS7_lS8_lS4_lPT4_lS8_li,comdat
	.globl	_ZL32rocblas_gemvt_warp_reduce_kernelILb1ELi1024ElPKDF16_fKPfEviiT3_lPKT2_lT1_lS7_lS8_lS4_lPT4_lS8_li ; -- Begin function _ZL32rocblas_gemvt_warp_reduce_kernelILb1ELi1024ElPKDF16_fKPfEviiT3_lPKT2_lT1_lS7_lS8_lS4_lPT4_lS8_li
	.p2align	8
	.type	_ZL32rocblas_gemvt_warp_reduce_kernelILb1ELi1024ElPKDF16_fKPfEviiT3_lPKT2_lT1_lS7_lS8_lS4_lPT4_lS8_li,@function
_ZL32rocblas_gemvt_warp_reduce_kernelILb1ELi1024ElPKDF16_fKPfEviiT3_lPKT2_lT1_lS7_lS8_lS4_lPT4_lS8_li: ; @_ZL32rocblas_gemvt_warp_reduce_kernelILb1ELi1024ElPKDF16_fKPfEviiT3_lPKT2_lT1_lS7_lS8_lS4_lPT4_lS8_li
; %bb.0:
	s_load_b32 s5, s[0:1], 0x88
	s_bfe_u32 s2, ttmp6, 0x40014
	s_lshr_b32 s3, ttmp7, 16
	s_add_co_i32 s2, s2, 1
	s_bfe_u32 s6, ttmp6, 0x40008
	s_mul_i32 s4, s3, s2
	s_getreg_b32 s2, hwreg(HW_REG_IB_STS2, 6, 4)
	s_add_co_i32 s6, s6, s4
	s_cmp_eq_u32 s2, 0
	s_mov_b32 s7, 0
	s_cselect_b32 s6, s3, s6
	s_wait_kmcnt 0x0
	s_cmp_ge_u32 s6, s5
	s_cbranch_scc1 .LBB539_40
; %bb.1:
	s_clause 0x7
	s_load_b32 s28, s[0:1], 0x8
	s_load_b32 s29, s[0:1], 0x58
	s_load_b128 s[8:11], s[0:1], 0x18
	s_load_b64 s[22:23], s[0:1], 0x28
	s_load_b32 s4, s[0:1], 0x0
	s_load_b128 s[12:15], s[0:1], 0x68
	s_load_b64 s[24:25], s[0:1], 0x48
	s_load_b64 s[26:27], s[0:1], 0x78
	v_mbcnt_lo_u32_b32 v20, -1, 0
	s_delay_alu instid0(VALU_DEP_1)
	v_lshl_or_b32 v21, v20, 2, 64
	s_wait_kmcnt 0x0
	s_cmp_eq_f32 s28, 0
	s_cselect_b32 s30, -1, 0
	s_cmp_neq_f32 s29, 1.0
	s_cselect_b32 s3, -1, 0
	s_cmp_neq_f32 s28, 0
	s_cselect_b32 s16, -1, 0
	s_delay_alu instid0(SALU_CYCLE_1)
	s_or_b32 s31, s16, s3
	s_cmp_neq_f32 s29, 0
	v_cndmask_b32_e64 v18, 0, 1, s16
	s_cselect_b32 s33, -1, 0
	s_bfe_u32 s3, ttmp6, 0x4000c
	s_and_b32 s16, ttmp6, 15
	s_add_co_i32 s3, s3, 1
	s_delay_alu instid0(SALU_CYCLE_1) | instskip(NEXT) | instid1(SALU_CYCLE_1)
	s_mul_i32 s3, ttmp9, s3
	s_add_co_i32 s16, s16, s3
	s_cmp_eq_u32 s2, 0
	s_cselect_b32 s2, ttmp9, s16
	s_load_b128 s[16:19], s[0:1], 0x38
	s_ashr_i32 s3, s4, 31
	v_cmp_gt_i32_e32 vcc_lo, s4, v0
	s_lshr_b32 s3, s3, 22
	s_wait_xcnt 0x0
	v_cmp_eq_u32_e64 s0, 0, v0
	s_add_co_i32 s3, s4, s3
	s_lshl_b64 s[10:11], s[10:11], 1
	s_and_b32 s20, s3, 0xfffffc00
	s_delay_alu instid0(SALU_CYCLE_1) | instskip(SKIP_3) | instid1(VALU_DEP_2)
	v_dual_mov_b32 v3, 0 :: v_dual_bitop2_b32 v8, s20, v0 bitop3:0x54
	s_ashr_i32 s3, s2, 31
	v_cndmask_b32_e32 v2, 0, v0, vcc_lo
	s_mul_u64 s[26:27], s[26:27], s[2:3]
	v_dual_mov_b32 v1, v3 :: v_dual_ashrrev_i32 v9, 31, v8
	s_mul_u64 s[22:23], s[22:23], s[2:3]
	v_cmp_gt_i32_e64 s2, s4, v8
	v_cmp_gt_i32_e64 s1, s20, v0
	s_delay_alu instid0(VALU_DEP_3)
	v_mul_u64_e32 v[6:7], s[24:25], v[0:1]
	v_mul_u64_e32 v[4:5], s[24:25], v[8:9]
	v_dual_lshrrev_b32 v8, 3, v0 :: v_dual_bitop2_b32 v9, 31, v0 bitop3:0x40
	v_cmp_gt_u32_e64 s3, 32, v0
	v_lshlrev_b32_e32 v2, 1, v2
	s_ashr_i32 s21, s20, 31
	v_lshlrev_b32_e32 v1, 2, v9
	v_cmp_eq_u32_e64 s4, 0, v9
	v_and_b32_e32 v19, 0x7c, v8
	s_lshl_b64 s[24:25], s[24:25], 11
	s_wait_kmcnt 0x0
	s_lshl_b64 s[18:19], s[18:19], 1
	s_lshl_b64 s[14:15], s[14:15], 2
	;; [unrolled: 1-line block ×3, first 2 shown]
	v_lshlrev_b64_e32 v[6:7], 1, v[6:7]
	s_branch .LBB539_4
.LBB539_2:                              ;   in Loop: Header=BB539_4 Depth=1
	s_wait_xcnt 0x0
	s_or_b32 exec_lo, exec_lo, s35
.LBB539_3:                              ;   in Loop: Header=BB539_4 Depth=1
	s_add_co_i32 s6, s6, 0x10000
	s_delay_alu instid0(SALU_CYCLE_1)
	s_cmp_lt_u32 s6, s5
	s_cbranch_scc0 .LBB539_40
.LBB539_4:                              ; =>This Loop Header: Depth=1
                                        ;     Child Loop BB539_29 Depth 2
	s_and_not1_b32 vcc_lo, exec_lo, s31
	s_cbranch_vccnz .LBB539_3
; %bb.5:                                ;   in Loop: Header=BB539_4 Depth=1
	s_and_not1_b32 vcc_lo, exec_lo, s30
	s_cbranch_vccnz .LBB539_7
; %bb.6:                                ;   in Loop: Header=BB539_4 Depth=1
	v_mov_b64_e32 v[10:11], 0
	v_mov_b64_e32 v[12:13], 0
	s_cbranch_execz .LBB539_8
	s_branch .LBB539_9
.LBB539_7:                              ;   in Loop: Header=BB539_4 Depth=1
	v_mov_b64_e32 v[10:11], 0
	v_mov_b64_e32 v[12:13], 0
.LBB539_8:                              ;   in Loop: Header=BB539_4 Depth=1
	s_lshl_b64 s[34:35], s[6:7], 3
	s_delay_alu instid0(SALU_CYCLE_1)
	s_add_nc_u64 s[34:35], s[8:9], s[34:35]
	global_load_b64 v[8:9], v3, s[34:35]
	s_wait_loadcnt 0x0
	v_add_nc_u64_e32 v[12:13], s[10:11], v[8:9]
.LBB539_9:                              ;   in Loop: Header=BB539_4 Depth=1
	v_cmp_ne_u32_e32 vcc_lo, 1, v18
	s_cbranch_vccnz .LBB539_11
; %bb.10:                               ;   in Loop: Header=BB539_4 Depth=1
	s_wait_xcnt 0x0
	s_lshl_b64 s[34:35], s[6:7], 3
	s_delay_alu instid0(SALU_CYCLE_1)
	s_add_nc_u64 s[34:35], s[16:17], s[34:35]
	global_load_b64 v[8:9], v3, s[34:35]
	s_wait_loadcnt 0x0
	v_add_nc_u64_e32 v[10:11], s[18:19], v[8:9]
.LBB539_11:                             ;   in Loop: Header=BB539_4 Depth=1
	s_wait_xcnt 0x0
	s_lshl_b64 s[34:35], s[6:7], 3
	s_and_not1_b32 vcc_lo, exec_lo, s30
	s_add_nc_u64 s[34:35], s[12:13], s[34:35]
	global_load_b64 v[8:9], v3, s[34:35]
	s_wait_loadcnt 0x0
	v_add_nc_u64_e32 v[8:9], s[14:15], v[8:9]
	s_cbranch_vccnz .LBB539_15
; %bb.12:                               ;   in Loop: Header=BB539_4 Depth=1
	s_wait_xcnt 0x0
	s_mov_b32 s35, 0
	s_mov_b32 s34, 0
                                        ; implicit-def: $vgpr14
	s_and_saveexec_b32 s36, s0
	s_cbranch_execz .LBB539_16
; %bb.13:                               ;   in Loop: Header=BB539_4 Depth=1
	s_and_not1_b32 vcc_lo, exec_lo, s33
	s_cbranch_vccnz .LBB539_17
; %bb.14:                               ;   in Loop: Header=BB539_4 Depth=1
	s_wait_dscnt 0x0
	v_add_nc_u64_e32 v[14:15], s[26:27], v[8:9]
	flat_load_b32 v14, v[14:15]
	s_wait_loadcnt_dscnt 0x0
	s_wait_xcnt 0x0
	v_mul_f32_e32 v14, s29, v14
	s_branch .LBB539_18
.LBB539_15:                             ;   in Loop: Header=BB539_4 Depth=1
	s_wait_xcnt 0x0
	s_mov_b32 s34, 0
                                        ; implicit-def: $vgpr14
	s_cbranch_execnz .LBB539_19
	s_branch .LBB539_38
.LBB539_16:                             ;   in Loop: Header=BB539_4 Depth=1
	s_or_b32 exec_lo, exec_lo, s36
	s_delay_alu instid0(SALU_CYCLE_1)
	s_and_b32 vcc_lo, exec_lo, s35
	s_cbranch_vccnz .LBB539_19
	s_branch .LBB539_38
.LBB539_17:                             ;   in Loop: Header=BB539_4 Depth=1
	v_mov_b32_e32 v14, 0
.LBB539_18:                             ;   in Loop: Header=BB539_4 Depth=1
	s_mov_b32 s34, exec_lo
	s_or_b32 exec_lo, exec_lo, s36
	s_delay_alu instid0(SALU_CYCLE_1)
	s_and_b32 vcc_lo, exec_lo, s35
	s_cbranch_vccz .LBB539_38
.LBB539_19:                             ;   in Loop: Header=BB539_4 Depth=1
	v_add_nc_u64_e32 v[12:13], v[12:13], v[2:3]
	v_mov_b32_e32 v22, 0
	s_delay_alu instid0(VALU_DEP_2)
	v_lshl_add_u64 v[12:13], s[22:23], 1, v[12:13]
	s_and_saveexec_b32 s35, s1
	s_cbranch_execnz .LBB539_28
; %bb.20:                               ;   in Loop: Header=BB539_4 Depth=1
	s_or_b32 exec_lo, exec_lo, s35
	s_and_saveexec_b32 s35, s2
	s_cbranch_execnz .LBB539_31
.LBB539_21:                             ;   in Loop: Header=BB539_4 Depth=1
	s_or_b32 exec_lo, exec_lo, s35
	s_and_saveexec_b32 s35, s3
.LBB539_22:                             ;   in Loop: Header=BB539_4 Depth=1
	ds_store_b32 v1, v3
.LBB539_23:                             ;   in Loop: Header=BB539_4 Depth=1
	s_or_b32 exec_lo, exec_lo, s35
	ds_bpermute_b32 v11, v21, v22
	v_cmp_gt_u32_e32 vcc_lo, 24, v20
	s_wait_dscnt 0x0
	s_barrier_signal -1
	s_barrier_wait -1
	v_cndmask_b32_e64 v10, 0, 8, vcc_lo
	v_cmp_gt_u32_e32 vcc_lo, 28, v20
	s_delay_alu instid0(VALU_DEP_2)
	v_add_lshl_u32 v10, v10, v20, 2
	v_add_f32_e32 v12, v22, v11
	v_cndmask_b32_e64 v11, 0, 4, vcc_lo
	v_cmp_gt_u32_e32 vcc_lo, 30, v20
	ds_bpermute_b32 v13, v10, v12
	v_add_lshl_u32 v11, v11, v20, 2
	s_wait_dscnt 0x0
	v_add_f32_e32 v13, v12, v13
	v_cndmask_b32_e64 v12, 0, 2, vcc_lo
	v_cmp_ne_u32_e32 vcc_lo, 31, v20
	ds_bpermute_b32 v14, v11, v13
	v_add_lshl_u32 v12, v12, v20, 2
	v_add_co_ci_u32_e64 v15, null, 0, v20, vcc_lo
	s_wait_dscnt 0x0
	v_add_f32_e32 v13, v13, v14
	ds_bpermute_b32 v14, v12, v13
	s_wait_dscnt 0x0
	v_dual_add_f32 v14, v13, v14 :: v_dual_lshlrev_b32 v13, 2, v15
	ds_bpermute_b32 v15, v13, v14
	s_and_saveexec_b32 s35, s4
	s_cbranch_execz .LBB539_25
; %bb.24:                               ;   in Loop: Header=BB539_4 Depth=1
	s_wait_dscnt 0x0
	v_add_f32_e32 v14, v14, v15
	ds_store_b32 v19, v14
.LBB539_25:                             ;   in Loop: Header=BB539_4 Depth=1
	s_or_b32 exec_lo, exec_lo, s35
	s_wait_dscnt 0x0
	v_mov_b32_e32 v15, 0
	s_barrier_signal -1
	s_barrier_wait -1
	s_and_saveexec_b32 s35, s3
	s_cbranch_execnz .LBB539_32
; %bb.26:                               ;   in Loop: Header=BB539_4 Depth=1
	s_or_b32 exec_lo, exec_lo, s35
	s_and_saveexec_b32 s35, s3
	s_cbranch_execnz .LBB539_33
.LBB539_27:                             ;   in Loop: Header=BB539_4 Depth=1
	s_or_b32 exec_lo, exec_lo, s35
                                        ; implicit-def: $vgpr14
	s_and_saveexec_b32 s35, s0
	s_cbranch_execnz .LBB539_34
	s_branch .LBB539_37
.LBB539_28:                             ;   in Loop: Header=BB539_4 Depth=1
	s_wait_dscnt 0x0
	v_add_nc_u64_e32 v[14:15], v[10:11], v[6:7]
	v_mov_b64_e32 v[16:17], v[12:13]
	v_dual_mov_b32 v22, 0 :: v_dual_mov_b32 v23, v0
	s_mov_b32 s36, 0
.LBB539_29:                             ;   Parent Loop BB539_4 Depth=1
                                        ; =>  This Inner Loop Header: Depth=2
	flat_load_u16 v24, v[16:17]
	flat_load_u16 v25, v[14:15]
	s_wait_xcnt 0x1
	v_add_nc_u64_e32 v[16:17], 0x800, v[16:17]
	s_wait_xcnt 0x0
	v_add_nc_u64_e32 v[14:15], s[24:25], v[14:15]
	s_wait_loadcnt_dscnt 0x0
	v_mul_f16_e32 v24, v24, v25
	s_delay_alu instid0(VALU_DEP_1) | instskip(NEXT) | instid1(VALU_DEP_1)
	v_cvt_f32_f16_e32 v24, v24
	v_dual_add_f32 v22, v22, v24 :: v_dual_add_nc_u32 v23, 0x400, v23
	s_delay_alu instid0(VALU_DEP_1) | instskip(SKIP_1) | instid1(SALU_CYCLE_1)
	v_cmp_le_i32_e32 vcc_lo, s20, v23
	s_or_b32 s36, vcc_lo, s36
	s_and_not1_b32 exec_lo, exec_lo, s36
	s_cbranch_execnz .LBB539_29
; %bb.30:                               ;   in Loop: Header=BB539_4 Depth=1
	s_or_b32 exec_lo, exec_lo, s36
	s_delay_alu instid0(SALU_CYCLE_1)
	s_or_b32 exec_lo, exec_lo, s35
	s_and_saveexec_b32 s35, s2
	s_cbranch_execz .LBB539_21
.LBB539_31:                             ;   in Loop: Header=BB539_4 Depth=1
	v_lshl_add_u64 v[12:13], s[20:21], 1, v[12:13]
	v_lshl_add_u64 v[10:11], v[4:5], 1, v[10:11]
	flat_load_u16 v14, v[12:13]
	s_wait_dscnt 0x1
	flat_load_u16 v15, v[10:11]
	s_wait_loadcnt_dscnt 0x0
	s_wait_xcnt 0x0
	v_mul_f16_e32 v10, v14, v15
	s_delay_alu instid0(VALU_DEP_1) | instskip(NEXT) | instid1(VALU_DEP_1)
	v_cvt_f32_f16_e32 v10, v10
	v_add_f32_e32 v22, v22, v10
	s_or_b32 exec_lo, exec_lo, s35
	s_and_saveexec_b32 s35, s3
	s_cbranch_execnz .LBB539_22
	s_branch .LBB539_23
.LBB539_32:                             ;   in Loop: Header=BB539_4 Depth=1
	ds_load_b32 v15, v1
	s_or_b32 exec_lo, exec_lo, s35
	s_and_saveexec_b32 s35, s3
	s_cbranch_execz .LBB539_27
.LBB539_33:                             ;   in Loop: Header=BB539_4 Depth=1
	s_wait_dscnt 0x0
	ds_bpermute_b32 v14, v21, v15
	s_wait_dscnt 0x0
	v_add_f32_e32 v14, v15, v14
	ds_bpermute_b32 v10, v10, v14
	s_wait_dscnt 0x0
	v_add_f32_e32 v10, v14, v10
	;; [unrolled: 3-line block ×5, first 2 shown]
	s_or_b32 exec_lo, exec_lo, s35
                                        ; implicit-def: $vgpr14
	s_and_saveexec_b32 s35, s0
	s_cbranch_execz .LBB539_37
.LBB539_34:                             ;   in Loop: Header=BB539_4 Depth=1
	s_wait_dscnt 0x0
	v_mul_f32_e32 v14, s28, v15
	s_and_not1_b32 vcc_lo, exec_lo, s33
	s_cbranch_vccnz .LBB539_36
; %bb.35:                               ;   in Loop: Header=BB539_4 Depth=1
	v_add_nc_u64_e32 v[10:11], s[26:27], v[8:9]
	flat_load_b32 v10, v[10:11]
	s_wait_loadcnt_dscnt 0x0
	v_fmac_f32_e32 v14, s29, v10
.LBB539_36:                             ;   in Loop: Header=BB539_4 Depth=1
	s_or_b32 s34, s34, exec_lo
.LBB539_37:                             ;   in Loop: Header=BB539_4 Depth=1
	s_wait_xcnt 0x0
	s_or_b32 exec_lo, exec_lo, s35
.LBB539_38:                             ;   in Loop: Header=BB539_4 Depth=1
	s_and_saveexec_b32 s35, s34
	s_cbranch_execz .LBB539_2
; %bb.39:                               ;   in Loop: Header=BB539_4 Depth=1
	v_add_nc_u64_e32 v[8:9], s[26:27], v[8:9]
	flat_store_b32 v[8:9], v14
	s_branch .LBB539_2
.LBB539_40:
	s_endpgm
	.section	.rodata,"a",@progbits
	.p2align	6, 0x0
	.amdhsa_kernel _ZL32rocblas_gemvt_warp_reduce_kernelILb1ELi1024ElPKDF16_fKPfEviiT3_lPKT2_lT1_lS7_lS8_lS4_lPT4_lS8_li
		.amdhsa_group_segment_fixed_size 128
		.amdhsa_private_segment_fixed_size 0
		.amdhsa_kernarg_size 140
		.amdhsa_user_sgpr_count 2
		.amdhsa_user_sgpr_dispatch_ptr 0
		.amdhsa_user_sgpr_queue_ptr 0
		.amdhsa_user_sgpr_kernarg_segment_ptr 1
		.amdhsa_user_sgpr_dispatch_id 0
		.amdhsa_user_sgpr_kernarg_preload_length 0
		.amdhsa_user_sgpr_kernarg_preload_offset 0
		.amdhsa_user_sgpr_private_segment_size 0
		.amdhsa_wavefront_size32 1
		.amdhsa_uses_dynamic_stack 0
		.amdhsa_enable_private_segment 0
		.amdhsa_system_sgpr_workgroup_id_x 1
		.amdhsa_system_sgpr_workgroup_id_y 0
		.amdhsa_system_sgpr_workgroup_id_z 1
		.amdhsa_system_sgpr_workgroup_info 0
		.amdhsa_system_vgpr_workitem_id 0
		.amdhsa_next_free_vgpr 26
		.amdhsa_next_free_sgpr 37
		.amdhsa_named_barrier_count 0
		.amdhsa_reserve_vcc 1
		.amdhsa_float_round_mode_32 0
		.amdhsa_float_round_mode_16_64 0
		.amdhsa_float_denorm_mode_32 3
		.amdhsa_float_denorm_mode_16_64 3
		.amdhsa_fp16_overflow 0
		.amdhsa_memory_ordered 1
		.amdhsa_forward_progress 1
		.amdhsa_inst_pref_size 12
		.amdhsa_round_robin_scheduling 0
		.amdhsa_exception_fp_ieee_invalid_op 0
		.amdhsa_exception_fp_denorm_src 0
		.amdhsa_exception_fp_ieee_div_zero 0
		.amdhsa_exception_fp_ieee_overflow 0
		.amdhsa_exception_fp_ieee_underflow 0
		.amdhsa_exception_fp_ieee_inexact 0
		.amdhsa_exception_int_div_zero 0
	.end_amdhsa_kernel
	.section	.text._ZL32rocblas_gemvt_warp_reduce_kernelILb1ELi1024ElPKDF16_fKPfEviiT3_lPKT2_lT1_lS7_lS8_lS4_lPT4_lS8_li,"axG",@progbits,_ZL32rocblas_gemvt_warp_reduce_kernelILb1ELi1024ElPKDF16_fKPfEviiT3_lPKT2_lT1_lS7_lS8_lS4_lPT4_lS8_li,comdat
.Lfunc_end539:
	.size	_ZL32rocblas_gemvt_warp_reduce_kernelILb1ELi1024ElPKDF16_fKPfEviiT3_lPKT2_lT1_lS7_lS8_lS4_lPT4_lS8_li, .Lfunc_end539-_ZL32rocblas_gemvt_warp_reduce_kernelILb1ELi1024ElPKDF16_fKPfEviiT3_lPKT2_lT1_lS7_lS8_lS4_lPT4_lS8_li
                                        ; -- End function
	.set _ZL32rocblas_gemvt_warp_reduce_kernelILb1ELi1024ElPKDF16_fKPfEviiT3_lPKT2_lT1_lS7_lS8_lS4_lPT4_lS8_li.num_vgpr, 26
	.set _ZL32rocblas_gemvt_warp_reduce_kernelILb1ELi1024ElPKDF16_fKPfEviiT3_lPKT2_lT1_lS7_lS8_lS4_lPT4_lS8_li.num_agpr, 0
	.set _ZL32rocblas_gemvt_warp_reduce_kernelILb1ELi1024ElPKDF16_fKPfEviiT3_lPKT2_lT1_lS7_lS8_lS4_lPT4_lS8_li.numbered_sgpr, 37
	.set _ZL32rocblas_gemvt_warp_reduce_kernelILb1ELi1024ElPKDF16_fKPfEviiT3_lPKT2_lT1_lS7_lS8_lS4_lPT4_lS8_li.num_named_barrier, 0
	.set _ZL32rocblas_gemvt_warp_reduce_kernelILb1ELi1024ElPKDF16_fKPfEviiT3_lPKT2_lT1_lS7_lS8_lS4_lPT4_lS8_li.private_seg_size, 0
	.set _ZL32rocblas_gemvt_warp_reduce_kernelILb1ELi1024ElPKDF16_fKPfEviiT3_lPKT2_lT1_lS7_lS8_lS4_lPT4_lS8_li.uses_vcc, 1
	.set _ZL32rocblas_gemvt_warp_reduce_kernelILb1ELi1024ElPKDF16_fKPfEviiT3_lPKT2_lT1_lS7_lS8_lS4_lPT4_lS8_li.uses_flat_scratch, 0
	.set _ZL32rocblas_gemvt_warp_reduce_kernelILb1ELi1024ElPKDF16_fKPfEviiT3_lPKT2_lT1_lS7_lS8_lS4_lPT4_lS8_li.has_dyn_sized_stack, 0
	.set _ZL32rocblas_gemvt_warp_reduce_kernelILb1ELi1024ElPKDF16_fKPfEviiT3_lPKT2_lT1_lS7_lS8_lS4_lPT4_lS8_li.has_recursion, 0
	.set _ZL32rocblas_gemvt_warp_reduce_kernelILb1ELi1024ElPKDF16_fKPfEviiT3_lPKT2_lT1_lS7_lS8_lS4_lPT4_lS8_li.has_indirect_call, 0
	.section	.AMDGPU.csdata,"",@progbits
; Kernel info:
; codeLenInByte = 1468
; TotalNumSgprs: 39
; NumVgprs: 26
; ScratchSize: 0
; MemoryBound: 0
; FloatMode: 240
; IeeeMode: 1
; LDSByteSize: 128 bytes/workgroup (compile time only)
; SGPRBlocks: 0
; VGPRBlocks: 1
; NumSGPRsForWavesPerEU: 39
; NumVGPRsForWavesPerEU: 26
; NamedBarCnt: 0
; Occupancy: 16
; WaveLimiterHint : 1
; COMPUTE_PGM_RSRC2:SCRATCH_EN: 0
; COMPUTE_PGM_RSRC2:USER_SGPR: 2
; COMPUTE_PGM_RSRC2:TRAP_HANDLER: 0
; COMPUTE_PGM_RSRC2:TGID_X_EN: 1
; COMPUTE_PGM_RSRC2:TGID_Y_EN: 0
; COMPUTE_PGM_RSRC2:TGID_Z_EN: 1
; COMPUTE_PGM_RSRC2:TIDIG_COMP_CNT: 0
	.section	.text._ZL34rocblas_gemvn_sm_mn_batched_kernelILi32ELi24E16rocblas_bfloat16PKfS0_EviiT2_lPKT1_lilS6_lilS3_lPT3_lili,"axG",@progbits,_ZL34rocblas_gemvn_sm_mn_batched_kernelILi32ELi24E16rocblas_bfloat16PKfS0_EviiT2_lPKT1_lilS6_lilS3_lPT3_lili,comdat
	.globl	_ZL34rocblas_gemvn_sm_mn_batched_kernelILi32ELi24E16rocblas_bfloat16PKfS0_EviiT2_lPKT1_lilS6_lilS3_lPT3_lili ; -- Begin function _ZL34rocblas_gemvn_sm_mn_batched_kernelILi32ELi24E16rocblas_bfloat16PKfS0_EviiT2_lPKT1_lilS6_lilS3_lPT3_lili
	.p2align	8
	.type	_ZL34rocblas_gemvn_sm_mn_batched_kernelILi32ELi24E16rocblas_bfloat16PKfS0_EviiT2_lPKT1_lilS6_lilS3_lPT3_lili,@function
_ZL34rocblas_gemvn_sm_mn_batched_kernelILi32ELi24E16rocblas_bfloat16PKfS0_EviiT2_lPKT1_lilS6_lilS3_lPT3_lili: ; @_ZL34rocblas_gemvn_sm_mn_batched_kernelILi32ELi24E16rocblas_bfloat16PKfS0_EviiT2_lPKT1_lilS6_lilS3_lPT3_lili
; %bb.0:
	s_endpgm
	.section	.rodata,"a",@progbits
	.p2align	6, 0x0
	.amdhsa_kernel _ZL34rocblas_gemvn_sm_mn_batched_kernelILi32ELi24E16rocblas_bfloat16PKfS0_EviiT2_lPKT1_lilS6_lilS3_lPT3_lili
		.amdhsa_group_segment_fixed_size 0
		.amdhsa_private_segment_fixed_size 0
		.amdhsa_kernarg_size 140
		.amdhsa_user_sgpr_count 2
		.amdhsa_user_sgpr_dispatch_ptr 0
		.amdhsa_user_sgpr_queue_ptr 0
		.amdhsa_user_sgpr_kernarg_segment_ptr 1
		.amdhsa_user_sgpr_dispatch_id 0
		.amdhsa_user_sgpr_kernarg_preload_length 0
		.amdhsa_user_sgpr_kernarg_preload_offset 0
		.amdhsa_user_sgpr_private_segment_size 0
		.amdhsa_wavefront_size32 1
		.amdhsa_uses_dynamic_stack 0
		.amdhsa_enable_private_segment 0
		.amdhsa_system_sgpr_workgroup_id_x 1
		.amdhsa_system_sgpr_workgroup_id_y 0
		.amdhsa_system_sgpr_workgroup_id_z 0
		.amdhsa_system_sgpr_workgroup_info 0
		.amdhsa_system_vgpr_workitem_id 0
		.amdhsa_next_free_vgpr 1
		.amdhsa_next_free_sgpr 1
		.amdhsa_named_barrier_count 0
		.amdhsa_reserve_vcc 0
		.amdhsa_float_round_mode_32 0
		.amdhsa_float_round_mode_16_64 0
		.amdhsa_float_denorm_mode_32 3
		.amdhsa_float_denorm_mode_16_64 3
		.amdhsa_fp16_overflow 0
		.amdhsa_memory_ordered 1
		.amdhsa_forward_progress 1
		.amdhsa_inst_pref_size 1
		.amdhsa_round_robin_scheduling 0
		.amdhsa_exception_fp_ieee_invalid_op 0
		.amdhsa_exception_fp_denorm_src 0
		.amdhsa_exception_fp_ieee_div_zero 0
		.amdhsa_exception_fp_ieee_overflow 0
		.amdhsa_exception_fp_ieee_underflow 0
		.amdhsa_exception_fp_ieee_inexact 0
		.amdhsa_exception_int_div_zero 0
	.end_amdhsa_kernel
	.section	.text._ZL34rocblas_gemvn_sm_mn_batched_kernelILi32ELi24E16rocblas_bfloat16PKfS0_EviiT2_lPKT1_lilS6_lilS3_lPT3_lili,"axG",@progbits,_ZL34rocblas_gemvn_sm_mn_batched_kernelILi32ELi24E16rocblas_bfloat16PKfS0_EviiT2_lPKT1_lilS6_lilS3_lPT3_lili,comdat
.Lfunc_end540:
	.size	_ZL34rocblas_gemvn_sm_mn_batched_kernelILi32ELi24E16rocblas_bfloat16PKfS0_EviiT2_lPKT1_lilS6_lilS3_lPT3_lili, .Lfunc_end540-_ZL34rocblas_gemvn_sm_mn_batched_kernelILi32ELi24E16rocblas_bfloat16PKfS0_EviiT2_lPKT1_lilS6_lilS3_lPT3_lili
                                        ; -- End function
	.set _ZL34rocblas_gemvn_sm_mn_batched_kernelILi32ELi24E16rocblas_bfloat16PKfS0_EviiT2_lPKT1_lilS6_lilS3_lPT3_lili.num_vgpr, 0
	.set _ZL34rocblas_gemvn_sm_mn_batched_kernelILi32ELi24E16rocblas_bfloat16PKfS0_EviiT2_lPKT1_lilS6_lilS3_lPT3_lili.num_agpr, 0
	.set _ZL34rocblas_gemvn_sm_mn_batched_kernelILi32ELi24E16rocblas_bfloat16PKfS0_EviiT2_lPKT1_lilS6_lilS3_lPT3_lili.numbered_sgpr, 0
	.set _ZL34rocblas_gemvn_sm_mn_batched_kernelILi32ELi24E16rocblas_bfloat16PKfS0_EviiT2_lPKT1_lilS6_lilS3_lPT3_lili.num_named_barrier, 0
	.set _ZL34rocblas_gemvn_sm_mn_batched_kernelILi32ELi24E16rocblas_bfloat16PKfS0_EviiT2_lPKT1_lilS6_lilS3_lPT3_lili.private_seg_size, 0
	.set _ZL34rocblas_gemvn_sm_mn_batched_kernelILi32ELi24E16rocblas_bfloat16PKfS0_EviiT2_lPKT1_lilS6_lilS3_lPT3_lili.uses_vcc, 0
	.set _ZL34rocblas_gemvn_sm_mn_batched_kernelILi32ELi24E16rocblas_bfloat16PKfS0_EviiT2_lPKT1_lilS6_lilS3_lPT3_lili.uses_flat_scratch, 0
	.set _ZL34rocblas_gemvn_sm_mn_batched_kernelILi32ELi24E16rocblas_bfloat16PKfS0_EviiT2_lPKT1_lilS6_lilS3_lPT3_lili.has_dyn_sized_stack, 0
	.set _ZL34rocblas_gemvn_sm_mn_batched_kernelILi32ELi24E16rocblas_bfloat16PKfS0_EviiT2_lPKT1_lilS6_lilS3_lPT3_lili.has_recursion, 0
	.set _ZL34rocblas_gemvn_sm_mn_batched_kernelILi32ELi24E16rocblas_bfloat16PKfS0_EviiT2_lPKT1_lilS6_lilS3_lPT3_lili.has_indirect_call, 0
	.section	.AMDGPU.csdata,"",@progbits
; Kernel info:
; codeLenInByte = 4
; TotalNumSgprs: 0
; NumVgprs: 0
; ScratchSize: 0
; MemoryBound: 0
; FloatMode: 240
; IeeeMode: 1
; LDSByteSize: 0 bytes/workgroup (compile time only)
; SGPRBlocks: 0
; VGPRBlocks: 0
; NumSGPRsForWavesPerEU: 1
; NumVGPRsForWavesPerEU: 1
; NamedBarCnt: 0
; Occupancy: 16
; WaveLimiterHint : 0
; COMPUTE_PGM_RSRC2:SCRATCH_EN: 0
; COMPUTE_PGM_RSRC2:USER_SGPR: 2
; COMPUTE_PGM_RSRC2:TRAP_HANDLER: 0
; COMPUTE_PGM_RSRC2:TGID_X_EN: 1
; COMPUTE_PGM_RSRC2:TGID_Y_EN: 0
; COMPUTE_PGM_RSRC2:TGID_Z_EN: 0
; COMPUTE_PGM_RSRC2:TIDIG_COMP_CNT: 0
	.section	.text._ZL34rocblas_gemvn_sm_mn_batched_kernelILi32ELi24E16rocblas_bfloat16fS0_EviiT2_lPKT1_lilS4_lilS1_lPT3_lili,"axG",@progbits,_ZL34rocblas_gemvn_sm_mn_batched_kernelILi32ELi24E16rocblas_bfloat16fS0_EviiT2_lPKT1_lilS4_lilS1_lPT3_lili,comdat
	.globl	_ZL34rocblas_gemvn_sm_mn_batched_kernelILi32ELi24E16rocblas_bfloat16fS0_EviiT2_lPKT1_lilS4_lilS1_lPT3_lili ; -- Begin function _ZL34rocblas_gemvn_sm_mn_batched_kernelILi32ELi24E16rocblas_bfloat16fS0_EviiT2_lPKT1_lilS4_lilS1_lPT3_lili
	.p2align	8
	.type	_ZL34rocblas_gemvn_sm_mn_batched_kernelILi32ELi24E16rocblas_bfloat16fS0_EviiT2_lPKT1_lilS4_lilS1_lPT3_lili,@function
_ZL34rocblas_gemvn_sm_mn_batched_kernelILi32ELi24E16rocblas_bfloat16fS0_EviiT2_lPKT1_lilS4_lilS1_lPT3_lili: ; @_ZL34rocblas_gemvn_sm_mn_batched_kernelILi32ELi24E16rocblas_bfloat16fS0_EviiT2_lPKT1_lilS4_lilS1_lPT3_lili
; %bb.0:
	s_endpgm
	.section	.rodata,"a",@progbits
	.p2align	6, 0x0
	.amdhsa_kernel _ZL34rocblas_gemvn_sm_mn_batched_kernelILi32ELi24E16rocblas_bfloat16fS0_EviiT2_lPKT1_lilS4_lilS1_lPT3_lili
		.amdhsa_group_segment_fixed_size 0
		.amdhsa_private_segment_fixed_size 0
		.amdhsa_kernarg_size 140
		.amdhsa_user_sgpr_count 2
		.amdhsa_user_sgpr_dispatch_ptr 0
		.amdhsa_user_sgpr_queue_ptr 0
		.amdhsa_user_sgpr_kernarg_segment_ptr 1
		.amdhsa_user_sgpr_dispatch_id 0
		.amdhsa_user_sgpr_kernarg_preload_length 0
		.amdhsa_user_sgpr_kernarg_preload_offset 0
		.amdhsa_user_sgpr_private_segment_size 0
		.amdhsa_wavefront_size32 1
		.amdhsa_uses_dynamic_stack 0
		.amdhsa_enable_private_segment 0
		.amdhsa_system_sgpr_workgroup_id_x 1
		.amdhsa_system_sgpr_workgroup_id_y 0
		.amdhsa_system_sgpr_workgroup_id_z 0
		.amdhsa_system_sgpr_workgroup_info 0
		.amdhsa_system_vgpr_workitem_id 0
		.amdhsa_next_free_vgpr 1
		.amdhsa_next_free_sgpr 1
		.amdhsa_named_barrier_count 0
		.amdhsa_reserve_vcc 0
		.amdhsa_float_round_mode_32 0
		.amdhsa_float_round_mode_16_64 0
		.amdhsa_float_denorm_mode_32 3
		.amdhsa_float_denorm_mode_16_64 3
		.amdhsa_fp16_overflow 0
		.amdhsa_memory_ordered 1
		.amdhsa_forward_progress 1
		.amdhsa_inst_pref_size 1
		.amdhsa_round_robin_scheduling 0
		.amdhsa_exception_fp_ieee_invalid_op 0
		.amdhsa_exception_fp_denorm_src 0
		.amdhsa_exception_fp_ieee_div_zero 0
		.amdhsa_exception_fp_ieee_overflow 0
		.amdhsa_exception_fp_ieee_underflow 0
		.amdhsa_exception_fp_ieee_inexact 0
		.amdhsa_exception_int_div_zero 0
	.end_amdhsa_kernel
	.section	.text._ZL34rocblas_gemvn_sm_mn_batched_kernelILi32ELi24E16rocblas_bfloat16fS0_EviiT2_lPKT1_lilS4_lilS1_lPT3_lili,"axG",@progbits,_ZL34rocblas_gemvn_sm_mn_batched_kernelILi32ELi24E16rocblas_bfloat16fS0_EviiT2_lPKT1_lilS4_lilS1_lPT3_lili,comdat
.Lfunc_end541:
	.size	_ZL34rocblas_gemvn_sm_mn_batched_kernelILi32ELi24E16rocblas_bfloat16fS0_EviiT2_lPKT1_lilS4_lilS1_lPT3_lili, .Lfunc_end541-_ZL34rocblas_gemvn_sm_mn_batched_kernelILi32ELi24E16rocblas_bfloat16fS0_EviiT2_lPKT1_lilS4_lilS1_lPT3_lili
                                        ; -- End function
	.set _ZL34rocblas_gemvn_sm_mn_batched_kernelILi32ELi24E16rocblas_bfloat16fS0_EviiT2_lPKT1_lilS4_lilS1_lPT3_lili.num_vgpr, 0
	.set _ZL34rocblas_gemvn_sm_mn_batched_kernelILi32ELi24E16rocblas_bfloat16fS0_EviiT2_lPKT1_lilS4_lilS1_lPT3_lili.num_agpr, 0
	.set _ZL34rocblas_gemvn_sm_mn_batched_kernelILi32ELi24E16rocblas_bfloat16fS0_EviiT2_lPKT1_lilS4_lilS1_lPT3_lili.numbered_sgpr, 0
	.set _ZL34rocblas_gemvn_sm_mn_batched_kernelILi32ELi24E16rocblas_bfloat16fS0_EviiT2_lPKT1_lilS4_lilS1_lPT3_lili.num_named_barrier, 0
	.set _ZL34rocblas_gemvn_sm_mn_batched_kernelILi32ELi24E16rocblas_bfloat16fS0_EviiT2_lPKT1_lilS4_lilS1_lPT3_lili.private_seg_size, 0
	.set _ZL34rocblas_gemvn_sm_mn_batched_kernelILi32ELi24E16rocblas_bfloat16fS0_EviiT2_lPKT1_lilS4_lilS1_lPT3_lili.uses_vcc, 0
	.set _ZL34rocblas_gemvn_sm_mn_batched_kernelILi32ELi24E16rocblas_bfloat16fS0_EviiT2_lPKT1_lilS4_lilS1_lPT3_lili.uses_flat_scratch, 0
	.set _ZL34rocblas_gemvn_sm_mn_batched_kernelILi32ELi24E16rocblas_bfloat16fS0_EviiT2_lPKT1_lilS4_lilS1_lPT3_lili.has_dyn_sized_stack, 0
	.set _ZL34rocblas_gemvn_sm_mn_batched_kernelILi32ELi24E16rocblas_bfloat16fS0_EviiT2_lPKT1_lilS4_lilS1_lPT3_lili.has_recursion, 0
	.set _ZL34rocblas_gemvn_sm_mn_batched_kernelILi32ELi24E16rocblas_bfloat16fS0_EviiT2_lPKT1_lilS4_lilS1_lPT3_lili.has_indirect_call, 0
	.section	.AMDGPU.csdata,"",@progbits
; Kernel info:
; codeLenInByte = 4
; TotalNumSgprs: 0
; NumVgprs: 0
; ScratchSize: 0
; MemoryBound: 0
; FloatMode: 240
; IeeeMode: 1
; LDSByteSize: 0 bytes/workgroup (compile time only)
; SGPRBlocks: 0
; VGPRBlocks: 0
; NumSGPRsForWavesPerEU: 1
; NumVGPRsForWavesPerEU: 1
; NamedBarCnt: 0
; Occupancy: 16
; WaveLimiterHint : 0
; COMPUTE_PGM_RSRC2:SCRATCH_EN: 0
; COMPUTE_PGM_RSRC2:USER_SGPR: 2
; COMPUTE_PGM_RSRC2:TRAP_HANDLER: 0
; COMPUTE_PGM_RSRC2:TGID_X_EN: 1
; COMPUTE_PGM_RSRC2:TGID_Y_EN: 0
; COMPUTE_PGM_RSRC2:TGID_Z_EN: 0
; COMPUTE_PGM_RSRC2:TIDIG_COMP_CNT: 0
	.section	.text._ZL20rocblas_gemvn_kernelILi64ELi4Ei16rocblas_bfloat16PKfS0_EviiT3_lPKT2_lT1_lS6_lS7_lS3_lPT4_lS7_li,"axG",@progbits,_ZL20rocblas_gemvn_kernelILi64ELi4Ei16rocblas_bfloat16PKfS0_EviiT3_lPKT2_lT1_lS6_lS7_lS3_lPT4_lS7_li,comdat
	.globl	_ZL20rocblas_gemvn_kernelILi64ELi4Ei16rocblas_bfloat16PKfS0_EviiT3_lPKT2_lT1_lS6_lS7_lS3_lPT4_lS7_li ; -- Begin function _ZL20rocblas_gemvn_kernelILi64ELi4Ei16rocblas_bfloat16PKfS0_EviiT3_lPKT2_lT1_lS6_lS7_lS3_lPT4_lS7_li
	.p2align	8
	.type	_ZL20rocblas_gemvn_kernelILi64ELi4Ei16rocblas_bfloat16PKfS0_EviiT3_lPKT2_lT1_lS6_lS7_lS3_lPT4_lS7_li,@function
_ZL20rocblas_gemvn_kernelILi64ELi4Ei16rocblas_bfloat16PKfS0_EviiT3_lPKT2_lT1_lS6_lS7_lS3_lPT4_lS7_li: ; @_ZL20rocblas_gemvn_kernelILi64ELi4Ei16rocblas_bfloat16PKfS0_EviiT3_lPKT2_lT1_lS6_lS7_lS3_lPT4_lS7_li
; %bb.0:
	s_load_b64 s[2:3], s[0:1], 0x9c
	s_wait_kmcnt 0x0
	s_lshr_b32 s4, s2, 16
	s_and_b32 s2, s2, 0xffff
	s_and_b32 s3, s3, 0xffff
	s_mul_i32 s2, s4, s2
	s_delay_alu instid0(SALU_CYCLE_1) | instskip(NEXT) | instid1(SALU_CYCLE_1)
	s_mul_i32 s2, s2, s3
	s_cmp_lg_u32 s2, 0x100
	s_cbranch_scc1 .LBB542_70
; %bb.1:
	s_load_b32 s31, s[0:1], 0x88
	s_bfe_u32 s2, ttmp6, 0x40014
	s_lshr_b32 s3, ttmp7, 16
	s_add_co_i32 s2, s2, 1
	s_bfe_u32 s5, ttmp6, 0x40008
	s_mul_i32 s4, s3, s2
	s_getreg_b32 s2, hwreg(HW_REG_IB_STS2, 6, 4)
	s_add_co_i32 s5, s5, s4
	s_cmp_eq_u32 s2, 0
	s_mov_b32 s35, 0
	s_cselect_b32 s34, s3, s5
	s_wait_kmcnt 0x0
	s_cmp_ge_u32 s34, s31
	s_cbranch_scc1 .LBB542_70
; %bb.2:
	s_clause 0x7
	s_load_b256 s[8:15], s[0:1], 0x8
	s_load_b96 s[28:30], s[0:1], 0x40
	s_load_b96 s[4:6], s[0:1], 0x70
	s_load_b64 s[36:37], s[0:1], 0x0
	s_load_b32 s33, s[0:1], 0x28
	s_load_b128 s[24:27], s[0:1], 0x30
	s_load_b256 s[16:23], s[0:1], 0x50
	s_load_b64 s[38:39], s[0:1], 0x80
	s_wait_xcnt 0x0
	s_bfe_u32 s0, ttmp6, 0x4000c
	v_and_b32_e32 v6, 0x3ff, v0
	s_add_co_i32 s0, s0, 1
	v_bfe_u32 v5, v0, 10, 10
	s_and_b32 s1, ttmp6, 15
	s_mul_i32 s0, ttmp9, s0
	s_delay_alu instid0(SALU_CYCLE_1) | instskip(NEXT) | instid1(VALU_DEP_1)
	s_add_co_i32 s7, s1, s0
	v_lshl_add_u32 v4, v5, 6, v6
	s_wait_kmcnt 0x0
	s_lshl_b64 s[0:1], s[14:15], 1
	s_lshl_b64 s[14:15], s[28:29], 1
	;; [unrolled: 1-line block ×3, first 2 shown]
	s_ashr_i32 s3, s6, 31
	s_cmp_eq_u32 s2, 0
	s_mov_b32 s2, s6
	s_cselect_b32 s7, ttmp9, s7
	s_mov_b32 s28, s36
	s_lshl_b32 s42, s7, 8
	s_delay_alu instid0(SALU_CYCLE_1)
	v_dual_mov_b32 v1, 0 :: v_dual_add_nc_u32 v0, s42, v4
	v_or_b32_e32 v22, s42, v6
	s_ashr_i32 s29, s36, 31
	s_add_nc_u64 s[12:13], s[12:13], s[0:1]
	s_ashr_i32 s0, s37, 31
	v_mul_u64_e32 v[2:3], s[2:3], v[0:1]
	v_cmp_gt_i64_e32 vcc_lo, s[28:29], v[0:1]
	v_dual_lshlrev_b32 v0, 2, v5 :: v_dual_add_nc_u32 v7, 64, v22
	v_or_b32_e32 v9, s42, v4
	s_lshr_b32 s0, s0, 28
	v_mul_lo_u32 v13, v5, s30
	s_add_co_i32 s0, s37, s0
	v_add_nc_u32_e32 v8, 0x80, v22
	v_cmp_gt_i32_e64 s2, s36, v7
	v_add_nc_u32_e32 v7, 0xc0, v22
	s_and_b32 s43, s0, -16
	s_add_nc_u64 s[22:23], s[22:23], s[4:5]
	s_sub_co_i32 s4, s37, s43
	v_cmp_gt_i32_e64 s3, s36, v8
	v_lshlrev_b32_e32 v8, 2, v6
	s_cmp_gt_i32 s4, 0
	v_cmp_gt_i32_e64 s4, s36, v7
	v_cmp_gt_u32_e64 s5, 0x100, v4
	v_mul_lo_u32 v4, s6, v9
	v_or_b32_e32 v7, 2, v0
	v_dual_lshlrev_b32 v32, 2, v13 :: v_dual_bitop2_b32 v10, 3, v0 bitop3:0x54
	v_mul_lo_u32 v11, s33, v0
	v_mul_lo_u32 v12, v5, s33
	s_delay_alu instid0(VALU_DEP_4) | instskip(NEXT) | instid1(VALU_DEP_4)
	v_mad_u32 v24, s33, v7, v6
	v_mad_u32 v25, s33, v10, v6
	;; [unrolled: 1-line block ×3, first 2 shown]
	v_mul_lo_u32 v27, s30, v7
	v_mul_lo_u32 v28, s30, v10
	v_cmp_gt_i32_e64 s0, s43, v0
	v_cmp_gt_i32_e64 s1, s36, v22
	v_lshl_add_u32 v23, v5, 10, v8
	v_lshl_add_u32 v29, v5, 8, v8
	v_cmp_gt_i32_e64 s6, s36, v9
	v_ashrrev_i32_e32 v5, 31, v4
	v_add3_u32 v30, v11, s33, v6
	v_lshl_add_u32 v31, v12, 2, v6
	s_add_nc_u64 s[14:15], s[26:27], s[14:15]
	s_cselect_b32 s44, -1, 0
	s_and_b32 s36, s5, vcc_lo
	s_lshl_b32 s45, s33, 4
	s_lshl_b32 s46, s30, 4
	s_branch .LBB542_5
.LBB542_3:                              ;   in Loop: Header=BB542_5 Depth=1
	s_wait_xcnt 0x0
	s_or_b32 exec_lo, exec_lo, s7
.LBB542_4:                              ;   in Loop: Header=BB542_5 Depth=1
	s_add_co_i32 s34, s34, 0x10000
	s_delay_alu instid0(SALU_CYCLE_1)
	s_cmp_lt_u32 s34, s31
	s_cbranch_scc0 .LBB542_70
.LBB542_5:                              ; =>This Loop Header: Depth=1
                                        ;     Child Loop BB542_22 Depth 2
	s_wait_xcnt 0x1
	s_mul_u64 s[26:27], s[10:11], s[34:35]
	s_wait_xcnt 0x0
	s_mul_u64 s[28:29], s[20:21], s[34:35]
	s_lshl_b64 s[26:27], s[26:27], 2
	s_lshl_b64 s[28:29], s[28:29], 2
	s_add_nc_u64 s[26:27], s[8:9], s[26:27]
	s_add_nc_u64 s[28:29], s[18:19], s[28:29]
	s_clause 0x1
	global_load_b32 v33, v1, s[26:27]
	global_load_b32 v6, v1, s[28:29]
	s_wait_loadcnt 0x1
	v_cmp_eq_f32_e32 vcc_lo, 0, v33
	s_wait_loadcnt 0x0
	v_cmp_eq_f32_e64 s7, 1.0, v6
	v_readfirstlane_b32 s48, v6
	s_and_b32 s7, vcc_lo, s7
	s_delay_alu instid0(SALU_CYCLE_1)
	s_and_b32 vcc_lo, exec_lo, s7
	s_cbranch_vccnz .LBB542_4
; %bb.6:                                ;   in Loop: Header=BB542_5 Depth=1
	v_cmp_neq_f32_e32 vcc_lo, 0, v33
	s_wait_xcnt 0x1
	s_mul_u64 s[26:27], s[38:39], s[34:35]
	s_delay_alu instid0(SALU_CYCLE_1) | instskip(NEXT) | instid1(SALU_CYCLE_1)
	s_lshl_b64 s[26:27], s[26:27], 1
	s_add_nc_u64 s[26:27], s[22:23], s[26:27]
	s_cbranch_vccnz .LBB542_14
; %bb.7:                                ;   in Loop: Header=BB542_5 Depth=1
	s_mov_b32 s7, 0
	s_mov_b32 s47, 0
                                        ; implicit-def: $vgpr8
	s_wait_xcnt 0x0
	s_and_saveexec_b32 s28, s36
	s_cbranch_execz .LBB542_15
; %bb.8:                                ;   in Loop: Header=BB542_5 Depth=1
	s_cmp_eq_f32 s48, 0
	s_cbranch_scc1 .LBB542_54
; %bb.9:                                ;   in Loop: Header=BB542_5 Depth=1
	v_lshl_add_u64 v[6:7], v[2:3], 1, s[26:27]
	global_load_u16 v6, v[6:7], off
	s_wait_loadcnt 0x0
	s_wait_xcnt 0x0
	v_lshlrev_b32_e32 v6, 16, v6
	s_delay_alu instid0(VALU_DEP_1) | instskip(NEXT) | instid1(VALU_DEP_1)
	v_mul_f32_e32 v6, s48, v6
	v_and_b32_e32 v7, 0x7f800000, v6
	s_delay_alu instid0(VALU_DEP_1) | instskip(SKIP_1) | instid1(SALU_CYCLE_1)
	v_cmp_ne_u32_e32 vcc_lo, 0x7f800000, v7
                                        ; implicit-def: $vgpr7
	s_and_saveexec_b32 s29, vcc_lo
	s_xor_b32 s29, exec_lo, s29
; %bb.10:                               ;   in Loop: Header=BB542_5 Depth=1
	v_bfe_u32 v7, v6, 16, 1
	s_delay_alu instid0(VALU_DEP_1)
	v_add3_u32 v7, v6, v7, 0x7fff
                                        ; implicit-def: $vgpr6
; %bb.11:                               ;   in Loop: Header=BB542_5 Depth=1
	s_and_not1_saveexec_b32 s29, s29
; %bb.12:                               ;   in Loop: Header=BB542_5 Depth=1
	v_and_b32_e32 v7, 0xffff, v6
	v_or_b32_e32 v8, 0x10000, v6
	s_delay_alu instid0(VALU_DEP_2) | instskip(NEXT) | instid1(VALU_DEP_2)
	v_cmp_eq_u32_e32 vcc_lo, 0, v7
	v_cndmask_b32_e32 v7, v8, v6, vcc_lo
; %bb.13:                               ;   in Loop: Header=BB542_5 Depth=1
	s_or_b32 exec_lo, exec_lo, s29
	s_delay_alu instid0(VALU_DEP_1) | instskip(SKIP_2) | instid1(SALU_CYCLE_1)
	v_lshrrev_b32_e32 v8, 16, v7
	s_mov_b32 s47, exec_lo
	s_or_b32 exec_lo, exec_lo, s28
	s_and_b32 vcc_lo, exec_lo, s7
	s_cbranch_vccnz .LBB542_16
	s_branch .LBB542_55
.LBB542_14:                             ;   in Loop: Header=BB542_5 Depth=1
	s_mov_b32 s47, 0
                                        ; implicit-def: $vgpr8
	s_cbranch_execnz .LBB542_16
	s_branch .LBB542_55
.LBB542_15:                             ;   in Loop: Header=BB542_5 Depth=1
	s_or_b32 exec_lo, exec_lo, s28
	s_delay_alu instid0(SALU_CYCLE_1)
	s_and_b32 vcc_lo, exec_lo, s7
	s_cbranch_vccz .LBB542_55
.LBB542_16:                             ;   in Loop: Header=BB542_5 Depth=1
	s_wait_xcnt 0x0
	s_mul_u64 s[28:29], s[24:25], s[34:35]
	s_mul_u64 s[40:41], s[16:17], s[34:35]
	v_dual_mov_b32 v34, 0 :: v_dual_mov_b32 v38, v0
	v_dual_mov_b32 v35, 0 :: v_dual_mov_b32 v36, 0
	v_mov_b32_e32 v37, 0
	s_lshl_b64 s[28:29], s[28:29], 1
	s_lshl_b64 s[40:41], s[40:41], 1
	s_add_nc_u64 s[28:29], s[12:13], s[28:29]
	s_add_nc_u64 s[40:41], s[14:15], s[40:41]
	s_and_saveexec_b32 s7, s0
	s_cbranch_execz .LBB542_28
; %bb.17:                               ;   in Loop: Header=BB542_5 Depth=1
	v_dual_mov_b32 v34, 0 :: v_dual_mov_b32 v39, v31
	v_dual_mov_b32 v40, v25 :: v_dual_mov_b32 v41, v24
	;; [unrolled: 1-line block ×4, first 2 shown]
	v_mov_b32_e32 v37, 0
	s_mov_b32 s49, 0
	s_mov_b32 s50, 0
	s_branch .LBB542_22
.LBB542_18:                             ;   in Loop: Header=BB542_22 Depth=2
	s_or_b32 exec_lo, exec_lo, s54
	s_wait_loadcnt 0x2
	v_dual_lshlrev_b32 v11, 16, v50 :: v_dual_lshlrev_b32 v10, 16, v49
	s_delay_alu instid0(VALU_DEP_1) | instskip(SKIP_1) | instid1(VALU_DEP_1)
	v_pk_mul_f32 v[10:11], v[8:9], v[10:11]
	s_wait_loadcnt 0x0
	v_dual_add_f32 v10, v36, v10 :: v_dual_lshlrev_b32 v13, 16, v48
	s_delay_alu instid0(VALU_DEP_1) | instskip(SKIP_1) | instid1(VALU_DEP_1)
	v_add_f32_e32 v18, v10, v11
	v_lshlrev_b32_e32 v12, 16, v47
	v_pk_mul_f32 v[10:11], v[6:7], v[12:13]
	s_delay_alu instid0(VALU_DEP_1) | instskip(NEXT) | instid1(VALU_DEP_1)
	v_add_f32_e32 v10, v18, v10
	v_add_f32_e32 v36, v10, v11
.LBB542_19:                             ;   in Loop: Header=BB542_22 Depth=2
	s_or_b32 exec_lo, exec_lo, s53
	s_wait_loadcnt 0x2
	v_dual_lshlrev_b32 v11, 16, v17 :: v_dual_lshlrev_b32 v10, 16, v16
	s_delay_alu instid0(VALU_DEP_1) | instskip(SKIP_1) | instid1(VALU_DEP_1)
	v_pk_mul_f32 v[10:11], v[8:9], v[10:11]
	s_wait_loadcnt 0x0
	v_dual_add_f32 v10, v35, v10 :: v_dual_lshlrev_b32 v13, 16, v15
	s_delay_alu instid0(VALU_DEP_1) | instskip(NEXT) | instid1(VALU_DEP_1)
	v_dual_lshlrev_b32 v12, 16, v14 :: v_dual_add_f32 v14, v10, v11
	v_pk_mul_f32 v[10:11], v[6:7], v[12:13]
	s_delay_alu instid0(VALU_DEP_1) | instskip(NEXT) | instid1(VALU_DEP_1)
	v_add_f32_e32 v10, v14, v10
	v_add_f32_e32 v35, v10, v11
.LBB542_20:                             ;   in Loop: Header=BB542_22 Depth=2
	s_or_b32 exec_lo, exec_lo, s52
	s_wait_loadcnt 0x2
	v_dual_lshlrev_b32 v11, 16, v46 :: v_dual_lshlrev_b32 v10, 16, v45
	s_delay_alu instid0(VALU_DEP_1) | instskip(SKIP_2) | instid1(VALU_DEP_2)
	v_pk_mul_f32 v[8:9], v[8:9], v[10:11]
	s_wait_loadcnt 0x0
	v_dual_lshlrev_b32 v11, 16, v44 :: v_dual_lshlrev_b32 v10, 16, v43
	v_add_f32_e32 v8, v34, v8
	s_delay_alu instid0(VALU_DEP_2) | instskip(NEXT) | instid1(VALU_DEP_2)
	v_pk_mul_f32 v[6:7], v[6:7], v[10:11]
	v_add_f32_e32 v8, v8, v9
	s_delay_alu instid0(VALU_DEP_1) | instskip(NEXT) | instid1(VALU_DEP_1)
	v_add_f32_e32 v6, v8, v6
	v_add_f32_e32 v34, v6, v7
.LBB542_21:                             ;   in Loop: Header=BB542_22 Depth=2
	s_or_b32 exec_lo, exec_lo, s51
	v_dual_add_nc_u32 v38, 16, v38 :: v_dual_add_nc_u32 v41, s45, v41
	v_dual_add_nc_u32 v42, s45, v42 :: v_dual_add_nc_u32 v40, s45, v40
	v_add_nc_u32_e32 v39, s45, v39
	s_delay_alu instid0(VALU_DEP_3) | instskip(SKIP_2) | instid1(SALU_CYCLE_1)
	v_cmp_le_i32_e32 vcc_lo, s43, v38
	s_add_co_i32 s50, s50, s46
	s_or_b32 s49, vcc_lo, s49
	s_and_not1_b32 exec_lo, exec_lo, s49
	s_cbranch_execz .LBB542_27
.LBB542_22:                             ;   Parent Loop BB542_5 Depth=1
                                        ; =>  This Inner Loop Header: Depth=2
	s_and_saveexec_b32 s51, s1
	s_cbranch_execz .LBB542_21
; %bb.23:                               ;   in Loop: Header=BB542_22 Depth=2
	v_dual_add_nc_u32 v6, s50, v32 :: v_dual_add_nc_u32 v7, s50, v26
	v_dual_add_nc_u32 v8, s50, v27 :: v_dual_add_nc_u32 v9, s50, v28
	;; [unrolled: 1-line block ×3, first 2 shown]
	s_clause 0x3
	global_load_u16 v11, v6, s[40:41] scale_offset
	global_load_u16 v13, v7, s[40:41] scale_offset
	;; [unrolled: 1-line block ×4, first 2 shown]
	v_dual_add_nc_u32 v16, s42, v41 :: v_dual_add_nc_u32 v14, s42, v40
	s_clause 0x3
	global_load_u16 v45, v10, s[28:29] scale_offset
	global_load_u16 v46, v12, s[28:29] scale_offset
	;; [unrolled: 1-line block ×4, first 2 shown]
	s_wait_loadcnt 0x6
	s_wait_xcnt 0x4
	v_dual_lshlrev_b32 v8, 16, v11 :: v_dual_lshlrev_b32 v9, 16, v13
	s_wait_loadcnt 0x4
	v_dual_lshlrev_b32 v6, 16, v15 :: v_dual_lshlrev_b32 v7, 16, v17
	s_wait_xcnt 0x0
	s_and_saveexec_b32 s52, s2
	s_cbranch_execz .LBB542_20
; %bb.24:                               ;   in Loop: Header=BB542_22 Depth=2
	v_dual_ashrrev_i32 v11, 31, v10 :: v_dual_ashrrev_i32 v13, 31, v12
	v_dual_ashrrev_i32 v17, 31, v16 :: v_dual_ashrrev_i32 v15, 31, v14
	s_delay_alu instid0(VALU_DEP_2) | instskip(NEXT) | instid1(VALU_DEP_3)
	v_lshl_add_u64 v[18:19], v[10:11], 1, s[28:29]
	v_lshl_add_u64 v[20:21], v[12:13], 1, s[28:29]
	s_delay_alu instid0(VALU_DEP_3) | instskip(NEXT) | instid1(VALU_DEP_4)
	v_lshl_add_u64 v[10:11], v[16:17], 1, s[28:29]
	v_lshl_add_u64 v[12:13], v[14:15], 1, s[28:29]
	s_clause 0x3
	global_load_u16 v16, v[18:19], off offset:128
	global_load_u16 v17, v[20:21], off offset:128
	;; [unrolled: 1-line block ×4, first 2 shown]
	s_wait_xcnt 0x0
	s_and_saveexec_b32 s53, s3
	s_cbranch_execz .LBB542_19
; %bb.25:                               ;   in Loop: Header=BB542_22 Depth=2
	s_clause 0x3
	global_load_u16 v49, v[18:19], off offset:256
	global_load_u16 v50, v[20:21], off offset:256
	;; [unrolled: 1-line block ×4, first 2 shown]
	s_wait_xcnt 0x0
	s_and_saveexec_b32 s54, s4
	s_cbranch_execz .LBB542_18
; %bb.26:                               ;   in Loop: Header=BB542_22 Depth=2
	s_clause 0x3
	global_load_u16 v20, v[20:21], off offset:384
	global_load_u16 v18, v[18:19], off offset:384
	;; [unrolled: 1-line block ×4, first 2 shown]
	s_wait_loadcnt 0x2
	s_wait_xcnt 0x0
	v_dual_lshlrev_b32 v11, 16, v20 :: v_dual_lshlrev_b32 v10, 16, v18
	s_delay_alu instid0(VALU_DEP_1) | instskip(SKIP_1) | instid1(VALU_DEP_1)
	v_pk_mul_f32 v[10:11], v[8:9], v[10:11]
	s_wait_loadcnt 0x1
	v_dual_add_f32 v10, v37, v10 :: v_dual_lshlrev_b32 v13, 16, v12
	s_delay_alu instid0(VALU_DEP_1) | instskip(SKIP_2) | instid1(VALU_DEP_1)
	v_add_f32_e32 v18, v10, v11
	s_wait_loadcnt 0x0
	v_lshlrev_b32_e32 v12, 16, v19
	v_pk_mul_f32 v[10:11], v[6:7], v[12:13]
	s_delay_alu instid0(VALU_DEP_1) | instskip(NEXT) | instid1(VALU_DEP_1)
	v_add_f32_e32 v10, v18, v10
	v_add_f32_e32 v37, v10, v11
	s_branch .LBB542_18
.LBB542_27:                             ;   in Loop: Header=BB542_5 Depth=1
	s_or_b32 exec_lo, exec_lo, s49
.LBB542_28:                             ;   in Loop: Header=BB542_5 Depth=1
	s_delay_alu instid0(SALU_CYCLE_1) | instskip(NEXT) | instid1(SALU_CYCLE_1)
	s_or_b32 exec_lo, exec_lo, s7
	s_and_not1_b32 vcc_lo, exec_lo, s44
	s_cbranch_vccnz .LBB542_46
; %bb.29:                               ;   in Loop: Header=BB542_5 Depth=1
	v_dual_mov_b32 v6, 0 :: v_dual_bitop2_b32 v10, 1, v38 bitop3:0x54
	v_cmp_gt_i32_e32 vcc_lo, s37, v38
	s_delay_alu instid0(VALU_DEP_2)
	v_dual_mov_b32 v7, v6 :: v_dual_mov_b32 v8, v6
	v_mov_b32_e32 v9, v6
	s_and_saveexec_b32 s49, vcc_lo
	s_cbranch_execz .LBB542_37
; %bb.30:                               ;   in Loop: Header=BB542_5 Depth=1
	v_mul_lo_u32 v6, v38, s30
	v_dual_mov_b32 v9, 0 :: v_dual_mov_b32 v7, 0
	s_mov_b32 s50, exec_lo
	global_load_u16 v8, v6, s[40:41] scale_offset
	s_wait_xcnt 0x0
	v_mov_b32_e32 v6, 0
	v_cmpx_gt_i32_e64 s37, v10
	s_cbranch_execz .LBB542_36
; %bb.31:                               ;   in Loop: Header=BB542_5 Depth=1
	v_mul_lo_u32 v6, v10, s30
	v_dual_mov_b32 v7, 0 :: v_dual_bitop2_b32 v11, 2, v38 bitop3:0x54
	s_mov_b32 s51, exec_lo
	global_load_u16 v9, v6, s[40:41] scale_offset
	s_wait_xcnt 0x0
	v_mov_b32_e32 v6, 0
	v_cmpx_gt_i32_e64 s37, v11
	s_cbranch_execz .LBB542_35
; %bb.32:                               ;   in Loop: Header=BB542_5 Depth=1
	v_mul_lo_u32 v6, v11, s30
	v_dual_mov_b32 v7, 0 :: v_dual_bitop2_b32 v11, 3, v38 bitop3:0x54
	s_mov_b32 s52, exec_lo
	global_load_u16 v6, v6, s[40:41] scale_offset
	s_wait_xcnt 0x0
	v_cmpx_gt_i32_e64 s37, v11
	s_cbranch_execz .LBB542_34
; %bb.33:                               ;   in Loop: Header=BB542_5 Depth=1
	v_mul_lo_u32 v7, v11, s30
	global_load_u16 v7, v7, s[40:41] scale_offset
	s_wait_loadcnt 0x0
	s_wait_xcnt 0x0
	v_lshlrev_b32_e32 v7, 16, v7
.LBB542_34:                             ;   in Loop: Header=BB542_5 Depth=1
	s_or_b32 exec_lo, exec_lo, s52
	s_wait_loadcnt 0x0
	v_lshlrev_b32_e32 v6, 16, v6
.LBB542_35:                             ;   in Loop: Header=BB542_5 Depth=1
	s_or_b32 exec_lo, exec_lo, s51
	s_wait_loadcnt 0x0
	v_lshlrev_b32_e32 v9, 16, v9
.LBB542_36:                             ;   in Loop: Header=BB542_5 Depth=1
	s_or_b32 exec_lo, exec_lo, s50
	s_wait_loadcnt 0x0
	v_lshlrev_b32_e32 v8, 16, v8
.LBB542_37:                             ;   in Loop: Header=BB542_5 Depth=1
	s_or_b32 exec_lo, exec_lo, s49
	s_and_saveexec_b32 s40, s1
	s_cbranch_execz .LBB542_45
; %bb.38:                               ;   in Loop: Header=BB542_5 Depth=1
	v_mul_lo_u32 v13, v10, s33
	v_cmp_gt_i32_e64 s7, s37, v10
	v_or_b32_e32 v11, 2, v38
	v_or_b32_e32 v12, 3, v38
	v_mul_lo_u32 v16, v38, s33
	s_delay_alu instid0(VALU_DEP_2) | instskip(SKIP_3) | instid1(VALU_DEP_1)
	v_mul_lo_u32 v15, v12, s33
	v_cndmask_b32_e64 v10, 0, v13, s7
	v_mul_lo_u32 v14, v11, s33
	v_cmp_gt_i32_e64 s7, s37, v11
	v_dual_cndmask_b32 v11, 0, v14, s7 :: v_dual_cndmask_b32 v14, 0, v16, vcc_lo
	v_cmp_gt_i32_e64 s7, s37, v12
	s_delay_alu instid0(VALU_DEP_2) | instskip(NEXT) | instid1(VALU_DEP_2)
	v_dual_add_nc_u32 v10, v10, v22 :: v_dual_add_nc_u32 v12, v11, v22
	v_dual_add_nc_u32 v14, v14, v22 :: v_dual_cndmask_b32 v13, 0, v15, s7
	s_delay_alu instid0(VALU_DEP_1)
	v_add_nc_u32_e32 v16, v13, v22
	s_clause 0x3
	global_load_u16 v20, v10, s[28:29] scale_offset
	global_load_u16 v18, v12, s[28:29] scale_offset
	;; [unrolled: 1-line block ×4, first 2 shown]
	s_wait_xcnt 0x0
	s_and_saveexec_b32 s7, s2
	s_cbranch_execz .LBB542_44
; %bb.39:                               ;   in Loop: Header=BB542_5 Depth=1
	v_dual_ashrrev_i32 v15, 31, v14 :: v_dual_ashrrev_i32 v13, 31, v12
	v_dual_ashrrev_i32 v11, 31, v10 :: v_dual_ashrrev_i32 v17, 31, v16
	s_delay_alu instid0(VALU_DEP_2) | instskip(NEXT) | instid1(VALU_DEP_3)
	v_lshl_add_u64 v[14:15], v[14:15], 1, s[28:29]
	v_lshl_add_u64 v[12:13], v[12:13], 1, s[28:29]
	s_delay_alu instid0(VALU_DEP_3) | instskip(NEXT) | instid1(VALU_DEP_4)
	v_lshl_add_u64 v[10:11], v[10:11], 1, s[28:29]
	v_lshl_add_u64 v[16:17], v[16:17], 1, s[28:29]
	s_clause 0x3
	global_load_u16 v40, v[14:15], off offset:128
	global_load_u16 v41, v[10:11], off offset:128
	;; [unrolled: 1-line block ×4, first 2 shown]
	s_wait_xcnt 0x0
	s_and_saveexec_b32 s28, s3
	s_cbranch_execz .LBB542_43
; %bb.40:                               ;   in Loop: Header=BB542_5 Depth=1
	s_clause 0x3
	global_load_u16 v44, v[14:15], off offset:256
	global_load_u16 v45, v[10:11], off offset:256
	global_load_u16 v42, v[12:13], off offset:256
	global_load_u16 v43, v[16:17], off offset:256
	s_wait_xcnt 0x0
	s_and_saveexec_b32 s29, s4
	s_cbranch_execz .LBB542_42
; %bb.41:                               ;   in Loop: Header=BB542_5 Depth=1
	s_clause 0x3
	global_load_u16 v46, v[10:11], off offset:384
	global_load_u16 v47, v[14:15], off offset:384
	;; [unrolled: 1-line block ×4, first 2 shown]
	s_wait_loadcnt 0x2
	s_wait_xcnt 0x3
	v_dual_lshlrev_b32 v11, 16, v46 :: v_dual_lshlrev_b32 v10, 16, v47
	s_delay_alu instid0(VALU_DEP_1) | instskip(SKIP_2) | instid1(VALU_DEP_1)
	v_pk_mul_f32 v[10:11], v[8:9], v[10:11]
	s_wait_loadcnt 0x1
	s_wait_xcnt 0x0
	v_dual_add_f32 v10, v37, v10 :: v_dual_lshlrev_b32 v13, 16, v48
	s_wait_loadcnt 0x0
	s_delay_alu instid0(VALU_DEP_1) | instskip(NEXT) | instid1(VALU_DEP_1)
	v_dual_lshlrev_b32 v12, 16, v49 :: v_dual_add_f32 v14, v10, v11
	v_pk_mul_f32 v[10:11], v[6:7], v[12:13]
	s_delay_alu instid0(VALU_DEP_1) | instskip(NEXT) | instid1(VALU_DEP_1)
	v_add_f32_e32 v10, v14, v10
	v_add_f32_e32 v37, v10, v11
.LBB542_42:                             ;   in Loop: Header=BB542_5 Depth=1
	s_or_b32 exec_lo, exec_lo, s29
	s_wait_loadcnt 0x2
	v_dual_lshlrev_b32 v11, 16, v45 :: v_dual_lshlrev_b32 v10, 16, v44
	s_delay_alu instid0(VALU_DEP_1) | instskip(SKIP_1) | instid1(VALU_DEP_1)
	v_pk_mul_f32 v[10:11], v[8:9], v[10:11]
	s_wait_loadcnt 0x0
	v_dual_add_f32 v10, v36, v10 :: v_dual_lshlrev_b32 v13, 16, v43
	s_delay_alu instid0(VALU_DEP_1) | instskip(NEXT) | instid1(VALU_DEP_1)
	v_dual_lshlrev_b32 v12, 16, v42 :: v_dual_add_f32 v14, v10, v11
	v_pk_mul_f32 v[10:11], v[6:7], v[12:13]
	s_delay_alu instid0(VALU_DEP_1) | instskip(NEXT) | instid1(VALU_DEP_1)
	v_add_f32_e32 v10, v14, v10
	v_add_f32_e32 v36, v10, v11
.LBB542_43:                             ;   in Loop: Header=BB542_5 Depth=1
	s_or_b32 exec_lo, exec_lo, s28
	s_wait_loadcnt 0x2
	v_dual_lshlrev_b32 v11, 16, v41 :: v_dual_lshlrev_b32 v10, 16, v40
	s_delay_alu instid0(VALU_DEP_1) | instskip(SKIP_1) | instid1(VALU_DEP_1)
	v_pk_mul_f32 v[10:11], v[8:9], v[10:11]
	s_wait_loadcnt 0x0
	v_dual_add_f32 v10, v35, v10 :: v_dual_lshlrev_b32 v13, 16, v39
	s_delay_alu instid0(VALU_DEP_1) | instskip(NEXT) | instid1(VALU_DEP_1)
	v_dual_lshlrev_b32 v12, 16, v38 :: v_dual_add_f32 v14, v10, v11
	v_pk_mul_f32 v[10:11], v[6:7], v[12:13]
	s_delay_alu instid0(VALU_DEP_1) | instskip(NEXT) | instid1(VALU_DEP_1)
	v_add_f32_e32 v10, v14, v10
	v_add_f32_e32 v35, v10, v11
.LBB542_44:                             ;   in Loop: Header=BB542_5 Depth=1
	s_or_b32 exec_lo, exec_lo, s7
	s_wait_loadcnt 0x0
	v_dual_lshlrev_b32 v11, 16, v20 :: v_dual_lshlrev_b32 v10, 16, v21
	s_delay_alu instid0(VALU_DEP_1) | instskip(NEXT) | instid1(VALU_DEP_1)
	v_pk_mul_f32 v[8:9], v[8:9], v[10:11]
	v_dual_add_f32 v8, v34, v8 :: v_dual_lshlrev_b32 v11, 16, v19
	s_delay_alu instid0(VALU_DEP_1) | instskip(NEXT) | instid1(VALU_DEP_1)
	v_dual_lshlrev_b32 v10, 16, v18 :: v_dual_add_f32 v8, v8, v9
	v_pk_mul_f32 v[6:7], v[6:7], v[10:11]
	s_delay_alu instid0(VALU_DEP_1) | instskip(NEXT) | instid1(VALU_DEP_1)
	v_add_f32_e32 v6, v8, v6
	v_add_f32_e32 v34, v6, v7
.LBB542_45:                             ;   in Loop: Header=BB542_5 Depth=1
	s_or_b32 exec_lo, exec_lo, s40
.LBB542_46:                             ;   in Loop: Header=BB542_5 Depth=1
	ds_store_2addr_stride64_b32 v23, v34, v35 offset1:1
	ds_store_2addr_stride64_b32 v23, v36, v37 offset0:2 offset1:3
	s_wait_dscnt 0x0
	s_barrier_signal -1
	s_barrier_wait -1
                                        ; implicit-def: $vgpr8
	s_and_saveexec_b32 s7, s5
	s_cbranch_execz .LBB542_68
; %bb.47:                               ;   in Loop: Header=BB542_5 Depth=1
	ds_load_2addr_stride64_b32 v[6:7], v29 offset1:4
	ds_load_2addr_stride64_b32 v[8:9], v29 offset0:8 offset1:12
	s_mov_b32 s29, s47
	s_wait_dscnt 0x1
	v_add_f32_e32 v6, v6, v7
	s_wait_dscnt 0x0
	s_delay_alu instid0(VALU_DEP_1) | instskip(NEXT) | instid1(VALU_DEP_1)
	v_add_f32_e32 v6, v8, v6
                                        ; implicit-def: $vgpr8
	v_add_f32_e32 v6, v9, v6
	ds_store_b32 v29, v6
	s_and_saveexec_b32 s28, s6
	s_cbranch_execz .LBB542_67
; %bb.48:                               ;   in Loop: Header=BB542_5 Depth=1
	v_mul_f32_e32 v6, v33, v6
	s_cmp_eq_f32 s48, 0
	s_cbranch_scc0 .LBB542_56
; %bb.49:                               ;   in Loop: Header=BB542_5 Depth=1
	s_delay_alu instid0(VALU_DEP_1) | instskip(NEXT) | instid1(VALU_DEP_1)
	v_and_b32_e32 v7, 0x7f800000, v6
	v_cmp_ne_u32_e32 vcc_lo, 0x7f800000, v7
                                        ; implicit-def: $vgpr7
	s_and_saveexec_b32 s29, vcc_lo
	s_delay_alu instid0(SALU_CYCLE_1)
	s_xor_b32 s29, exec_lo, s29
; %bb.50:                               ;   in Loop: Header=BB542_5 Depth=1
	v_bfe_u32 v7, v6, 16, 1
	s_delay_alu instid0(VALU_DEP_1)
	v_add3_u32 v7, v6, v7, 0x7fff
; %bb.51:                               ;   in Loop: Header=BB542_5 Depth=1
	s_and_not1_saveexec_b32 s29, s29
; %bb.52:                               ;   in Loop: Header=BB542_5 Depth=1
	v_and_b32_e32 v7, 0xffff, v6
	v_or_b32_e32 v8, 0x10000, v6
	s_delay_alu instid0(VALU_DEP_2) | instskip(NEXT) | instid1(VALU_DEP_2)
	v_cmp_eq_u32_e32 vcc_lo, 0, v7
	v_cndmask_b32_e32 v7, v8, v6, vcc_lo
; %bb.53:                               ;   in Loop: Header=BB542_5 Depth=1
	s_or_b32 exec_lo, exec_lo, s29
	s_cbranch_execz .LBB542_57
	s_branch .LBB542_66
.LBB542_54:                             ;   in Loop: Header=BB542_5 Depth=1
	v_mov_b32_e32 v8, 0
	s_mov_b32 s47, exec_lo
	s_or_b32 exec_lo, exec_lo, s28
	s_delay_alu instid0(SALU_CYCLE_1)
	s_and_b32 vcc_lo, exec_lo, s7
	s_cbranch_vccnz .LBB542_16
.LBB542_55:                             ;   in Loop: Header=BB542_5 Depth=1
	v_mov_b64_e32 v[6:7], v[2:3]
	s_wait_xcnt 0x0
	s_and_saveexec_b32 s7, s47
	s_cbranch_execz .LBB542_3
	s_branch .LBB542_69
.LBB542_56:                             ;   in Loop: Header=BB542_5 Depth=1
                                        ; implicit-def: $vgpr7
.LBB542_57:                             ;   in Loop: Header=BB542_5 Depth=1
	v_lshl_add_u64 v[8:9], v[4:5], 1, s[26:27]
	global_load_u16 v7, v[8:9], off
	s_wait_loadcnt 0x0
	v_lshlrev_b32_e32 v7, 16, v7
	s_delay_alu instid0(VALU_DEP_1) | instskip(SKIP_1) | instid1(VALU_DEP_1)
	v_mul_f32_e32 v7, s48, v7
	s_wait_xcnt 0x0
	v_and_b32_e32 v8, 0x7f800000, v7
	s_delay_alu instid0(VALU_DEP_1) | instskip(SKIP_1) | instid1(SALU_CYCLE_1)
	v_cmp_ne_u32_e32 vcc_lo, 0x7f800000, v8
                                        ; implicit-def: $vgpr8
	s_and_saveexec_b32 s29, vcc_lo
	s_xor_b32 s29, exec_lo, s29
; %bb.58:                               ;   in Loop: Header=BB542_5 Depth=1
	v_bfe_u32 v8, v7, 16, 1
	s_delay_alu instid0(VALU_DEP_1)
	v_add3_u32 v8, v7, v8, 0x7fff
                                        ; implicit-def: $vgpr7
; %bb.59:                               ;   in Loop: Header=BB542_5 Depth=1
	s_and_not1_saveexec_b32 s29, s29
; %bb.60:                               ;   in Loop: Header=BB542_5 Depth=1
	v_and_b32_e32 v8, 0xffff, v7
	v_or_b32_e32 v9, 0x10000, v7
	s_delay_alu instid0(VALU_DEP_2) | instskip(NEXT) | instid1(VALU_DEP_2)
	v_cmp_eq_u32_e32 vcc_lo, 0, v8
	v_cndmask_b32_e32 v8, v9, v7, vcc_lo
; %bb.61:                               ;   in Loop: Header=BB542_5 Depth=1
	s_or_b32 exec_lo, exec_lo, s29
	s_delay_alu instid0(VALU_DEP_1) | instskip(NEXT) | instid1(VALU_DEP_1)
	v_and_b32_e32 v7, 0xffff0000, v8
	v_add_f32_e32 v6, v6, v7
	s_delay_alu instid0(VALU_DEP_1) | instskip(NEXT) | instid1(VALU_DEP_1)
	v_and_b32_e32 v7, 0x7f800000, v6
	v_cmp_ne_u32_e32 vcc_lo, 0x7f800000, v7
                                        ; implicit-def: $vgpr7
	s_and_saveexec_b32 s29, vcc_lo
	s_delay_alu instid0(SALU_CYCLE_1)
	s_xor_b32 s29, exec_lo, s29
; %bb.62:                               ;   in Loop: Header=BB542_5 Depth=1
	v_bfe_u32 v7, v6, 16, 1
	s_delay_alu instid0(VALU_DEP_1)
	v_add3_u32 v7, v6, v7, 0x7fff
                                        ; implicit-def: $vgpr6
; %bb.63:                               ;   in Loop: Header=BB542_5 Depth=1
	s_and_not1_saveexec_b32 s29, s29
; %bb.64:                               ;   in Loop: Header=BB542_5 Depth=1
	v_and_b32_e32 v7, 0xffff, v6
	v_or_b32_e32 v8, 0x10000, v6
	s_delay_alu instid0(VALU_DEP_2) | instskip(NEXT) | instid1(VALU_DEP_2)
	v_cmp_eq_u32_e32 vcc_lo, 0, v7
	v_cndmask_b32_e32 v7, v8, v6, vcc_lo
; %bb.65:                               ;   in Loop: Header=BB542_5 Depth=1
	s_or_b32 exec_lo, exec_lo, s29
.LBB542_66:                             ;   in Loop: Header=BB542_5 Depth=1
	s_delay_alu instid0(VALU_DEP_1)
	v_lshrrev_b32_e32 v8, 16, v7
	s_or_b32 s29, s47, exec_lo
.LBB542_67:                             ;   in Loop: Header=BB542_5 Depth=1
	s_or_b32 exec_lo, exec_lo, s28
	s_delay_alu instid0(SALU_CYCLE_1) | instskip(SKIP_1) | instid1(SALU_CYCLE_1)
	s_and_not1_b32 s28, s47, exec_lo
	s_and_b32 s29, s29, exec_lo
	s_or_b32 s47, s28, s29
.LBB542_68:                             ;   in Loop: Header=BB542_5 Depth=1
	s_or_b32 exec_lo, exec_lo, s7
	v_mov_b64_e32 v[6:7], v[4:5]
	s_and_saveexec_b32 s7, s47
	s_cbranch_execz .LBB542_3
.LBB542_69:                             ;   in Loop: Header=BB542_5 Depth=1
	s_delay_alu instid0(VALU_DEP_1)
	v_lshl_add_u64 v[6:7], v[6:7], 1, s[26:27]
	global_store_b16 v[6:7], v8, off
	s_branch .LBB542_3
.LBB542_70:
	s_endpgm
	.section	.rodata,"a",@progbits
	.p2align	6, 0x0
	.amdhsa_kernel _ZL20rocblas_gemvn_kernelILi64ELi4Ei16rocblas_bfloat16PKfS0_EviiT3_lPKT2_lT1_lS6_lS7_lS3_lPT4_lS7_li
		.amdhsa_group_segment_fixed_size 4096
		.amdhsa_private_segment_fixed_size 0
		.amdhsa_kernarg_size 400
		.amdhsa_user_sgpr_count 2
		.amdhsa_user_sgpr_dispatch_ptr 0
		.amdhsa_user_sgpr_queue_ptr 0
		.amdhsa_user_sgpr_kernarg_segment_ptr 1
		.amdhsa_user_sgpr_dispatch_id 0
		.amdhsa_user_sgpr_kernarg_preload_length 0
		.amdhsa_user_sgpr_kernarg_preload_offset 0
		.amdhsa_user_sgpr_private_segment_size 0
		.amdhsa_wavefront_size32 1
		.amdhsa_uses_dynamic_stack 0
		.amdhsa_enable_private_segment 0
		.amdhsa_system_sgpr_workgroup_id_x 1
		.amdhsa_system_sgpr_workgroup_id_y 0
		.amdhsa_system_sgpr_workgroup_id_z 1
		.amdhsa_system_sgpr_workgroup_info 0
		.amdhsa_system_vgpr_workitem_id 1
		.amdhsa_next_free_vgpr 51
		.amdhsa_next_free_sgpr 55
		.amdhsa_named_barrier_count 0
		.amdhsa_reserve_vcc 1
		.amdhsa_float_round_mode_32 0
		.amdhsa_float_round_mode_16_64 0
		.amdhsa_float_denorm_mode_32 3
		.amdhsa_float_denorm_mode_16_64 3
		.amdhsa_fp16_overflow 0
		.amdhsa_memory_ordered 1
		.amdhsa_forward_progress 1
		.amdhsa_inst_pref_size 28
		.amdhsa_round_robin_scheduling 0
		.amdhsa_exception_fp_ieee_invalid_op 0
		.amdhsa_exception_fp_denorm_src 0
		.amdhsa_exception_fp_ieee_div_zero 0
		.amdhsa_exception_fp_ieee_overflow 0
		.amdhsa_exception_fp_ieee_underflow 0
		.amdhsa_exception_fp_ieee_inexact 0
		.amdhsa_exception_int_div_zero 0
	.end_amdhsa_kernel
	.section	.text._ZL20rocblas_gemvn_kernelILi64ELi4Ei16rocblas_bfloat16PKfS0_EviiT3_lPKT2_lT1_lS6_lS7_lS3_lPT4_lS7_li,"axG",@progbits,_ZL20rocblas_gemvn_kernelILi64ELi4Ei16rocblas_bfloat16PKfS0_EviiT3_lPKT2_lT1_lS6_lS7_lS3_lPT4_lS7_li,comdat
.Lfunc_end542:
	.size	_ZL20rocblas_gemvn_kernelILi64ELi4Ei16rocblas_bfloat16PKfS0_EviiT3_lPKT2_lT1_lS6_lS7_lS3_lPT4_lS7_li, .Lfunc_end542-_ZL20rocblas_gemvn_kernelILi64ELi4Ei16rocblas_bfloat16PKfS0_EviiT3_lPKT2_lT1_lS6_lS7_lS3_lPT4_lS7_li
                                        ; -- End function
	.set _ZL20rocblas_gemvn_kernelILi64ELi4Ei16rocblas_bfloat16PKfS0_EviiT3_lPKT2_lT1_lS6_lS7_lS3_lPT4_lS7_li.num_vgpr, 51
	.set _ZL20rocblas_gemvn_kernelILi64ELi4Ei16rocblas_bfloat16PKfS0_EviiT3_lPKT2_lT1_lS6_lS7_lS3_lPT4_lS7_li.num_agpr, 0
	.set _ZL20rocblas_gemvn_kernelILi64ELi4Ei16rocblas_bfloat16PKfS0_EviiT3_lPKT2_lT1_lS6_lS7_lS3_lPT4_lS7_li.numbered_sgpr, 55
	.set _ZL20rocblas_gemvn_kernelILi64ELi4Ei16rocblas_bfloat16PKfS0_EviiT3_lPKT2_lT1_lS6_lS7_lS3_lPT4_lS7_li.num_named_barrier, 0
	.set _ZL20rocblas_gemvn_kernelILi64ELi4Ei16rocblas_bfloat16PKfS0_EviiT3_lPKT2_lT1_lS6_lS7_lS3_lPT4_lS7_li.private_seg_size, 0
	.set _ZL20rocblas_gemvn_kernelILi64ELi4Ei16rocblas_bfloat16PKfS0_EviiT3_lPKT2_lT1_lS6_lS7_lS3_lPT4_lS7_li.uses_vcc, 1
	.set _ZL20rocblas_gemvn_kernelILi64ELi4Ei16rocblas_bfloat16PKfS0_EviiT3_lPKT2_lT1_lS6_lS7_lS3_lPT4_lS7_li.uses_flat_scratch, 0
	.set _ZL20rocblas_gemvn_kernelILi64ELi4Ei16rocblas_bfloat16PKfS0_EviiT3_lPKT2_lT1_lS6_lS7_lS3_lPT4_lS7_li.has_dyn_sized_stack, 0
	.set _ZL20rocblas_gemvn_kernelILi64ELi4Ei16rocblas_bfloat16PKfS0_EviiT3_lPKT2_lT1_lS6_lS7_lS3_lPT4_lS7_li.has_recursion, 0
	.set _ZL20rocblas_gemvn_kernelILi64ELi4Ei16rocblas_bfloat16PKfS0_EviiT3_lPKT2_lT1_lS6_lS7_lS3_lPT4_lS7_li.has_indirect_call, 0
	.section	.AMDGPU.csdata,"",@progbits
; Kernel info:
; codeLenInByte = 3536
; TotalNumSgprs: 57
; NumVgprs: 51
; ScratchSize: 0
; MemoryBound: 0
; FloatMode: 240
; IeeeMode: 1
; LDSByteSize: 4096 bytes/workgroup (compile time only)
; SGPRBlocks: 0
; VGPRBlocks: 3
; NumSGPRsForWavesPerEU: 57
; NumVGPRsForWavesPerEU: 51
; NamedBarCnt: 0
; Occupancy: 16
; WaveLimiterHint : 1
; COMPUTE_PGM_RSRC2:SCRATCH_EN: 0
; COMPUTE_PGM_RSRC2:USER_SGPR: 2
; COMPUTE_PGM_RSRC2:TRAP_HANDLER: 0
; COMPUTE_PGM_RSRC2:TGID_X_EN: 1
; COMPUTE_PGM_RSRC2:TGID_Y_EN: 0
; COMPUTE_PGM_RSRC2:TGID_Z_EN: 1
; COMPUTE_PGM_RSRC2:TIDIG_COMP_CNT: 1
	.section	.text._ZL20rocblas_gemvn_kernelILi64ELi4El16rocblas_bfloat16PKfS0_EviiT3_lPKT2_lT1_lS6_lS7_lS3_lPT4_lS7_li,"axG",@progbits,_ZL20rocblas_gemvn_kernelILi64ELi4El16rocblas_bfloat16PKfS0_EviiT3_lPKT2_lT1_lS6_lS7_lS3_lPT4_lS7_li,comdat
	.globl	_ZL20rocblas_gemvn_kernelILi64ELi4El16rocblas_bfloat16PKfS0_EviiT3_lPKT2_lT1_lS6_lS7_lS3_lPT4_lS7_li ; -- Begin function _ZL20rocblas_gemvn_kernelILi64ELi4El16rocblas_bfloat16PKfS0_EviiT3_lPKT2_lT1_lS6_lS7_lS3_lPT4_lS7_li
	.p2align	8
	.type	_ZL20rocblas_gemvn_kernelILi64ELi4El16rocblas_bfloat16PKfS0_EviiT3_lPKT2_lT1_lS6_lS7_lS3_lPT4_lS7_li,@function
_ZL20rocblas_gemvn_kernelILi64ELi4El16rocblas_bfloat16PKfS0_EviiT3_lPKT2_lT1_lS6_lS7_lS3_lPT4_lS7_li: ; @_ZL20rocblas_gemvn_kernelILi64ELi4El16rocblas_bfloat16PKfS0_EviiT3_lPKT2_lT1_lS6_lS7_lS3_lPT4_lS7_li
; %bb.0:
	s_load_b64 s[2:3], s[0:1], 0x9c
	s_wait_kmcnt 0x0
	s_lshr_b32 s4, s2, 16
	s_and_b32 s2, s2, 0xffff
	s_and_b32 s3, s3, 0xffff
	s_mul_i32 s2, s4, s2
	s_delay_alu instid0(SALU_CYCLE_1) | instskip(NEXT) | instid1(SALU_CYCLE_1)
	s_mul_i32 s2, s2, s3
	s_cmp_lg_u32 s2, 0x100
	s_cbranch_scc1 .LBB543_70
; %bb.1:
	s_load_b32 s33, s[0:1], 0x88
	s_bfe_u32 s2, ttmp6, 0x40014
	s_lshr_b32 s3, ttmp7, 16
	s_add_co_i32 s2, s2, 1
	s_bfe_u32 s5, ttmp6, 0x40008
	s_mul_i32 s4, s3, s2
	s_getreg_b32 s2, hwreg(HW_REG_IB_STS2, 6, 4)
	s_add_co_i32 s5, s5, s4
	s_cmp_eq_u32 s2, 0
	s_mov_b32 s11, 0
	s_cselect_b32 s10, s3, s5
	s_wait_kmcnt 0x0
	s_cmp_ge_u32 s10, s33
	s_cbranch_scc1 .LBB543_70
; %bb.2:
	s_clause 0x2
	s_load_b512 s[12:27], s[0:1], 0x8
	s_load_b512 s[36:51], s[0:1], 0x48
	s_load_b64 s[28:29], s[0:1], 0x0
	s_wait_xcnt 0x0
	s_bfe_u32 s0, ttmp6, 0x4000c
	v_and_b32_e32 v24, 0x3ff, v0
	s_add_co_i32 s0, s0, 1
	v_bfe_u32 v4, v0, 10, 10
	s_and_b32 s1, ttmp6, 15
	s_mul_i32 s0, ttmp9, s0
	v_dual_mov_b32 v1, 0 :: v_dual_lshlrev_b32 v2, 2, v24
	s_add_co_i32 s1, s1, s0
	v_lshl_add_u32 v6, v4, 6, v24
	s_delay_alu instid0(VALU_DEP_2) | instskip(NEXT) | instid1(VALU_DEP_3)
	v_dual_mov_b32 v5, v1 :: v_dual_lshlrev_b32 v52, 2, v4
	v_lshl_add_u32 v53, v4, 10, v2
	v_lshl_add_u32 v54, v4, 8, v2
	s_wait_kmcnt 0x0
	s_lshl_b64 s[4:5], s[18:19], 1
	s_lshl_b64 s[18:19], s[26:27], 1
	;; [unrolled: 1-line block ×3, first 2 shown]
	s_cmp_eq_u32 s2, 0
	s_mov_b32 s2, s28
	s_cselect_b32 s0, ttmp9, s1
	s_ashr_i32 s3, s28, 31
	s_lshl_b32 s1, s0, 8
	v_cmp_gt_u32_e64 s0, 0x100, v6
	v_dual_add_nc_u32 v0, s1, v6 :: v_dual_bitop2_b32 v6, s1, v6 bitop3:0x54
	v_mul_u64_e32 v[10:11], s[36:37], v[4:5]
	v_mul_u64_e32 v[12:13], s[20:21], v[4:5]
	v_mad_nc_u64_u32 v[8:9], s36, v52, s[36:37]
	s_delay_alu instid0(VALU_DEP_4)
	v_cmp_gt_i64_e32 vcc_lo, s[2:3], v[0:1]
	v_mul_u64_e32 v[2:3], s[48:49], v[0:1]
	v_dual_ashrrev_i32 v7, 31, v6 :: v_dual_bitop2_b32 v0, 3, v52 bitop3:0x54
	v_mad_nc_u64_u32 v[22:23], s20, v52, s[20:21]
	s_ashr_i32 s2, s29, 31
	v_or_b32_e32 v24, s1, v24
	s_delay_alu instid0(VALU_DEP_3)
	v_mul_u64_e32 v[14:15], s[20:21], v[0:1]
	v_mul_u64_e32 v[16:17], s[36:37], v[0:1]
	v_or_b32_e32 v0, 2, v52
	v_mul_u64_e32 v[4:5], s[48:49], v[6:7]
	v_mad_u32 v9, s37, v52, v9
	s_lshr_b32 s2, s2, 28
	v_ashrrev_i32_e32 v25, 31, v24
	v_mul_u64_e32 v[18:19], s[20:21], v[0:1]
	v_mul_u64_e32 v[20:21], s[36:37], v[0:1]
	v_mad_u32 v23, s21, v52, v23
	s_add_co_i32 s2, s29, s2
	v_add_nc_u32_e32 v7, 0x80, v24
	s_and_b32 s52, s2, -16
	v_add_nc_u32_e32 v0, 64, v24
	v_add_nc_u32_e32 v26, 0xc0, v24
	s_sub_co_i32 s3, s29, s52
	s_add_nc_u64 s[16:17], s[16:17], s[4:5]
	s_cmp_gt_i32 s3, 0
	v_cmp_gt_i32_e64 s3, s28, v6
	v_cmp_gt_i32_e64 s5, s28, v7
	v_lshlrev_b64_e32 v[6:7], 1, v[24:25]
	s_add_nc_u64 s[30:31], s[44:45], s[6:7]
	v_cmp_gt_i32_e64 s1, s52, v52
	v_cmp_gt_i32_e64 s2, s28, v24
	;; [unrolled: 1-line block ×4, first 2 shown]
	v_lshl_add_u64 v[8:9], v[8:9], 1, s[24:25]
	v_lshl_add_u64 v[10:11], v[10:11], 3, s[24:25]
	;; [unrolled: 1-line block ×4, first 2 shown]
	s_add_nc_u64 s[26:27], s[24:25], s[18:19]
	s_cselect_b32 s53, -1, 0
	v_lshl_add_u64 v[14:15], v[14:15], 1, s[16:17]
	v_lshl_add_u64 v[16:17], v[16:17], 1, s[24:25]
	s_lshl_b64 s[34:35], s[38:39], 1
	s_and_b32 s28, s0, vcc_lo
	s_lshl_b64 s[44:45], s[22:23], 1
	s_lshl_b64 s[46:47], s[20:21], 5
	v_lshl_add_u64 v[18:19], v[18:19], 1, s[16:17]
	v_lshl_add_u64 v[20:21], v[20:21], 1, s[24:25]
	s_lshl_b64 s[24:25], s[36:37], 5
	s_branch .LBB543_5
.LBB543_3:                              ;   in Loop: Header=BB543_5 Depth=1
	s_wait_xcnt 0x0
	s_or_b32 exec_lo, exec_lo, s7
.LBB543_4:                              ;   in Loop: Header=BB543_5 Depth=1
	s_add_co_i32 s10, s10, 0x10000
	s_delay_alu instid0(SALU_CYCLE_1)
	s_cmp_lt_u32 s10, s33
	s_cbranch_scc0 .LBB543_70
.LBB543_5:                              ; =>This Loop Header: Depth=1
                                        ;     Child Loop BB543_22 Depth 2
	s_wait_xcnt 0x1
	s_mul_u64 s[8:9], s[14:15], s[10:11]
	s_wait_xcnt 0x0
	s_mul_u64 s[48:49], s[42:43], s[10:11]
	s_lshl_b64 s[8:9], s[8:9], 2
	s_lshl_b64 s[48:49], s[48:49], 2
	s_add_nc_u64 s[8:9], s[12:13], s[8:9]
	s_add_nc_u64 s[48:49], s[40:41], s[48:49]
	s_clause 0x1
	global_load_b32 v55, v1, s[8:9]
	global_load_b32 v0, v1, s[48:49]
	s_wait_loadcnt 0x1
	v_cmp_eq_f32_e32 vcc_lo, 0, v55
	s_wait_loadcnt 0x0
	v_cmp_eq_f32_e64 s7, 1.0, v0
	v_readfirstlane_b32 s55, v0
	s_and_b32 s7, vcc_lo, s7
	s_delay_alu instid0(SALU_CYCLE_1)
	s_and_b32 vcc_lo, exec_lo, s7
	s_cbranch_vccnz .LBB543_4
; %bb.6:                                ;   in Loop: Header=BB543_5 Depth=1
	v_cmp_neq_f32_e32 vcc_lo, 0, v55
	s_wait_xcnt 0x1
	s_mul_u64 s[8:9], s[50:51], s[10:11]
	s_delay_alu instid0(SALU_CYCLE_1)
	s_lshl_b64 s[8:9], s[8:9], 1
	s_wait_xcnt 0x0
	s_add_nc_u64 s[48:49], s[30:31], s[8:9]
	s_cbranch_vccnz .LBB543_14
; %bb.7:                                ;   in Loop: Header=BB543_5 Depth=1
	s_mov_b32 s7, 0
	s_mov_b32 s54, 0
                                        ; implicit-def: $vgpr0
	s_and_saveexec_b32 s8, s28
	s_cbranch_execz .LBB543_15
; %bb.8:                                ;   in Loop: Header=BB543_5 Depth=1
	s_cmp_eq_f32 s55, 0
	s_cbranch_scc1 .LBB543_54
; %bb.9:                                ;   in Loop: Header=BB543_5 Depth=1
	v_lshl_add_u64 v[24:25], v[2:3], 1, s[48:49]
	global_load_u16 v0, v[24:25], off
	s_wait_loadcnt 0x0
	v_lshlrev_b32_e32 v0, 16, v0
	s_delay_alu instid0(VALU_DEP_1) | instskip(SKIP_1) | instid1(VALU_DEP_1)
	v_mul_f32_e32 v0, s55, v0
	s_wait_xcnt 0x0
	v_and_b32_e32 v24, 0x7f800000, v0
	s_delay_alu instid0(VALU_DEP_1) | instskip(SKIP_1) | instid1(SALU_CYCLE_1)
	v_cmp_ne_u32_e32 vcc_lo, 0x7f800000, v24
                                        ; implicit-def: $vgpr24
	s_and_saveexec_b32 s9, vcc_lo
	s_xor_b32 s9, exec_lo, s9
; %bb.10:                               ;   in Loop: Header=BB543_5 Depth=1
	v_bfe_u32 v24, v0, 16, 1
	s_delay_alu instid0(VALU_DEP_1)
	v_add3_u32 v24, v0, v24, 0x7fff
                                        ; implicit-def: $vgpr0
; %bb.11:                               ;   in Loop: Header=BB543_5 Depth=1
	s_and_not1_saveexec_b32 s9, s9
; %bb.12:                               ;   in Loop: Header=BB543_5 Depth=1
	v_and_b32_e32 v24, 0xffff, v0
	v_or_b32_e32 v25, 0x10000, v0
	s_delay_alu instid0(VALU_DEP_2) | instskip(NEXT) | instid1(VALU_DEP_2)
	v_cmp_eq_u32_e32 vcc_lo, 0, v24
	v_cndmask_b32_e32 v24, v25, v0, vcc_lo
; %bb.13:                               ;   in Loop: Header=BB543_5 Depth=1
	s_or_b32 exec_lo, exec_lo, s9
	s_delay_alu instid0(VALU_DEP_1) | instskip(SKIP_2) | instid1(SALU_CYCLE_1)
	v_lshrrev_b32_e32 v0, 16, v24
	s_mov_b32 s54, exec_lo
	s_or_b32 exec_lo, exec_lo, s8
	s_and_b32 vcc_lo, exec_lo, s7
	s_cbranch_vccnz .LBB543_16
	s_branch .LBB543_55
.LBB543_14:                             ;   in Loop: Header=BB543_5 Depth=1
	s_mov_b32 s54, 0
                                        ; implicit-def: $vgpr0
	s_cbranch_execnz .LBB543_16
	s_branch .LBB543_55
.LBB543_15:                             ;   in Loop: Header=BB543_5 Depth=1
	s_or_b32 exec_lo, exec_lo, s8
	s_delay_alu instid0(SALU_CYCLE_1)
	s_and_b32 vcc_lo, exec_lo, s7
	s_cbranch_vccz .LBB543_55
.LBB543_16:                             ;   in Loop: Header=BB543_5 Depth=1
	v_dual_mov_b32 v56, 0 :: v_dual_mov_b32 v0, v52
	v_dual_mov_b32 v57, 0 :: v_dual_mov_b32 v58, 0
	v_mov_b32_e32 v59, 0
	s_and_saveexec_b32 s7, s1
	s_cbranch_execz .LBB543_28
; %bb.17:                               ;   in Loop: Header=BB543_5 Depth=1
	s_mul_u64 s[8:9], s[34:35], s[10:11]
	s_mul_u64 s[56:57], s[44:45], s[10:11]
	v_add_nc_u64_e32 v[24:25], s[8:9], v[10:11]
	v_add_nc_u64_e32 v[26:27], s[56:57], v[14:15]
	;; [unrolled: 1-line block ×8, first 2 shown]
	v_dual_mov_b32 v56, 0 :: v_dual_mov_b32 v0, v52
	v_dual_mov_b32 v57, 0 :: v_dual_mov_b32 v58, 0
	v_mov_b32_e32 v59, 0
	s_mov_b32 s8, 0
	s_branch .LBB543_22
.LBB543_18:                             ;   in Loop: Header=BB543_22 Depth=2
	s_or_b32 exec_lo, exec_lo, s58
	s_wait_loadcnt 0x2
	v_dual_lshlrev_b32 v45, 16, v71 :: v_dual_lshlrev_b32 v44, 16, v70
	s_delay_alu instid0(VALU_DEP_1) | instskip(SKIP_1) | instid1(VALU_DEP_1)
	v_pk_mul_f32 v[44:45], v[42:43], v[44:45]
	s_wait_loadcnt 0x0
	v_dual_add_f32 v44, v58, v44 :: v_dual_lshlrev_b32 v47, 16, v69
	s_delay_alu instid0(VALU_DEP_1) | instskip(NEXT) | instid1(VALU_DEP_1)
	v_dual_lshlrev_b32 v46, 16, v68 :: v_dual_add_f32 v48, v44, v45
	v_pk_mul_f32 v[44:45], v[40:41], v[46:47]
	s_delay_alu instid0(VALU_DEP_1) | instskip(NEXT) | instid1(VALU_DEP_1)
	v_add_f32_e32 v44, v48, v44
	v_add_f32_e32 v58, v44, v45
.LBB543_19:                             ;   in Loop: Header=BB543_22 Depth=2
	s_or_b32 exec_lo, exec_lo, s57
	s_wait_loadcnt 0x2
	v_dual_lshlrev_b32 v45, 16, v67 :: v_dual_lshlrev_b32 v44, 16, v66
	s_delay_alu instid0(VALU_DEP_1) | instskip(SKIP_1) | instid1(VALU_DEP_1)
	v_pk_mul_f32 v[44:45], v[42:43], v[44:45]
	s_wait_loadcnt 0x0
	v_dual_add_f32 v44, v57, v44 :: v_dual_lshlrev_b32 v47, 16, v65
	s_delay_alu instid0(VALU_DEP_1) | instskip(NEXT) | instid1(VALU_DEP_1)
	v_dual_lshlrev_b32 v46, 16, v64 :: v_dual_add_f32 v48, v44, v45
	v_pk_mul_f32 v[44:45], v[40:41], v[46:47]
	s_delay_alu instid0(VALU_DEP_1) | instskip(NEXT) | instid1(VALU_DEP_1)
	v_add_f32_e32 v44, v48, v44
	v_add_f32_e32 v57, v44, v45
.LBB543_20:                             ;   in Loop: Header=BB543_22 Depth=2
	s_or_b32 exec_lo, exec_lo, s56
	s_wait_loadcnt 0x2
	v_dual_lshlrev_b32 v45, 16, v63 :: v_dual_lshlrev_b32 v44, 16, v62
	s_delay_alu instid0(VALU_DEP_1) | instskip(SKIP_1) | instid1(VALU_DEP_1)
	v_pk_mul_f32 v[42:43], v[42:43], v[44:45]
	s_wait_loadcnt 0x0
	v_dual_add_f32 v42, v56, v42 :: v_dual_lshlrev_b32 v45, 16, v61
	s_delay_alu instid0(VALU_DEP_1) | instskip(NEXT) | instid1(VALU_DEP_1)
	v_dual_lshlrev_b32 v44, 16, v60 :: v_dual_add_f32 v42, v42, v43
	v_pk_mul_f32 v[40:41], v[40:41], v[44:45]
	s_delay_alu instid0(VALU_DEP_1) | instskip(NEXT) | instid1(VALU_DEP_1)
	v_add_f32_e32 v40, v42, v40
	v_add_f32_e32 v56, v40, v41
.LBB543_21:                             ;   in Loop: Header=BB543_22 Depth=2
	s_or_b32 exec_lo, exec_lo, s9
	v_add_nc_u32_e32 v0, 16, v0
	v_add_nc_u64_e32 v[24:25], s[24:25], v[24:25]
	v_add_nc_u64_e32 v[26:27], s[46:47], v[26:27]
	v_add_nc_u64_e32 v[28:29], s[24:25], v[28:29]
	v_add_nc_u64_e32 v[30:31], s[46:47], v[30:31]
	v_add_nc_u64_e32 v[32:33], s[46:47], v[32:33]
	v_add_nc_u64_e32 v[34:35], s[24:25], v[34:35]
	v_add_nc_u64_e32 v[36:37], s[24:25], v[36:37]
	v_cmp_le_i32_e32 vcc_lo, s52, v0
	v_add_nc_u64_e32 v[38:39], s[46:47], v[38:39]
	s_or_b32 s8, vcc_lo, s8
	s_delay_alu instid0(SALU_CYCLE_1)
	s_and_not1_b32 exec_lo, exec_lo, s8
	s_cbranch_execz .LBB543_27
.LBB543_22:                             ;   Parent Loop BB543_5 Depth=1
                                        ; =>  This Inner Loop Header: Depth=2
	s_and_saveexec_b32 s9, s2
	s_cbranch_execz .LBB543_21
; %bb.23:                               ;   in Loop: Header=BB543_22 Depth=2
	v_add_nc_u64_e32 v[40:41], s[18:19], v[24:25]
	v_add_nc_u64_e32 v[42:43], s[18:19], v[36:37]
	v_add_nc_u64_e32 v[62:63], s[18:19], v[28:29]
	v_add_nc_u64_e32 v[60:61], s[18:19], v[34:35]
	v_add_nc_u64_e32 v[48:49], v[30:31], v[6:7]
	v_add_nc_u64_e32 v[50:51], v[38:39], v[6:7]
	v_add_nc_u64_e32 v[44:45], v[32:33], v[6:7]
	global_load_u16 v40, v[40:41], off
	global_load_u16 v41, v[42:43], off
	v_add_nc_u64_e32 v[46:47], v[26:27], v[6:7]
	global_load_u16 v64, v[62:63], off
	global_load_u16 v65, v[60:61], off
	;; [unrolled: 1-line block ×6, first 2 shown]
	s_wait_loadcnt 0x6
	v_dual_lshlrev_b32 v42, 16, v40 :: v_dual_lshlrev_b32 v43, 16, v41
	s_wait_loadcnt 0x4
	v_dual_lshlrev_b32 v41, 16, v64 :: v_dual_lshlrev_b32 v40, 16, v65
	s_wait_xcnt 0x0
	s_and_saveexec_b32 s56, s4
	s_cbranch_execz .LBB543_20
; %bb.24:                               ;   in Loop: Header=BB543_22 Depth=2
	global_load_u16 v66, v[48:49], off offset:128
	global_load_u16 v67, v[50:51], off offset:128
	global_load_u16 v64, v[44:45], off offset:128
	global_load_u16 v65, v[46:47], off offset:128
	s_wait_xcnt 0x0
	s_and_saveexec_b32 s57, s5
	s_cbranch_execz .LBB543_19
; %bb.25:                               ;   in Loop: Header=BB543_22 Depth=2
	global_load_u16 v70, v[48:49], off offset:256
	global_load_u16 v71, v[50:51], off offset:256
	global_load_u16 v68, v[44:45], off offset:256
	global_load_u16 v69, v[46:47], off offset:256
	;; [unrolled: 8-line block ×3, first 2 shown]
	s_wait_loadcnt 0x2
	s_wait_xcnt 0x0
	v_dual_lshlrev_b32 v45, 16, v50 :: v_dual_lshlrev_b32 v44, 16, v48
	s_delay_alu instid0(VALU_DEP_1) | instskip(SKIP_1) | instid1(VALU_DEP_1)
	v_pk_mul_f32 v[44:45], v[42:43], v[44:45]
	s_wait_loadcnt 0x1
	v_dual_add_f32 v44, v59, v44 :: v_dual_lshlrev_b32 v47, 16, v46
	s_delay_alu instid0(VALU_DEP_1) | instskip(SKIP_2) | instid1(VALU_DEP_1)
	v_add_f32_e32 v48, v44, v45
	s_wait_loadcnt 0x0
	v_lshlrev_b32_e32 v46, 16, v49
	v_pk_mul_f32 v[44:45], v[40:41], v[46:47]
	s_delay_alu instid0(VALU_DEP_1) | instskip(NEXT) | instid1(VALU_DEP_1)
	v_add_f32_e32 v44, v48, v44
	v_add_f32_e32 v59, v44, v45
	s_branch .LBB543_18
.LBB543_27:                             ;   in Loop: Header=BB543_5 Depth=1
	s_or_b32 exec_lo, exec_lo, s8
.LBB543_28:                             ;   in Loop: Header=BB543_5 Depth=1
	s_delay_alu instid0(SALU_CYCLE_1) | instskip(NEXT) | instid1(SALU_CYCLE_1)
	s_or_b32 exec_lo, exec_lo, s7
	s_and_not1_b32 vcc_lo, exec_lo, s53
	s_cbranch_vccnz .LBB543_46
; %bb.29:                               ;   in Loop: Header=BB543_5 Depth=1
	v_dual_mov_b32 v24, 0 :: v_dual_bitop2_b32 v28, 1, v0 bitop3:0x54
	v_cmp_gt_i32_e32 vcc_lo, s29, v0
	s_delay_alu instid0(VALU_DEP_2)
	v_dual_mov_b32 v25, v24 :: v_dual_mov_b32 v26, v24
	v_mov_b32_e32 v27, v24
	s_and_saveexec_b32 s56, vcc_lo
	s_cbranch_execz .LBB543_37
; %bb.30:                               ;   in Loop: Header=BB543_5 Depth=1
	v_mul_u64_e32 v[24:25], s[36:37], v[0:1]
	s_mul_u64 s[8:9], s[38:39], s[10:11]
	v_mov_b32_e32 v27, 0
	s_lshl_b64 s[8:9], s[8:9], 1
	s_mov_b32 s57, exec_lo
	s_add_nc_u64 s[8:9], s[26:27], s[8:9]
	s_delay_alu instid0(VALU_DEP_2) | instid1(SALU_CYCLE_1)
	v_lshl_add_u64 v[24:25], v[24:25], 1, s[8:9]
	global_load_u16 v30, v[24:25], off
	s_wait_xcnt 0x0
	v_dual_mov_b32 v25, 0 :: v_dual_mov_b32 v24, 0
	v_cmpx_gt_i32_e64 s29, v28
	s_cbranch_execz .LBB543_36
; %bb.31:                               ;   in Loop: Header=BB543_5 Depth=1
	v_dual_mov_b32 v29, v1 :: v_dual_bitop2_b32 v26, 2, v0 bitop3:0x54
	s_mov_b32 s58, exec_lo
	s_delay_alu instid0(VALU_DEP_1) | instskip(NEXT) | instid1(VALU_DEP_1)
	v_mul_u64_e32 v[24:25], s[36:37], v[28:29]
	v_lshl_add_u64 v[24:25], v[24:25], 1, s[8:9]
	global_load_u16 v29, v[24:25], off
	s_wait_xcnt 0x0
	v_dual_mov_b32 v25, 0 :: v_dual_mov_b32 v24, 0
	v_cmpx_gt_i32_e64 s29, v26
	s_cbranch_execz .LBB543_35
; %bb.32:                               ;   in Loop: Header=BB543_5 Depth=1
	v_mov_b32_e32 v27, v1
	s_mov_b32 s59, exec_lo
	s_delay_alu instid0(VALU_DEP_1) | instskip(NEXT) | instid1(VALU_DEP_1)
	v_mul_u64_e32 v[24:25], s[36:37], v[26:27]
	v_lshl_add_u64 v[24:25], v[24:25], 1, s[8:9]
	global_load_u16 v26, v[24:25], off
	s_wait_xcnt 0x0
	v_dual_mov_b32 v25, 0 :: v_dual_bitop2_b32 v24, 3, v0 bitop3:0x54
	s_delay_alu instid0(VALU_DEP_1)
	v_cmpx_gt_i32_e64 s29, v24
	s_cbranch_execz .LBB543_34
; %bb.33:                               ;   in Loop: Header=BB543_5 Depth=1
	v_mov_b32_e32 v25, v1
	s_delay_alu instid0(VALU_DEP_1) | instskip(NEXT) | instid1(VALU_DEP_1)
	v_mul_u64_e32 v[24:25], s[36:37], v[24:25]
	v_lshl_add_u64 v[24:25], v[24:25], 1, s[8:9]
	global_load_u16 v24, v[24:25], off
	s_wait_loadcnt 0x0
	s_wait_xcnt 0x0
	v_lshlrev_b32_e32 v25, 16, v24
.LBB543_34:                             ;   in Loop: Header=BB543_5 Depth=1
	s_or_b32 exec_lo, exec_lo, s59
	s_wait_loadcnt 0x0
	v_lshlrev_b32_e32 v24, 16, v26
.LBB543_35:                             ;   in Loop: Header=BB543_5 Depth=1
	s_or_b32 exec_lo, exec_lo, s58
	s_wait_loadcnt 0x0
	v_lshlrev_b32_e32 v27, 16, v29
.LBB543_36:                             ;   in Loop: Header=BB543_5 Depth=1
	s_or_b32 exec_lo, exec_lo, s57
	s_wait_loadcnt 0x0
	v_lshlrev_b32_e32 v26, 16, v30
.LBB543_37:                             ;   in Loop: Header=BB543_5 Depth=1
	s_or_b32 exec_lo, exec_lo, s56
	s_and_saveexec_b32 s56, s2
	s_cbranch_execz .LBB543_45
; %bb.38:                               ;   in Loop: Header=BB543_5 Depth=1
	v_dual_mov_b32 v29, v1 :: v_dual_bitop2_b32 v30, 2, v0 bitop3:0x54
	v_mov_b32_e32 v31, v1
	v_mul_u64_e32 v[32:33], s[20:21], v[0:1]
	v_or_b32_e32 v0, 3, v0
	s_delay_alu instid0(VALU_DEP_4)
	v_mul_u64_e32 v[34:35], s[20:21], v[28:29]
	s_mul_u64 s[8:9], s[22:23], s[10:11]
	v_mul_u64_e32 v[36:37], s[20:21], v[30:31]
	v_cmp_gt_i32_e64 s7, s29, v28
	v_mul_u64_e32 v[38:39], s[20:21], v[0:1]
	s_lshl_b64 s[58:59], s[8:9], 1
	v_cmp_gt_i32_e64 s8, s29, v30
	v_cmp_gt_i32_e64 s9, s29, v0
	v_dual_cndmask_b32 v29, 0, v33 :: v_dual_cndmask_b32 v28, 0, v32
	v_dual_cndmask_b32 v31, 0, v35, s7 :: v_dual_cndmask_b32 v30, 0, v34, s7
	s_delay_alu instid0(VALU_DEP_4) | instskip(NEXT) | instid1(VALU_DEP_4)
	v_dual_cndmask_b32 v33, 0, v37, s8 :: v_dual_cndmask_b32 v32, 0, v36, s8
	v_dual_cndmask_b32 v35, 0, v39, s9 :: v_dual_cndmask_b32 v34, 0, v38, s9
	s_add_nc_u64 s[8:9], s[16:17], s[58:59]
	s_delay_alu instid0(VALU_DEP_3) | instid1(SALU_CYCLE_1)
	v_lshl_add_u64 v[30:31], v[30:31], 1, s[8:9]
	s_delay_alu instid0(VALU_DEP_3) | instskip(NEXT) | instid1(VALU_DEP_3)
	v_lshl_add_u64 v[36:37], v[32:33], 1, s[8:9]
	v_lshl_add_u64 v[34:35], v[34:35], 1, s[8:9]
	;; [unrolled: 1-line block ×3, first 2 shown]
	s_delay_alu instid0(VALU_DEP_4) | instskip(NEXT) | instid1(VALU_DEP_4)
	v_add_nc_u64_e32 v[32:33], v[30:31], v[6:7]
	v_add_nc_u64_e32 v[28:29], v[36:37], v[6:7]
	s_delay_alu instid0(VALU_DEP_4) | instskip(NEXT) | instid1(VALU_DEP_4)
	v_add_nc_u64_e32 v[30:31], v[34:35], v[6:7]
	v_add_nc_u64_e32 v[34:35], v[38:39], v[6:7]
	s_clause 0x3
	global_load_u16 v37, v[32:33], off
	global_load_u16 v0, v[28:29], off
	;; [unrolled: 1-line block ×4, first 2 shown]
	s_wait_xcnt 0x0
	s_and_saveexec_b32 s7, s4
	s_cbranch_execz .LBB543_44
; %bb.39:                               ;   in Loop: Header=BB543_5 Depth=1
	s_clause 0x3
	global_load_u16 v41, v[34:35], off offset:128
	global_load_u16 v42, v[32:33], off offset:128
	global_load_u16 v39, v[28:29], off offset:128
	global_load_u16 v40, v[30:31], off offset:128
	s_wait_xcnt 0x0
	s_and_saveexec_b32 s8, s5
	s_cbranch_execz .LBB543_43
; %bb.40:                               ;   in Loop: Header=BB543_5 Depth=1
	s_clause 0x3
	global_load_u16 v45, v[34:35], off offset:256
	global_load_u16 v46, v[32:33], off offset:256
	global_load_u16 v43, v[28:29], off offset:256
	global_load_u16 v44, v[30:31], off offset:256
	;; [unrolled: 9-line block ×3, first 2 shown]
	s_wait_loadcnt 0x2
	s_wait_xcnt 0x0
	v_dual_lshlrev_b32 v29, 16, v32 :: v_dual_lshlrev_b32 v28, 16, v33
	s_delay_alu instid0(VALU_DEP_1) | instskip(SKIP_1) | instid1(VALU_DEP_1)
	v_pk_mul_f32 v[28:29], v[26:27], v[28:29]
	s_wait_loadcnt 0x1
	v_dual_add_f32 v28, v59, v28 :: v_dual_lshlrev_b32 v31, 16, v30
	s_wait_loadcnt 0x0
	s_delay_alu instid0(VALU_DEP_1) | instskip(NEXT) | instid1(VALU_DEP_1)
	v_dual_lshlrev_b32 v30, 16, v34 :: v_dual_add_f32 v32, v28, v29
	v_pk_mul_f32 v[28:29], v[24:25], v[30:31]
	s_delay_alu instid0(VALU_DEP_1) | instskip(NEXT) | instid1(VALU_DEP_1)
	v_add_f32_e32 v28, v32, v28
	v_add_f32_e32 v59, v28, v29
.LBB543_42:                             ;   in Loop: Header=BB543_5 Depth=1
	s_or_b32 exec_lo, exec_lo, s9
	s_wait_loadcnt 0x2
	v_dual_lshlrev_b32 v29, 16, v46 :: v_dual_lshlrev_b32 v28, 16, v45
	s_wait_loadcnt 0x0
	v_dual_lshlrev_b32 v31, 16, v44 :: v_dual_lshlrev_b32 v30, 16, v43
	s_delay_alu instid0(VALU_DEP_2) | instskip(NEXT) | instid1(VALU_DEP_1)
	v_pk_mul_f32 v[28:29], v[26:27], v[28:29]
	v_add_f32_e32 v28, v58, v28
	s_delay_alu instid0(VALU_DEP_1) | instskip(NEXT) | instid1(VALU_DEP_4)
	v_add_f32_e32 v32, v28, v29
	v_pk_mul_f32 v[28:29], v[24:25], v[30:31]
	s_delay_alu instid0(VALU_DEP_1) | instskip(NEXT) | instid1(VALU_DEP_1)
	v_add_f32_e32 v28, v32, v28
	v_add_f32_e32 v58, v28, v29
.LBB543_43:                             ;   in Loop: Header=BB543_5 Depth=1
	s_or_b32 exec_lo, exec_lo, s8
	s_wait_loadcnt 0x2
	v_dual_lshlrev_b32 v29, 16, v42 :: v_dual_lshlrev_b32 v28, 16, v41
	s_wait_loadcnt 0x0
	v_dual_lshlrev_b32 v31, 16, v40 :: v_dual_lshlrev_b32 v30, 16, v39
	s_delay_alu instid0(VALU_DEP_2) | instskip(NEXT) | instid1(VALU_DEP_1)
	v_pk_mul_f32 v[28:29], v[26:27], v[28:29]
	v_add_f32_e32 v28, v57, v28
	s_delay_alu instid0(VALU_DEP_1) | instskip(NEXT) | instid1(VALU_DEP_4)
	v_add_f32_e32 v32, v28, v29
	v_pk_mul_f32 v[28:29], v[24:25], v[30:31]
	s_delay_alu instid0(VALU_DEP_1) | instskip(NEXT) | instid1(VALU_DEP_1)
	v_add_f32_e32 v28, v32, v28
	v_add_f32_e32 v57, v28, v29
.LBB543_44:                             ;   in Loop: Header=BB543_5 Depth=1
	s_or_b32 exec_lo, exec_lo, s7
	s_wait_loadcnt 0x0
	v_dual_lshlrev_b32 v29, 16, v37 :: v_dual_lshlrev_b32 v28, 16, v38
	s_delay_alu instid0(VALU_DEP_1) | instskip(NEXT) | instid1(VALU_DEP_1)
	v_pk_mul_f32 v[26:27], v[26:27], v[28:29]
	v_dual_add_f32 v26, v56, v26 :: v_dual_lshlrev_b32 v29, 16, v36
	s_delay_alu instid0(VALU_DEP_1) | instskip(NEXT) | instid1(VALU_DEP_1)
	v_dual_lshlrev_b32 v28, 16, v0 :: v_dual_add_f32 v0, v26, v27
	v_pk_mul_f32 v[24:25], v[24:25], v[28:29]
	s_delay_alu instid0(VALU_DEP_1) | instskip(NEXT) | instid1(VALU_DEP_1)
	v_add_f32_e32 v0, v0, v24
	v_add_f32_e32 v56, v0, v25
.LBB543_45:                             ;   in Loop: Header=BB543_5 Depth=1
	s_or_b32 exec_lo, exec_lo, s56
.LBB543_46:                             ;   in Loop: Header=BB543_5 Depth=1
	ds_store_2addr_stride64_b32 v53, v56, v57 offset1:1
	ds_store_2addr_stride64_b32 v53, v58, v59 offset0:2 offset1:3
	s_wait_dscnt 0x0
	s_barrier_signal -1
	s_barrier_wait -1
                                        ; implicit-def: $vgpr0
	s_and_saveexec_b32 s7, s0
	s_cbranch_execz .LBB543_68
; %bb.47:                               ;   in Loop: Header=BB543_5 Depth=1
	ds_load_2addr_stride64_b32 v[24:25], v54 offset1:4
	ds_load_2addr_stride64_b32 v[26:27], v54 offset0:8 offset1:12
	s_mov_b32 s9, s54
	s_wait_dscnt 0x1
	v_add_f32_e32 v0, v24, v25
	s_wait_dscnt 0x0
	s_delay_alu instid0(VALU_DEP_1) | instskip(NEXT) | instid1(VALU_DEP_1)
	v_add_f32_e32 v0, v26, v0
	v_add_f32_e32 v24, v27, v0
                                        ; implicit-def: $vgpr0
	ds_store_b32 v54, v24
	s_and_saveexec_b32 s8, s3
	s_cbranch_execz .LBB543_67
; %bb.48:                               ;   in Loop: Header=BB543_5 Depth=1
	v_mul_f32_e32 v0, v55, v24
	s_cmp_eq_f32 s55, 0
	s_cbranch_scc0 .LBB543_56
; %bb.49:                               ;   in Loop: Header=BB543_5 Depth=1
	s_delay_alu instid0(VALU_DEP_1) | instskip(NEXT) | instid1(VALU_DEP_1)
	v_and_b32_e32 v24, 0x7f800000, v0
	v_cmp_ne_u32_e32 vcc_lo, 0x7f800000, v24
                                        ; implicit-def: $vgpr24
	s_and_saveexec_b32 s9, vcc_lo
	s_delay_alu instid0(SALU_CYCLE_1)
	s_xor_b32 s9, exec_lo, s9
; %bb.50:                               ;   in Loop: Header=BB543_5 Depth=1
	v_bfe_u32 v24, v0, 16, 1
	s_delay_alu instid0(VALU_DEP_1)
	v_add3_u32 v24, v0, v24, 0x7fff
; %bb.51:                               ;   in Loop: Header=BB543_5 Depth=1
	s_and_not1_saveexec_b32 s9, s9
; %bb.52:                               ;   in Loop: Header=BB543_5 Depth=1
	v_and_b32_e32 v24, 0xffff, v0
	v_or_b32_e32 v25, 0x10000, v0
	s_delay_alu instid0(VALU_DEP_2) | instskip(NEXT) | instid1(VALU_DEP_2)
	v_cmp_eq_u32_e32 vcc_lo, 0, v24
	v_cndmask_b32_e32 v24, v25, v0, vcc_lo
; %bb.53:                               ;   in Loop: Header=BB543_5 Depth=1
	s_or_b32 exec_lo, exec_lo, s9
	s_cbranch_execz .LBB543_57
	s_branch .LBB543_66
.LBB543_54:                             ;   in Loop: Header=BB543_5 Depth=1
	v_mov_b32_e32 v0, 0
	s_mov_b32 s54, exec_lo
	s_or_b32 exec_lo, exec_lo, s8
	s_delay_alu instid0(SALU_CYCLE_1)
	s_and_b32 vcc_lo, exec_lo, s7
	s_cbranch_vccnz .LBB543_16
.LBB543_55:                             ;   in Loop: Header=BB543_5 Depth=1
	v_mov_b64_e32 v[24:25], v[2:3]
	s_and_saveexec_b32 s7, s54
	s_cbranch_execz .LBB543_3
	s_branch .LBB543_69
.LBB543_56:                             ;   in Loop: Header=BB543_5 Depth=1
                                        ; implicit-def: $vgpr24
.LBB543_57:                             ;   in Loop: Header=BB543_5 Depth=1
	v_lshl_add_u64 v[24:25], v[4:5], 1, s[48:49]
	global_load_u16 v24, v[24:25], off
	s_wait_loadcnt 0x0
	s_wait_xcnt 0x0
	v_lshlrev_b32_e32 v24, 16, v24
	s_delay_alu instid0(VALU_DEP_1) | instskip(NEXT) | instid1(VALU_DEP_1)
	v_mul_f32_e32 v24, s55, v24
	v_and_b32_e32 v25, 0x7f800000, v24
	s_delay_alu instid0(VALU_DEP_1) | instskip(SKIP_1) | instid1(SALU_CYCLE_1)
	v_cmp_ne_u32_e32 vcc_lo, 0x7f800000, v25
                                        ; implicit-def: $vgpr25
	s_and_saveexec_b32 s9, vcc_lo
	s_xor_b32 s9, exec_lo, s9
; %bb.58:                               ;   in Loop: Header=BB543_5 Depth=1
	v_bfe_u32 v25, v24, 16, 1
	s_delay_alu instid0(VALU_DEP_1)
	v_add3_u32 v25, v24, v25, 0x7fff
                                        ; implicit-def: $vgpr24
; %bb.59:                               ;   in Loop: Header=BB543_5 Depth=1
	s_and_not1_saveexec_b32 s9, s9
; %bb.60:                               ;   in Loop: Header=BB543_5 Depth=1
	v_and_b32_e32 v25, 0xffff, v24
	v_or_b32_e32 v26, 0x10000, v24
	s_delay_alu instid0(VALU_DEP_2) | instskip(NEXT) | instid1(VALU_DEP_2)
	v_cmp_eq_u32_e32 vcc_lo, 0, v25
	v_cndmask_b32_e32 v25, v26, v24, vcc_lo
; %bb.61:                               ;   in Loop: Header=BB543_5 Depth=1
	s_or_b32 exec_lo, exec_lo, s9
	s_delay_alu instid0(VALU_DEP_1) | instskip(NEXT) | instid1(VALU_DEP_1)
	v_and_b32_e32 v24, 0xffff0000, v25
	v_add_f32_e32 v0, v0, v24
	s_delay_alu instid0(VALU_DEP_1) | instskip(NEXT) | instid1(VALU_DEP_1)
	v_and_b32_e32 v24, 0x7f800000, v0
	v_cmp_ne_u32_e32 vcc_lo, 0x7f800000, v24
                                        ; implicit-def: $vgpr24
	s_and_saveexec_b32 s9, vcc_lo
	s_delay_alu instid0(SALU_CYCLE_1)
	s_xor_b32 s9, exec_lo, s9
; %bb.62:                               ;   in Loop: Header=BB543_5 Depth=1
	v_bfe_u32 v24, v0, 16, 1
	s_delay_alu instid0(VALU_DEP_1)
	v_add3_u32 v24, v0, v24, 0x7fff
                                        ; implicit-def: $vgpr0
; %bb.63:                               ;   in Loop: Header=BB543_5 Depth=1
	s_and_not1_saveexec_b32 s9, s9
; %bb.64:                               ;   in Loop: Header=BB543_5 Depth=1
	v_and_b32_e32 v24, 0xffff, v0
	v_or_b32_e32 v25, 0x10000, v0
	s_delay_alu instid0(VALU_DEP_2) | instskip(NEXT) | instid1(VALU_DEP_2)
	v_cmp_eq_u32_e32 vcc_lo, 0, v24
	v_cndmask_b32_e32 v24, v25, v0, vcc_lo
; %bb.65:                               ;   in Loop: Header=BB543_5 Depth=1
	s_or_b32 exec_lo, exec_lo, s9
.LBB543_66:                             ;   in Loop: Header=BB543_5 Depth=1
	s_delay_alu instid0(VALU_DEP_1)
	v_lshrrev_b32_e32 v0, 16, v24
	s_or_b32 s9, s54, exec_lo
.LBB543_67:                             ;   in Loop: Header=BB543_5 Depth=1
	s_or_b32 exec_lo, exec_lo, s8
	s_delay_alu instid0(SALU_CYCLE_1) | instskip(SKIP_1) | instid1(SALU_CYCLE_1)
	s_and_not1_b32 s8, s54, exec_lo
	s_and_b32 s9, s9, exec_lo
	s_or_b32 s54, s8, s9
.LBB543_68:                             ;   in Loop: Header=BB543_5 Depth=1
	s_or_b32 exec_lo, exec_lo, s7
	v_mov_b64_e32 v[24:25], v[4:5]
	s_and_saveexec_b32 s7, s54
	s_cbranch_execz .LBB543_3
.LBB543_69:                             ;   in Loop: Header=BB543_5 Depth=1
	s_delay_alu instid0(VALU_DEP_1)
	v_lshl_add_u64 v[24:25], v[24:25], 1, s[48:49]
	global_store_b16 v[24:25], v0, off
	s_branch .LBB543_3
.LBB543_70:
	s_sendmsg sendmsg(MSG_DEALLOC_VGPRS)
	s_endpgm
	.section	.rodata,"a",@progbits
	.p2align	6, 0x0
	.amdhsa_kernel _ZL20rocblas_gemvn_kernelILi64ELi4El16rocblas_bfloat16PKfS0_EviiT3_lPKT2_lT1_lS6_lS7_lS3_lPT4_lS7_li
		.amdhsa_group_segment_fixed_size 4096
		.amdhsa_private_segment_fixed_size 0
		.amdhsa_kernarg_size 400
		.amdhsa_user_sgpr_count 2
		.amdhsa_user_sgpr_dispatch_ptr 0
		.amdhsa_user_sgpr_queue_ptr 0
		.amdhsa_user_sgpr_kernarg_segment_ptr 1
		.amdhsa_user_sgpr_dispatch_id 0
		.amdhsa_user_sgpr_kernarg_preload_length 0
		.amdhsa_user_sgpr_kernarg_preload_offset 0
		.amdhsa_user_sgpr_private_segment_size 0
		.amdhsa_wavefront_size32 1
		.amdhsa_uses_dynamic_stack 0
		.amdhsa_enable_private_segment 0
		.amdhsa_system_sgpr_workgroup_id_x 1
		.amdhsa_system_sgpr_workgroup_id_y 0
		.amdhsa_system_sgpr_workgroup_id_z 1
		.amdhsa_system_sgpr_workgroup_info 0
		.amdhsa_system_vgpr_workitem_id 1
		.amdhsa_next_free_vgpr 72
		.amdhsa_next_free_sgpr 60
		.amdhsa_named_barrier_count 0
		.amdhsa_reserve_vcc 1
		.amdhsa_float_round_mode_32 0
		.amdhsa_float_round_mode_16_64 0
		.amdhsa_float_denorm_mode_32 3
		.amdhsa_float_denorm_mode_16_64 3
		.amdhsa_fp16_overflow 0
		.amdhsa_memory_ordered 1
		.amdhsa_forward_progress 1
		.amdhsa_inst_pref_size 28
		.amdhsa_round_robin_scheduling 0
		.amdhsa_exception_fp_ieee_invalid_op 0
		.amdhsa_exception_fp_denorm_src 0
		.amdhsa_exception_fp_ieee_div_zero 0
		.amdhsa_exception_fp_ieee_overflow 0
		.amdhsa_exception_fp_ieee_underflow 0
		.amdhsa_exception_fp_ieee_inexact 0
		.amdhsa_exception_int_div_zero 0
	.end_amdhsa_kernel
	.section	.text._ZL20rocblas_gemvn_kernelILi64ELi4El16rocblas_bfloat16PKfS0_EviiT3_lPKT2_lT1_lS6_lS7_lS3_lPT4_lS7_li,"axG",@progbits,_ZL20rocblas_gemvn_kernelILi64ELi4El16rocblas_bfloat16PKfS0_EviiT3_lPKT2_lT1_lS6_lS7_lS3_lPT4_lS7_li,comdat
.Lfunc_end543:
	.size	_ZL20rocblas_gemvn_kernelILi64ELi4El16rocblas_bfloat16PKfS0_EviiT3_lPKT2_lT1_lS6_lS7_lS3_lPT4_lS7_li, .Lfunc_end543-_ZL20rocblas_gemvn_kernelILi64ELi4El16rocblas_bfloat16PKfS0_EviiT3_lPKT2_lT1_lS6_lS7_lS3_lPT4_lS7_li
                                        ; -- End function
	.set _ZL20rocblas_gemvn_kernelILi64ELi4El16rocblas_bfloat16PKfS0_EviiT3_lPKT2_lT1_lS6_lS7_lS3_lPT4_lS7_li.num_vgpr, 72
	.set _ZL20rocblas_gemvn_kernelILi64ELi4El16rocblas_bfloat16PKfS0_EviiT3_lPKT2_lT1_lS6_lS7_lS3_lPT4_lS7_li.num_agpr, 0
	.set _ZL20rocblas_gemvn_kernelILi64ELi4El16rocblas_bfloat16PKfS0_EviiT3_lPKT2_lT1_lS6_lS7_lS3_lPT4_lS7_li.numbered_sgpr, 60
	.set _ZL20rocblas_gemvn_kernelILi64ELi4El16rocblas_bfloat16PKfS0_EviiT3_lPKT2_lT1_lS6_lS7_lS3_lPT4_lS7_li.num_named_barrier, 0
	.set _ZL20rocblas_gemvn_kernelILi64ELi4El16rocblas_bfloat16PKfS0_EviiT3_lPKT2_lT1_lS6_lS7_lS3_lPT4_lS7_li.private_seg_size, 0
	.set _ZL20rocblas_gemvn_kernelILi64ELi4El16rocblas_bfloat16PKfS0_EviiT3_lPKT2_lT1_lS6_lS7_lS3_lPT4_lS7_li.uses_vcc, 1
	.set _ZL20rocblas_gemvn_kernelILi64ELi4El16rocblas_bfloat16PKfS0_EviiT3_lPKT2_lT1_lS6_lS7_lS3_lPT4_lS7_li.uses_flat_scratch, 0
	.set _ZL20rocblas_gemvn_kernelILi64ELi4El16rocblas_bfloat16PKfS0_EviiT3_lPKT2_lT1_lS6_lS7_lS3_lPT4_lS7_li.has_dyn_sized_stack, 0
	.set _ZL20rocblas_gemvn_kernelILi64ELi4El16rocblas_bfloat16PKfS0_EviiT3_lPKT2_lT1_lS6_lS7_lS3_lPT4_lS7_li.has_recursion, 0
	.set _ZL20rocblas_gemvn_kernelILi64ELi4El16rocblas_bfloat16PKfS0_EviiT3_lPKT2_lT1_lS6_lS7_lS3_lPT4_lS7_li.has_indirect_call, 0
	.section	.AMDGPU.csdata,"",@progbits
; Kernel info:
; codeLenInByte = 3488
; TotalNumSgprs: 62
; NumVgprs: 72
; ScratchSize: 0
; MemoryBound: 0
; FloatMode: 240
; IeeeMode: 1
; LDSByteSize: 4096 bytes/workgroup (compile time only)
; SGPRBlocks: 0
; VGPRBlocks: 4
; NumSGPRsForWavesPerEU: 62
; NumVGPRsForWavesPerEU: 72
; NamedBarCnt: 0
; Occupancy: 12
; WaveLimiterHint : 1
; COMPUTE_PGM_RSRC2:SCRATCH_EN: 0
; COMPUTE_PGM_RSRC2:USER_SGPR: 2
; COMPUTE_PGM_RSRC2:TRAP_HANDLER: 0
; COMPUTE_PGM_RSRC2:TGID_X_EN: 1
; COMPUTE_PGM_RSRC2:TGID_Y_EN: 0
; COMPUTE_PGM_RSRC2:TGID_Z_EN: 1
; COMPUTE_PGM_RSRC2:TIDIG_COMP_CNT: 1
	.section	.text._ZL20rocblas_gemvn_kernelILi64ELi4Ei16rocblas_bfloat16fS0_EviiT3_lPKT2_lT1_lS4_lS5_lS1_lPT4_lS5_li,"axG",@progbits,_ZL20rocblas_gemvn_kernelILi64ELi4Ei16rocblas_bfloat16fS0_EviiT3_lPKT2_lT1_lS4_lS5_lS1_lPT4_lS5_li,comdat
	.globl	_ZL20rocblas_gemvn_kernelILi64ELi4Ei16rocblas_bfloat16fS0_EviiT3_lPKT2_lT1_lS4_lS5_lS1_lPT4_lS5_li ; -- Begin function _ZL20rocblas_gemvn_kernelILi64ELi4Ei16rocblas_bfloat16fS0_EviiT3_lPKT2_lT1_lS4_lS5_lS1_lPT4_lS5_li
	.p2align	8
	.type	_ZL20rocblas_gemvn_kernelILi64ELi4Ei16rocblas_bfloat16fS0_EviiT3_lPKT2_lT1_lS4_lS5_lS1_lPT4_lS5_li,@function
_ZL20rocblas_gemvn_kernelILi64ELi4Ei16rocblas_bfloat16fS0_EviiT3_lPKT2_lT1_lS4_lS5_lS1_lPT4_lS5_li: ; @_ZL20rocblas_gemvn_kernelILi64ELi4Ei16rocblas_bfloat16fS0_EviiT3_lPKT2_lT1_lS4_lS5_lS1_lPT4_lS5_li
; %bb.0:
	s_load_b64 s[2:3], s[0:1], 0x9c
	s_wait_kmcnt 0x0
	s_lshr_b32 s4, s2, 16
	s_and_b32 s2, s2, 0xffff
	s_and_b32 s3, s3, 0xffff
	s_mul_i32 s2, s4, s2
	s_delay_alu instid0(SALU_CYCLE_1) | instskip(NEXT) | instid1(SALU_CYCLE_1)
	s_mul_i32 s2, s2, s3
	s_cmp_lg_u32 s2, 0x100
	s_cbranch_scc1 .LBB544_70
; %bb.1:
	s_load_b32 s19, s[0:1], 0x88
	s_bfe_u32 s2, ttmp6, 0x40014
	s_lshr_b32 s3, ttmp7, 16
	s_add_co_i32 s2, s2, 1
	s_bfe_u32 s5, ttmp6, 0x40008
	s_mul_i32 s4, s3, s2
	s_getreg_b32 s2, hwreg(HW_REG_IB_STS2, 6, 4)
	s_add_co_i32 s5, s5, s4
	s_cmp_eq_u32 s2, 0
	s_mov_b32 s29, 0
	s_cselect_b32 s28, s3, s5
	s_wait_kmcnt 0x0
	s_cmp_ge_u32 s28, s19
	s_cbranch_scc1 .LBB544_70
; %bb.2:
	s_clause 0x8
	s_load_b128 s[4:7], s[0:1], 0x18
	s_load_b96 s[16:18], s[0:1], 0x40
	s_load_b128 s[12:15], s[0:1], 0x68
	s_load_b32 s34, s[0:1], 0x78
	s_load_b96 s[20:22], s[0:1], 0x0
	s_load_b96 s[24:26], s[0:1], 0x50
	s_load_b32 s23, s[0:1], 0x28
	s_load_b128 s[8:11], s[0:1], 0x30
	s_load_b64 s[30:31], s[0:1], 0x80
	v_bfe_u32 v3, v0, 10, 10
	v_and_b32_e32 v4, 0x3ff, v0
	s_delay_alu instid0(VALU_DEP_1) | instskip(NEXT) | instid1(VALU_DEP_3)
	v_dual_mov_b32 v1, 0 :: v_dual_lshlrev_b32 v5, 2, v4
	v_lshl_add_u32 v2, v3, 6, v4
	s_delay_alu instid0(VALU_DEP_2)
	v_lshl_add_u32 v17, v3, 10, v5
	s_wait_kmcnt 0x0
	s_lshl_b64 s[6:7], s[6:7], 1
	s_lshl_b64 s[16:17], s[16:17], 1
	;; [unrolled: 1-line block ×3, first 2 shown]
	s_ashr_i32 s35, s34, 31
	s_cmp_eq_f32 s22, 0
	s_add_nc_u64 s[14:15], s[4:5], s[6:7]
	v_mul_lo_u32 v11, v3, s18
	s_mov_b32 s40, s20
	s_cselect_b32 s27, -1, 0
	s_cmp_neq_f32 s22, 0
	v_cmp_gt_u32_e64 s0, 0x100, v2
	v_mul_lo_u32 v10, v3, s23
	v_lshl_add_u32 v19, v3, 8, v5
	s_cselect_b32 s1, -1, 0
	s_cmp_neq_f32 s26, 1.0
	s_add_nc_u64 s[10:11], s[10:11], s[16:17]
	s_add_nc_u64 s[12:13], s[12:13], s[36:37]
	v_lshlrev_b32_e32 v27, 2, v11
	s_cselect_b32 s3, -1, 0
	s_bfe_u32 s4, ttmp6, 0x4000c
	s_and_b32 s5, ttmp6, 15
	s_add_co_i32 s4, s4, 1
	s_or_b32 s33, s1, s3
	s_mul_i32 s4, ttmp9, s4
	v_lshl_add_u32 v26, v10, 2, v4
	s_add_co_i32 s5, s5, s4
	s_cmp_eq_u32 s2, 0
	s_cselect_b32 s1, ttmp9, s5
	s_ashr_i32 s41, s20, 31
	s_lshl_b32 s38, s1, 8
	s_delay_alu instid0(SALU_CYCLE_1) | instskip(SKIP_2) | instid1(VALU_DEP_2)
	v_dual_lshlrev_b32 v16, 2, v3 :: v_dual_add_nc_u32 v0, s38, v2
	v_or_b32_e32 v6, s38, v2
	s_cmp_neq_f32 s26, 0
	v_mad_u32 v22, s18, v16, s18
	s_delay_alu instid0(VALU_DEP_3)
	v_cmp_gt_i64_e32 vcc_lo, s[40:41], v[0:1]
	v_mul_u64_e32 v[0:1], s[34:35], v[0:1]
	v_mul_lo_u32 v2, s34, v6
	v_or_b32_e32 v18, s38, v4
	s_cselect_b32 s39, -1, 0
	s_cmp_eq_f32 s26, 0
	v_cmp_gt_i32_e64 s6, s20, v6
	s_cselect_b32 s40, -1, 0
	s_ashr_i32 s2, s21, 31
	s_delay_alu instid0(SALU_CYCLE_1)
	s_lshr_b32 s2, s2, 28
	v_ashrrev_i32_e32 v3, 31, v2
	v_add_nc_u32_e32 v7, 64, v18
	v_add_nc_u32_e32 v8, 0x80, v18
	;; [unrolled: 1-line block ×3, first 2 shown]
	s_add_co_i32 s3, s21, s2
	v_cmp_gt_i32_e64 s1, s20, v18
	s_and_b32 s41, s3, -16
	v_cmp_gt_i32_e64 s3, s20, v8
	v_cmp_gt_i32_e64 s4, s20, v9
	v_or_b32_e32 v8, 2, v16
	v_cmp_gt_i32_e64 s2, s20, v7
	v_mul_lo_u32 v7, s23, v16
	v_or_b32_e32 v9, 3, v16
	s_sub_co_i32 s5, s21, s41
	v_mad_u32 v20, s23, v8, v4
	v_mul_lo_u32 v23, s18, v8
	s_cmp_gt_i32 s5, 0
	v_mad_u32 v21, s23, v9, v4
	v_mul_lo_u32 v24, s18, v9
	v_cmp_gt_i32_e64 s5, s41, v16
	s_cselect_b32 s42, -1, 0
	s_and_b32 s20, s0, vcc_lo
	v_add3_u32 v25, v7, s23, v4
	s_lshl_b32 s43, s23, 4
	s_lshl_b32 s44, s18, 4
	s_branch .LBB544_5
.LBB544_3:                              ;   in Loop: Header=BB544_5 Depth=1
	s_wait_xcnt 0x0
	s_or_b32 exec_lo, exec_lo, s7
.LBB544_4:                              ;   in Loop: Header=BB544_5 Depth=1
	s_add_co_i32 s28, s28, 0x10000
	s_delay_alu instid0(SALU_CYCLE_1)
	s_cmp_lt_u32 s28, s19
	s_cbranch_scc0 .LBB544_70
.LBB544_5:                              ; =>This Loop Header: Depth=1
                                        ;     Child Loop BB544_22 Depth 2
	s_and_not1_b32 vcc_lo, exec_lo, s33
	s_cbranch_vccnz .LBB544_4
; %bb.6:                                ;   in Loop: Header=BB544_5 Depth=1
	s_mul_u64 s[16:17], s[30:31], s[28:29]
	s_and_not1_b32 vcc_lo, exec_lo, s27
	s_lshl_b64 s[16:17], s[16:17], 1
	s_delay_alu instid0(SALU_CYCLE_1)
	s_add_nc_u64 s[16:17], s[12:13], s[16:17]
	s_cbranch_vccnz .LBB544_14
; %bb.7:                                ;   in Loop: Header=BB544_5 Depth=1
	s_mov_b32 s7, 0
	s_mov_b32 s45, 0
                                        ; implicit-def: $vgpr6
	s_and_saveexec_b32 s34, s20
	s_cbranch_execz .LBB544_15
; %bb.8:                                ;   in Loop: Header=BB544_5 Depth=1
	s_and_not1_b32 vcc_lo, exec_lo, s39
	s_cbranch_vccnz .LBB544_67
; %bb.9:                                ;   in Loop: Header=BB544_5 Depth=1
	v_lshl_add_u64 v[4:5], v[0:1], 1, s[16:17]
	global_load_u16 v4, v[4:5], off
	s_wait_loadcnt 0x0
	s_wait_xcnt 0x0
	v_lshlrev_b32_e32 v4, 16, v4
	s_delay_alu instid0(VALU_DEP_1) | instskip(NEXT) | instid1(VALU_DEP_1)
	v_mul_f32_e32 v4, s26, v4
	v_and_b32_e32 v5, 0x7f800000, v4
	s_delay_alu instid0(VALU_DEP_1) | instskip(SKIP_1) | instid1(SALU_CYCLE_1)
	v_cmp_ne_u32_e32 vcc_lo, 0x7f800000, v5
                                        ; implicit-def: $vgpr5
	s_and_saveexec_b32 s35, vcc_lo
	s_xor_b32 s35, exec_lo, s35
; %bb.10:                               ;   in Loop: Header=BB544_5 Depth=1
	v_bfe_u32 v5, v4, 16, 1
	s_delay_alu instid0(VALU_DEP_1)
	v_add3_u32 v5, v4, v5, 0x7fff
                                        ; implicit-def: $vgpr4
; %bb.11:                               ;   in Loop: Header=BB544_5 Depth=1
	s_and_not1_saveexec_b32 s35, s35
; %bb.12:                               ;   in Loop: Header=BB544_5 Depth=1
	v_and_b32_e32 v5, 0xffff, v4
	v_or_b32_e32 v6, 0x10000, v4
	s_delay_alu instid0(VALU_DEP_2) | instskip(NEXT) | instid1(VALU_DEP_2)
	v_cmp_eq_u32_e32 vcc_lo, 0, v5
	v_cndmask_b32_e32 v5, v6, v4, vcc_lo
; %bb.13:                               ;   in Loop: Header=BB544_5 Depth=1
	s_or_b32 exec_lo, exec_lo, s35
	s_delay_alu instid0(VALU_DEP_1) | instskip(SKIP_2) | instid1(SALU_CYCLE_1)
	v_lshrrev_b32_e32 v6, 16, v5
	s_mov_b32 s45, exec_lo
	s_or_b32 exec_lo, exec_lo, s34
	s_and_b32 vcc_lo, exec_lo, s7
	s_cbranch_vccnz .LBB544_16
	s_branch .LBB544_68
.LBB544_14:                             ;   in Loop: Header=BB544_5 Depth=1
	s_mov_b32 s45, 0
                                        ; implicit-def: $vgpr6
	s_cbranch_execnz .LBB544_16
	s_branch .LBB544_68
.LBB544_15:                             ;   in Loop: Header=BB544_5 Depth=1
	s_or_b32 exec_lo, exec_lo, s34
	s_delay_alu instid0(SALU_CYCLE_1)
	s_and_b32 vcc_lo, exec_lo, s7
	s_cbranch_vccz .LBB544_68
.LBB544_16:                             ;   in Loop: Header=BB544_5 Depth=1
	s_mul_u64 s[34:35], s[8:9], s[28:29]
	s_mul_u64 s[36:37], s[24:25], s[28:29]
	v_dual_mov_b32 v28, 0 :: v_dual_mov_b32 v32, v16
	v_dual_mov_b32 v29, 0 :: v_dual_mov_b32 v30, 0
	v_mov_b32_e32 v31, 0
	s_lshl_b64 s[34:35], s[34:35], 1
	s_lshl_b64 s[36:37], s[36:37], 1
	s_add_nc_u64 s[34:35], s[14:15], s[34:35]
	s_add_nc_u64 s[36:37], s[10:11], s[36:37]
	s_and_saveexec_b32 s7, s5
	s_cbranch_execz .LBB544_28
; %bb.17:                               ;   in Loop: Header=BB544_5 Depth=1
	v_dual_mov_b32 v28, 0 :: v_dual_mov_b32 v33, v26
	v_dual_mov_b32 v34, v21 :: v_dual_mov_b32 v35, v20
	;; [unrolled: 1-line block ×4, first 2 shown]
	v_mov_b32_e32 v31, 0
	s_mov_b32 s46, 0
	s_mov_b32 s47, 0
	s_branch .LBB544_22
.LBB544_18:                             ;   in Loop: Header=BB544_22 Depth=2
	s_or_b32 exec_lo, exec_lo, s51
	s_wait_loadcnt 0x2
	v_dual_lshlrev_b32 v9, 16, v48 :: v_dual_lshlrev_b32 v8, 16, v47
	s_delay_alu instid0(VALU_DEP_1) | instskip(SKIP_1) | instid1(VALU_DEP_1)
	v_pk_mul_f32 v[8:9], v[6:7], v[8:9]
	s_wait_loadcnt 0x0
	v_dual_add_f32 v8, v30, v8 :: v_dual_lshlrev_b32 v11, 16, v46
	s_delay_alu instid0(VALU_DEP_1) | instskip(SKIP_1) | instid1(VALU_DEP_1)
	v_add_f32_e32 v12, v8, v9
	v_lshlrev_b32_e32 v10, 16, v45
	v_pk_mul_f32 v[8:9], v[4:5], v[10:11]
	s_delay_alu instid0(VALU_DEP_1) | instskip(NEXT) | instid1(VALU_DEP_1)
	v_add_f32_e32 v8, v12, v8
	v_add_f32_e32 v30, v8, v9
.LBB544_19:                             ;   in Loop: Header=BB544_22 Depth=2
	s_or_b32 exec_lo, exec_lo, s50
	s_wait_loadcnt 0x2
	v_dual_lshlrev_b32 v9, 16, v44 :: v_dual_lshlrev_b32 v8, 16, v43
	s_delay_alu instid0(VALU_DEP_1) | instskip(SKIP_1) | instid1(VALU_DEP_1)
	v_pk_mul_f32 v[8:9], v[6:7], v[8:9]
	s_wait_loadcnt 0x0
	v_dual_add_f32 v8, v29, v8 :: v_dual_lshlrev_b32 v11, 16, v42
	s_delay_alu instid0(VALU_DEP_1) | instskip(SKIP_1) | instid1(VALU_DEP_1)
	v_add_f32_e32 v12, v8, v9
	v_lshlrev_b32_e32 v10, 16, v41
	v_pk_mul_f32 v[8:9], v[4:5], v[10:11]
	s_delay_alu instid0(VALU_DEP_1) | instskip(NEXT) | instid1(VALU_DEP_1)
	v_add_f32_e32 v8, v12, v8
	v_add_f32_e32 v29, v8, v9
.LBB544_20:                             ;   in Loop: Header=BB544_22 Depth=2
	s_or_b32 exec_lo, exec_lo, s49
	s_wait_loadcnt 0x2
	v_dual_lshlrev_b32 v9, 16, v40 :: v_dual_lshlrev_b32 v8, 16, v39
	s_delay_alu instid0(VALU_DEP_1) | instskip(SKIP_2) | instid1(VALU_DEP_2)
	v_pk_mul_f32 v[6:7], v[6:7], v[8:9]
	s_wait_loadcnt 0x0
	v_dual_lshlrev_b32 v9, 16, v38 :: v_dual_lshlrev_b32 v8, 16, v37
	v_add_f32_e32 v6, v28, v6
	s_delay_alu instid0(VALU_DEP_2) | instskip(NEXT) | instid1(VALU_DEP_2)
	v_pk_mul_f32 v[4:5], v[4:5], v[8:9]
	v_add_f32_e32 v6, v6, v7
	s_delay_alu instid0(VALU_DEP_1) | instskip(NEXT) | instid1(VALU_DEP_1)
	v_add_f32_e32 v4, v6, v4
	v_add_f32_e32 v28, v4, v5
.LBB544_21:                             ;   in Loop: Header=BB544_22 Depth=2
	s_or_b32 exec_lo, exec_lo, s48
	v_dual_add_nc_u32 v32, 16, v32 :: v_dual_add_nc_u32 v35, s43, v35
	v_dual_add_nc_u32 v36, s43, v36 :: v_dual_add_nc_u32 v34, s43, v34
	v_add_nc_u32_e32 v33, s43, v33
	s_delay_alu instid0(VALU_DEP_3) | instskip(SKIP_2) | instid1(SALU_CYCLE_1)
	v_cmp_le_i32_e32 vcc_lo, s41, v32
	s_add_co_i32 s47, s47, s44
	s_or_b32 s46, vcc_lo, s46
	s_and_not1_b32 exec_lo, exec_lo, s46
	s_cbranch_execz .LBB544_27
.LBB544_22:                             ;   Parent Loop BB544_5 Depth=1
                                        ; =>  This Inner Loop Header: Depth=2
	s_and_saveexec_b32 s48, s1
	s_cbranch_execz .LBB544_21
; %bb.23:                               ;   in Loop: Header=BB544_22 Depth=2
	v_dual_add_nc_u32 v4, s47, v27 :: v_dual_add_nc_u32 v5, s47, v22
	v_dual_add_nc_u32 v6, s47, v23 :: v_dual_add_nc_u32 v7, s47, v24
	v_dual_add_nc_u32 v8, s38, v33 :: v_dual_add_nc_u32 v10, s38, v36
	s_clause 0x3
	global_load_u16 v9, v4, s[36:37] scale_offset
	global_load_u16 v11, v5, s[36:37] scale_offset
	global_load_u16 v13, v6, s[36:37] scale_offset
	global_load_u16 v15, v7, s[36:37] scale_offset
	v_dual_add_nc_u32 v12, s38, v35 :: v_dual_add_nc_u32 v14, s38, v34
	s_clause 0x3
	global_load_u16 v39, v8, s[34:35] scale_offset
	global_load_u16 v40, v10, s[34:35] scale_offset
	;; [unrolled: 1-line block ×4, first 2 shown]
	s_wait_loadcnt 0x6
	s_wait_xcnt 0x4
	v_dual_lshlrev_b32 v6, 16, v9 :: v_dual_lshlrev_b32 v7, 16, v11
	s_wait_loadcnt 0x4
	v_dual_lshlrev_b32 v4, 16, v13 :: v_dual_lshlrev_b32 v5, 16, v15
	s_wait_xcnt 0x0
	s_and_saveexec_b32 s49, s2
	s_cbranch_execz .LBB544_20
; %bb.24:                               ;   in Loop: Header=BB544_22 Depth=2
	v_dual_ashrrev_i32 v9, 31, v8 :: v_dual_ashrrev_i32 v11, 31, v10
	v_dual_ashrrev_i32 v13, 31, v12 :: v_dual_ashrrev_i32 v15, 31, v14
	s_delay_alu instid0(VALU_DEP_2) | instskip(NEXT) | instid1(VALU_DEP_3)
	v_lshl_add_u64 v[8:9], v[8:9], 1, s[34:35]
	v_lshl_add_u64 v[10:11], v[10:11], 1, s[34:35]
	s_delay_alu instid0(VALU_DEP_3) | instskip(NEXT) | instid1(VALU_DEP_4)
	v_lshl_add_u64 v[12:13], v[12:13], 1, s[34:35]
	v_lshl_add_u64 v[14:15], v[14:15], 1, s[34:35]
	s_clause 0x3
	global_load_u16 v43, v[8:9], off offset:128
	global_load_u16 v44, v[10:11], off offset:128
	;; [unrolled: 1-line block ×4, first 2 shown]
	s_wait_xcnt 0x0
	s_and_saveexec_b32 s50, s3
	s_cbranch_execz .LBB544_19
; %bb.25:                               ;   in Loop: Header=BB544_22 Depth=2
	s_clause 0x3
	global_load_u16 v47, v[8:9], off offset:256
	global_load_u16 v48, v[10:11], off offset:256
	;; [unrolled: 1-line block ×4, first 2 shown]
	s_wait_xcnt 0x0
	s_and_saveexec_b32 s51, s4
	s_cbranch_execz .LBB544_18
; %bb.26:                               ;   in Loop: Header=BB544_22 Depth=2
	s_clause 0x3
	global_load_u16 v49, v[10:11], off offset:384
	global_load_u16 v50, v[8:9], off offset:384
	;; [unrolled: 1-line block ×4, first 2 shown]
	s_wait_loadcnt 0x2
	s_wait_xcnt 0x2
	v_dual_lshlrev_b32 v9, 16, v49 :: v_dual_lshlrev_b32 v8, 16, v50
	s_delay_alu instid0(VALU_DEP_1) | instskip(SKIP_1) | instid1(VALU_DEP_1)
	v_pk_mul_f32 v[8:9], v[6:7], v[8:9]
	s_wait_loadcnt 0x1
	v_dual_add_f32 v8, v31, v8 :: v_dual_lshlrev_b32 v11, 16, v51
	s_wait_loadcnt 0x0
	s_wait_xcnt 0x0
	s_delay_alu instid0(VALU_DEP_1) | instskip(NEXT) | instid1(VALU_DEP_1)
	v_dual_lshlrev_b32 v10, 16, v52 :: v_dual_add_f32 v12, v8, v9
	v_pk_mul_f32 v[8:9], v[4:5], v[10:11]
	s_delay_alu instid0(VALU_DEP_1) | instskip(NEXT) | instid1(VALU_DEP_1)
	v_add_f32_e32 v8, v12, v8
	v_add_f32_e32 v31, v8, v9
	s_branch .LBB544_18
.LBB544_27:                             ;   in Loop: Header=BB544_5 Depth=1
	s_or_b32 exec_lo, exec_lo, s46
.LBB544_28:                             ;   in Loop: Header=BB544_5 Depth=1
	s_delay_alu instid0(SALU_CYCLE_1) | instskip(NEXT) | instid1(SALU_CYCLE_1)
	s_or_b32 exec_lo, exec_lo, s7
	s_and_not1_b32 vcc_lo, exec_lo, s42
	s_cbranch_vccnz .LBB544_46
; %bb.29:                               ;   in Loop: Header=BB544_5 Depth=1
	v_dual_mov_b32 v4, 0 :: v_dual_bitop2_b32 v8, 1, v32 bitop3:0x54
	v_cmp_gt_i32_e32 vcc_lo, s21, v32
	s_delay_alu instid0(VALU_DEP_2)
	v_dual_mov_b32 v5, v4 :: v_dual_mov_b32 v6, v4
	v_mov_b32_e32 v7, v4
	s_and_saveexec_b32 s46, vcc_lo
	s_cbranch_execz .LBB544_37
; %bb.30:                               ;   in Loop: Header=BB544_5 Depth=1
	v_mul_lo_u32 v4, v32, s18
	v_dual_mov_b32 v7, 0 :: v_dual_mov_b32 v5, 0
	s_mov_b32 s47, exec_lo
	global_load_u16 v6, v4, s[36:37] scale_offset
	s_wait_xcnt 0x0
	v_mov_b32_e32 v4, 0
	v_cmpx_gt_i32_e64 s21, v8
	s_cbranch_execz .LBB544_36
; %bb.31:                               ;   in Loop: Header=BB544_5 Depth=1
	v_mul_lo_u32 v4, v8, s18
	v_dual_mov_b32 v5, 0 :: v_dual_bitop2_b32 v9, 2, v32 bitop3:0x54
	s_mov_b32 s48, exec_lo
	global_load_u16 v7, v4, s[36:37] scale_offset
	s_wait_xcnt 0x0
	v_mov_b32_e32 v4, 0
	v_cmpx_gt_i32_e64 s21, v9
	s_cbranch_execz .LBB544_35
; %bb.32:                               ;   in Loop: Header=BB544_5 Depth=1
	v_mul_lo_u32 v4, v9, s18
	v_dual_mov_b32 v5, 0 :: v_dual_bitop2_b32 v9, 3, v32 bitop3:0x54
	s_mov_b32 s49, exec_lo
	global_load_u16 v4, v4, s[36:37] scale_offset
	s_wait_xcnt 0x0
	v_cmpx_gt_i32_e64 s21, v9
	s_cbranch_execz .LBB544_34
; %bb.33:                               ;   in Loop: Header=BB544_5 Depth=1
	v_mul_lo_u32 v5, v9, s18
	global_load_u16 v5, v5, s[36:37] scale_offset
	s_wait_loadcnt 0x0
	s_wait_xcnt 0x0
	v_lshlrev_b32_e32 v5, 16, v5
.LBB544_34:                             ;   in Loop: Header=BB544_5 Depth=1
	s_or_b32 exec_lo, exec_lo, s49
	s_wait_loadcnt 0x0
	v_lshlrev_b32_e32 v4, 16, v4
.LBB544_35:                             ;   in Loop: Header=BB544_5 Depth=1
	s_or_b32 exec_lo, exec_lo, s48
	s_wait_loadcnt 0x0
	v_lshlrev_b32_e32 v7, 16, v7
.LBB544_36:                             ;   in Loop: Header=BB544_5 Depth=1
	s_or_b32 exec_lo, exec_lo, s47
	s_wait_loadcnt 0x0
	v_lshlrev_b32_e32 v6, 16, v6
.LBB544_37:                             ;   in Loop: Header=BB544_5 Depth=1
	s_or_b32 exec_lo, exec_lo, s46
	s_and_saveexec_b32 s36, s1
	s_cbranch_execz .LBB544_45
; %bb.38:                               ;   in Loop: Header=BB544_5 Depth=1
	v_mul_lo_u32 v11, v8, s23
	v_cmp_gt_i32_e64 s7, s21, v8
	v_or_b32_e32 v9, 2, v32
	v_or_b32_e32 v10, 3, v32
	v_mul_lo_u32 v14, v32, s23
	s_delay_alu instid0(VALU_DEP_2) | instskip(SKIP_3) | instid1(VALU_DEP_1)
	v_mul_lo_u32 v13, v10, s23
	v_cndmask_b32_e64 v8, 0, v11, s7
	v_mul_lo_u32 v12, v9, s23
	v_cmp_gt_i32_e64 s7, s21, v9
	v_dual_cndmask_b32 v9, 0, v12, s7 :: v_dual_cndmask_b32 v12, 0, v14, vcc_lo
	v_cmp_gt_i32_e64 s7, s21, v10
	s_delay_alu instid0(VALU_DEP_2) | instskip(NEXT) | instid1(VALU_DEP_2)
	v_dual_add_nc_u32 v8, v8, v18 :: v_dual_add_nc_u32 v10, v9, v18
	v_dual_add_nc_u32 v12, v12, v18 :: v_dual_cndmask_b32 v11, 0, v13, s7
	s_delay_alu instid0(VALU_DEP_1)
	v_add_nc_u32_e32 v14, v11, v18
	s_clause 0x3
	global_load_u16 v34, v8, s[34:35] scale_offset
	global_load_u16 v32, v10, s[34:35] scale_offset
	;; [unrolled: 1-line block ×4, first 2 shown]
	s_wait_xcnt 0x0
	s_and_saveexec_b32 s7, s2
	s_cbranch_execz .LBB544_44
; %bb.39:                               ;   in Loop: Header=BB544_5 Depth=1
	v_dual_ashrrev_i32 v13, 31, v12 :: v_dual_ashrrev_i32 v11, 31, v10
	v_dual_ashrrev_i32 v9, 31, v8 :: v_dual_ashrrev_i32 v15, 31, v14
	s_delay_alu instid0(VALU_DEP_2) | instskip(NEXT) | instid1(VALU_DEP_3)
	v_lshl_add_u64 v[12:13], v[12:13], 1, s[34:35]
	v_lshl_add_u64 v[10:11], v[10:11], 1, s[34:35]
	s_delay_alu instid0(VALU_DEP_3) | instskip(NEXT) | instid1(VALU_DEP_4)
	v_lshl_add_u64 v[8:9], v[8:9], 1, s[34:35]
	v_lshl_add_u64 v[14:15], v[14:15], 1, s[34:35]
	s_clause 0x3
	global_load_u16 v38, v[12:13], off offset:128
	global_load_u16 v39, v[8:9], off offset:128
	global_load_u16 v36, v[10:11], off offset:128
	global_load_u16 v37, v[14:15], off offset:128
	s_wait_xcnt 0x0
	s_and_saveexec_b32 s34, s3
	s_cbranch_execz .LBB544_43
; %bb.40:                               ;   in Loop: Header=BB544_5 Depth=1
	s_clause 0x3
	global_load_u16 v42, v[12:13], off offset:256
	global_load_u16 v43, v[8:9], off offset:256
	;; [unrolled: 1-line block ×4, first 2 shown]
	s_wait_xcnt 0x0
	s_and_saveexec_b32 s35, s4
	s_cbranch_execz .LBB544_42
; %bb.41:                               ;   in Loop: Header=BB544_5 Depth=1
	s_clause 0x3
	global_load_u16 v44, v[8:9], off offset:384
	global_load_u16 v45, v[12:13], off offset:384
	;; [unrolled: 1-line block ×4, first 2 shown]
	s_wait_loadcnt 0x2
	s_wait_xcnt 0x3
	v_dual_lshlrev_b32 v9, 16, v44 :: v_dual_lshlrev_b32 v8, 16, v45
	s_delay_alu instid0(VALU_DEP_1) | instskip(SKIP_2) | instid1(VALU_DEP_1)
	v_pk_mul_f32 v[8:9], v[6:7], v[8:9]
	s_wait_loadcnt 0x1
	s_wait_xcnt 0x0
	v_dual_add_f32 v8, v31, v8 :: v_dual_lshlrev_b32 v11, 16, v46
	s_wait_loadcnt 0x0
	s_delay_alu instid0(VALU_DEP_1) | instskip(NEXT) | instid1(VALU_DEP_1)
	v_dual_lshlrev_b32 v10, 16, v47 :: v_dual_add_f32 v12, v8, v9
	v_pk_mul_f32 v[8:9], v[4:5], v[10:11]
	s_delay_alu instid0(VALU_DEP_1) | instskip(NEXT) | instid1(VALU_DEP_1)
	v_add_f32_e32 v8, v12, v8
	v_add_f32_e32 v31, v8, v9
.LBB544_42:                             ;   in Loop: Header=BB544_5 Depth=1
	s_or_b32 exec_lo, exec_lo, s35
	s_wait_loadcnt 0x2
	v_dual_lshlrev_b32 v9, 16, v43 :: v_dual_lshlrev_b32 v8, 16, v42
	s_delay_alu instid0(VALU_DEP_1) | instskip(SKIP_1) | instid1(VALU_DEP_1)
	v_pk_mul_f32 v[8:9], v[6:7], v[8:9]
	s_wait_loadcnt 0x0
	v_dual_add_f32 v8, v30, v8 :: v_dual_lshlrev_b32 v11, 16, v41
	s_delay_alu instid0(VALU_DEP_1) | instskip(NEXT) | instid1(VALU_DEP_1)
	v_dual_lshlrev_b32 v10, 16, v40 :: v_dual_add_f32 v12, v8, v9
	v_pk_mul_f32 v[8:9], v[4:5], v[10:11]
	s_delay_alu instid0(VALU_DEP_1) | instskip(NEXT) | instid1(VALU_DEP_1)
	v_add_f32_e32 v8, v12, v8
	v_add_f32_e32 v30, v8, v9
.LBB544_43:                             ;   in Loop: Header=BB544_5 Depth=1
	s_or_b32 exec_lo, exec_lo, s34
	s_wait_loadcnt 0x2
	v_dual_lshlrev_b32 v9, 16, v39 :: v_dual_lshlrev_b32 v8, 16, v38
	s_delay_alu instid0(VALU_DEP_1) | instskip(SKIP_1) | instid1(VALU_DEP_1)
	v_pk_mul_f32 v[8:9], v[6:7], v[8:9]
	s_wait_loadcnt 0x0
	v_dual_add_f32 v8, v29, v8 :: v_dual_lshlrev_b32 v11, 16, v37
	s_delay_alu instid0(VALU_DEP_1) | instskip(NEXT) | instid1(VALU_DEP_1)
	v_dual_lshlrev_b32 v10, 16, v36 :: v_dual_add_f32 v12, v8, v9
	v_pk_mul_f32 v[8:9], v[4:5], v[10:11]
	s_delay_alu instid0(VALU_DEP_1) | instskip(NEXT) | instid1(VALU_DEP_1)
	v_add_f32_e32 v8, v12, v8
	v_add_f32_e32 v29, v8, v9
.LBB544_44:                             ;   in Loop: Header=BB544_5 Depth=1
	s_or_b32 exec_lo, exec_lo, s7
	s_wait_loadcnt 0x0
	v_dual_lshlrev_b32 v9, 16, v34 :: v_dual_lshlrev_b32 v8, 16, v35
	s_delay_alu instid0(VALU_DEP_1) | instskip(NEXT) | instid1(VALU_DEP_1)
	v_pk_mul_f32 v[6:7], v[6:7], v[8:9]
	v_dual_add_f32 v6, v28, v6 :: v_dual_lshlrev_b32 v9, 16, v33
	s_delay_alu instid0(VALU_DEP_1) | instskip(NEXT) | instid1(VALU_DEP_1)
	v_dual_lshlrev_b32 v8, 16, v32 :: v_dual_add_f32 v6, v6, v7
	v_pk_mul_f32 v[4:5], v[4:5], v[8:9]
	s_delay_alu instid0(VALU_DEP_1) | instskip(NEXT) | instid1(VALU_DEP_1)
	v_add_f32_e32 v4, v6, v4
	v_add_f32_e32 v28, v4, v5
.LBB544_45:                             ;   in Loop: Header=BB544_5 Depth=1
	s_or_b32 exec_lo, exec_lo, s36
.LBB544_46:                             ;   in Loop: Header=BB544_5 Depth=1
	ds_store_2addr_stride64_b32 v17, v28, v29 offset1:1
	ds_store_2addr_stride64_b32 v17, v30, v31 offset0:2 offset1:3
	s_wait_dscnt 0x0
	s_barrier_signal -1
	s_barrier_wait -1
                                        ; implicit-def: $vgpr6
	s_and_saveexec_b32 s7, s0
	s_cbranch_execz .LBB544_66
; %bb.47:                               ;   in Loop: Header=BB544_5 Depth=1
	ds_load_2addr_stride64_b32 v[4:5], v19 offset1:4
	ds_load_2addr_stride64_b32 v[6:7], v19 offset0:8 offset1:12
	s_mov_b32 s35, s45
	s_wait_dscnt 0x1
	v_add_f32_e32 v4, v4, v5
	s_wait_dscnt 0x0
	s_delay_alu instid0(VALU_DEP_1) | instskip(NEXT) | instid1(VALU_DEP_1)
	v_add_f32_e32 v4, v6, v4
                                        ; implicit-def: $vgpr6
	v_add_f32_e32 v4, v7, v4
	ds_store_b32 v19, v4
	s_and_saveexec_b32 s34, s6
	s_cbranch_execz .LBB544_65
; %bb.48:                               ;   in Loop: Header=BB544_5 Depth=1
	v_mul_f32_e32 v4, s22, v4
	s_and_b32 vcc_lo, exec_lo, s40
	s_mov_b32 s35, -1
                                        ; implicit-def: $vgpr5
	s_cbranch_vccz .LBB544_54
; %bb.49:                               ;   in Loop: Header=BB544_5 Depth=1
	s_delay_alu instid0(VALU_DEP_1) | instskip(NEXT) | instid1(VALU_DEP_1)
	v_and_b32_e32 v5, 0x7f800000, v4
	v_cmp_ne_u32_e32 vcc_lo, 0x7f800000, v5
                                        ; implicit-def: $vgpr5
	s_and_saveexec_b32 s35, vcc_lo
	s_delay_alu instid0(SALU_CYCLE_1)
	s_xor_b32 s35, exec_lo, s35
; %bb.50:                               ;   in Loop: Header=BB544_5 Depth=1
	v_bfe_u32 v5, v4, 16, 1
	s_delay_alu instid0(VALU_DEP_1)
	v_add3_u32 v5, v4, v5, 0x7fff
; %bb.51:                               ;   in Loop: Header=BB544_5 Depth=1
	s_and_not1_saveexec_b32 s35, s35
; %bb.52:                               ;   in Loop: Header=BB544_5 Depth=1
	v_and_b32_e32 v5, 0xffff, v4
	v_or_b32_e32 v6, 0x10000, v4
	s_delay_alu instid0(VALU_DEP_2) | instskip(NEXT) | instid1(VALU_DEP_2)
	v_cmp_eq_u32_e32 vcc_lo, 0, v5
	v_cndmask_b32_e32 v5, v6, v4, vcc_lo
; %bb.53:                               ;   in Loop: Header=BB544_5 Depth=1
	s_or_b32 exec_lo, exec_lo, s35
	s_mov_b32 s35, 0
.LBB544_54:                             ;   in Loop: Header=BB544_5 Depth=1
	s_delay_alu instid0(SALU_CYCLE_1)
	s_and_not1_b32 vcc_lo, exec_lo, s35
	s_cbranch_vccnz .LBB544_64
; %bb.55:                               ;   in Loop: Header=BB544_5 Depth=1
	v_lshl_add_u64 v[6:7], v[2:3], 1, s[16:17]
	global_load_u16 v5, v[6:7], off
	s_wait_loadcnt 0x0
	v_lshlrev_b32_e32 v5, 16, v5
	s_delay_alu instid0(VALU_DEP_1) | instskip(SKIP_1) | instid1(VALU_DEP_1)
	v_mul_f32_e32 v5, s26, v5
	s_wait_xcnt 0x0
	v_and_b32_e32 v6, 0x7f800000, v5
	s_delay_alu instid0(VALU_DEP_1) | instskip(SKIP_1) | instid1(SALU_CYCLE_1)
	v_cmp_ne_u32_e32 vcc_lo, 0x7f800000, v6
                                        ; implicit-def: $vgpr6
	s_and_saveexec_b32 s35, vcc_lo
	s_xor_b32 s35, exec_lo, s35
; %bb.56:                               ;   in Loop: Header=BB544_5 Depth=1
	v_bfe_u32 v6, v5, 16, 1
	s_delay_alu instid0(VALU_DEP_1)
	v_add3_u32 v6, v5, v6, 0x7fff
                                        ; implicit-def: $vgpr5
; %bb.57:                               ;   in Loop: Header=BB544_5 Depth=1
	s_and_not1_saveexec_b32 s35, s35
; %bb.58:                               ;   in Loop: Header=BB544_5 Depth=1
	v_and_b32_e32 v6, 0xffff, v5
	v_or_b32_e32 v7, 0x10000, v5
	s_delay_alu instid0(VALU_DEP_2) | instskip(NEXT) | instid1(VALU_DEP_2)
	v_cmp_eq_u32_e32 vcc_lo, 0, v6
	v_cndmask_b32_e32 v6, v7, v5, vcc_lo
; %bb.59:                               ;   in Loop: Header=BB544_5 Depth=1
	s_or_b32 exec_lo, exec_lo, s35
	s_delay_alu instid0(VALU_DEP_1) | instskip(NEXT) | instid1(VALU_DEP_1)
	v_and_b32_e32 v5, 0xffff0000, v6
	v_add_f32_e32 v4, v4, v5
	s_delay_alu instid0(VALU_DEP_1) | instskip(NEXT) | instid1(VALU_DEP_1)
	v_and_b32_e32 v5, 0x7f800000, v4
	v_cmp_ne_u32_e32 vcc_lo, 0x7f800000, v5
                                        ; implicit-def: $vgpr5
	s_and_saveexec_b32 s35, vcc_lo
	s_delay_alu instid0(SALU_CYCLE_1)
	s_xor_b32 s35, exec_lo, s35
; %bb.60:                               ;   in Loop: Header=BB544_5 Depth=1
	v_bfe_u32 v5, v4, 16, 1
	s_delay_alu instid0(VALU_DEP_1)
	v_add3_u32 v5, v4, v5, 0x7fff
                                        ; implicit-def: $vgpr4
; %bb.61:                               ;   in Loop: Header=BB544_5 Depth=1
	s_and_not1_saveexec_b32 s35, s35
; %bb.62:                               ;   in Loop: Header=BB544_5 Depth=1
	v_and_b32_e32 v5, 0xffff, v4
	v_or_b32_e32 v6, 0x10000, v4
	s_delay_alu instid0(VALU_DEP_2) | instskip(NEXT) | instid1(VALU_DEP_2)
	v_cmp_eq_u32_e32 vcc_lo, 0, v5
	v_cndmask_b32_e32 v5, v6, v4, vcc_lo
; %bb.63:                               ;   in Loop: Header=BB544_5 Depth=1
	s_or_b32 exec_lo, exec_lo, s35
.LBB544_64:                             ;   in Loop: Header=BB544_5 Depth=1
	s_delay_alu instid0(VALU_DEP_1)
	v_lshrrev_b32_e32 v6, 16, v5
	s_or_b32 s35, s45, exec_lo
.LBB544_65:                             ;   in Loop: Header=BB544_5 Depth=1
	s_or_b32 exec_lo, exec_lo, s34
	s_delay_alu instid0(SALU_CYCLE_1) | instskip(SKIP_1) | instid1(SALU_CYCLE_1)
	s_and_not1_b32 s34, s45, exec_lo
	s_and_b32 s35, s35, exec_lo
	s_or_b32 s45, s34, s35
.LBB544_66:                             ;   in Loop: Header=BB544_5 Depth=1
	s_or_b32 exec_lo, exec_lo, s7
	v_mov_b64_e32 v[4:5], v[2:3]
	s_and_saveexec_b32 s7, s45
	s_cbranch_execz .LBB544_3
	s_branch .LBB544_69
.LBB544_67:                             ;   in Loop: Header=BB544_5 Depth=1
	v_mov_b32_e32 v6, 0
	s_mov_b32 s45, exec_lo
	s_or_b32 exec_lo, exec_lo, s34
	s_delay_alu instid0(SALU_CYCLE_1)
	s_and_b32 vcc_lo, exec_lo, s7
	s_cbranch_vccnz .LBB544_16
.LBB544_68:                             ;   in Loop: Header=BB544_5 Depth=1
	v_mov_b64_e32 v[4:5], v[0:1]
	s_and_saveexec_b32 s7, s45
	s_cbranch_execz .LBB544_3
.LBB544_69:                             ;   in Loop: Header=BB544_5 Depth=1
	s_delay_alu instid0(VALU_DEP_1)
	v_lshl_add_u64 v[4:5], v[4:5], 1, s[16:17]
	global_store_b16 v[4:5], v6, off
	s_branch .LBB544_3
.LBB544_70:
	s_endpgm
	.section	.rodata,"a",@progbits
	.p2align	6, 0x0
	.amdhsa_kernel _ZL20rocblas_gemvn_kernelILi64ELi4Ei16rocblas_bfloat16fS0_EviiT3_lPKT2_lT1_lS4_lS5_lS1_lPT4_lS5_li
		.amdhsa_group_segment_fixed_size 4096
		.amdhsa_private_segment_fixed_size 0
		.amdhsa_kernarg_size 400
		.amdhsa_user_sgpr_count 2
		.amdhsa_user_sgpr_dispatch_ptr 0
		.amdhsa_user_sgpr_queue_ptr 0
		.amdhsa_user_sgpr_kernarg_segment_ptr 1
		.amdhsa_user_sgpr_dispatch_id 0
		.amdhsa_user_sgpr_kernarg_preload_length 0
		.amdhsa_user_sgpr_kernarg_preload_offset 0
		.amdhsa_user_sgpr_private_segment_size 0
		.amdhsa_wavefront_size32 1
		.amdhsa_uses_dynamic_stack 0
		.amdhsa_enable_private_segment 0
		.amdhsa_system_sgpr_workgroup_id_x 1
		.amdhsa_system_sgpr_workgroup_id_y 0
		.amdhsa_system_sgpr_workgroup_id_z 1
		.amdhsa_system_sgpr_workgroup_info 0
		.amdhsa_system_vgpr_workitem_id 1
		.amdhsa_next_free_vgpr 53
		.amdhsa_next_free_sgpr 52
		.amdhsa_named_barrier_count 0
		.amdhsa_reserve_vcc 1
		.amdhsa_float_round_mode_32 0
		.amdhsa_float_round_mode_16_64 0
		.amdhsa_float_denorm_mode_32 3
		.amdhsa_float_denorm_mode_16_64 3
		.amdhsa_fp16_overflow 0
		.amdhsa_memory_ordered 1
		.amdhsa_forward_progress 1
		.amdhsa_inst_pref_size 28
		.amdhsa_round_robin_scheduling 0
		.amdhsa_exception_fp_ieee_invalid_op 0
		.amdhsa_exception_fp_denorm_src 0
		.amdhsa_exception_fp_ieee_div_zero 0
		.amdhsa_exception_fp_ieee_overflow 0
		.amdhsa_exception_fp_ieee_underflow 0
		.amdhsa_exception_fp_ieee_inexact 0
		.amdhsa_exception_int_div_zero 0
	.end_amdhsa_kernel
	.section	.text._ZL20rocblas_gemvn_kernelILi64ELi4Ei16rocblas_bfloat16fS0_EviiT3_lPKT2_lT1_lS4_lS5_lS1_lPT4_lS5_li,"axG",@progbits,_ZL20rocblas_gemvn_kernelILi64ELi4Ei16rocblas_bfloat16fS0_EviiT3_lPKT2_lT1_lS4_lS5_lS1_lPT4_lS5_li,comdat
.Lfunc_end544:
	.size	_ZL20rocblas_gemvn_kernelILi64ELi4Ei16rocblas_bfloat16fS0_EviiT3_lPKT2_lT1_lS4_lS5_lS1_lPT4_lS5_li, .Lfunc_end544-_ZL20rocblas_gemvn_kernelILi64ELi4Ei16rocblas_bfloat16fS0_EviiT3_lPKT2_lT1_lS4_lS5_lS1_lPT4_lS5_li
                                        ; -- End function
	.set _ZL20rocblas_gemvn_kernelILi64ELi4Ei16rocblas_bfloat16fS0_EviiT3_lPKT2_lT1_lS4_lS5_lS1_lPT4_lS5_li.num_vgpr, 53
	.set _ZL20rocblas_gemvn_kernelILi64ELi4Ei16rocblas_bfloat16fS0_EviiT3_lPKT2_lT1_lS4_lS5_lS1_lPT4_lS5_li.num_agpr, 0
	.set _ZL20rocblas_gemvn_kernelILi64ELi4Ei16rocblas_bfloat16fS0_EviiT3_lPKT2_lT1_lS4_lS5_lS1_lPT4_lS5_li.numbered_sgpr, 52
	.set _ZL20rocblas_gemvn_kernelILi64ELi4Ei16rocblas_bfloat16fS0_EviiT3_lPKT2_lT1_lS4_lS5_lS1_lPT4_lS5_li.num_named_barrier, 0
	.set _ZL20rocblas_gemvn_kernelILi64ELi4Ei16rocblas_bfloat16fS0_EviiT3_lPKT2_lT1_lS4_lS5_lS1_lPT4_lS5_li.private_seg_size, 0
	.set _ZL20rocblas_gemvn_kernelILi64ELi4Ei16rocblas_bfloat16fS0_EviiT3_lPKT2_lT1_lS4_lS5_lS1_lPT4_lS5_li.uses_vcc, 1
	.set _ZL20rocblas_gemvn_kernelILi64ELi4Ei16rocblas_bfloat16fS0_EviiT3_lPKT2_lT1_lS4_lS5_lS1_lPT4_lS5_li.uses_flat_scratch, 0
	.set _ZL20rocblas_gemvn_kernelILi64ELi4Ei16rocblas_bfloat16fS0_EviiT3_lPKT2_lT1_lS4_lS5_lS1_lPT4_lS5_li.has_dyn_sized_stack, 0
	.set _ZL20rocblas_gemvn_kernelILi64ELi4Ei16rocblas_bfloat16fS0_EviiT3_lPKT2_lT1_lS4_lS5_lS1_lPT4_lS5_li.has_recursion, 0
	.set _ZL20rocblas_gemvn_kernelILi64ELi4Ei16rocblas_bfloat16fS0_EviiT3_lPKT2_lT1_lS4_lS5_lS1_lPT4_lS5_li.has_indirect_call, 0
	.section	.AMDGPU.csdata,"",@progbits
; Kernel info:
; codeLenInByte = 3496
; TotalNumSgprs: 54
; NumVgprs: 53
; ScratchSize: 0
; MemoryBound: 0
; FloatMode: 240
; IeeeMode: 1
; LDSByteSize: 4096 bytes/workgroup (compile time only)
; SGPRBlocks: 0
; VGPRBlocks: 3
; NumSGPRsForWavesPerEU: 54
; NumVGPRsForWavesPerEU: 53
; NamedBarCnt: 0
; Occupancy: 16
; WaveLimiterHint : 1
; COMPUTE_PGM_RSRC2:SCRATCH_EN: 0
; COMPUTE_PGM_RSRC2:USER_SGPR: 2
; COMPUTE_PGM_RSRC2:TRAP_HANDLER: 0
; COMPUTE_PGM_RSRC2:TGID_X_EN: 1
; COMPUTE_PGM_RSRC2:TGID_Y_EN: 0
; COMPUTE_PGM_RSRC2:TGID_Z_EN: 1
; COMPUTE_PGM_RSRC2:TIDIG_COMP_CNT: 1
	.section	.text._ZL20rocblas_gemvn_kernelILi64ELi4El16rocblas_bfloat16fS0_EviiT3_lPKT2_lT1_lS4_lS5_lS1_lPT4_lS5_li,"axG",@progbits,_ZL20rocblas_gemvn_kernelILi64ELi4El16rocblas_bfloat16fS0_EviiT3_lPKT2_lT1_lS4_lS5_lS1_lPT4_lS5_li,comdat
	.globl	_ZL20rocblas_gemvn_kernelILi64ELi4El16rocblas_bfloat16fS0_EviiT3_lPKT2_lT1_lS4_lS5_lS1_lPT4_lS5_li ; -- Begin function _ZL20rocblas_gemvn_kernelILi64ELi4El16rocblas_bfloat16fS0_EviiT3_lPKT2_lT1_lS4_lS5_lS1_lPT4_lS5_li
	.p2align	8
	.type	_ZL20rocblas_gemvn_kernelILi64ELi4El16rocblas_bfloat16fS0_EviiT3_lPKT2_lT1_lS4_lS5_lS1_lPT4_lS5_li,@function
_ZL20rocblas_gemvn_kernelILi64ELi4El16rocblas_bfloat16fS0_EviiT3_lPKT2_lT1_lS4_lS5_lS1_lPT4_lS5_li: ; @_ZL20rocblas_gemvn_kernelILi64ELi4El16rocblas_bfloat16fS0_EviiT3_lPKT2_lT1_lS4_lS5_lS1_lPT4_lS5_li
; %bb.0:
	s_load_b64 s[2:3], s[0:1], 0x9c
	s_wait_kmcnt 0x0
	s_lshr_b32 s4, s2, 16
	s_and_b32 s2, s2, 0xffff
	s_and_b32 s3, s3, 0xffff
	s_mul_i32 s2, s4, s2
	s_delay_alu instid0(SALU_CYCLE_1) | instskip(NEXT) | instid1(SALU_CYCLE_1)
	s_mul_i32 s2, s2, s3
	s_cmp_lg_u32 s2, 0x100
	s_cbranch_scc1 .LBB545_70
; %bb.1:
	s_load_b32 s33, s[0:1], 0x88
	s_bfe_u32 s2, ttmp6, 0x40014
	s_lshr_b32 s3, ttmp7, 16
	s_add_co_i32 s2, s2, 1
	s_bfe_u32 s4, ttmp6, 0x40008
	s_mul_i32 s2, s3, s2
	s_getreg_b32 s6, hwreg(HW_REG_IB_STS2, 6, 4)
	s_add_co_i32 s4, s4, s2
	s_cmp_eq_u32 s6, 0
	s_mov_b32 s35, 0
	s_cselect_b32 s34, s3, s4
	s_wait_kmcnt 0x0
	s_cmp_ge_u32 s34, s33
	s_cbranch_scc1 .LBB545_70
; %bb.2:
	s_clause 0x3
	s_load_b512 s[8:23], s[0:1], 0x18
	s_load_b256 s[24:31], s[0:1], 0x68
	s_load_b96 s[36:38], s[0:1], 0x0
	s_load_b32 s39, s[0:1], 0x58
	v_and_b32_e32 v8, 0x3ff, v0
	v_bfe_u32 v2, v0, 10, 10
	s_delay_alu instid0(VALU_DEP_2) | instskip(NEXT) | instid1(VALU_DEP_2)
	v_dual_mov_b32 v1, 0 :: v_dual_lshlrev_b32 v0, 2, v8
	v_lshl_add_u32 v9, v2, 6, v8
	s_delay_alu instid0(VALU_DEP_2) | instskip(NEXT) | instid1(VALU_DEP_3)
	v_dual_mov_b32 v3, v1 :: v_dual_lshlrev_b32 v52, 2, v2
	v_lshl_add_u32 v53, v2, 10, v0
	v_lshl_add_u32 v54, v2, 8, v0
	s_wait_xcnt 0x0
	v_cmp_gt_u32_e64 s0, 0x100, v9
	s_wait_kmcnt 0x0
	s_lshl_b64 s[4:5], s[10:11], 1
	s_lshl_b64 s[10:11], s[18:19], 1
	;; [unrolled: 1-line block ×3, first 2 shown]
	s_cmp_eq_f32 s38, 0
	s_mov_b32 s40, s36
	v_mul_u64_e32 v[10:11], s[20:21], v[2:3]
	v_mul_u64_e32 v[12:13], s[12:13], v[2:3]
	s_cselect_b32 s46, -1, 0
	s_cmp_neq_f32 s38, 0
	v_mad_nc_u64_u32 v[4:5], s20, v52, s[20:21]
	v_mad_nc_u64_u32 v[6:7], s12, v52, s[12:13]
	s_add_nc_u64 s[24:25], s[24:25], s[2:3]
	s_cselect_b32 s1, -1, 0
	s_cmp_neq_f32 s39, 1.0
	s_add_nc_u64 s[26:27], s[16:17], s[10:11]
	s_cselect_b32 s7, -1, 0
	s_bfe_u32 s18, ttmp6, 0x4000c
	s_and_b32 s19, ttmp6, 15
	s_add_co_i32 s18, s18, 1
	s_or_b32 s47, s1, s7
	s_mul_i32 s18, ttmp9, s18
	v_mad_u32 v5, s21, v52, v5
	s_add_co_i32 s19, s19, s18
	s_cmp_eq_u32 s6, 0
	v_mad_u32 v7, s13, v52, v7
	s_cselect_b32 s1, ttmp9, s19
	s_ashr_i32 s41, s36, 31
	s_lshl_b32 s1, s1, 8
	s_cmp_neq_f32 s39, 0
	v_dual_add_nc_u32 v0, s1, v9 :: v_dual_bitop2_b32 v14, s1, v9 bitop3:0x54
	v_or_b32_e32 v20, s1, v8
	s_cselect_b32 s48, -1, 0
	s_cmp_eq_f32 s39, 0
	s_delay_alu instid0(VALU_DEP_2)
	v_cmp_gt_i64_e32 vcc_lo, s[40:41], v[0:1]
	v_mul_u64_e32 v[2:3], s[28:29], v[0:1]
	v_dual_ashrrev_i32 v15, 31, v14 :: v_dual_bitop2_b32 v0, 3, v52 bitop3:0x54
	s_cselect_b32 s49, -1, 0
	s_ashr_i32 s3, s37, 31
	s_add_nc_u64 s[18:19], s[8:9], s[4:5]
	s_delay_alu instid0(VALU_DEP_1)
	v_mul_u64_e32 v[16:17], s[12:13], v[0:1]
	v_mul_u64_e32 v[18:19], s[20:21], v[0:1]
	v_or_b32_e32 v0, 2, v52
	v_mul_u64_e32 v[8:9], s[28:29], v[14:15]
	s_lshr_b32 s4, s3, 28
	v_ashrrev_i32_e32 v21, 31, v20
	v_add_nc_u32_e32 v15, 0x80, v20
	v_mul_u64_e32 v[22:23], s[12:13], v[0:1]
	v_mul_u64_e32 v[24:25], s[20:21], v[0:1]
	s_add_co_i32 s5, s37, s4
	v_add_nc_u32_e32 v0, 64, v20
	v_add_nc_u32_e32 v26, 0xc0, v20
	s_and_b32 s50, s5, -16
	v_cmp_gt_i32_e64 s2, s36, v14
	v_cmp_gt_i32_e64 s4, s36, v15
	s_sub_co_i32 s6, s37, s50
	v_lshlrev_b64_e32 v[14:15], 1, v[20:21]
	v_lshl_add_u64 v[4:5], v[4:5], 1, s[16:17]
	v_lshl_add_u64 v[6:7], v[6:7], 1, s[18:19]
	v_cmp_gt_i32_e64 s1, s36, v20
	v_lshl_add_u64 v[10:11], v[10:11], 3, s[16:17]
	v_lshl_add_u64 v[12:13], v[12:13], 3, s[18:19]
	v_cmp_gt_i32_e64 s3, s36, v0
	v_cmp_gt_i32_e64 s5, s36, v26
	s_cmp_gt_i32 s6, 0
	v_cmp_gt_i32_e64 s6, s50, v52
	s_cselect_b32 s36, -1, 0
	s_and_b32 s51, s0, vcc_lo
	s_lshl_b64 s[28:29], s[22:23], 1
	s_lshl_b64 s[40:41], s[14:15], 1
	;; [unrolled: 1-line block ×3, first 2 shown]
	v_lshl_add_u64 v[16:17], v[16:17], 1, s[18:19]
	v_lshl_add_u64 v[18:19], v[18:19], 1, s[16:17]
	;; [unrolled: 1-line block ×4, first 2 shown]
	s_lshl_b64 s[16:17], s[20:21], 5
	s_branch .LBB545_5
.LBB545_3:                              ;   in Loop: Header=BB545_5 Depth=1
	s_wait_xcnt 0x0
	s_or_b32 exec_lo, exec_lo, s7
.LBB545_4:                              ;   in Loop: Header=BB545_5 Depth=1
	s_add_co_i32 s34, s34, 0x10000
	s_delay_alu instid0(SALU_CYCLE_1)
	s_cmp_lt_u32 s34, s33
	s_cbranch_scc0 .LBB545_70
.LBB545_5:                              ; =>This Loop Header: Depth=1
                                        ;     Child Loop BB545_22 Depth 2
	s_and_not1_b32 vcc_lo, exec_lo, s47
	s_cbranch_vccnz .LBB545_4
; %bb.6:                                ;   in Loop: Header=BB545_5 Depth=1
	s_mul_u64 s[8:9], s[30:31], s[34:35]
	s_and_not1_b32 vcc_lo, exec_lo, s46
	s_lshl_b64 s[8:9], s[8:9], 1
	s_delay_alu instid0(SALU_CYCLE_1)
	s_add_nc_u64 s[44:45], s[24:25], s[8:9]
	s_cbranch_vccnz .LBB545_14
; %bb.7:                                ;   in Loop: Header=BB545_5 Depth=1
	s_mov_b32 s7, 0
	s_mov_b32 s52, 0
                                        ; implicit-def: $vgpr0
	s_and_saveexec_b32 s8, s51
	s_cbranch_execz .LBB545_15
; %bb.8:                                ;   in Loop: Header=BB545_5 Depth=1
	s_and_not1_b32 vcc_lo, exec_lo, s48
	s_cbranch_vccnz .LBB545_67
; %bb.9:                                ;   in Loop: Header=BB545_5 Depth=1
	v_lshl_add_u64 v[24:25], v[2:3], 1, s[44:45]
	global_load_u16 v0, v[24:25], off
	s_wait_loadcnt 0x0
	v_lshlrev_b32_e32 v0, 16, v0
	s_delay_alu instid0(VALU_DEP_1) | instskip(SKIP_1) | instid1(VALU_DEP_1)
	v_mul_f32_e32 v0, s39, v0
	s_wait_xcnt 0x0
	v_and_b32_e32 v24, 0x7f800000, v0
	s_delay_alu instid0(VALU_DEP_1) | instskip(SKIP_1) | instid1(SALU_CYCLE_1)
	v_cmp_ne_u32_e32 vcc_lo, 0x7f800000, v24
                                        ; implicit-def: $vgpr24
	s_and_saveexec_b32 s9, vcc_lo
	s_xor_b32 s9, exec_lo, s9
; %bb.10:                               ;   in Loop: Header=BB545_5 Depth=1
	v_bfe_u32 v24, v0, 16, 1
	s_delay_alu instid0(VALU_DEP_1)
	v_add3_u32 v24, v0, v24, 0x7fff
                                        ; implicit-def: $vgpr0
; %bb.11:                               ;   in Loop: Header=BB545_5 Depth=1
	s_and_not1_saveexec_b32 s9, s9
; %bb.12:                               ;   in Loop: Header=BB545_5 Depth=1
	v_and_b32_e32 v24, 0xffff, v0
	v_or_b32_e32 v25, 0x10000, v0
	s_delay_alu instid0(VALU_DEP_2) | instskip(NEXT) | instid1(VALU_DEP_2)
	v_cmp_eq_u32_e32 vcc_lo, 0, v24
	v_cndmask_b32_e32 v24, v25, v0, vcc_lo
; %bb.13:                               ;   in Loop: Header=BB545_5 Depth=1
	s_or_b32 exec_lo, exec_lo, s9
	s_delay_alu instid0(VALU_DEP_1) | instskip(SKIP_2) | instid1(SALU_CYCLE_1)
	v_lshrrev_b32_e32 v0, 16, v24
	s_mov_b32 s52, exec_lo
	s_or_b32 exec_lo, exec_lo, s8
	s_and_b32 vcc_lo, exec_lo, s7
	s_cbranch_vccnz .LBB545_16
	s_branch .LBB545_68
.LBB545_14:                             ;   in Loop: Header=BB545_5 Depth=1
	s_mov_b32 s52, 0
                                        ; implicit-def: $vgpr0
	s_cbranch_execnz .LBB545_16
	s_branch .LBB545_68
.LBB545_15:                             ;   in Loop: Header=BB545_5 Depth=1
	s_or_b32 exec_lo, exec_lo, s8
	s_delay_alu instid0(SALU_CYCLE_1)
	s_and_b32 vcc_lo, exec_lo, s7
	s_cbranch_vccz .LBB545_68
.LBB545_16:                             ;   in Loop: Header=BB545_5 Depth=1
	v_dual_mov_b32 v55, 0 :: v_dual_mov_b32 v0, v52
	v_dual_mov_b32 v56, 0 :: v_dual_mov_b32 v57, 0
	v_mov_b32_e32 v58, 0
	s_and_saveexec_b32 s7, s6
	s_cbranch_execz .LBB545_28
; %bb.17:                               ;   in Loop: Header=BB545_5 Depth=1
	s_mul_u64 s[8:9], s[28:29], s[34:35]
	s_mul_u64 s[54:55], s[40:41], s[34:35]
	v_add_nc_u64_e32 v[24:25], s[8:9], v[10:11]
	v_add_nc_u64_e32 v[26:27], s[54:55], v[16:17]
	;; [unrolled: 1-line block ×8, first 2 shown]
	v_dual_mov_b32 v55, 0 :: v_dual_mov_b32 v0, v52
	v_dual_mov_b32 v56, 0 :: v_dual_mov_b32 v57, 0
	v_mov_b32_e32 v58, 0
	s_mov_b32 s8, 0
	s_branch .LBB545_22
.LBB545_18:                             ;   in Loop: Header=BB545_22 Depth=2
	s_or_b32 exec_lo, exec_lo, s55
	s_wait_loadcnt 0x2
	v_dual_lshlrev_b32 v45, 16, v70 :: v_dual_lshlrev_b32 v44, 16, v69
	s_wait_loadcnt 0x0
	v_dual_lshlrev_b32 v47, 16, v68 :: v_dual_lshlrev_b32 v46, 16, v67
	s_delay_alu instid0(VALU_DEP_2) | instskip(NEXT) | instid1(VALU_DEP_1)
	v_pk_mul_f32 v[44:45], v[42:43], v[44:45]
	v_add_f32_e32 v44, v57, v44
	s_delay_alu instid0(VALU_DEP_1) | instskip(NEXT) | instid1(VALU_DEP_4)
	v_add_f32_e32 v48, v44, v45
	v_pk_mul_f32 v[44:45], v[40:41], v[46:47]
	s_delay_alu instid0(VALU_DEP_1) | instskip(NEXT) | instid1(VALU_DEP_1)
	v_add_f32_e32 v44, v48, v44
	v_add_f32_e32 v57, v44, v45
.LBB545_19:                             ;   in Loop: Header=BB545_22 Depth=2
	s_or_b32 exec_lo, exec_lo, s54
	s_wait_loadcnt 0x2
	v_dual_lshlrev_b32 v45, 16, v66 :: v_dual_lshlrev_b32 v44, 16, v65
	s_wait_loadcnt 0x0
	v_dual_lshlrev_b32 v47, 16, v64 :: v_dual_lshlrev_b32 v46, 16, v63
	s_delay_alu instid0(VALU_DEP_2) | instskip(NEXT) | instid1(VALU_DEP_1)
	v_pk_mul_f32 v[44:45], v[42:43], v[44:45]
	v_add_f32_e32 v44, v56, v44
	s_delay_alu instid0(VALU_DEP_1) | instskip(NEXT) | instid1(VALU_DEP_4)
	v_add_f32_e32 v48, v44, v45
	v_pk_mul_f32 v[44:45], v[40:41], v[46:47]
	s_delay_alu instid0(VALU_DEP_1) | instskip(NEXT) | instid1(VALU_DEP_1)
	v_add_f32_e32 v44, v48, v44
	v_add_f32_e32 v56, v44, v45
.LBB545_20:                             ;   in Loop: Header=BB545_22 Depth=2
	s_or_b32 exec_lo, exec_lo, s53
	s_wait_loadcnt 0x2
	v_dual_lshlrev_b32 v45, 16, v62 :: v_dual_lshlrev_b32 v44, 16, v61
	s_delay_alu instid0(VALU_DEP_1) | instskip(SKIP_1) | instid1(VALU_DEP_1)
	v_pk_mul_f32 v[42:43], v[42:43], v[44:45]
	s_wait_loadcnt 0x0
	v_dual_add_f32 v42, v55, v42 :: v_dual_lshlrev_b32 v45, 16, v60
	s_delay_alu instid0(VALU_DEP_1) | instskip(SKIP_1) | instid1(VALU_DEP_1)
	v_add_f32_e32 v42, v42, v43
	v_lshlrev_b32_e32 v44, 16, v59
	v_pk_mul_f32 v[40:41], v[40:41], v[44:45]
	s_delay_alu instid0(VALU_DEP_1) | instskip(NEXT) | instid1(VALU_DEP_1)
	v_add_f32_e32 v40, v42, v40
	v_add_f32_e32 v55, v40, v41
.LBB545_21:                             ;   in Loop: Header=BB545_22 Depth=2
	s_or_b32 exec_lo, exec_lo, s9
	v_add_nc_u32_e32 v0, 16, v0
	v_add_nc_u64_e32 v[24:25], s[16:17], v[24:25]
	v_add_nc_u64_e32 v[26:27], s[42:43], v[26:27]
	;; [unrolled: 1-line block ×7, first 2 shown]
	v_cmp_le_i32_e32 vcc_lo, s50, v0
	v_add_nc_u64_e32 v[38:39], s[42:43], v[38:39]
	s_or_b32 s8, vcc_lo, s8
	s_delay_alu instid0(SALU_CYCLE_1)
	s_and_not1_b32 exec_lo, exec_lo, s8
	s_cbranch_execz .LBB545_27
.LBB545_22:                             ;   Parent Loop BB545_5 Depth=1
                                        ; =>  This Inner Loop Header: Depth=2
	s_and_saveexec_b32 s9, s1
	s_cbranch_execz .LBB545_21
; %bb.23:                               ;   in Loop: Header=BB545_22 Depth=2
	v_add_nc_u64_e32 v[40:41], s[10:11], v[24:25]
	v_add_nc_u64_e32 v[42:43], s[10:11], v[36:37]
	;; [unrolled: 1-line block ×7, first 2 shown]
	global_load_u16 v63, v[40:41], off
	global_load_u16 v68, v[42:43], off
	v_add_nc_u64_e32 v[48:49], v[26:27], v[14:15]
	global_load_u16 v40, v[66:67], off
	global_load_u16 v69, v[64:65], off
	;; [unrolled: 1-line block ×6, first 2 shown]
	s_wait_loadcnt 0x4
	v_dual_lshlrev_b32 v41, 16, v40 :: v_dual_lshlrev_b32 v40, 16, v69
	s_wait_xcnt 0x6
	v_dual_lshlrev_b32 v43, 16, v68 :: v_dual_lshlrev_b32 v42, 16, v63
	s_wait_xcnt 0x0
	s_and_saveexec_b32 s53, s3
	s_cbranch_execz .LBB545_20
; %bb.24:                               ;   in Loop: Header=BB545_22 Depth=2
	global_load_u16 v65, v[46:47], off offset:128
	global_load_u16 v66, v[50:51], off offset:128
	global_load_u16 v63, v[44:45], off offset:128
	global_load_u16 v64, v[48:49], off offset:128
	s_wait_xcnt 0x0
	s_and_saveexec_b32 s54, s4
	s_cbranch_execz .LBB545_19
; %bb.25:                               ;   in Loop: Header=BB545_22 Depth=2
	global_load_u16 v69, v[46:47], off offset:256
	global_load_u16 v70, v[50:51], off offset:256
	global_load_u16 v67, v[44:45], off offset:256
	global_load_u16 v68, v[48:49], off offset:256
	;; [unrolled: 8-line block ×3, first 2 shown]
	s_wait_loadcnt 0x3
	s_wait_xcnt 0x0
	v_lshlrev_b32_e32 v45, 16, v50
	s_wait_loadcnt 0x1
	v_dual_lshlrev_b32 v44, 16, v46 :: v_dual_lshlrev_b32 v47, 16, v47
	s_wait_loadcnt 0x0
	v_lshlrev_b32_e32 v46, 16, v48
	s_delay_alu instid0(VALU_DEP_2) | instskip(NEXT) | instid1(VALU_DEP_1)
	v_pk_mul_f32 v[44:45], v[42:43], v[44:45]
	v_add_f32_e32 v44, v58, v44
	s_delay_alu instid0(VALU_DEP_1) | instskip(NEXT) | instid1(VALU_DEP_4)
	v_add_f32_e32 v48, v44, v45
	v_pk_mul_f32 v[44:45], v[40:41], v[46:47]
	s_delay_alu instid0(VALU_DEP_1) | instskip(NEXT) | instid1(VALU_DEP_1)
	v_add_f32_e32 v44, v48, v44
	v_add_f32_e32 v58, v44, v45
	s_branch .LBB545_18
.LBB545_27:                             ;   in Loop: Header=BB545_5 Depth=1
	s_or_b32 exec_lo, exec_lo, s8
.LBB545_28:                             ;   in Loop: Header=BB545_5 Depth=1
	s_delay_alu instid0(SALU_CYCLE_1) | instskip(NEXT) | instid1(SALU_CYCLE_1)
	s_or_b32 exec_lo, exec_lo, s7
	s_and_not1_b32 vcc_lo, exec_lo, s36
	s_cbranch_vccnz .LBB545_46
; %bb.29:                               ;   in Loop: Header=BB545_5 Depth=1
	v_dual_mov_b32 v24, 0 :: v_dual_bitop2_b32 v28, 1, v0 bitop3:0x54
	v_cmp_gt_i32_e32 vcc_lo, s37, v0
	s_delay_alu instid0(VALU_DEP_2)
	v_dual_mov_b32 v25, v24 :: v_dual_mov_b32 v26, v24
	v_mov_b32_e32 v27, v24
	s_and_saveexec_b32 s53, vcc_lo
	s_cbranch_execz .LBB545_37
; %bb.30:                               ;   in Loop: Header=BB545_5 Depth=1
	v_mul_u64_e32 v[24:25], s[20:21], v[0:1]
	s_mul_u64 s[8:9], s[22:23], s[34:35]
	v_mov_b32_e32 v27, 0
	s_lshl_b64 s[8:9], s[8:9], 1
	s_mov_b32 s54, exec_lo
	s_add_nc_u64 s[8:9], s[26:27], s[8:9]
	s_delay_alu instid0(VALU_DEP_2) | instid1(SALU_CYCLE_1)
	v_lshl_add_u64 v[24:25], v[24:25], 1, s[8:9]
	global_load_u16 v30, v[24:25], off
	s_wait_xcnt 0x0
	v_dual_mov_b32 v25, 0 :: v_dual_mov_b32 v24, 0
	v_cmpx_gt_i32_e64 s37, v28
	s_cbranch_execz .LBB545_36
; %bb.31:                               ;   in Loop: Header=BB545_5 Depth=1
	v_dual_mov_b32 v29, v1 :: v_dual_bitop2_b32 v26, 2, v0 bitop3:0x54
	s_mov_b32 s55, exec_lo
	s_delay_alu instid0(VALU_DEP_1) | instskip(NEXT) | instid1(VALU_DEP_1)
	v_mul_u64_e32 v[24:25], s[20:21], v[28:29]
	v_lshl_add_u64 v[24:25], v[24:25], 1, s[8:9]
	global_load_u16 v29, v[24:25], off
	s_wait_xcnt 0x0
	v_dual_mov_b32 v25, 0 :: v_dual_mov_b32 v24, 0
	v_cmpx_gt_i32_e64 s37, v26
	s_cbranch_execz .LBB545_35
; %bb.32:                               ;   in Loop: Header=BB545_5 Depth=1
	v_mov_b32_e32 v27, v1
	s_mov_b32 s56, exec_lo
	s_delay_alu instid0(VALU_DEP_1) | instskip(NEXT) | instid1(VALU_DEP_1)
	v_mul_u64_e32 v[24:25], s[20:21], v[26:27]
	v_lshl_add_u64 v[24:25], v[24:25], 1, s[8:9]
	global_load_u16 v26, v[24:25], off
	s_wait_xcnt 0x0
	v_dual_mov_b32 v25, 0 :: v_dual_bitop2_b32 v24, 3, v0 bitop3:0x54
	s_delay_alu instid0(VALU_DEP_1)
	v_cmpx_gt_i32_e64 s37, v24
	s_cbranch_execz .LBB545_34
; %bb.33:                               ;   in Loop: Header=BB545_5 Depth=1
	v_mov_b32_e32 v25, v1
	s_delay_alu instid0(VALU_DEP_1) | instskip(NEXT) | instid1(VALU_DEP_1)
	v_mul_u64_e32 v[24:25], s[20:21], v[24:25]
	v_lshl_add_u64 v[24:25], v[24:25], 1, s[8:9]
	global_load_u16 v24, v[24:25], off
	s_wait_loadcnt 0x0
	s_wait_xcnt 0x0
	v_lshlrev_b32_e32 v25, 16, v24
.LBB545_34:                             ;   in Loop: Header=BB545_5 Depth=1
	s_or_b32 exec_lo, exec_lo, s56
	s_wait_loadcnt 0x0
	v_lshlrev_b32_e32 v24, 16, v26
.LBB545_35:                             ;   in Loop: Header=BB545_5 Depth=1
	s_or_b32 exec_lo, exec_lo, s55
	s_wait_loadcnt 0x0
	v_lshlrev_b32_e32 v27, 16, v29
.LBB545_36:                             ;   in Loop: Header=BB545_5 Depth=1
	s_or_b32 exec_lo, exec_lo, s54
	s_wait_loadcnt 0x0
	v_lshlrev_b32_e32 v26, 16, v30
.LBB545_37:                             ;   in Loop: Header=BB545_5 Depth=1
	s_or_b32 exec_lo, exec_lo, s53
	s_and_saveexec_b32 s53, s1
	s_cbranch_execz .LBB545_45
; %bb.38:                               ;   in Loop: Header=BB545_5 Depth=1
	v_dual_mov_b32 v29, v1 :: v_dual_bitop2_b32 v30, 2, v0 bitop3:0x54
	v_mov_b32_e32 v31, v1
	v_mul_u64_e32 v[32:33], s[12:13], v[0:1]
	v_or_b32_e32 v0, 3, v0
	s_delay_alu instid0(VALU_DEP_4)
	v_mul_u64_e32 v[34:35], s[12:13], v[28:29]
	s_mul_u64 s[8:9], s[14:15], s[34:35]
	v_mul_u64_e32 v[36:37], s[12:13], v[30:31]
	v_cmp_gt_i32_e64 s7, s37, v28
	v_mul_u64_e32 v[38:39], s[12:13], v[0:1]
	s_lshl_b64 s[54:55], s[8:9], 1
	v_cmp_gt_i32_e64 s8, s37, v30
	v_cmp_gt_i32_e64 s9, s37, v0
	v_dual_cndmask_b32 v29, 0, v33 :: v_dual_cndmask_b32 v28, 0, v32
	v_dual_cndmask_b32 v31, 0, v35, s7 :: v_dual_cndmask_b32 v30, 0, v34, s7
	s_delay_alu instid0(VALU_DEP_4) | instskip(NEXT) | instid1(VALU_DEP_4)
	v_dual_cndmask_b32 v33, 0, v37, s8 :: v_dual_cndmask_b32 v32, 0, v36, s8
	v_dual_cndmask_b32 v35, 0, v39, s9 :: v_dual_cndmask_b32 v34, 0, v38, s9
	s_add_nc_u64 s[8:9], s[18:19], s[54:55]
	s_delay_alu instid0(VALU_DEP_3) | instid1(SALU_CYCLE_1)
	v_lshl_add_u64 v[30:31], v[30:31], 1, s[8:9]
	s_delay_alu instid0(VALU_DEP_3) | instskip(NEXT) | instid1(VALU_DEP_3)
	v_lshl_add_u64 v[36:37], v[32:33], 1, s[8:9]
	v_lshl_add_u64 v[34:35], v[34:35], 1, s[8:9]
	;; [unrolled: 1-line block ×3, first 2 shown]
	s_delay_alu instid0(VALU_DEP_4) | instskip(NEXT) | instid1(VALU_DEP_4)
	v_add_nc_u64_e32 v[32:33], v[30:31], v[14:15]
	v_add_nc_u64_e32 v[28:29], v[36:37], v[14:15]
	s_delay_alu instid0(VALU_DEP_4) | instskip(NEXT) | instid1(VALU_DEP_4)
	v_add_nc_u64_e32 v[30:31], v[34:35], v[14:15]
	v_add_nc_u64_e32 v[34:35], v[38:39], v[14:15]
	s_clause 0x3
	global_load_u16 v37, v[32:33], off
	global_load_u16 v0, v[28:29], off
	;; [unrolled: 1-line block ×4, first 2 shown]
	s_wait_xcnt 0x0
	s_and_saveexec_b32 s7, s3
	s_cbranch_execz .LBB545_44
; %bb.39:                               ;   in Loop: Header=BB545_5 Depth=1
	s_clause 0x3
	global_load_u16 v41, v[34:35], off offset:128
	global_load_u16 v42, v[32:33], off offset:128
	global_load_u16 v39, v[28:29], off offset:128
	global_load_u16 v40, v[30:31], off offset:128
	s_wait_xcnt 0x0
	s_and_saveexec_b32 s8, s4
	s_cbranch_execz .LBB545_43
; %bb.40:                               ;   in Loop: Header=BB545_5 Depth=1
	s_clause 0x3
	global_load_u16 v45, v[34:35], off offset:256
	global_load_u16 v46, v[32:33], off offset:256
	global_load_u16 v43, v[28:29], off offset:256
	global_load_u16 v44, v[30:31], off offset:256
	;; [unrolled: 9-line block ×3, first 2 shown]
	s_wait_loadcnt 0x2
	s_wait_xcnt 0x0
	v_dual_lshlrev_b32 v29, 16, v32 :: v_dual_lshlrev_b32 v28, 16, v33
	s_delay_alu instid0(VALU_DEP_1) | instskip(SKIP_1) | instid1(VALU_DEP_1)
	v_pk_mul_f32 v[28:29], v[26:27], v[28:29]
	s_wait_loadcnt 0x1
	v_dual_add_f32 v28, v58, v28 :: v_dual_lshlrev_b32 v31, 16, v30
	s_wait_loadcnt 0x0
	s_delay_alu instid0(VALU_DEP_1) | instskip(NEXT) | instid1(VALU_DEP_1)
	v_dual_lshlrev_b32 v30, 16, v34 :: v_dual_add_f32 v32, v28, v29
	v_pk_mul_f32 v[28:29], v[24:25], v[30:31]
	s_delay_alu instid0(VALU_DEP_1) | instskip(NEXT) | instid1(VALU_DEP_1)
	v_add_f32_e32 v28, v32, v28
	v_add_f32_e32 v58, v28, v29
.LBB545_42:                             ;   in Loop: Header=BB545_5 Depth=1
	s_or_b32 exec_lo, exec_lo, s9
	s_wait_loadcnt 0x2
	v_dual_lshlrev_b32 v29, 16, v46 :: v_dual_lshlrev_b32 v28, 16, v45
	s_wait_loadcnt 0x0
	v_dual_lshlrev_b32 v31, 16, v44 :: v_dual_lshlrev_b32 v30, 16, v43
	s_delay_alu instid0(VALU_DEP_2) | instskip(NEXT) | instid1(VALU_DEP_1)
	v_pk_mul_f32 v[28:29], v[26:27], v[28:29]
	v_add_f32_e32 v28, v57, v28
	s_delay_alu instid0(VALU_DEP_1) | instskip(NEXT) | instid1(VALU_DEP_4)
	v_add_f32_e32 v32, v28, v29
	v_pk_mul_f32 v[28:29], v[24:25], v[30:31]
	s_delay_alu instid0(VALU_DEP_1) | instskip(NEXT) | instid1(VALU_DEP_1)
	v_add_f32_e32 v28, v32, v28
	v_add_f32_e32 v57, v28, v29
.LBB545_43:                             ;   in Loop: Header=BB545_5 Depth=1
	s_or_b32 exec_lo, exec_lo, s8
	s_wait_loadcnt 0x2
	v_dual_lshlrev_b32 v29, 16, v42 :: v_dual_lshlrev_b32 v28, 16, v41
	s_wait_loadcnt 0x0
	v_dual_lshlrev_b32 v31, 16, v40 :: v_dual_lshlrev_b32 v30, 16, v39
	s_delay_alu instid0(VALU_DEP_2) | instskip(NEXT) | instid1(VALU_DEP_1)
	v_pk_mul_f32 v[28:29], v[26:27], v[28:29]
	v_add_f32_e32 v28, v56, v28
	s_delay_alu instid0(VALU_DEP_1) | instskip(NEXT) | instid1(VALU_DEP_4)
	v_add_f32_e32 v32, v28, v29
	v_pk_mul_f32 v[28:29], v[24:25], v[30:31]
	s_delay_alu instid0(VALU_DEP_1) | instskip(NEXT) | instid1(VALU_DEP_1)
	v_add_f32_e32 v28, v32, v28
	v_add_f32_e32 v56, v28, v29
.LBB545_44:                             ;   in Loop: Header=BB545_5 Depth=1
	s_or_b32 exec_lo, exec_lo, s7
	s_wait_loadcnt 0x0
	v_dual_lshlrev_b32 v29, 16, v37 :: v_dual_lshlrev_b32 v28, 16, v38
	s_delay_alu instid0(VALU_DEP_1) | instskip(NEXT) | instid1(VALU_DEP_1)
	v_pk_mul_f32 v[26:27], v[26:27], v[28:29]
	v_dual_add_f32 v26, v55, v26 :: v_dual_lshlrev_b32 v29, 16, v36
	s_delay_alu instid0(VALU_DEP_1) | instskip(NEXT) | instid1(VALU_DEP_1)
	v_dual_lshlrev_b32 v28, 16, v0 :: v_dual_add_f32 v0, v26, v27
	v_pk_mul_f32 v[24:25], v[24:25], v[28:29]
	s_delay_alu instid0(VALU_DEP_1) | instskip(NEXT) | instid1(VALU_DEP_1)
	v_add_f32_e32 v0, v0, v24
	v_add_f32_e32 v55, v0, v25
.LBB545_45:                             ;   in Loop: Header=BB545_5 Depth=1
	s_or_b32 exec_lo, exec_lo, s53
.LBB545_46:                             ;   in Loop: Header=BB545_5 Depth=1
	ds_store_2addr_stride64_b32 v53, v55, v56 offset1:1
	ds_store_2addr_stride64_b32 v53, v57, v58 offset0:2 offset1:3
	s_wait_dscnt 0x0
	s_barrier_signal -1
	s_barrier_wait -1
                                        ; implicit-def: $vgpr0
	s_and_saveexec_b32 s7, s0
	s_cbranch_execz .LBB545_66
; %bb.47:                               ;   in Loop: Header=BB545_5 Depth=1
	ds_load_2addr_stride64_b32 v[24:25], v54 offset1:4
	ds_load_2addr_stride64_b32 v[26:27], v54 offset0:8 offset1:12
	s_mov_b32 s9, s52
	s_wait_dscnt 0x1
	v_add_f32_e32 v0, v24, v25
	s_wait_dscnt 0x0
	s_delay_alu instid0(VALU_DEP_1) | instskip(NEXT) | instid1(VALU_DEP_1)
	v_add_f32_e32 v0, v26, v0
	v_add_f32_e32 v24, v27, v0
                                        ; implicit-def: $vgpr0
	ds_store_b32 v54, v24
	s_and_saveexec_b32 s8, s2
	s_cbranch_execz .LBB545_65
; %bb.48:                               ;   in Loop: Header=BB545_5 Depth=1
	v_mul_f32_e32 v0, s38, v24
	s_and_b32 vcc_lo, exec_lo, s49
	s_mov_b32 s9, -1
                                        ; implicit-def: $vgpr24
	s_cbranch_vccz .LBB545_54
; %bb.49:                               ;   in Loop: Header=BB545_5 Depth=1
	s_delay_alu instid0(VALU_DEP_1) | instskip(NEXT) | instid1(VALU_DEP_1)
	v_and_b32_e32 v24, 0x7f800000, v0
	v_cmp_ne_u32_e32 vcc_lo, 0x7f800000, v24
                                        ; implicit-def: $vgpr24
	s_and_saveexec_b32 s9, vcc_lo
	s_delay_alu instid0(SALU_CYCLE_1)
	s_xor_b32 s9, exec_lo, s9
; %bb.50:                               ;   in Loop: Header=BB545_5 Depth=1
	v_bfe_u32 v24, v0, 16, 1
	s_delay_alu instid0(VALU_DEP_1)
	v_add3_u32 v24, v0, v24, 0x7fff
; %bb.51:                               ;   in Loop: Header=BB545_5 Depth=1
	s_and_not1_saveexec_b32 s9, s9
; %bb.52:                               ;   in Loop: Header=BB545_5 Depth=1
	v_and_b32_e32 v24, 0xffff, v0
	v_or_b32_e32 v25, 0x10000, v0
	s_delay_alu instid0(VALU_DEP_2) | instskip(NEXT) | instid1(VALU_DEP_2)
	v_cmp_eq_u32_e32 vcc_lo, 0, v24
	v_cndmask_b32_e32 v24, v25, v0, vcc_lo
; %bb.53:                               ;   in Loop: Header=BB545_5 Depth=1
	s_or_b32 exec_lo, exec_lo, s9
	s_mov_b32 s9, 0
.LBB545_54:                             ;   in Loop: Header=BB545_5 Depth=1
	s_delay_alu instid0(SALU_CYCLE_1)
	s_and_not1_b32 vcc_lo, exec_lo, s9
	s_cbranch_vccnz .LBB545_64
; %bb.55:                               ;   in Loop: Header=BB545_5 Depth=1
	v_lshl_add_u64 v[24:25], v[8:9], 1, s[44:45]
	global_load_u16 v24, v[24:25], off
	s_wait_loadcnt 0x0
	s_wait_xcnt 0x0
	v_lshlrev_b32_e32 v24, 16, v24
	s_delay_alu instid0(VALU_DEP_1) | instskip(NEXT) | instid1(VALU_DEP_1)
	v_mul_f32_e32 v24, s39, v24
	v_and_b32_e32 v25, 0x7f800000, v24
	s_delay_alu instid0(VALU_DEP_1) | instskip(SKIP_1) | instid1(SALU_CYCLE_1)
	v_cmp_ne_u32_e32 vcc_lo, 0x7f800000, v25
                                        ; implicit-def: $vgpr25
	s_and_saveexec_b32 s9, vcc_lo
	s_xor_b32 s9, exec_lo, s9
; %bb.56:                               ;   in Loop: Header=BB545_5 Depth=1
	v_bfe_u32 v25, v24, 16, 1
	s_delay_alu instid0(VALU_DEP_1)
	v_add3_u32 v25, v24, v25, 0x7fff
                                        ; implicit-def: $vgpr24
; %bb.57:                               ;   in Loop: Header=BB545_5 Depth=1
	s_and_not1_saveexec_b32 s9, s9
; %bb.58:                               ;   in Loop: Header=BB545_5 Depth=1
	v_and_b32_e32 v25, 0xffff, v24
	v_or_b32_e32 v26, 0x10000, v24
	s_delay_alu instid0(VALU_DEP_2) | instskip(NEXT) | instid1(VALU_DEP_2)
	v_cmp_eq_u32_e32 vcc_lo, 0, v25
	v_cndmask_b32_e32 v25, v26, v24, vcc_lo
; %bb.59:                               ;   in Loop: Header=BB545_5 Depth=1
	s_or_b32 exec_lo, exec_lo, s9
	s_delay_alu instid0(VALU_DEP_1) | instskip(NEXT) | instid1(VALU_DEP_1)
	v_and_b32_e32 v24, 0xffff0000, v25
	v_add_f32_e32 v0, v0, v24
	s_delay_alu instid0(VALU_DEP_1) | instskip(NEXT) | instid1(VALU_DEP_1)
	v_and_b32_e32 v24, 0x7f800000, v0
	v_cmp_ne_u32_e32 vcc_lo, 0x7f800000, v24
                                        ; implicit-def: $vgpr24
	s_and_saveexec_b32 s9, vcc_lo
	s_delay_alu instid0(SALU_CYCLE_1)
	s_xor_b32 s9, exec_lo, s9
; %bb.60:                               ;   in Loop: Header=BB545_5 Depth=1
	v_bfe_u32 v24, v0, 16, 1
	s_delay_alu instid0(VALU_DEP_1)
	v_add3_u32 v24, v0, v24, 0x7fff
                                        ; implicit-def: $vgpr0
; %bb.61:                               ;   in Loop: Header=BB545_5 Depth=1
	s_and_not1_saveexec_b32 s9, s9
; %bb.62:                               ;   in Loop: Header=BB545_5 Depth=1
	v_and_b32_e32 v24, 0xffff, v0
	v_or_b32_e32 v25, 0x10000, v0
	s_delay_alu instid0(VALU_DEP_2) | instskip(NEXT) | instid1(VALU_DEP_2)
	v_cmp_eq_u32_e32 vcc_lo, 0, v24
	v_cndmask_b32_e32 v24, v25, v0, vcc_lo
; %bb.63:                               ;   in Loop: Header=BB545_5 Depth=1
	s_or_b32 exec_lo, exec_lo, s9
.LBB545_64:                             ;   in Loop: Header=BB545_5 Depth=1
	s_delay_alu instid0(VALU_DEP_1)
	v_lshrrev_b32_e32 v0, 16, v24
	s_or_b32 s9, s52, exec_lo
.LBB545_65:                             ;   in Loop: Header=BB545_5 Depth=1
	s_or_b32 exec_lo, exec_lo, s8
	s_delay_alu instid0(SALU_CYCLE_1) | instskip(SKIP_1) | instid1(SALU_CYCLE_1)
	s_and_not1_b32 s8, s52, exec_lo
	s_and_b32 s9, s9, exec_lo
	s_or_b32 s52, s8, s9
.LBB545_66:                             ;   in Loop: Header=BB545_5 Depth=1
	s_or_b32 exec_lo, exec_lo, s7
	v_mov_b64_e32 v[24:25], v[8:9]
	s_and_saveexec_b32 s7, s52
	s_cbranch_execz .LBB545_3
	s_branch .LBB545_69
.LBB545_67:                             ;   in Loop: Header=BB545_5 Depth=1
	v_mov_b32_e32 v0, 0
	s_mov_b32 s52, exec_lo
	s_or_b32 exec_lo, exec_lo, s8
	s_delay_alu instid0(SALU_CYCLE_1)
	s_and_b32 vcc_lo, exec_lo, s7
	s_cbranch_vccnz .LBB545_16
.LBB545_68:                             ;   in Loop: Header=BB545_5 Depth=1
	v_mov_b64_e32 v[24:25], v[2:3]
	s_and_saveexec_b32 s7, s52
	s_cbranch_execz .LBB545_3
.LBB545_69:                             ;   in Loop: Header=BB545_5 Depth=1
	s_delay_alu instid0(VALU_DEP_1)
	v_lshl_add_u64 v[24:25], v[24:25], 1, s[44:45]
	global_store_b16 v[24:25], v0, off
	s_branch .LBB545_3
.LBB545_70:
	s_sendmsg sendmsg(MSG_DEALLOC_VGPRS)
	s_endpgm
	.section	.rodata,"a",@progbits
	.p2align	6, 0x0
	.amdhsa_kernel _ZL20rocblas_gemvn_kernelILi64ELi4El16rocblas_bfloat16fS0_EviiT3_lPKT2_lT1_lS4_lS5_lS1_lPT4_lS5_li
		.amdhsa_group_segment_fixed_size 4096
		.amdhsa_private_segment_fixed_size 0
		.amdhsa_kernarg_size 400
		.amdhsa_user_sgpr_count 2
		.amdhsa_user_sgpr_dispatch_ptr 0
		.amdhsa_user_sgpr_queue_ptr 0
		.amdhsa_user_sgpr_kernarg_segment_ptr 1
		.amdhsa_user_sgpr_dispatch_id 0
		.amdhsa_user_sgpr_kernarg_preload_length 0
		.amdhsa_user_sgpr_kernarg_preload_offset 0
		.amdhsa_user_sgpr_private_segment_size 0
		.amdhsa_wavefront_size32 1
		.amdhsa_uses_dynamic_stack 0
		.amdhsa_enable_private_segment 0
		.amdhsa_system_sgpr_workgroup_id_x 1
		.amdhsa_system_sgpr_workgroup_id_y 0
		.amdhsa_system_sgpr_workgroup_id_z 1
		.amdhsa_system_sgpr_workgroup_info 0
		.amdhsa_system_vgpr_workitem_id 1
		.amdhsa_next_free_vgpr 71
		.amdhsa_next_free_sgpr 57
		.amdhsa_named_barrier_count 0
		.amdhsa_reserve_vcc 1
		.amdhsa_float_round_mode_32 0
		.amdhsa_float_round_mode_16_64 0
		.amdhsa_float_denorm_mode_32 3
		.amdhsa_float_denorm_mode_16_64 3
		.amdhsa_fp16_overflow 0
		.amdhsa_memory_ordered 1
		.amdhsa_forward_progress 1
		.amdhsa_inst_pref_size 27
		.amdhsa_round_robin_scheduling 0
		.amdhsa_exception_fp_ieee_invalid_op 0
		.amdhsa_exception_fp_denorm_src 0
		.amdhsa_exception_fp_ieee_div_zero 0
		.amdhsa_exception_fp_ieee_overflow 0
		.amdhsa_exception_fp_ieee_underflow 0
		.amdhsa_exception_fp_ieee_inexact 0
		.amdhsa_exception_int_div_zero 0
	.end_amdhsa_kernel
	.section	.text._ZL20rocblas_gemvn_kernelILi64ELi4El16rocblas_bfloat16fS0_EviiT3_lPKT2_lT1_lS4_lS5_lS1_lPT4_lS5_li,"axG",@progbits,_ZL20rocblas_gemvn_kernelILi64ELi4El16rocblas_bfloat16fS0_EviiT3_lPKT2_lT1_lS4_lS5_lS1_lPT4_lS5_li,comdat
.Lfunc_end545:
	.size	_ZL20rocblas_gemvn_kernelILi64ELi4El16rocblas_bfloat16fS0_EviiT3_lPKT2_lT1_lS4_lS5_lS1_lPT4_lS5_li, .Lfunc_end545-_ZL20rocblas_gemvn_kernelILi64ELi4El16rocblas_bfloat16fS0_EviiT3_lPKT2_lT1_lS4_lS5_lS1_lPT4_lS5_li
                                        ; -- End function
	.set _ZL20rocblas_gemvn_kernelILi64ELi4El16rocblas_bfloat16fS0_EviiT3_lPKT2_lT1_lS4_lS5_lS1_lPT4_lS5_li.num_vgpr, 71
	.set _ZL20rocblas_gemvn_kernelILi64ELi4El16rocblas_bfloat16fS0_EviiT3_lPKT2_lT1_lS4_lS5_lS1_lPT4_lS5_li.num_agpr, 0
	.set _ZL20rocblas_gemvn_kernelILi64ELi4El16rocblas_bfloat16fS0_EviiT3_lPKT2_lT1_lS4_lS5_lS1_lPT4_lS5_li.numbered_sgpr, 57
	.set _ZL20rocblas_gemvn_kernelILi64ELi4El16rocblas_bfloat16fS0_EviiT3_lPKT2_lT1_lS4_lS5_lS1_lPT4_lS5_li.num_named_barrier, 0
	.set _ZL20rocblas_gemvn_kernelILi64ELi4El16rocblas_bfloat16fS0_EviiT3_lPKT2_lT1_lS4_lS5_lS1_lPT4_lS5_li.private_seg_size, 0
	.set _ZL20rocblas_gemvn_kernelILi64ELi4El16rocblas_bfloat16fS0_EviiT3_lPKT2_lT1_lS4_lS5_lS1_lPT4_lS5_li.uses_vcc, 1
	.set _ZL20rocblas_gemvn_kernelILi64ELi4El16rocblas_bfloat16fS0_EviiT3_lPKT2_lT1_lS4_lS5_lS1_lPT4_lS5_li.uses_flat_scratch, 0
	.set _ZL20rocblas_gemvn_kernelILi64ELi4El16rocblas_bfloat16fS0_EviiT3_lPKT2_lT1_lS4_lS5_lS1_lPT4_lS5_li.has_dyn_sized_stack, 0
	.set _ZL20rocblas_gemvn_kernelILi64ELi4El16rocblas_bfloat16fS0_EviiT3_lPKT2_lT1_lS4_lS5_lS1_lPT4_lS5_li.has_recursion, 0
	.set _ZL20rocblas_gemvn_kernelILi64ELi4El16rocblas_bfloat16fS0_EviiT3_lPKT2_lT1_lS4_lS5_lS1_lPT4_lS5_li.has_indirect_call, 0
	.section	.AMDGPU.csdata,"",@progbits
; Kernel info:
; codeLenInByte = 3444
; TotalNumSgprs: 59
; NumVgprs: 71
; ScratchSize: 0
; MemoryBound: 0
; FloatMode: 240
; IeeeMode: 1
; LDSByteSize: 4096 bytes/workgroup (compile time only)
; SGPRBlocks: 0
; VGPRBlocks: 4
; NumSGPRsForWavesPerEU: 59
; NumVGPRsForWavesPerEU: 71
; NamedBarCnt: 0
; Occupancy: 12
; WaveLimiterHint : 1
; COMPUTE_PGM_RSRC2:SCRATCH_EN: 0
; COMPUTE_PGM_RSRC2:USER_SGPR: 2
; COMPUTE_PGM_RSRC2:TRAP_HANDLER: 0
; COMPUTE_PGM_RSRC2:TGID_X_EN: 1
; COMPUTE_PGM_RSRC2:TGID_Y_EN: 0
; COMPUTE_PGM_RSRC2:TGID_Z_EN: 1
; COMPUTE_PGM_RSRC2:TIDIG_COMP_CNT: 1
	.section	.text._ZL20rocblas_gemvn_kernelILi32ELi16Ei16rocblas_bfloat16PKfS0_EviiT3_lPKT2_lT1_lS6_lS7_lS3_lPT4_lS7_li,"axG",@progbits,_ZL20rocblas_gemvn_kernelILi32ELi16Ei16rocblas_bfloat16PKfS0_EviiT3_lPKT2_lT1_lS6_lS7_lS3_lPT4_lS7_li,comdat
	.globl	_ZL20rocblas_gemvn_kernelILi32ELi16Ei16rocblas_bfloat16PKfS0_EviiT3_lPKT2_lT1_lS6_lS7_lS3_lPT4_lS7_li ; -- Begin function _ZL20rocblas_gemvn_kernelILi32ELi16Ei16rocblas_bfloat16PKfS0_EviiT3_lPKT2_lT1_lS6_lS7_lS3_lPT4_lS7_li
	.p2align	8
	.type	_ZL20rocblas_gemvn_kernelILi32ELi16Ei16rocblas_bfloat16PKfS0_EviiT3_lPKT2_lT1_lS6_lS7_lS3_lPT4_lS7_li,@function
_ZL20rocblas_gemvn_kernelILi32ELi16Ei16rocblas_bfloat16PKfS0_EviiT3_lPKT2_lT1_lS6_lS7_lS3_lPT4_lS7_li: ; @_ZL20rocblas_gemvn_kernelILi32ELi16Ei16rocblas_bfloat16PKfS0_EviiT3_lPKT2_lT1_lS6_lS7_lS3_lPT4_lS7_li
; %bb.0:
	s_load_b64 s[2:3], s[0:1], 0x9c
	s_wait_kmcnt 0x0
	s_lshr_b32 s4, s2, 16
	s_and_b32 s2, s2, 0xffff
	s_and_b32 s3, s3, 0xffff
	s_mul_i32 s2, s4, s2
	s_delay_alu instid0(SALU_CYCLE_1) | instskip(NEXT) | instid1(SALU_CYCLE_1)
	s_mul_i32 s2, s2, s3
	s_cmp_lg_u32 s2, 0x200
	s_cbranch_scc1 .LBB546_70
; %bb.1:
	s_load_b32 s31, s[0:1], 0x88
	s_bfe_u32 s2, ttmp6, 0x40014
	s_lshr_b32 s3, ttmp7, 16
	s_add_co_i32 s2, s2, 1
	s_bfe_u32 s5, ttmp6, 0x40008
	s_mul_i32 s4, s3, s2
	s_getreg_b32 s2, hwreg(HW_REG_IB_STS2, 6, 4)
	s_add_co_i32 s5, s5, s4
	s_cmp_eq_u32 s2, 0
	s_mov_b32 s35, 0
	s_cselect_b32 s34, s3, s5
	s_wait_kmcnt 0x0
	s_cmp_ge_u32 s34, s31
	s_cbranch_scc1 .LBB546_70
; %bb.2:
	s_clause 0x7
	s_load_b256 s[8:15], s[0:1], 0x8
	s_load_b96 s[28:30], s[0:1], 0x40
	s_load_b96 s[4:6], s[0:1], 0x70
	s_load_b64 s[36:37], s[0:1], 0x0
	s_load_b32 s33, s[0:1], 0x28
	s_load_b128 s[24:27], s[0:1], 0x30
	s_load_b256 s[16:23], s[0:1], 0x50
	s_load_b64 s[38:39], s[0:1], 0x80
	s_wait_xcnt 0x0
	s_bfe_u32 s0, ttmp6, 0x4000c
	v_and_b32_e32 v6, 0x3ff, v0
	s_add_co_i32 s0, s0, 1
	v_bfe_u32 v5, v0, 10, 10
	s_and_b32 s1, ttmp6, 15
	s_mul_i32 s0, ttmp9, s0
	s_delay_alu instid0(SALU_CYCLE_1) | instskip(NEXT) | instid1(VALU_DEP_1)
	s_add_co_i32 s7, s1, s0
	v_lshl_add_u32 v4, v5, 5, v6
	s_wait_kmcnt 0x0
	s_lshl_b64 s[0:1], s[14:15], 1
	s_lshl_b64 s[14:15], s[28:29], 1
	;; [unrolled: 1-line block ×3, first 2 shown]
	s_ashr_i32 s3, s6, 31
	s_cmp_eq_u32 s2, 0
	s_mov_b32 s2, s6
	s_cselect_b32 s7, ttmp9, s7
	s_mov_b32 s28, s36
	s_lshl_b32 s42, s7, 7
	s_delay_alu instid0(SALU_CYCLE_1)
	v_dual_mov_b32 v1, 0 :: v_dual_add_nc_u32 v0, s42, v4
	v_add_nc_u32_e32 v22, s42, v6
	s_ashr_i32 s29, s36, 31
	s_add_nc_u64 s[12:13], s[12:13], s[0:1]
	s_ashr_i32 s0, s37, 31
	v_mul_u64_e32 v[2:3], s[2:3], v[0:1]
	v_cmp_gt_i64_e32 vcc_lo, s[28:29], v[0:1]
	v_dual_lshlrev_b32 v0, 2, v5 :: v_dual_add_nc_u32 v7, 32, v22
	v_add_nc_u32_e32 v8, 64, v22
	s_lshr_b32 s0, s0, 26
	v_mul_lo_u32 v13, v5, s30
	s_add_co_i32 s43, s37, s0
	v_cmp_gt_i32_e64 s2, s36, v7
	v_add_nc_u32_e32 v7, 0x60, v22
	v_cmp_gt_i32_e64 s3, s36, v8
	v_dual_lshlrev_b32 v8, 2, v6 :: v_dual_bitop2_b32 v9, s42, v4 bitop3:0x54
	s_and_not1_b32 s43, s43, 63
	s_add_nc_u64 s[22:23], s[22:23], s[4:5]
	s_sub_co_i32 s4, s37, s43
	v_cmp_gt_u32_e64 s5, 0x80, v4
	s_cmp_gt_i32 s4, 0
	v_cmp_gt_i32_e64 s4, s36, v7
	v_mul_lo_u32 v4, s6, v9
	v_dual_lshlrev_b32 v32, 2, v13 :: v_dual_bitop2_b32 v7, 2, v0 bitop3:0x54
	v_or_b32_e32 v10, 3, v0
	v_mul_lo_u32 v11, s33, v0
	v_mul_lo_u32 v12, v5, s33
	s_delay_alu instid0(VALU_DEP_4)
	v_mad_u32 v24, s33, v7, v6
	v_mad_u32 v26, s30, v0, s30
	;; [unrolled: 1-line block ×3, first 2 shown]
	v_mul_lo_u32 v27, s30, v7
	v_mul_lo_u32 v28, s30, v10
	v_cmp_gt_i32_e64 s0, s43, v0
	v_cmp_gt_i32_e64 s1, s36, v22
	v_lshl_add_u32 v23, v5, 9, v8
	v_lshl_add_u32 v29, v5, 7, v8
	v_cmp_gt_i32_e64 s6, s36, v9
	v_ashrrev_i32_e32 v5, 31, v4
	v_add3_u32 v30, v11, s33, v6
	v_lshl_add_u32 v31, v12, 2, v6
	s_add_nc_u64 s[14:15], s[26:27], s[14:15]
	s_cselect_b32 s44, -1, 0
	s_and_b32 s36, s5, vcc_lo
	s_lshl_b32 s45, s33, 6
	s_lshl_b32 s46, s30, 6
	s_branch .LBB546_5
.LBB546_3:                              ;   in Loop: Header=BB546_5 Depth=1
	s_wait_xcnt 0x0
	s_or_b32 exec_lo, exec_lo, s7
.LBB546_4:                              ;   in Loop: Header=BB546_5 Depth=1
	s_add_co_i32 s34, s34, 0x10000
	s_delay_alu instid0(SALU_CYCLE_1)
	s_cmp_lt_u32 s34, s31
	s_cbranch_scc0 .LBB546_70
.LBB546_5:                              ; =>This Loop Header: Depth=1
                                        ;     Child Loop BB546_22 Depth 2
	s_wait_xcnt 0x1
	s_mul_u64 s[26:27], s[10:11], s[34:35]
	s_wait_xcnt 0x0
	s_mul_u64 s[28:29], s[20:21], s[34:35]
	s_lshl_b64 s[26:27], s[26:27], 2
	s_lshl_b64 s[28:29], s[28:29], 2
	s_add_nc_u64 s[26:27], s[8:9], s[26:27]
	s_add_nc_u64 s[28:29], s[18:19], s[28:29]
	s_clause 0x1
	global_load_b32 v33, v1, s[26:27]
	global_load_b32 v6, v1, s[28:29]
	s_wait_loadcnt 0x1
	v_cmp_eq_f32_e32 vcc_lo, 0, v33
	s_wait_loadcnt 0x0
	v_cmp_eq_f32_e64 s7, 1.0, v6
	v_readfirstlane_b32 s48, v6
	s_and_b32 s7, vcc_lo, s7
	s_delay_alu instid0(SALU_CYCLE_1)
	s_and_b32 vcc_lo, exec_lo, s7
	s_cbranch_vccnz .LBB546_4
; %bb.6:                                ;   in Loop: Header=BB546_5 Depth=1
	v_cmp_neq_f32_e32 vcc_lo, 0, v33
	s_wait_xcnt 0x1
	s_mul_u64 s[26:27], s[38:39], s[34:35]
	s_delay_alu instid0(SALU_CYCLE_1) | instskip(NEXT) | instid1(SALU_CYCLE_1)
	s_lshl_b64 s[26:27], s[26:27], 1
	s_add_nc_u64 s[26:27], s[22:23], s[26:27]
	s_cbranch_vccnz .LBB546_14
; %bb.7:                                ;   in Loop: Header=BB546_5 Depth=1
	s_mov_b32 s7, 0
	s_mov_b32 s47, 0
                                        ; implicit-def: $vgpr8
	s_wait_xcnt 0x0
	s_and_saveexec_b32 s28, s36
	s_cbranch_execz .LBB546_15
; %bb.8:                                ;   in Loop: Header=BB546_5 Depth=1
	s_cmp_eq_f32 s48, 0
	s_cbranch_scc1 .LBB546_54
; %bb.9:                                ;   in Loop: Header=BB546_5 Depth=1
	v_lshl_add_u64 v[6:7], v[2:3], 1, s[26:27]
	global_load_u16 v6, v[6:7], off
	s_wait_loadcnt 0x0
	s_wait_xcnt 0x0
	v_lshlrev_b32_e32 v6, 16, v6
	s_delay_alu instid0(VALU_DEP_1) | instskip(NEXT) | instid1(VALU_DEP_1)
	v_mul_f32_e32 v6, s48, v6
	v_and_b32_e32 v7, 0x7f800000, v6
	s_delay_alu instid0(VALU_DEP_1) | instskip(SKIP_1) | instid1(SALU_CYCLE_1)
	v_cmp_ne_u32_e32 vcc_lo, 0x7f800000, v7
                                        ; implicit-def: $vgpr7
	s_and_saveexec_b32 s29, vcc_lo
	s_xor_b32 s29, exec_lo, s29
; %bb.10:                               ;   in Loop: Header=BB546_5 Depth=1
	v_bfe_u32 v7, v6, 16, 1
	s_delay_alu instid0(VALU_DEP_1)
	v_add3_u32 v7, v6, v7, 0x7fff
                                        ; implicit-def: $vgpr6
; %bb.11:                               ;   in Loop: Header=BB546_5 Depth=1
	s_and_not1_saveexec_b32 s29, s29
; %bb.12:                               ;   in Loop: Header=BB546_5 Depth=1
	v_and_b32_e32 v7, 0xffff, v6
	v_or_b32_e32 v8, 0x10000, v6
	s_delay_alu instid0(VALU_DEP_2) | instskip(NEXT) | instid1(VALU_DEP_2)
	v_cmp_eq_u32_e32 vcc_lo, 0, v7
	v_cndmask_b32_e32 v7, v8, v6, vcc_lo
; %bb.13:                               ;   in Loop: Header=BB546_5 Depth=1
	s_or_b32 exec_lo, exec_lo, s29
	s_delay_alu instid0(VALU_DEP_1) | instskip(SKIP_2) | instid1(SALU_CYCLE_1)
	v_lshrrev_b32_e32 v8, 16, v7
	s_mov_b32 s47, exec_lo
	s_or_b32 exec_lo, exec_lo, s28
	s_and_b32 vcc_lo, exec_lo, s7
	s_cbranch_vccnz .LBB546_16
	s_branch .LBB546_55
.LBB546_14:                             ;   in Loop: Header=BB546_5 Depth=1
	s_mov_b32 s47, 0
                                        ; implicit-def: $vgpr8
	s_cbranch_execnz .LBB546_16
	s_branch .LBB546_55
.LBB546_15:                             ;   in Loop: Header=BB546_5 Depth=1
	s_or_b32 exec_lo, exec_lo, s28
	s_delay_alu instid0(SALU_CYCLE_1)
	s_and_b32 vcc_lo, exec_lo, s7
	s_cbranch_vccz .LBB546_55
.LBB546_16:                             ;   in Loop: Header=BB546_5 Depth=1
	s_wait_xcnt 0x0
	s_mul_u64 s[28:29], s[24:25], s[34:35]
	s_mul_u64 s[40:41], s[16:17], s[34:35]
	v_dual_mov_b32 v34, 0 :: v_dual_mov_b32 v38, v0
	v_dual_mov_b32 v35, 0 :: v_dual_mov_b32 v36, 0
	v_mov_b32_e32 v37, 0
	s_lshl_b64 s[28:29], s[28:29], 1
	s_lshl_b64 s[40:41], s[40:41], 1
	s_add_nc_u64 s[28:29], s[12:13], s[28:29]
	s_add_nc_u64 s[40:41], s[14:15], s[40:41]
	s_and_saveexec_b32 s7, s0
	s_cbranch_execz .LBB546_28
; %bb.17:                               ;   in Loop: Header=BB546_5 Depth=1
	v_dual_mov_b32 v34, 0 :: v_dual_mov_b32 v39, v31
	v_dual_mov_b32 v40, v25 :: v_dual_mov_b32 v41, v24
	;; [unrolled: 1-line block ×4, first 2 shown]
	v_mov_b32_e32 v37, 0
	s_mov_b32 s49, 0
	s_mov_b32 s50, 0
	s_branch .LBB546_22
.LBB546_18:                             ;   in Loop: Header=BB546_22 Depth=2
	s_or_b32 exec_lo, exec_lo, s54
	s_wait_loadcnt 0x2
	v_dual_lshlrev_b32 v11, 16, v50 :: v_dual_lshlrev_b32 v10, 16, v49
	s_delay_alu instid0(VALU_DEP_1) | instskip(SKIP_1) | instid1(VALU_DEP_1)
	v_pk_mul_f32 v[10:11], v[8:9], v[10:11]
	s_wait_loadcnt 0x0
	v_dual_add_f32 v10, v36, v10 :: v_dual_lshlrev_b32 v13, 16, v48
	s_delay_alu instid0(VALU_DEP_1) | instskip(SKIP_1) | instid1(VALU_DEP_1)
	v_add_f32_e32 v18, v10, v11
	v_lshlrev_b32_e32 v12, 16, v47
	v_pk_mul_f32 v[10:11], v[6:7], v[12:13]
	s_delay_alu instid0(VALU_DEP_1) | instskip(NEXT) | instid1(VALU_DEP_1)
	v_add_f32_e32 v10, v18, v10
	v_add_f32_e32 v36, v10, v11
.LBB546_19:                             ;   in Loop: Header=BB546_22 Depth=2
	s_or_b32 exec_lo, exec_lo, s53
	s_wait_loadcnt 0x2
	v_dual_lshlrev_b32 v11, 16, v17 :: v_dual_lshlrev_b32 v10, 16, v16
	s_delay_alu instid0(VALU_DEP_1) | instskip(SKIP_1) | instid1(VALU_DEP_1)
	v_pk_mul_f32 v[10:11], v[8:9], v[10:11]
	s_wait_loadcnt 0x0
	v_dual_add_f32 v10, v35, v10 :: v_dual_lshlrev_b32 v13, 16, v15
	s_delay_alu instid0(VALU_DEP_1) | instskip(NEXT) | instid1(VALU_DEP_1)
	v_dual_lshlrev_b32 v12, 16, v14 :: v_dual_add_f32 v14, v10, v11
	v_pk_mul_f32 v[10:11], v[6:7], v[12:13]
	s_delay_alu instid0(VALU_DEP_1) | instskip(NEXT) | instid1(VALU_DEP_1)
	v_add_f32_e32 v10, v14, v10
	v_add_f32_e32 v35, v10, v11
.LBB546_20:                             ;   in Loop: Header=BB546_22 Depth=2
	s_or_b32 exec_lo, exec_lo, s52
	s_wait_loadcnt 0x2
	v_dual_lshlrev_b32 v11, 16, v46 :: v_dual_lshlrev_b32 v10, 16, v45
	s_delay_alu instid0(VALU_DEP_1) | instskip(SKIP_2) | instid1(VALU_DEP_2)
	v_pk_mul_f32 v[8:9], v[8:9], v[10:11]
	s_wait_loadcnt 0x0
	v_dual_lshlrev_b32 v11, 16, v44 :: v_dual_lshlrev_b32 v10, 16, v43
	v_add_f32_e32 v8, v34, v8
	s_delay_alu instid0(VALU_DEP_2) | instskip(NEXT) | instid1(VALU_DEP_2)
	v_pk_mul_f32 v[6:7], v[6:7], v[10:11]
	v_add_f32_e32 v8, v8, v9
	s_delay_alu instid0(VALU_DEP_1) | instskip(NEXT) | instid1(VALU_DEP_1)
	v_add_f32_e32 v6, v8, v6
	v_add_f32_e32 v34, v6, v7
.LBB546_21:                             ;   in Loop: Header=BB546_22 Depth=2
	s_or_b32 exec_lo, exec_lo, s51
	v_dual_add_nc_u32 v38, 64, v38 :: v_dual_add_nc_u32 v41, s45, v41
	v_dual_add_nc_u32 v42, s45, v42 :: v_dual_add_nc_u32 v40, s45, v40
	v_add_nc_u32_e32 v39, s45, v39
	s_delay_alu instid0(VALU_DEP_3) | instskip(SKIP_2) | instid1(SALU_CYCLE_1)
	v_cmp_le_i32_e32 vcc_lo, s43, v38
	s_add_co_i32 s50, s50, s46
	s_or_b32 s49, vcc_lo, s49
	s_and_not1_b32 exec_lo, exec_lo, s49
	s_cbranch_execz .LBB546_27
.LBB546_22:                             ;   Parent Loop BB546_5 Depth=1
                                        ; =>  This Inner Loop Header: Depth=2
	s_and_saveexec_b32 s51, s1
	s_cbranch_execz .LBB546_21
; %bb.23:                               ;   in Loop: Header=BB546_22 Depth=2
	v_dual_add_nc_u32 v6, s50, v32 :: v_dual_add_nc_u32 v7, s50, v26
	v_dual_add_nc_u32 v8, s50, v27 :: v_dual_add_nc_u32 v9, s50, v28
	;; [unrolled: 1-line block ×3, first 2 shown]
	s_clause 0x3
	global_load_u16 v11, v6, s[40:41] scale_offset
	global_load_u16 v13, v7, s[40:41] scale_offset
	global_load_u16 v15, v8, s[40:41] scale_offset
	global_load_u16 v17, v9, s[40:41] scale_offset
	v_dual_add_nc_u32 v16, s42, v41 :: v_dual_add_nc_u32 v14, s42, v40
	s_clause 0x3
	global_load_u16 v45, v10, s[28:29] scale_offset
	global_load_u16 v46, v12, s[28:29] scale_offset
	global_load_u16 v43, v16, s[28:29] scale_offset
	global_load_u16 v44, v14, s[28:29] scale_offset
	s_wait_loadcnt 0x6
	s_wait_xcnt 0x4
	v_dual_lshlrev_b32 v8, 16, v11 :: v_dual_lshlrev_b32 v9, 16, v13
	s_wait_loadcnt 0x4
	v_dual_lshlrev_b32 v6, 16, v15 :: v_dual_lshlrev_b32 v7, 16, v17
	s_wait_xcnt 0x0
	s_and_saveexec_b32 s52, s2
	s_cbranch_execz .LBB546_20
; %bb.24:                               ;   in Loop: Header=BB546_22 Depth=2
	v_dual_ashrrev_i32 v11, 31, v10 :: v_dual_ashrrev_i32 v13, 31, v12
	v_dual_ashrrev_i32 v17, 31, v16 :: v_dual_ashrrev_i32 v15, 31, v14
	s_delay_alu instid0(VALU_DEP_2) | instskip(NEXT) | instid1(VALU_DEP_3)
	v_lshl_add_u64 v[18:19], v[10:11], 1, s[28:29]
	v_lshl_add_u64 v[20:21], v[12:13], 1, s[28:29]
	s_delay_alu instid0(VALU_DEP_3) | instskip(NEXT) | instid1(VALU_DEP_4)
	v_lshl_add_u64 v[10:11], v[16:17], 1, s[28:29]
	v_lshl_add_u64 v[12:13], v[14:15], 1, s[28:29]
	s_clause 0x3
	global_load_u16 v16, v[18:19], off offset:64
	global_load_u16 v17, v[20:21], off offset:64
	;; [unrolled: 1-line block ×4, first 2 shown]
	s_wait_xcnt 0x0
	s_and_saveexec_b32 s53, s3
	s_cbranch_execz .LBB546_19
; %bb.25:                               ;   in Loop: Header=BB546_22 Depth=2
	s_clause 0x3
	global_load_u16 v49, v[18:19], off offset:128
	global_load_u16 v50, v[20:21], off offset:128
	;; [unrolled: 1-line block ×4, first 2 shown]
	s_wait_xcnt 0x0
	s_and_saveexec_b32 s54, s4
	s_cbranch_execz .LBB546_18
; %bb.26:                               ;   in Loop: Header=BB546_22 Depth=2
	s_clause 0x3
	global_load_u16 v20, v[20:21], off offset:192
	global_load_u16 v18, v[18:19], off offset:192
	global_load_u16 v12, v[12:13], off offset:192
	global_load_u16 v19, v[10:11], off offset:192
	s_wait_loadcnt 0x2
	s_wait_xcnt 0x0
	v_dual_lshlrev_b32 v11, 16, v20 :: v_dual_lshlrev_b32 v10, 16, v18
	s_delay_alu instid0(VALU_DEP_1) | instskip(SKIP_1) | instid1(VALU_DEP_1)
	v_pk_mul_f32 v[10:11], v[8:9], v[10:11]
	s_wait_loadcnt 0x1
	v_dual_add_f32 v10, v37, v10 :: v_dual_lshlrev_b32 v13, 16, v12
	s_delay_alu instid0(VALU_DEP_1) | instskip(SKIP_2) | instid1(VALU_DEP_1)
	v_add_f32_e32 v18, v10, v11
	s_wait_loadcnt 0x0
	v_lshlrev_b32_e32 v12, 16, v19
	v_pk_mul_f32 v[10:11], v[6:7], v[12:13]
	s_delay_alu instid0(VALU_DEP_1) | instskip(NEXT) | instid1(VALU_DEP_1)
	v_add_f32_e32 v10, v18, v10
	v_add_f32_e32 v37, v10, v11
	s_branch .LBB546_18
.LBB546_27:                             ;   in Loop: Header=BB546_5 Depth=1
	s_or_b32 exec_lo, exec_lo, s49
.LBB546_28:                             ;   in Loop: Header=BB546_5 Depth=1
	s_delay_alu instid0(SALU_CYCLE_1) | instskip(NEXT) | instid1(SALU_CYCLE_1)
	s_or_b32 exec_lo, exec_lo, s7
	s_and_not1_b32 vcc_lo, exec_lo, s44
	s_cbranch_vccnz .LBB546_46
; %bb.29:                               ;   in Loop: Header=BB546_5 Depth=1
	v_dual_mov_b32 v6, 0 :: v_dual_bitop2_b32 v10, 1, v38 bitop3:0x54
	v_cmp_gt_i32_e32 vcc_lo, s37, v38
	s_delay_alu instid0(VALU_DEP_2)
	v_dual_mov_b32 v7, v6 :: v_dual_mov_b32 v8, v6
	v_mov_b32_e32 v9, v6
	s_and_saveexec_b32 s49, vcc_lo
	s_cbranch_execz .LBB546_37
; %bb.30:                               ;   in Loop: Header=BB546_5 Depth=1
	v_mul_lo_u32 v6, v38, s30
	v_dual_mov_b32 v9, 0 :: v_dual_mov_b32 v7, 0
	s_mov_b32 s50, exec_lo
	global_load_u16 v8, v6, s[40:41] scale_offset
	s_wait_xcnt 0x0
	v_mov_b32_e32 v6, 0
	v_cmpx_gt_i32_e64 s37, v10
	s_cbranch_execz .LBB546_36
; %bb.31:                               ;   in Loop: Header=BB546_5 Depth=1
	v_mul_lo_u32 v6, v10, s30
	v_dual_mov_b32 v7, 0 :: v_dual_bitop2_b32 v11, 2, v38 bitop3:0x54
	s_mov_b32 s51, exec_lo
	global_load_u16 v9, v6, s[40:41] scale_offset
	s_wait_xcnt 0x0
	v_mov_b32_e32 v6, 0
	v_cmpx_gt_i32_e64 s37, v11
	s_cbranch_execz .LBB546_35
; %bb.32:                               ;   in Loop: Header=BB546_5 Depth=1
	v_mul_lo_u32 v6, v11, s30
	v_dual_mov_b32 v7, 0 :: v_dual_bitop2_b32 v11, 3, v38 bitop3:0x54
	s_mov_b32 s52, exec_lo
	global_load_u16 v6, v6, s[40:41] scale_offset
	s_wait_xcnt 0x0
	v_cmpx_gt_i32_e64 s37, v11
	s_cbranch_execz .LBB546_34
; %bb.33:                               ;   in Loop: Header=BB546_5 Depth=1
	v_mul_lo_u32 v7, v11, s30
	global_load_u16 v7, v7, s[40:41] scale_offset
	s_wait_loadcnt 0x0
	s_wait_xcnt 0x0
	v_lshlrev_b32_e32 v7, 16, v7
.LBB546_34:                             ;   in Loop: Header=BB546_5 Depth=1
	s_or_b32 exec_lo, exec_lo, s52
	s_wait_loadcnt 0x0
	v_lshlrev_b32_e32 v6, 16, v6
.LBB546_35:                             ;   in Loop: Header=BB546_5 Depth=1
	s_or_b32 exec_lo, exec_lo, s51
	s_wait_loadcnt 0x0
	v_lshlrev_b32_e32 v9, 16, v9
.LBB546_36:                             ;   in Loop: Header=BB546_5 Depth=1
	s_or_b32 exec_lo, exec_lo, s50
	s_wait_loadcnt 0x0
	v_lshlrev_b32_e32 v8, 16, v8
.LBB546_37:                             ;   in Loop: Header=BB546_5 Depth=1
	s_or_b32 exec_lo, exec_lo, s49
	s_and_saveexec_b32 s40, s1
	s_cbranch_execz .LBB546_45
; %bb.38:                               ;   in Loop: Header=BB546_5 Depth=1
	v_mul_lo_u32 v13, v10, s33
	v_cmp_gt_i32_e64 s7, s37, v10
	v_or_b32_e32 v11, 2, v38
	v_or_b32_e32 v12, 3, v38
	v_mul_lo_u32 v16, v38, s33
	s_delay_alu instid0(VALU_DEP_2) | instskip(SKIP_3) | instid1(VALU_DEP_1)
	v_mul_lo_u32 v15, v12, s33
	v_cndmask_b32_e64 v10, 0, v13, s7
	v_mul_lo_u32 v14, v11, s33
	v_cmp_gt_i32_e64 s7, s37, v11
	v_dual_cndmask_b32 v11, 0, v14, s7 :: v_dual_cndmask_b32 v14, 0, v16, vcc_lo
	v_cmp_gt_i32_e64 s7, s37, v12
	s_delay_alu instid0(VALU_DEP_2) | instskip(NEXT) | instid1(VALU_DEP_2)
	v_dual_add_nc_u32 v10, v10, v22 :: v_dual_add_nc_u32 v12, v11, v22
	v_dual_add_nc_u32 v14, v14, v22 :: v_dual_cndmask_b32 v13, 0, v15, s7
	s_delay_alu instid0(VALU_DEP_1)
	v_add_nc_u32_e32 v16, v13, v22
	s_clause 0x3
	global_load_u16 v20, v10, s[28:29] scale_offset
	global_load_u16 v18, v12, s[28:29] scale_offset
	;; [unrolled: 1-line block ×4, first 2 shown]
	s_wait_xcnt 0x0
	s_and_saveexec_b32 s7, s2
	s_cbranch_execz .LBB546_44
; %bb.39:                               ;   in Loop: Header=BB546_5 Depth=1
	v_dual_ashrrev_i32 v15, 31, v14 :: v_dual_ashrrev_i32 v13, 31, v12
	v_dual_ashrrev_i32 v11, 31, v10 :: v_dual_ashrrev_i32 v17, 31, v16
	s_delay_alu instid0(VALU_DEP_2) | instskip(NEXT) | instid1(VALU_DEP_3)
	v_lshl_add_u64 v[14:15], v[14:15], 1, s[28:29]
	v_lshl_add_u64 v[12:13], v[12:13], 1, s[28:29]
	s_delay_alu instid0(VALU_DEP_3) | instskip(NEXT) | instid1(VALU_DEP_4)
	v_lshl_add_u64 v[10:11], v[10:11], 1, s[28:29]
	v_lshl_add_u64 v[16:17], v[16:17], 1, s[28:29]
	s_clause 0x3
	global_load_u16 v40, v[14:15], off offset:64
	global_load_u16 v41, v[10:11], off offset:64
	global_load_u16 v38, v[12:13], off offset:64
	global_load_u16 v39, v[16:17], off offset:64
	s_wait_xcnt 0x0
	s_and_saveexec_b32 s28, s3
	s_cbranch_execz .LBB546_43
; %bb.40:                               ;   in Loop: Header=BB546_5 Depth=1
	s_clause 0x3
	global_load_u16 v44, v[14:15], off offset:128
	global_load_u16 v45, v[10:11], off offset:128
	;; [unrolled: 1-line block ×4, first 2 shown]
	s_wait_xcnt 0x0
	s_and_saveexec_b32 s29, s4
	s_cbranch_execz .LBB546_42
; %bb.41:                               ;   in Loop: Header=BB546_5 Depth=1
	s_clause 0x3
	global_load_u16 v46, v[10:11], off offset:192
	global_load_u16 v47, v[14:15], off offset:192
	;; [unrolled: 1-line block ×4, first 2 shown]
	s_wait_loadcnt 0x2
	s_wait_xcnt 0x3
	v_dual_lshlrev_b32 v11, 16, v46 :: v_dual_lshlrev_b32 v10, 16, v47
	s_delay_alu instid0(VALU_DEP_1) | instskip(SKIP_2) | instid1(VALU_DEP_1)
	v_pk_mul_f32 v[10:11], v[8:9], v[10:11]
	s_wait_loadcnt 0x1
	s_wait_xcnt 0x0
	v_dual_add_f32 v10, v37, v10 :: v_dual_lshlrev_b32 v13, 16, v48
	s_wait_loadcnt 0x0
	s_delay_alu instid0(VALU_DEP_1) | instskip(NEXT) | instid1(VALU_DEP_1)
	v_dual_lshlrev_b32 v12, 16, v49 :: v_dual_add_f32 v14, v10, v11
	v_pk_mul_f32 v[10:11], v[6:7], v[12:13]
	s_delay_alu instid0(VALU_DEP_1) | instskip(NEXT) | instid1(VALU_DEP_1)
	v_add_f32_e32 v10, v14, v10
	v_add_f32_e32 v37, v10, v11
.LBB546_42:                             ;   in Loop: Header=BB546_5 Depth=1
	s_or_b32 exec_lo, exec_lo, s29
	s_wait_loadcnt 0x2
	v_dual_lshlrev_b32 v11, 16, v45 :: v_dual_lshlrev_b32 v10, 16, v44
	s_delay_alu instid0(VALU_DEP_1) | instskip(SKIP_1) | instid1(VALU_DEP_1)
	v_pk_mul_f32 v[10:11], v[8:9], v[10:11]
	s_wait_loadcnt 0x0
	v_dual_add_f32 v10, v36, v10 :: v_dual_lshlrev_b32 v13, 16, v43
	s_delay_alu instid0(VALU_DEP_1) | instskip(NEXT) | instid1(VALU_DEP_1)
	v_dual_lshlrev_b32 v12, 16, v42 :: v_dual_add_f32 v14, v10, v11
	v_pk_mul_f32 v[10:11], v[6:7], v[12:13]
	s_delay_alu instid0(VALU_DEP_1) | instskip(NEXT) | instid1(VALU_DEP_1)
	v_add_f32_e32 v10, v14, v10
	v_add_f32_e32 v36, v10, v11
.LBB546_43:                             ;   in Loop: Header=BB546_5 Depth=1
	s_or_b32 exec_lo, exec_lo, s28
	s_wait_loadcnt 0x2
	v_dual_lshlrev_b32 v11, 16, v41 :: v_dual_lshlrev_b32 v10, 16, v40
	s_delay_alu instid0(VALU_DEP_1) | instskip(SKIP_1) | instid1(VALU_DEP_1)
	v_pk_mul_f32 v[10:11], v[8:9], v[10:11]
	s_wait_loadcnt 0x0
	v_dual_add_f32 v10, v35, v10 :: v_dual_lshlrev_b32 v13, 16, v39
	s_delay_alu instid0(VALU_DEP_1) | instskip(NEXT) | instid1(VALU_DEP_1)
	v_dual_lshlrev_b32 v12, 16, v38 :: v_dual_add_f32 v14, v10, v11
	v_pk_mul_f32 v[10:11], v[6:7], v[12:13]
	s_delay_alu instid0(VALU_DEP_1) | instskip(NEXT) | instid1(VALU_DEP_1)
	v_add_f32_e32 v10, v14, v10
	v_add_f32_e32 v35, v10, v11
.LBB546_44:                             ;   in Loop: Header=BB546_5 Depth=1
	s_or_b32 exec_lo, exec_lo, s7
	s_wait_loadcnt 0x0
	v_dual_lshlrev_b32 v11, 16, v20 :: v_dual_lshlrev_b32 v10, 16, v21
	s_delay_alu instid0(VALU_DEP_1) | instskip(NEXT) | instid1(VALU_DEP_1)
	v_pk_mul_f32 v[8:9], v[8:9], v[10:11]
	v_dual_add_f32 v8, v34, v8 :: v_dual_lshlrev_b32 v11, 16, v19
	s_delay_alu instid0(VALU_DEP_1) | instskip(NEXT) | instid1(VALU_DEP_1)
	v_dual_lshlrev_b32 v10, 16, v18 :: v_dual_add_f32 v8, v8, v9
	v_pk_mul_f32 v[6:7], v[6:7], v[10:11]
	s_delay_alu instid0(VALU_DEP_1) | instskip(NEXT) | instid1(VALU_DEP_1)
	v_add_f32_e32 v6, v8, v6
	v_add_f32_e32 v34, v6, v7
.LBB546_45:                             ;   in Loop: Header=BB546_5 Depth=1
	s_or_b32 exec_lo, exec_lo, s40
.LBB546_46:                             ;   in Loop: Header=BB546_5 Depth=1
	ds_store_2addr_b32 v23, v34, v35 offset1:32
	ds_store_2addr_b32 v23, v36, v37 offset0:64 offset1:96
	s_wait_dscnt 0x0
	s_barrier_signal -1
	s_barrier_wait -1
                                        ; implicit-def: $vgpr8
	s_and_saveexec_b32 s7, s5
	s_cbranch_execz .LBB546_68
; %bb.47:                               ;   in Loop: Header=BB546_5 Depth=1
	ds_load_2addr_stride64_b32 v[6:7], v29 offset1:2
	ds_load_2addr_stride64_b32 v[8:9], v29 offset0:4 offset1:6
	ds_load_2addr_stride64_b32 v[10:11], v29 offset0:8 offset1:10
	s_mov_b32 s29, s47
	s_wait_dscnt 0x2
	v_add_f32_e32 v12, v6, v7
	ds_load_2addr_stride64_b32 v[6:7], v29 offset0:12 offset1:14
	s_wait_dscnt 0x2
	v_add_f32_e32 v8, v8, v12
	s_delay_alu instid0(VALU_DEP_1) | instskip(SKIP_3) | instid1(VALU_DEP_1)
	v_add_f32_e32 v12, v9, v8
	ds_load_2addr_stride64_b32 v[8:9], v29 offset0:16 offset1:18
	s_wait_dscnt 0x2
	v_add_f32_e32 v10, v10, v12
	v_add_f32_e32 v12, v11, v10
	ds_load_2addr_stride64_b32 v[10:11], v29 offset0:20 offset1:22
	s_wait_dscnt 0x2
	v_add_f32_e32 v6, v6, v12
	s_delay_alu instid0(VALU_DEP_1) | instskip(SKIP_1) | instid1(VALU_DEP_1)
	v_add_f32_e32 v6, v7, v6
	s_wait_dscnt 0x1
	v_add_f32_e32 v8, v8, v6
	ds_load_2addr_stride64_b32 v[6:7], v29 offset0:24 offset1:26
	v_add_f32_e32 v8, v9, v8
	s_wait_dscnt 0x1
	s_delay_alu instid0(VALU_DEP_1) | instskip(SKIP_3) | instid1(VALU_DEP_1)
	v_add_f32_e32 v10, v10, v8
	ds_load_2addr_stride64_b32 v[8:9], v29 offset0:28 offset1:30
	v_add_f32_e32 v10, v11, v10
	s_wait_dscnt 0x1
	v_add_f32_e32 v6, v6, v10
	s_delay_alu instid0(VALU_DEP_1) | instskip(SKIP_1) | instid1(VALU_DEP_1)
	v_add_f32_e32 v6, v7, v6
	s_wait_dscnt 0x0
	v_add_f32_e32 v6, v8, v6
                                        ; implicit-def: $vgpr8
	s_delay_alu instid0(VALU_DEP_1)
	v_add_f32_e32 v6, v9, v6
	ds_store_b32 v29, v6
	s_and_saveexec_b32 s28, s6
	s_cbranch_execz .LBB546_67
; %bb.48:                               ;   in Loop: Header=BB546_5 Depth=1
	v_mul_f32_e32 v6, v33, v6
	s_cmp_eq_f32 s48, 0
	s_cbranch_scc0 .LBB546_56
; %bb.49:                               ;   in Loop: Header=BB546_5 Depth=1
	s_delay_alu instid0(VALU_DEP_1) | instskip(NEXT) | instid1(VALU_DEP_1)
	v_and_b32_e32 v7, 0x7f800000, v6
	v_cmp_ne_u32_e32 vcc_lo, 0x7f800000, v7
                                        ; implicit-def: $vgpr7
	s_and_saveexec_b32 s29, vcc_lo
	s_delay_alu instid0(SALU_CYCLE_1)
	s_xor_b32 s29, exec_lo, s29
; %bb.50:                               ;   in Loop: Header=BB546_5 Depth=1
	v_bfe_u32 v7, v6, 16, 1
	s_delay_alu instid0(VALU_DEP_1)
	v_add3_u32 v7, v6, v7, 0x7fff
; %bb.51:                               ;   in Loop: Header=BB546_5 Depth=1
	s_and_not1_saveexec_b32 s29, s29
; %bb.52:                               ;   in Loop: Header=BB546_5 Depth=1
	v_and_b32_e32 v7, 0xffff, v6
	v_or_b32_e32 v8, 0x10000, v6
	s_delay_alu instid0(VALU_DEP_2) | instskip(NEXT) | instid1(VALU_DEP_2)
	v_cmp_eq_u32_e32 vcc_lo, 0, v7
	v_cndmask_b32_e32 v7, v8, v6, vcc_lo
; %bb.53:                               ;   in Loop: Header=BB546_5 Depth=1
	s_or_b32 exec_lo, exec_lo, s29
	s_cbranch_execz .LBB546_57
	s_branch .LBB546_66
.LBB546_54:                             ;   in Loop: Header=BB546_5 Depth=1
	v_mov_b32_e32 v8, 0
	s_mov_b32 s47, exec_lo
	s_or_b32 exec_lo, exec_lo, s28
	s_delay_alu instid0(SALU_CYCLE_1)
	s_and_b32 vcc_lo, exec_lo, s7
	s_cbranch_vccnz .LBB546_16
.LBB546_55:                             ;   in Loop: Header=BB546_5 Depth=1
	v_mov_b64_e32 v[6:7], v[2:3]
	s_wait_xcnt 0x0
	s_and_saveexec_b32 s7, s47
	s_cbranch_execz .LBB546_3
	s_branch .LBB546_69
.LBB546_56:                             ;   in Loop: Header=BB546_5 Depth=1
                                        ; implicit-def: $vgpr7
.LBB546_57:                             ;   in Loop: Header=BB546_5 Depth=1
	v_lshl_add_u64 v[8:9], v[4:5], 1, s[26:27]
	global_load_u16 v7, v[8:9], off
	s_wait_loadcnt 0x0
	v_lshlrev_b32_e32 v7, 16, v7
	s_delay_alu instid0(VALU_DEP_1) | instskip(SKIP_1) | instid1(VALU_DEP_1)
	v_mul_f32_e32 v7, s48, v7
	s_wait_xcnt 0x0
	v_and_b32_e32 v8, 0x7f800000, v7
	s_delay_alu instid0(VALU_DEP_1) | instskip(SKIP_1) | instid1(SALU_CYCLE_1)
	v_cmp_ne_u32_e32 vcc_lo, 0x7f800000, v8
                                        ; implicit-def: $vgpr8
	s_and_saveexec_b32 s29, vcc_lo
	s_xor_b32 s29, exec_lo, s29
; %bb.58:                               ;   in Loop: Header=BB546_5 Depth=1
	v_bfe_u32 v8, v7, 16, 1
	s_delay_alu instid0(VALU_DEP_1)
	v_add3_u32 v8, v7, v8, 0x7fff
                                        ; implicit-def: $vgpr7
; %bb.59:                               ;   in Loop: Header=BB546_5 Depth=1
	s_and_not1_saveexec_b32 s29, s29
; %bb.60:                               ;   in Loop: Header=BB546_5 Depth=1
	v_and_b32_e32 v8, 0xffff, v7
	v_or_b32_e32 v9, 0x10000, v7
	s_delay_alu instid0(VALU_DEP_2) | instskip(NEXT) | instid1(VALU_DEP_2)
	v_cmp_eq_u32_e32 vcc_lo, 0, v8
	v_cndmask_b32_e32 v8, v9, v7, vcc_lo
; %bb.61:                               ;   in Loop: Header=BB546_5 Depth=1
	s_or_b32 exec_lo, exec_lo, s29
	s_delay_alu instid0(VALU_DEP_1) | instskip(NEXT) | instid1(VALU_DEP_1)
	v_and_b32_e32 v7, 0xffff0000, v8
	v_add_f32_e32 v6, v6, v7
	s_delay_alu instid0(VALU_DEP_1) | instskip(NEXT) | instid1(VALU_DEP_1)
	v_and_b32_e32 v7, 0x7f800000, v6
	v_cmp_ne_u32_e32 vcc_lo, 0x7f800000, v7
                                        ; implicit-def: $vgpr7
	s_and_saveexec_b32 s29, vcc_lo
	s_delay_alu instid0(SALU_CYCLE_1)
	s_xor_b32 s29, exec_lo, s29
; %bb.62:                               ;   in Loop: Header=BB546_5 Depth=1
	v_bfe_u32 v7, v6, 16, 1
	s_delay_alu instid0(VALU_DEP_1)
	v_add3_u32 v7, v6, v7, 0x7fff
                                        ; implicit-def: $vgpr6
; %bb.63:                               ;   in Loop: Header=BB546_5 Depth=1
	s_and_not1_saveexec_b32 s29, s29
; %bb.64:                               ;   in Loop: Header=BB546_5 Depth=1
	v_and_b32_e32 v7, 0xffff, v6
	v_or_b32_e32 v8, 0x10000, v6
	s_delay_alu instid0(VALU_DEP_2) | instskip(NEXT) | instid1(VALU_DEP_2)
	v_cmp_eq_u32_e32 vcc_lo, 0, v7
	v_cndmask_b32_e32 v7, v8, v6, vcc_lo
; %bb.65:                               ;   in Loop: Header=BB546_5 Depth=1
	s_or_b32 exec_lo, exec_lo, s29
.LBB546_66:                             ;   in Loop: Header=BB546_5 Depth=1
	s_delay_alu instid0(VALU_DEP_1)
	v_lshrrev_b32_e32 v8, 16, v7
	s_or_b32 s29, s47, exec_lo
.LBB546_67:                             ;   in Loop: Header=BB546_5 Depth=1
	s_or_b32 exec_lo, exec_lo, s28
	s_delay_alu instid0(SALU_CYCLE_1) | instskip(SKIP_1) | instid1(SALU_CYCLE_1)
	s_and_not1_b32 s28, s47, exec_lo
	s_and_b32 s29, s29, exec_lo
	s_or_b32 s47, s28, s29
.LBB546_68:                             ;   in Loop: Header=BB546_5 Depth=1
	s_or_b32 exec_lo, exec_lo, s7
	v_mov_b64_e32 v[6:7], v[4:5]
	s_and_saveexec_b32 s7, s47
	s_cbranch_execz .LBB546_3
.LBB546_69:                             ;   in Loop: Header=BB546_5 Depth=1
	s_delay_alu instid0(VALU_DEP_1)
	v_lshl_add_u64 v[6:7], v[6:7], 1, s[26:27]
	global_store_b16 v[6:7], v8, off
	s_branch .LBB546_3
.LBB546_70:
	s_endpgm
	.section	.rodata,"a",@progbits
	.p2align	6, 0x0
	.amdhsa_kernel _ZL20rocblas_gemvn_kernelILi32ELi16Ei16rocblas_bfloat16PKfS0_EviiT3_lPKT2_lT1_lS6_lS7_lS3_lPT4_lS7_li
		.amdhsa_group_segment_fixed_size 8192
		.amdhsa_private_segment_fixed_size 0
		.amdhsa_kernarg_size 400
		.amdhsa_user_sgpr_count 2
		.amdhsa_user_sgpr_dispatch_ptr 0
		.amdhsa_user_sgpr_queue_ptr 0
		.amdhsa_user_sgpr_kernarg_segment_ptr 1
		.amdhsa_user_sgpr_dispatch_id 0
		.amdhsa_user_sgpr_kernarg_preload_length 0
		.amdhsa_user_sgpr_kernarg_preload_offset 0
		.amdhsa_user_sgpr_private_segment_size 0
		.amdhsa_wavefront_size32 1
		.amdhsa_uses_dynamic_stack 0
		.amdhsa_enable_private_segment 0
		.amdhsa_system_sgpr_workgroup_id_x 1
		.amdhsa_system_sgpr_workgroup_id_y 0
		.amdhsa_system_sgpr_workgroup_id_z 1
		.amdhsa_system_sgpr_workgroup_info 0
		.amdhsa_system_vgpr_workitem_id 1
		.amdhsa_next_free_vgpr 51
		.amdhsa_next_free_sgpr 55
		.amdhsa_named_barrier_count 0
		.amdhsa_reserve_vcc 1
		.amdhsa_float_round_mode_32 0
		.amdhsa_float_round_mode_16_64 0
		.amdhsa_float_denorm_mode_32 3
		.amdhsa_float_denorm_mode_16_64 3
		.amdhsa_fp16_overflow 0
		.amdhsa_memory_ordered 1
		.amdhsa_forward_progress 1
		.amdhsa_inst_pref_size 29
		.amdhsa_round_robin_scheduling 0
		.amdhsa_exception_fp_ieee_invalid_op 0
		.amdhsa_exception_fp_denorm_src 0
		.amdhsa_exception_fp_ieee_div_zero 0
		.amdhsa_exception_fp_ieee_overflow 0
		.amdhsa_exception_fp_ieee_underflow 0
		.amdhsa_exception_fp_ieee_inexact 0
		.amdhsa_exception_int_div_zero 0
	.end_amdhsa_kernel
	.section	.text._ZL20rocblas_gemvn_kernelILi32ELi16Ei16rocblas_bfloat16PKfS0_EviiT3_lPKT2_lT1_lS6_lS7_lS3_lPT4_lS7_li,"axG",@progbits,_ZL20rocblas_gemvn_kernelILi32ELi16Ei16rocblas_bfloat16PKfS0_EviiT3_lPKT2_lT1_lS6_lS7_lS3_lPT4_lS7_li,comdat
.Lfunc_end546:
	.size	_ZL20rocblas_gemvn_kernelILi32ELi16Ei16rocblas_bfloat16PKfS0_EviiT3_lPKT2_lT1_lS6_lS7_lS3_lPT4_lS7_li, .Lfunc_end546-_ZL20rocblas_gemvn_kernelILi32ELi16Ei16rocblas_bfloat16PKfS0_EviiT3_lPKT2_lT1_lS6_lS7_lS3_lPT4_lS7_li
                                        ; -- End function
	.set _ZL20rocblas_gemvn_kernelILi32ELi16Ei16rocblas_bfloat16PKfS0_EviiT3_lPKT2_lT1_lS6_lS7_lS3_lPT4_lS7_li.num_vgpr, 51
	.set _ZL20rocblas_gemvn_kernelILi32ELi16Ei16rocblas_bfloat16PKfS0_EviiT3_lPKT2_lT1_lS6_lS7_lS3_lPT4_lS7_li.num_agpr, 0
	.set _ZL20rocblas_gemvn_kernelILi32ELi16Ei16rocblas_bfloat16PKfS0_EviiT3_lPKT2_lT1_lS6_lS7_lS3_lPT4_lS7_li.numbered_sgpr, 55
	.set _ZL20rocblas_gemvn_kernelILi32ELi16Ei16rocblas_bfloat16PKfS0_EviiT3_lPKT2_lT1_lS6_lS7_lS3_lPT4_lS7_li.num_named_barrier, 0
	.set _ZL20rocblas_gemvn_kernelILi32ELi16Ei16rocblas_bfloat16PKfS0_EviiT3_lPKT2_lT1_lS6_lS7_lS3_lPT4_lS7_li.private_seg_size, 0
	.set _ZL20rocblas_gemvn_kernelILi32ELi16Ei16rocblas_bfloat16PKfS0_EviiT3_lPKT2_lT1_lS6_lS7_lS3_lPT4_lS7_li.uses_vcc, 1
	.set _ZL20rocblas_gemvn_kernelILi32ELi16Ei16rocblas_bfloat16PKfS0_EviiT3_lPKT2_lT1_lS6_lS7_lS3_lPT4_lS7_li.uses_flat_scratch, 0
	.set _ZL20rocblas_gemvn_kernelILi32ELi16Ei16rocblas_bfloat16PKfS0_EviiT3_lPKT2_lT1_lS6_lS7_lS3_lPT4_lS7_li.has_dyn_sized_stack, 0
	.set _ZL20rocblas_gemvn_kernelILi32ELi16Ei16rocblas_bfloat16PKfS0_EviiT3_lPKT2_lT1_lS6_lS7_lS3_lPT4_lS7_li.has_recursion, 0
	.set _ZL20rocblas_gemvn_kernelILi32ELi16Ei16rocblas_bfloat16PKfS0_EviiT3_lPKT2_lT1_lS6_lS7_lS3_lPT4_lS7_li.has_indirect_call, 0
	.section	.AMDGPU.csdata,"",@progbits
; Kernel info:
; codeLenInByte = 3672
; TotalNumSgprs: 57
; NumVgprs: 51
; ScratchSize: 0
; MemoryBound: 0
; FloatMode: 240
; IeeeMode: 1
; LDSByteSize: 8192 bytes/workgroup (compile time only)
; SGPRBlocks: 0
; VGPRBlocks: 3
; NumSGPRsForWavesPerEU: 57
; NumVGPRsForWavesPerEU: 51
; NamedBarCnt: 0
; Occupancy: 16
; WaveLimiterHint : 1
; COMPUTE_PGM_RSRC2:SCRATCH_EN: 0
; COMPUTE_PGM_RSRC2:USER_SGPR: 2
; COMPUTE_PGM_RSRC2:TRAP_HANDLER: 0
; COMPUTE_PGM_RSRC2:TGID_X_EN: 1
; COMPUTE_PGM_RSRC2:TGID_Y_EN: 0
; COMPUTE_PGM_RSRC2:TGID_Z_EN: 1
; COMPUTE_PGM_RSRC2:TIDIG_COMP_CNT: 1
	.section	.text._ZL20rocblas_gemvn_kernelILi32ELi16El16rocblas_bfloat16PKfS0_EviiT3_lPKT2_lT1_lS6_lS7_lS3_lPT4_lS7_li,"axG",@progbits,_ZL20rocblas_gemvn_kernelILi32ELi16El16rocblas_bfloat16PKfS0_EviiT3_lPKT2_lT1_lS6_lS7_lS3_lPT4_lS7_li,comdat
	.globl	_ZL20rocblas_gemvn_kernelILi32ELi16El16rocblas_bfloat16PKfS0_EviiT3_lPKT2_lT1_lS6_lS7_lS3_lPT4_lS7_li ; -- Begin function _ZL20rocblas_gemvn_kernelILi32ELi16El16rocblas_bfloat16PKfS0_EviiT3_lPKT2_lT1_lS6_lS7_lS3_lPT4_lS7_li
	.p2align	8
	.type	_ZL20rocblas_gemvn_kernelILi32ELi16El16rocblas_bfloat16PKfS0_EviiT3_lPKT2_lT1_lS6_lS7_lS3_lPT4_lS7_li,@function
_ZL20rocblas_gemvn_kernelILi32ELi16El16rocblas_bfloat16PKfS0_EviiT3_lPKT2_lT1_lS6_lS7_lS3_lPT4_lS7_li: ; @_ZL20rocblas_gemvn_kernelILi32ELi16El16rocblas_bfloat16PKfS0_EviiT3_lPKT2_lT1_lS6_lS7_lS3_lPT4_lS7_li
; %bb.0:
	s_load_b64 s[2:3], s[0:1], 0x9c
	s_wait_kmcnt 0x0
	s_lshr_b32 s4, s2, 16
	s_and_b32 s2, s2, 0xffff
	s_and_b32 s3, s3, 0xffff
	s_mul_i32 s2, s4, s2
	s_delay_alu instid0(SALU_CYCLE_1) | instskip(NEXT) | instid1(SALU_CYCLE_1)
	s_mul_i32 s2, s2, s3
	s_cmp_lg_u32 s2, 0x200
	s_cbranch_scc1 .LBB547_70
; %bb.1:
	s_load_b32 s33, s[0:1], 0x88
	s_bfe_u32 s2, ttmp6, 0x40014
	s_lshr_b32 s3, ttmp7, 16
	s_add_co_i32 s2, s2, 1
	s_bfe_u32 s5, ttmp6, 0x40008
	s_mul_i32 s4, s3, s2
	s_getreg_b32 s2, hwreg(HW_REG_IB_STS2, 6, 4)
	s_add_co_i32 s5, s5, s4
	s_cmp_eq_u32 s2, 0
	s_mov_b32 s11, 0
	s_cselect_b32 s10, s3, s5
	s_wait_kmcnt 0x0
	s_cmp_ge_u32 s10, s33
	s_cbranch_scc1 .LBB547_70
; %bb.2:
	s_clause 0x2
	s_load_b512 s[12:27], s[0:1], 0x8
	s_load_b512 s[36:51], s[0:1], 0x48
	s_load_b64 s[28:29], s[0:1], 0x0
	s_wait_xcnt 0x0
	s_bfe_u32 s0, ttmp6, 0x4000c
	v_and_b32_e32 v24, 0x3ff, v0
	s_add_co_i32 s0, s0, 1
	v_bfe_u32 v4, v0, 10, 10
	s_and_b32 s1, ttmp6, 15
	s_mul_i32 s0, ttmp9, s0
	v_dual_mov_b32 v1, 0 :: v_dual_lshlrev_b32 v2, 2, v24
	s_add_co_i32 s1, s1, s0
	v_lshl_add_u32 v6, v4, 5, v24
	s_delay_alu instid0(VALU_DEP_2) | instskip(NEXT) | instid1(VALU_DEP_3)
	v_dual_mov_b32 v5, v1 :: v_dual_lshlrev_b32 v52, 2, v4
	v_lshl_add_u32 v53, v4, 9, v2
	v_lshl_add_u32 v54, v4, 7, v2
	s_wait_kmcnt 0x0
	s_lshl_b64 s[4:5], s[18:19], 1
	s_lshl_b64 s[18:19], s[26:27], 1
	;; [unrolled: 1-line block ×3, first 2 shown]
	s_cmp_eq_u32 s2, 0
	s_mov_b32 s2, s28
	s_cselect_b32 s0, ttmp9, s1
	s_ashr_i32 s3, s28, 31
	s_lshl_b32 s1, s0, 7
	v_cmp_gt_u32_e64 s0, 0x80, v6
	v_dual_add_nc_u32 v0, s1, v6 :: v_dual_bitop2_b32 v6, s1, v6 bitop3:0x54
	v_mul_u64_e32 v[10:11], s[36:37], v[4:5]
	v_mul_u64_e32 v[12:13], s[20:21], v[4:5]
	v_mad_nc_u64_u32 v[8:9], s36, v52, s[36:37]
	s_delay_alu instid0(VALU_DEP_4)
	v_cmp_gt_i64_e32 vcc_lo, s[2:3], v[0:1]
	v_mul_u64_e32 v[2:3], s[48:49], v[0:1]
	v_dual_ashrrev_i32 v7, 31, v6 :: v_dual_bitop2_b32 v0, 3, v52 bitop3:0x54
	v_mad_nc_u64_u32 v[22:23], s20, v52, s[20:21]
	s_ashr_i32 s2, s29, 31
	v_add_nc_u32_e32 v24, s1, v24
	s_delay_alu instid0(VALU_DEP_3)
	v_mul_u64_e32 v[14:15], s[20:21], v[0:1]
	v_mul_u64_e32 v[16:17], s[36:37], v[0:1]
	v_or_b32_e32 v0, 2, v52
	v_mul_u64_e32 v[4:5], s[48:49], v[6:7]
	v_mad_u32 v9, s37, v52, v9
	s_lshr_b32 s2, s2, 26
	v_ashrrev_i32_e32 v25, 31, v24
	v_mul_u64_e32 v[18:19], s[20:21], v[0:1]
	v_mul_u64_e32 v[20:21], s[36:37], v[0:1]
	v_mad_u32 v23, s21, v52, v23
	s_add_co_i32 s52, s29, s2
	v_add_nc_u32_e32 v7, 64, v24
	s_and_not1_b32 s52, s52, 63
	v_add_nc_u32_e32 v0, 32, v24
	v_add_nc_u32_e32 v26, 0x60, v24
	s_sub_co_i32 s3, s29, s52
	s_add_nc_u64 s[16:17], s[16:17], s[4:5]
	s_cmp_gt_i32 s3, 0
	v_cmp_gt_i32_e64 s3, s28, v6
	v_cmp_gt_i32_e64 s5, s28, v7
	v_lshlrev_b64_e32 v[6:7], 1, v[24:25]
	s_add_nc_u64 s[30:31], s[44:45], s[6:7]
	v_cmp_gt_i32_e64 s1, s52, v52
	v_cmp_gt_i32_e64 s2, s28, v24
	;; [unrolled: 1-line block ×4, first 2 shown]
	v_lshl_add_u64 v[8:9], v[8:9], 1, s[24:25]
	v_lshl_add_u64 v[10:11], v[10:11], 3, s[24:25]
	;; [unrolled: 1-line block ×4, first 2 shown]
	s_add_nc_u64 s[26:27], s[24:25], s[18:19]
	s_cselect_b32 s53, -1, 0
	v_lshl_add_u64 v[14:15], v[14:15], 1, s[16:17]
	v_lshl_add_u64 v[16:17], v[16:17], 1, s[24:25]
	s_lshl_b64 s[34:35], s[38:39], 1
	s_and_b32 s28, s0, vcc_lo
	s_lshl_b64 s[44:45], s[22:23], 1
	s_lshl_b64 s[46:47], s[20:21], 7
	v_lshl_add_u64 v[18:19], v[18:19], 1, s[16:17]
	v_lshl_add_u64 v[20:21], v[20:21], 1, s[24:25]
	s_lshl_b64 s[24:25], s[36:37], 7
	s_branch .LBB547_5
.LBB547_3:                              ;   in Loop: Header=BB547_5 Depth=1
	s_wait_xcnt 0x0
	s_or_b32 exec_lo, exec_lo, s7
.LBB547_4:                              ;   in Loop: Header=BB547_5 Depth=1
	s_add_co_i32 s10, s10, 0x10000
	s_delay_alu instid0(SALU_CYCLE_1)
	s_cmp_lt_u32 s10, s33
	s_cbranch_scc0 .LBB547_70
.LBB547_5:                              ; =>This Loop Header: Depth=1
                                        ;     Child Loop BB547_22 Depth 2
	s_wait_xcnt 0x1
	s_mul_u64 s[8:9], s[14:15], s[10:11]
	s_wait_xcnt 0x0
	s_mul_u64 s[48:49], s[42:43], s[10:11]
	s_lshl_b64 s[8:9], s[8:9], 2
	s_lshl_b64 s[48:49], s[48:49], 2
	s_add_nc_u64 s[8:9], s[12:13], s[8:9]
	s_add_nc_u64 s[48:49], s[40:41], s[48:49]
	s_clause 0x1
	global_load_b32 v55, v1, s[8:9]
	global_load_b32 v0, v1, s[48:49]
	s_wait_loadcnt 0x1
	v_cmp_eq_f32_e32 vcc_lo, 0, v55
	s_wait_loadcnt 0x0
	v_cmp_eq_f32_e64 s7, 1.0, v0
	v_readfirstlane_b32 s55, v0
	s_and_b32 s7, vcc_lo, s7
	s_delay_alu instid0(SALU_CYCLE_1)
	s_and_b32 vcc_lo, exec_lo, s7
	s_cbranch_vccnz .LBB547_4
; %bb.6:                                ;   in Loop: Header=BB547_5 Depth=1
	v_cmp_neq_f32_e32 vcc_lo, 0, v55
	s_wait_xcnt 0x1
	s_mul_u64 s[8:9], s[50:51], s[10:11]
	s_delay_alu instid0(SALU_CYCLE_1)
	s_lshl_b64 s[8:9], s[8:9], 1
	s_wait_xcnt 0x0
	s_add_nc_u64 s[48:49], s[30:31], s[8:9]
	s_cbranch_vccnz .LBB547_14
; %bb.7:                                ;   in Loop: Header=BB547_5 Depth=1
	s_mov_b32 s7, 0
	s_mov_b32 s54, 0
                                        ; implicit-def: $vgpr0
	s_and_saveexec_b32 s8, s28
	s_cbranch_execz .LBB547_15
; %bb.8:                                ;   in Loop: Header=BB547_5 Depth=1
	s_cmp_eq_f32 s55, 0
	s_cbranch_scc1 .LBB547_54
; %bb.9:                                ;   in Loop: Header=BB547_5 Depth=1
	v_lshl_add_u64 v[24:25], v[2:3], 1, s[48:49]
	global_load_u16 v0, v[24:25], off
	s_wait_loadcnt 0x0
	v_lshlrev_b32_e32 v0, 16, v0
	s_delay_alu instid0(VALU_DEP_1) | instskip(SKIP_1) | instid1(VALU_DEP_1)
	v_mul_f32_e32 v0, s55, v0
	s_wait_xcnt 0x0
	v_and_b32_e32 v24, 0x7f800000, v0
	s_delay_alu instid0(VALU_DEP_1) | instskip(SKIP_1) | instid1(SALU_CYCLE_1)
	v_cmp_ne_u32_e32 vcc_lo, 0x7f800000, v24
                                        ; implicit-def: $vgpr24
	s_and_saveexec_b32 s9, vcc_lo
	s_xor_b32 s9, exec_lo, s9
; %bb.10:                               ;   in Loop: Header=BB547_5 Depth=1
	v_bfe_u32 v24, v0, 16, 1
	s_delay_alu instid0(VALU_DEP_1)
	v_add3_u32 v24, v0, v24, 0x7fff
                                        ; implicit-def: $vgpr0
; %bb.11:                               ;   in Loop: Header=BB547_5 Depth=1
	s_and_not1_saveexec_b32 s9, s9
; %bb.12:                               ;   in Loop: Header=BB547_5 Depth=1
	v_and_b32_e32 v24, 0xffff, v0
	v_or_b32_e32 v25, 0x10000, v0
	s_delay_alu instid0(VALU_DEP_2) | instskip(NEXT) | instid1(VALU_DEP_2)
	v_cmp_eq_u32_e32 vcc_lo, 0, v24
	v_cndmask_b32_e32 v24, v25, v0, vcc_lo
; %bb.13:                               ;   in Loop: Header=BB547_5 Depth=1
	s_or_b32 exec_lo, exec_lo, s9
	s_delay_alu instid0(VALU_DEP_1) | instskip(SKIP_2) | instid1(SALU_CYCLE_1)
	v_lshrrev_b32_e32 v0, 16, v24
	s_mov_b32 s54, exec_lo
	s_or_b32 exec_lo, exec_lo, s8
	s_and_b32 vcc_lo, exec_lo, s7
	s_cbranch_vccnz .LBB547_16
	s_branch .LBB547_55
.LBB547_14:                             ;   in Loop: Header=BB547_5 Depth=1
	s_mov_b32 s54, 0
                                        ; implicit-def: $vgpr0
	s_cbranch_execnz .LBB547_16
	s_branch .LBB547_55
.LBB547_15:                             ;   in Loop: Header=BB547_5 Depth=1
	s_or_b32 exec_lo, exec_lo, s8
	s_delay_alu instid0(SALU_CYCLE_1)
	s_and_b32 vcc_lo, exec_lo, s7
	s_cbranch_vccz .LBB547_55
.LBB547_16:                             ;   in Loop: Header=BB547_5 Depth=1
	v_dual_mov_b32 v56, 0 :: v_dual_mov_b32 v0, v52
	v_dual_mov_b32 v57, 0 :: v_dual_mov_b32 v58, 0
	v_mov_b32_e32 v59, 0
	s_and_saveexec_b32 s7, s1
	s_cbranch_execz .LBB547_28
; %bb.17:                               ;   in Loop: Header=BB547_5 Depth=1
	s_mul_u64 s[8:9], s[34:35], s[10:11]
	s_mul_u64 s[56:57], s[44:45], s[10:11]
	v_add_nc_u64_e32 v[24:25], s[8:9], v[10:11]
	v_add_nc_u64_e32 v[26:27], s[56:57], v[14:15]
	;; [unrolled: 1-line block ×8, first 2 shown]
	v_dual_mov_b32 v56, 0 :: v_dual_mov_b32 v0, v52
	v_dual_mov_b32 v57, 0 :: v_dual_mov_b32 v58, 0
	v_mov_b32_e32 v59, 0
	s_mov_b32 s8, 0
	s_branch .LBB547_22
.LBB547_18:                             ;   in Loop: Header=BB547_22 Depth=2
	s_or_b32 exec_lo, exec_lo, s58
	s_wait_loadcnt 0x2
	v_dual_lshlrev_b32 v45, 16, v71 :: v_dual_lshlrev_b32 v44, 16, v70
	s_delay_alu instid0(VALU_DEP_1) | instskip(SKIP_1) | instid1(VALU_DEP_1)
	v_pk_mul_f32 v[44:45], v[42:43], v[44:45]
	s_wait_loadcnt 0x0
	v_dual_add_f32 v44, v58, v44 :: v_dual_lshlrev_b32 v47, 16, v69
	s_delay_alu instid0(VALU_DEP_1) | instskip(NEXT) | instid1(VALU_DEP_1)
	v_dual_lshlrev_b32 v46, 16, v68 :: v_dual_add_f32 v48, v44, v45
	v_pk_mul_f32 v[44:45], v[40:41], v[46:47]
	s_delay_alu instid0(VALU_DEP_1) | instskip(NEXT) | instid1(VALU_DEP_1)
	v_add_f32_e32 v44, v48, v44
	v_add_f32_e32 v58, v44, v45
.LBB547_19:                             ;   in Loop: Header=BB547_22 Depth=2
	s_or_b32 exec_lo, exec_lo, s57
	s_wait_loadcnt 0x2
	v_dual_lshlrev_b32 v45, 16, v67 :: v_dual_lshlrev_b32 v44, 16, v66
	s_delay_alu instid0(VALU_DEP_1) | instskip(SKIP_1) | instid1(VALU_DEP_1)
	v_pk_mul_f32 v[44:45], v[42:43], v[44:45]
	s_wait_loadcnt 0x0
	v_dual_add_f32 v44, v57, v44 :: v_dual_lshlrev_b32 v47, 16, v65
	s_delay_alu instid0(VALU_DEP_1) | instskip(NEXT) | instid1(VALU_DEP_1)
	v_dual_lshlrev_b32 v46, 16, v64 :: v_dual_add_f32 v48, v44, v45
	v_pk_mul_f32 v[44:45], v[40:41], v[46:47]
	s_delay_alu instid0(VALU_DEP_1) | instskip(NEXT) | instid1(VALU_DEP_1)
	v_add_f32_e32 v44, v48, v44
	v_add_f32_e32 v57, v44, v45
.LBB547_20:                             ;   in Loop: Header=BB547_22 Depth=2
	s_or_b32 exec_lo, exec_lo, s56
	s_wait_loadcnt 0x2
	v_dual_lshlrev_b32 v45, 16, v63 :: v_dual_lshlrev_b32 v44, 16, v62
	s_delay_alu instid0(VALU_DEP_1) | instskip(SKIP_1) | instid1(VALU_DEP_1)
	v_pk_mul_f32 v[42:43], v[42:43], v[44:45]
	s_wait_loadcnt 0x0
	v_dual_add_f32 v42, v56, v42 :: v_dual_lshlrev_b32 v45, 16, v61
	s_delay_alu instid0(VALU_DEP_1) | instskip(NEXT) | instid1(VALU_DEP_1)
	v_dual_lshlrev_b32 v44, 16, v60 :: v_dual_add_f32 v42, v42, v43
	v_pk_mul_f32 v[40:41], v[40:41], v[44:45]
	s_delay_alu instid0(VALU_DEP_1) | instskip(NEXT) | instid1(VALU_DEP_1)
	v_add_f32_e32 v40, v42, v40
	v_add_f32_e32 v56, v40, v41
.LBB547_21:                             ;   in Loop: Header=BB547_22 Depth=2
	s_or_b32 exec_lo, exec_lo, s9
	v_add_nc_u32_e32 v0, 64, v0
	v_add_nc_u64_e32 v[24:25], s[24:25], v[24:25]
	v_add_nc_u64_e32 v[26:27], s[46:47], v[26:27]
	;; [unrolled: 1-line block ×7, first 2 shown]
	v_cmp_le_i32_e32 vcc_lo, s52, v0
	v_add_nc_u64_e32 v[38:39], s[46:47], v[38:39]
	s_or_b32 s8, vcc_lo, s8
	s_delay_alu instid0(SALU_CYCLE_1)
	s_and_not1_b32 exec_lo, exec_lo, s8
	s_cbranch_execz .LBB547_27
.LBB547_22:                             ;   Parent Loop BB547_5 Depth=1
                                        ; =>  This Inner Loop Header: Depth=2
	s_and_saveexec_b32 s9, s2
	s_cbranch_execz .LBB547_21
; %bb.23:                               ;   in Loop: Header=BB547_22 Depth=2
	v_add_nc_u64_e32 v[40:41], s[18:19], v[24:25]
	v_add_nc_u64_e32 v[42:43], s[18:19], v[36:37]
	;; [unrolled: 1-line block ×7, first 2 shown]
	global_load_u16 v40, v[40:41], off
	global_load_u16 v41, v[42:43], off
	v_add_nc_u64_e32 v[46:47], v[26:27], v[6:7]
	global_load_u16 v64, v[62:63], off
	global_load_u16 v65, v[60:61], off
	global_load_u16 v62, v[48:49], off
	global_load_u16 v63, v[50:51], off
	global_load_u16 v60, v[44:45], off
	global_load_u16 v61, v[46:47], off
	s_wait_loadcnt 0x6
	v_dual_lshlrev_b32 v42, 16, v40 :: v_dual_lshlrev_b32 v43, 16, v41
	s_wait_loadcnt 0x4
	v_dual_lshlrev_b32 v41, 16, v64 :: v_dual_lshlrev_b32 v40, 16, v65
	s_wait_xcnt 0x0
	s_and_saveexec_b32 s56, s4
	s_cbranch_execz .LBB547_20
; %bb.24:                               ;   in Loop: Header=BB547_22 Depth=2
	global_load_u16 v66, v[48:49], off offset:64
	global_load_u16 v67, v[50:51], off offset:64
	global_load_u16 v64, v[44:45], off offset:64
	global_load_u16 v65, v[46:47], off offset:64
	s_wait_xcnt 0x0
	s_and_saveexec_b32 s57, s5
	s_cbranch_execz .LBB547_19
; %bb.25:                               ;   in Loop: Header=BB547_22 Depth=2
	global_load_u16 v70, v[48:49], off offset:128
	global_load_u16 v71, v[50:51], off offset:128
	global_load_u16 v68, v[44:45], off offset:128
	global_load_u16 v69, v[46:47], off offset:128
	;; [unrolled: 8-line block ×3, first 2 shown]
	s_wait_loadcnt 0x2
	s_wait_xcnt 0x0
	v_dual_lshlrev_b32 v45, 16, v50 :: v_dual_lshlrev_b32 v44, 16, v48
	s_delay_alu instid0(VALU_DEP_1) | instskip(SKIP_1) | instid1(VALU_DEP_1)
	v_pk_mul_f32 v[44:45], v[42:43], v[44:45]
	s_wait_loadcnt 0x1
	v_dual_add_f32 v44, v59, v44 :: v_dual_lshlrev_b32 v47, 16, v46
	s_delay_alu instid0(VALU_DEP_1) | instskip(SKIP_2) | instid1(VALU_DEP_1)
	v_add_f32_e32 v48, v44, v45
	s_wait_loadcnt 0x0
	v_lshlrev_b32_e32 v46, 16, v49
	v_pk_mul_f32 v[44:45], v[40:41], v[46:47]
	s_delay_alu instid0(VALU_DEP_1) | instskip(NEXT) | instid1(VALU_DEP_1)
	v_add_f32_e32 v44, v48, v44
	v_add_f32_e32 v59, v44, v45
	s_branch .LBB547_18
.LBB547_27:                             ;   in Loop: Header=BB547_5 Depth=1
	s_or_b32 exec_lo, exec_lo, s8
.LBB547_28:                             ;   in Loop: Header=BB547_5 Depth=1
	s_delay_alu instid0(SALU_CYCLE_1) | instskip(NEXT) | instid1(SALU_CYCLE_1)
	s_or_b32 exec_lo, exec_lo, s7
	s_and_not1_b32 vcc_lo, exec_lo, s53
	s_cbranch_vccnz .LBB547_46
; %bb.29:                               ;   in Loop: Header=BB547_5 Depth=1
	v_dual_mov_b32 v24, 0 :: v_dual_bitop2_b32 v28, 1, v0 bitop3:0x54
	v_cmp_gt_i32_e32 vcc_lo, s29, v0
	s_delay_alu instid0(VALU_DEP_2)
	v_dual_mov_b32 v25, v24 :: v_dual_mov_b32 v26, v24
	v_mov_b32_e32 v27, v24
	s_and_saveexec_b32 s56, vcc_lo
	s_cbranch_execz .LBB547_37
; %bb.30:                               ;   in Loop: Header=BB547_5 Depth=1
	v_mul_u64_e32 v[24:25], s[36:37], v[0:1]
	s_mul_u64 s[8:9], s[38:39], s[10:11]
	v_mov_b32_e32 v27, 0
	s_lshl_b64 s[8:9], s[8:9], 1
	s_mov_b32 s57, exec_lo
	s_add_nc_u64 s[8:9], s[26:27], s[8:9]
	s_delay_alu instid0(VALU_DEP_2) | instid1(SALU_CYCLE_1)
	v_lshl_add_u64 v[24:25], v[24:25], 1, s[8:9]
	global_load_u16 v30, v[24:25], off
	s_wait_xcnt 0x0
	v_dual_mov_b32 v25, 0 :: v_dual_mov_b32 v24, 0
	v_cmpx_gt_i32_e64 s29, v28
	s_cbranch_execz .LBB547_36
; %bb.31:                               ;   in Loop: Header=BB547_5 Depth=1
	v_dual_mov_b32 v29, v1 :: v_dual_bitop2_b32 v26, 2, v0 bitop3:0x54
	s_mov_b32 s58, exec_lo
	s_delay_alu instid0(VALU_DEP_1) | instskip(NEXT) | instid1(VALU_DEP_1)
	v_mul_u64_e32 v[24:25], s[36:37], v[28:29]
	v_lshl_add_u64 v[24:25], v[24:25], 1, s[8:9]
	global_load_u16 v29, v[24:25], off
	s_wait_xcnt 0x0
	v_dual_mov_b32 v25, 0 :: v_dual_mov_b32 v24, 0
	v_cmpx_gt_i32_e64 s29, v26
	s_cbranch_execz .LBB547_35
; %bb.32:                               ;   in Loop: Header=BB547_5 Depth=1
	v_mov_b32_e32 v27, v1
	s_mov_b32 s59, exec_lo
	s_delay_alu instid0(VALU_DEP_1) | instskip(NEXT) | instid1(VALU_DEP_1)
	v_mul_u64_e32 v[24:25], s[36:37], v[26:27]
	v_lshl_add_u64 v[24:25], v[24:25], 1, s[8:9]
	global_load_u16 v26, v[24:25], off
	s_wait_xcnt 0x0
	v_dual_mov_b32 v25, 0 :: v_dual_bitop2_b32 v24, 3, v0 bitop3:0x54
	s_delay_alu instid0(VALU_DEP_1)
	v_cmpx_gt_i32_e64 s29, v24
	s_cbranch_execz .LBB547_34
; %bb.33:                               ;   in Loop: Header=BB547_5 Depth=1
	v_mov_b32_e32 v25, v1
	s_delay_alu instid0(VALU_DEP_1) | instskip(NEXT) | instid1(VALU_DEP_1)
	v_mul_u64_e32 v[24:25], s[36:37], v[24:25]
	v_lshl_add_u64 v[24:25], v[24:25], 1, s[8:9]
	global_load_u16 v24, v[24:25], off
	s_wait_loadcnt 0x0
	s_wait_xcnt 0x0
	v_lshlrev_b32_e32 v25, 16, v24
.LBB547_34:                             ;   in Loop: Header=BB547_5 Depth=1
	s_or_b32 exec_lo, exec_lo, s59
	s_wait_loadcnt 0x0
	v_lshlrev_b32_e32 v24, 16, v26
.LBB547_35:                             ;   in Loop: Header=BB547_5 Depth=1
	s_or_b32 exec_lo, exec_lo, s58
	s_wait_loadcnt 0x0
	v_lshlrev_b32_e32 v27, 16, v29
.LBB547_36:                             ;   in Loop: Header=BB547_5 Depth=1
	s_or_b32 exec_lo, exec_lo, s57
	s_wait_loadcnt 0x0
	v_lshlrev_b32_e32 v26, 16, v30
.LBB547_37:                             ;   in Loop: Header=BB547_5 Depth=1
	s_or_b32 exec_lo, exec_lo, s56
	s_and_saveexec_b32 s56, s2
	s_cbranch_execz .LBB547_45
; %bb.38:                               ;   in Loop: Header=BB547_5 Depth=1
	v_dual_mov_b32 v29, v1 :: v_dual_bitop2_b32 v30, 2, v0 bitop3:0x54
	v_mov_b32_e32 v31, v1
	v_mul_u64_e32 v[32:33], s[20:21], v[0:1]
	v_or_b32_e32 v0, 3, v0
	s_delay_alu instid0(VALU_DEP_4)
	v_mul_u64_e32 v[34:35], s[20:21], v[28:29]
	s_mul_u64 s[8:9], s[22:23], s[10:11]
	v_mul_u64_e32 v[36:37], s[20:21], v[30:31]
	v_cmp_gt_i32_e64 s7, s29, v28
	v_mul_u64_e32 v[38:39], s[20:21], v[0:1]
	s_lshl_b64 s[58:59], s[8:9], 1
	v_cmp_gt_i32_e64 s8, s29, v30
	v_cmp_gt_i32_e64 s9, s29, v0
	v_dual_cndmask_b32 v29, 0, v33 :: v_dual_cndmask_b32 v28, 0, v32
	v_dual_cndmask_b32 v31, 0, v35, s7 :: v_dual_cndmask_b32 v30, 0, v34, s7
	s_delay_alu instid0(VALU_DEP_4) | instskip(NEXT) | instid1(VALU_DEP_4)
	v_dual_cndmask_b32 v33, 0, v37, s8 :: v_dual_cndmask_b32 v32, 0, v36, s8
	v_dual_cndmask_b32 v35, 0, v39, s9 :: v_dual_cndmask_b32 v34, 0, v38, s9
	s_add_nc_u64 s[8:9], s[16:17], s[58:59]
	s_delay_alu instid0(VALU_DEP_3) | instid1(SALU_CYCLE_1)
	v_lshl_add_u64 v[30:31], v[30:31], 1, s[8:9]
	s_delay_alu instid0(VALU_DEP_3) | instskip(NEXT) | instid1(VALU_DEP_3)
	v_lshl_add_u64 v[36:37], v[32:33], 1, s[8:9]
	v_lshl_add_u64 v[34:35], v[34:35], 1, s[8:9]
	;; [unrolled: 1-line block ×3, first 2 shown]
	s_delay_alu instid0(VALU_DEP_4) | instskip(NEXT) | instid1(VALU_DEP_4)
	v_add_nc_u64_e32 v[32:33], v[30:31], v[6:7]
	v_add_nc_u64_e32 v[28:29], v[36:37], v[6:7]
	s_delay_alu instid0(VALU_DEP_4) | instskip(NEXT) | instid1(VALU_DEP_4)
	v_add_nc_u64_e32 v[30:31], v[34:35], v[6:7]
	v_add_nc_u64_e32 v[34:35], v[38:39], v[6:7]
	s_clause 0x3
	global_load_u16 v37, v[32:33], off
	global_load_u16 v0, v[28:29], off
	;; [unrolled: 1-line block ×4, first 2 shown]
	s_wait_xcnt 0x0
	s_and_saveexec_b32 s7, s4
	s_cbranch_execz .LBB547_44
; %bb.39:                               ;   in Loop: Header=BB547_5 Depth=1
	s_clause 0x3
	global_load_u16 v41, v[34:35], off offset:64
	global_load_u16 v42, v[32:33], off offset:64
	global_load_u16 v39, v[28:29], off offset:64
	global_load_u16 v40, v[30:31], off offset:64
	s_wait_xcnt 0x0
	s_and_saveexec_b32 s8, s5
	s_cbranch_execz .LBB547_43
; %bb.40:                               ;   in Loop: Header=BB547_5 Depth=1
	s_clause 0x3
	global_load_u16 v45, v[34:35], off offset:128
	global_load_u16 v46, v[32:33], off offset:128
	global_load_u16 v43, v[28:29], off offset:128
	global_load_u16 v44, v[30:31], off offset:128
	;; [unrolled: 9-line block ×3, first 2 shown]
	s_wait_loadcnt 0x2
	s_wait_xcnt 0x0
	v_dual_lshlrev_b32 v29, 16, v32 :: v_dual_lshlrev_b32 v28, 16, v33
	s_delay_alu instid0(VALU_DEP_1) | instskip(SKIP_1) | instid1(VALU_DEP_1)
	v_pk_mul_f32 v[28:29], v[26:27], v[28:29]
	s_wait_loadcnt 0x1
	v_dual_add_f32 v28, v59, v28 :: v_dual_lshlrev_b32 v31, 16, v30
	s_wait_loadcnt 0x0
	s_delay_alu instid0(VALU_DEP_1) | instskip(NEXT) | instid1(VALU_DEP_1)
	v_dual_lshlrev_b32 v30, 16, v34 :: v_dual_add_f32 v32, v28, v29
	v_pk_mul_f32 v[28:29], v[24:25], v[30:31]
	s_delay_alu instid0(VALU_DEP_1) | instskip(NEXT) | instid1(VALU_DEP_1)
	v_add_f32_e32 v28, v32, v28
	v_add_f32_e32 v59, v28, v29
.LBB547_42:                             ;   in Loop: Header=BB547_5 Depth=1
	s_or_b32 exec_lo, exec_lo, s9
	s_wait_loadcnt 0x2
	v_dual_lshlrev_b32 v29, 16, v46 :: v_dual_lshlrev_b32 v28, 16, v45
	s_wait_loadcnt 0x0
	v_dual_lshlrev_b32 v31, 16, v44 :: v_dual_lshlrev_b32 v30, 16, v43
	s_delay_alu instid0(VALU_DEP_2) | instskip(NEXT) | instid1(VALU_DEP_1)
	v_pk_mul_f32 v[28:29], v[26:27], v[28:29]
	v_add_f32_e32 v28, v58, v28
	s_delay_alu instid0(VALU_DEP_1) | instskip(NEXT) | instid1(VALU_DEP_4)
	v_add_f32_e32 v32, v28, v29
	v_pk_mul_f32 v[28:29], v[24:25], v[30:31]
	s_delay_alu instid0(VALU_DEP_1) | instskip(NEXT) | instid1(VALU_DEP_1)
	v_add_f32_e32 v28, v32, v28
	v_add_f32_e32 v58, v28, v29
.LBB547_43:                             ;   in Loop: Header=BB547_5 Depth=1
	s_or_b32 exec_lo, exec_lo, s8
	s_wait_loadcnt 0x2
	v_dual_lshlrev_b32 v29, 16, v42 :: v_dual_lshlrev_b32 v28, 16, v41
	s_wait_loadcnt 0x0
	v_dual_lshlrev_b32 v31, 16, v40 :: v_dual_lshlrev_b32 v30, 16, v39
	s_delay_alu instid0(VALU_DEP_2) | instskip(NEXT) | instid1(VALU_DEP_1)
	v_pk_mul_f32 v[28:29], v[26:27], v[28:29]
	v_add_f32_e32 v28, v57, v28
	s_delay_alu instid0(VALU_DEP_1) | instskip(NEXT) | instid1(VALU_DEP_4)
	v_add_f32_e32 v32, v28, v29
	v_pk_mul_f32 v[28:29], v[24:25], v[30:31]
	s_delay_alu instid0(VALU_DEP_1) | instskip(NEXT) | instid1(VALU_DEP_1)
	v_add_f32_e32 v28, v32, v28
	v_add_f32_e32 v57, v28, v29
.LBB547_44:                             ;   in Loop: Header=BB547_5 Depth=1
	s_or_b32 exec_lo, exec_lo, s7
	s_wait_loadcnt 0x0
	v_dual_lshlrev_b32 v29, 16, v37 :: v_dual_lshlrev_b32 v28, 16, v38
	s_delay_alu instid0(VALU_DEP_1) | instskip(NEXT) | instid1(VALU_DEP_1)
	v_pk_mul_f32 v[26:27], v[26:27], v[28:29]
	v_dual_add_f32 v26, v56, v26 :: v_dual_lshlrev_b32 v29, 16, v36
	s_delay_alu instid0(VALU_DEP_1) | instskip(NEXT) | instid1(VALU_DEP_1)
	v_dual_lshlrev_b32 v28, 16, v0 :: v_dual_add_f32 v0, v26, v27
	v_pk_mul_f32 v[24:25], v[24:25], v[28:29]
	s_delay_alu instid0(VALU_DEP_1) | instskip(NEXT) | instid1(VALU_DEP_1)
	v_add_f32_e32 v0, v0, v24
	v_add_f32_e32 v56, v0, v25
.LBB547_45:                             ;   in Loop: Header=BB547_5 Depth=1
	s_or_b32 exec_lo, exec_lo, s56
.LBB547_46:                             ;   in Loop: Header=BB547_5 Depth=1
	ds_store_2addr_b32 v53, v56, v57 offset1:32
	ds_store_2addr_b32 v53, v58, v59 offset0:64 offset1:96
	s_wait_dscnt 0x0
	s_barrier_signal -1
	s_barrier_wait -1
                                        ; implicit-def: $vgpr0
	s_and_saveexec_b32 s7, s0
	s_cbranch_execz .LBB547_68
; %bb.47:                               ;   in Loop: Header=BB547_5 Depth=1
	ds_load_2addr_stride64_b32 v[24:25], v54 offset1:2
	ds_load_2addr_stride64_b32 v[26:27], v54 offset0:4 offset1:6
	ds_load_2addr_stride64_b32 v[28:29], v54 offset0:8 offset1:10
	s_mov_b32 s9, s54
	s_wait_dscnt 0x2
	v_add_f32_e32 v0, v24, v25
	ds_load_2addr_stride64_b32 v[24:25], v54 offset0:12 offset1:14
	s_wait_dscnt 0x2
	v_add_f32_e32 v0, v26, v0
	s_delay_alu instid0(VALU_DEP_1) | instskip(SKIP_3) | instid1(VALU_DEP_1)
	v_add_f32_e32 v0, v27, v0
	ds_load_2addr_stride64_b32 v[26:27], v54 offset0:16 offset1:18
	s_wait_dscnt 0x2
	v_add_f32_e32 v0, v28, v0
	v_add_f32_e32 v0, v29, v0
	ds_load_2addr_stride64_b32 v[28:29], v54 offset0:20 offset1:22
	s_wait_dscnt 0x2
	v_add_f32_e32 v0, v24, v0
	s_delay_alu instid0(VALU_DEP_1) | instskip(SKIP_3) | instid1(VALU_DEP_1)
	v_add_f32_e32 v0, v25, v0
	ds_load_2addr_stride64_b32 v[24:25], v54 offset0:24 offset1:26
	s_wait_dscnt 0x2
	v_add_f32_e32 v0, v26, v0
	v_add_f32_e32 v0, v27, v0
	ds_load_2addr_stride64_b32 v[26:27], v54 offset0:28 offset1:30
	s_wait_dscnt 0x2
	v_add_f32_e32 v0, v28, v0
	s_delay_alu instid0(VALU_DEP_1) | instskip(SKIP_1) | instid1(VALU_DEP_1)
	v_add_f32_e32 v0, v29, v0
	s_wait_dscnt 0x1
	v_add_f32_e32 v0, v24, v0
	s_delay_alu instid0(VALU_DEP_1) | instskip(SKIP_1) | instid1(VALU_DEP_1)
	v_add_f32_e32 v0, v25, v0
	s_wait_dscnt 0x0
	v_add_f32_e32 v0, v26, v0
	s_delay_alu instid0(VALU_DEP_1)
	v_add_f32_e32 v24, v27, v0
                                        ; implicit-def: $vgpr0
	ds_store_b32 v54, v24
	s_and_saveexec_b32 s8, s3
	s_cbranch_execz .LBB547_67
; %bb.48:                               ;   in Loop: Header=BB547_5 Depth=1
	v_mul_f32_e32 v0, v55, v24
	s_cmp_eq_f32 s55, 0
	s_cbranch_scc0 .LBB547_56
; %bb.49:                               ;   in Loop: Header=BB547_5 Depth=1
	s_delay_alu instid0(VALU_DEP_1) | instskip(NEXT) | instid1(VALU_DEP_1)
	v_and_b32_e32 v24, 0x7f800000, v0
	v_cmp_ne_u32_e32 vcc_lo, 0x7f800000, v24
                                        ; implicit-def: $vgpr24
	s_and_saveexec_b32 s9, vcc_lo
	s_delay_alu instid0(SALU_CYCLE_1)
	s_xor_b32 s9, exec_lo, s9
; %bb.50:                               ;   in Loop: Header=BB547_5 Depth=1
	v_bfe_u32 v24, v0, 16, 1
	s_delay_alu instid0(VALU_DEP_1)
	v_add3_u32 v24, v0, v24, 0x7fff
; %bb.51:                               ;   in Loop: Header=BB547_5 Depth=1
	s_and_not1_saveexec_b32 s9, s9
; %bb.52:                               ;   in Loop: Header=BB547_5 Depth=1
	v_and_b32_e32 v24, 0xffff, v0
	v_or_b32_e32 v25, 0x10000, v0
	s_delay_alu instid0(VALU_DEP_2) | instskip(NEXT) | instid1(VALU_DEP_2)
	v_cmp_eq_u32_e32 vcc_lo, 0, v24
	v_cndmask_b32_e32 v24, v25, v0, vcc_lo
; %bb.53:                               ;   in Loop: Header=BB547_5 Depth=1
	s_or_b32 exec_lo, exec_lo, s9
	s_cbranch_execz .LBB547_57
	s_branch .LBB547_66
.LBB547_54:                             ;   in Loop: Header=BB547_5 Depth=1
	v_mov_b32_e32 v0, 0
	s_mov_b32 s54, exec_lo
	s_or_b32 exec_lo, exec_lo, s8
	s_delay_alu instid0(SALU_CYCLE_1)
	s_and_b32 vcc_lo, exec_lo, s7
	s_cbranch_vccnz .LBB547_16
.LBB547_55:                             ;   in Loop: Header=BB547_5 Depth=1
	v_mov_b64_e32 v[24:25], v[2:3]
	s_and_saveexec_b32 s7, s54
	s_cbranch_execz .LBB547_3
	s_branch .LBB547_69
.LBB547_56:                             ;   in Loop: Header=BB547_5 Depth=1
                                        ; implicit-def: $vgpr24
.LBB547_57:                             ;   in Loop: Header=BB547_5 Depth=1
	v_lshl_add_u64 v[24:25], v[4:5], 1, s[48:49]
	global_load_u16 v24, v[24:25], off
	s_wait_loadcnt 0x0
	s_wait_xcnt 0x0
	v_lshlrev_b32_e32 v24, 16, v24
	s_delay_alu instid0(VALU_DEP_1) | instskip(NEXT) | instid1(VALU_DEP_1)
	v_mul_f32_e32 v24, s55, v24
	v_and_b32_e32 v25, 0x7f800000, v24
	s_delay_alu instid0(VALU_DEP_1) | instskip(SKIP_1) | instid1(SALU_CYCLE_1)
	v_cmp_ne_u32_e32 vcc_lo, 0x7f800000, v25
                                        ; implicit-def: $vgpr25
	s_and_saveexec_b32 s9, vcc_lo
	s_xor_b32 s9, exec_lo, s9
; %bb.58:                               ;   in Loop: Header=BB547_5 Depth=1
	v_bfe_u32 v25, v24, 16, 1
	s_delay_alu instid0(VALU_DEP_1)
	v_add3_u32 v25, v24, v25, 0x7fff
                                        ; implicit-def: $vgpr24
; %bb.59:                               ;   in Loop: Header=BB547_5 Depth=1
	s_and_not1_saveexec_b32 s9, s9
; %bb.60:                               ;   in Loop: Header=BB547_5 Depth=1
	v_and_b32_e32 v25, 0xffff, v24
	v_or_b32_e32 v26, 0x10000, v24
	s_delay_alu instid0(VALU_DEP_2) | instskip(NEXT) | instid1(VALU_DEP_2)
	v_cmp_eq_u32_e32 vcc_lo, 0, v25
	v_cndmask_b32_e32 v25, v26, v24, vcc_lo
; %bb.61:                               ;   in Loop: Header=BB547_5 Depth=1
	s_or_b32 exec_lo, exec_lo, s9
	s_delay_alu instid0(VALU_DEP_1) | instskip(NEXT) | instid1(VALU_DEP_1)
	v_and_b32_e32 v24, 0xffff0000, v25
	v_add_f32_e32 v0, v0, v24
	s_delay_alu instid0(VALU_DEP_1) | instskip(NEXT) | instid1(VALU_DEP_1)
	v_and_b32_e32 v24, 0x7f800000, v0
	v_cmp_ne_u32_e32 vcc_lo, 0x7f800000, v24
                                        ; implicit-def: $vgpr24
	s_and_saveexec_b32 s9, vcc_lo
	s_delay_alu instid0(SALU_CYCLE_1)
	s_xor_b32 s9, exec_lo, s9
; %bb.62:                               ;   in Loop: Header=BB547_5 Depth=1
	v_bfe_u32 v24, v0, 16, 1
	s_delay_alu instid0(VALU_DEP_1)
	v_add3_u32 v24, v0, v24, 0x7fff
                                        ; implicit-def: $vgpr0
; %bb.63:                               ;   in Loop: Header=BB547_5 Depth=1
	s_and_not1_saveexec_b32 s9, s9
; %bb.64:                               ;   in Loop: Header=BB547_5 Depth=1
	v_and_b32_e32 v24, 0xffff, v0
	v_or_b32_e32 v25, 0x10000, v0
	s_delay_alu instid0(VALU_DEP_2) | instskip(NEXT) | instid1(VALU_DEP_2)
	v_cmp_eq_u32_e32 vcc_lo, 0, v24
	v_cndmask_b32_e32 v24, v25, v0, vcc_lo
; %bb.65:                               ;   in Loop: Header=BB547_5 Depth=1
	s_or_b32 exec_lo, exec_lo, s9
.LBB547_66:                             ;   in Loop: Header=BB547_5 Depth=1
	s_delay_alu instid0(VALU_DEP_1)
	v_lshrrev_b32_e32 v0, 16, v24
	s_or_b32 s9, s54, exec_lo
.LBB547_67:                             ;   in Loop: Header=BB547_5 Depth=1
	s_or_b32 exec_lo, exec_lo, s8
	s_delay_alu instid0(SALU_CYCLE_1) | instskip(SKIP_1) | instid1(SALU_CYCLE_1)
	s_and_not1_b32 s8, s54, exec_lo
	s_and_b32 s9, s9, exec_lo
	s_or_b32 s54, s8, s9
.LBB547_68:                             ;   in Loop: Header=BB547_5 Depth=1
	s_or_b32 exec_lo, exec_lo, s7
	v_mov_b64_e32 v[24:25], v[4:5]
	s_and_saveexec_b32 s7, s54
	s_cbranch_execz .LBB547_3
.LBB547_69:                             ;   in Loop: Header=BB547_5 Depth=1
	s_delay_alu instid0(VALU_DEP_1)
	v_lshl_add_u64 v[24:25], v[24:25], 1, s[48:49]
	global_store_b16 v[24:25], v0, off
	s_branch .LBB547_3
.LBB547_70:
	s_sendmsg sendmsg(MSG_DEALLOC_VGPRS)
	s_endpgm
	.section	.rodata,"a",@progbits
	.p2align	6, 0x0
	.amdhsa_kernel _ZL20rocblas_gemvn_kernelILi32ELi16El16rocblas_bfloat16PKfS0_EviiT3_lPKT2_lT1_lS6_lS7_lS3_lPT4_lS7_li
		.amdhsa_group_segment_fixed_size 8192
		.amdhsa_private_segment_fixed_size 0
		.amdhsa_kernarg_size 400
		.amdhsa_user_sgpr_count 2
		.amdhsa_user_sgpr_dispatch_ptr 0
		.amdhsa_user_sgpr_queue_ptr 0
		.amdhsa_user_sgpr_kernarg_segment_ptr 1
		.amdhsa_user_sgpr_dispatch_id 0
		.amdhsa_user_sgpr_kernarg_preload_length 0
		.amdhsa_user_sgpr_kernarg_preload_offset 0
		.amdhsa_user_sgpr_private_segment_size 0
		.amdhsa_wavefront_size32 1
		.amdhsa_uses_dynamic_stack 0
		.amdhsa_enable_private_segment 0
		.amdhsa_system_sgpr_workgroup_id_x 1
		.amdhsa_system_sgpr_workgroup_id_y 0
		.amdhsa_system_sgpr_workgroup_id_z 1
		.amdhsa_system_sgpr_workgroup_info 0
		.amdhsa_system_vgpr_workitem_id 1
		.amdhsa_next_free_vgpr 72
		.amdhsa_next_free_sgpr 60
		.amdhsa_named_barrier_count 0
		.amdhsa_reserve_vcc 1
		.amdhsa_float_round_mode_32 0
		.amdhsa_float_round_mode_16_64 0
		.amdhsa_float_denorm_mode_32 3
		.amdhsa_float_denorm_mode_16_64 3
		.amdhsa_fp16_overflow 0
		.amdhsa_memory_ordered 1
		.amdhsa_forward_progress 1
		.amdhsa_inst_pref_size 29
		.amdhsa_round_robin_scheduling 0
		.amdhsa_exception_fp_ieee_invalid_op 0
		.amdhsa_exception_fp_denorm_src 0
		.amdhsa_exception_fp_ieee_div_zero 0
		.amdhsa_exception_fp_ieee_overflow 0
		.amdhsa_exception_fp_ieee_underflow 0
		.amdhsa_exception_fp_ieee_inexact 0
		.amdhsa_exception_int_div_zero 0
	.end_amdhsa_kernel
	.section	.text._ZL20rocblas_gemvn_kernelILi32ELi16El16rocblas_bfloat16PKfS0_EviiT3_lPKT2_lT1_lS6_lS7_lS3_lPT4_lS7_li,"axG",@progbits,_ZL20rocblas_gemvn_kernelILi32ELi16El16rocblas_bfloat16PKfS0_EviiT3_lPKT2_lT1_lS6_lS7_lS3_lPT4_lS7_li,comdat
.Lfunc_end547:
	.size	_ZL20rocblas_gemvn_kernelILi32ELi16El16rocblas_bfloat16PKfS0_EviiT3_lPKT2_lT1_lS6_lS7_lS3_lPT4_lS7_li, .Lfunc_end547-_ZL20rocblas_gemvn_kernelILi32ELi16El16rocblas_bfloat16PKfS0_EviiT3_lPKT2_lT1_lS6_lS7_lS3_lPT4_lS7_li
                                        ; -- End function
	.set _ZL20rocblas_gemvn_kernelILi32ELi16El16rocblas_bfloat16PKfS0_EviiT3_lPKT2_lT1_lS6_lS7_lS3_lPT4_lS7_li.num_vgpr, 72
	.set _ZL20rocblas_gemvn_kernelILi32ELi16El16rocblas_bfloat16PKfS0_EviiT3_lPKT2_lT1_lS6_lS7_lS3_lPT4_lS7_li.num_agpr, 0
	.set _ZL20rocblas_gemvn_kernelILi32ELi16El16rocblas_bfloat16PKfS0_EviiT3_lPKT2_lT1_lS6_lS7_lS3_lPT4_lS7_li.numbered_sgpr, 60
	.set _ZL20rocblas_gemvn_kernelILi32ELi16El16rocblas_bfloat16PKfS0_EviiT3_lPKT2_lT1_lS6_lS7_lS3_lPT4_lS7_li.num_named_barrier, 0
	.set _ZL20rocblas_gemvn_kernelILi32ELi16El16rocblas_bfloat16PKfS0_EviiT3_lPKT2_lT1_lS6_lS7_lS3_lPT4_lS7_li.private_seg_size, 0
	.set _ZL20rocblas_gemvn_kernelILi32ELi16El16rocblas_bfloat16PKfS0_EviiT3_lPKT2_lT1_lS6_lS7_lS3_lPT4_lS7_li.uses_vcc, 1
	.set _ZL20rocblas_gemvn_kernelILi32ELi16El16rocblas_bfloat16PKfS0_EviiT3_lPKT2_lT1_lS6_lS7_lS3_lPT4_lS7_li.uses_flat_scratch, 0
	.set _ZL20rocblas_gemvn_kernelILi32ELi16El16rocblas_bfloat16PKfS0_EviiT3_lPKT2_lT1_lS6_lS7_lS3_lPT4_lS7_li.has_dyn_sized_stack, 0
	.set _ZL20rocblas_gemvn_kernelILi32ELi16El16rocblas_bfloat16PKfS0_EviiT3_lPKT2_lT1_lS6_lS7_lS3_lPT4_lS7_li.has_recursion, 0
	.set _ZL20rocblas_gemvn_kernelILi32ELi16El16rocblas_bfloat16PKfS0_EviiT3_lPKT2_lT1_lS6_lS7_lS3_lPT4_lS7_li.has_indirect_call, 0
	.section	.AMDGPU.csdata,"",@progbits
; Kernel info:
; codeLenInByte = 3620
; TotalNumSgprs: 62
; NumVgprs: 72
; ScratchSize: 0
; MemoryBound: 0
; FloatMode: 240
; IeeeMode: 1
; LDSByteSize: 8192 bytes/workgroup (compile time only)
; SGPRBlocks: 0
; VGPRBlocks: 4
; NumSGPRsForWavesPerEU: 62
; NumVGPRsForWavesPerEU: 72
; NamedBarCnt: 0
; Occupancy: 12
; WaveLimiterHint : 1
; COMPUTE_PGM_RSRC2:SCRATCH_EN: 0
; COMPUTE_PGM_RSRC2:USER_SGPR: 2
; COMPUTE_PGM_RSRC2:TRAP_HANDLER: 0
; COMPUTE_PGM_RSRC2:TGID_X_EN: 1
; COMPUTE_PGM_RSRC2:TGID_Y_EN: 0
; COMPUTE_PGM_RSRC2:TGID_Z_EN: 1
; COMPUTE_PGM_RSRC2:TIDIG_COMP_CNT: 1
	.section	.text._ZL20rocblas_gemvn_kernelILi32ELi16Ei16rocblas_bfloat16fS0_EviiT3_lPKT2_lT1_lS4_lS5_lS1_lPT4_lS5_li,"axG",@progbits,_ZL20rocblas_gemvn_kernelILi32ELi16Ei16rocblas_bfloat16fS0_EviiT3_lPKT2_lT1_lS4_lS5_lS1_lPT4_lS5_li,comdat
	.globl	_ZL20rocblas_gemvn_kernelILi32ELi16Ei16rocblas_bfloat16fS0_EviiT3_lPKT2_lT1_lS4_lS5_lS1_lPT4_lS5_li ; -- Begin function _ZL20rocblas_gemvn_kernelILi32ELi16Ei16rocblas_bfloat16fS0_EviiT3_lPKT2_lT1_lS4_lS5_lS1_lPT4_lS5_li
	.p2align	8
	.type	_ZL20rocblas_gemvn_kernelILi32ELi16Ei16rocblas_bfloat16fS0_EviiT3_lPKT2_lT1_lS4_lS5_lS1_lPT4_lS5_li,@function
_ZL20rocblas_gemvn_kernelILi32ELi16Ei16rocblas_bfloat16fS0_EviiT3_lPKT2_lT1_lS4_lS5_lS1_lPT4_lS5_li: ; @_ZL20rocblas_gemvn_kernelILi32ELi16Ei16rocblas_bfloat16fS0_EviiT3_lPKT2_lT1_lS4_lS5_lS1_lPT4_lS5_li
; %bb.0:
	s_load_b64 s[2:3], s[0:1], 0x9c
	s_wait_kmcnt 0x0
	s_lshr_b32 s4, s2, 16
	s_and_b32 s2, s2, 0xffff
	s_and_b32 s3, s3, 0xffff
	s_mul_i32 s2, s4, s2
	s_delay_alu instid0(SALU_CYCLE_1) | instskip(NEXT) | instid1(SALU_CYCLE_1)
	s_mul_i32 s2, s2, s3
	s_cmp_lg_u32 s2, 0x200
	s_cbranch_scc1 .LBB548_70
; %bb.1:
	s_load_b32 s19, s[0:1], 0x88
	s_bfe_u32 s2, ttmp6, 0x40014
	s_lshr_b32 s3, ttmp7, 16
	s_add_co_i32 s2, s2, 1
	s_bfe_u32 s5, ttmp6, 0x40008
	s_mul_i32 s4, s3, s2
	s_getreg_b32 s2, hwreg(HW_REG_IB_STS2, 6, 4)
	s_add_co_i32 s5, s5, s4
	s_cmp_eq_u32 s2, 0
	s_mov_b32 s29, 0
	s_cselect_b32 s28, s3, s5
	s_wait_kmcnt 0x0
	s_cmp_ge_u32 s28, s19
	s_cbranch_scc1 .LBB548_70
; %bb.2:
	s_clause 0x8
	s_load_b128 s[4:7], s[0:1], 0x18
	s_load_b96 s[16:18], s[0:1], 0x40
	s_load_b128 s[12:15], s[0:1], 0x68
	s_load_b32 s34, s[0:1], 0x78
	s_load_b96 s[20:22], s[0:1], 0x0
	s_load_b96 s[24:26], s[0:1], 0x50
	s_load_b32 s23, s[0:1], 0x28
	s_load_b128 s[8:11], s[0:1], 0x30
	s_load_b64 s[30:31], s[0:1], 0x80
	v_and_b32_e32 v4, 0x3ff, v0
	v_bfe_u32 v3, v0, 10, 10
	s_delay_alu instid0(VALU_DEP_2) | instskip(NEXT) | instid1(VALU_DEP_2)
	v_dual_mov_b32 v1, 0 :: v_dual_lshlrev_b32 v5, 2, v4
	v_lshl_add_u32 v2, v3, 5, v4
	s_delay_alu instid0(VALU_DEP_2)
	v_lshl_add_u32 v17, v3, 9, v5
	s_wait_kmcnt 0x0
	s_lshl_b64 s[6:7], s[6:7], 1
	s_lshl_b64 s[16:17], s[16:17], 1
	;; [unrolled: 1-line block ×3, first 2 shown]
	s_ashr_i32 s35, s34, 31
	s_cmp_eq_f32 s22, 0
	s_add_nc_u64 s[14:15], s[4:5], s[6:7]
	s_mov_b32 s40, s20
	v_cmp_gt_u32_e64 s0, 0x80, v2
	s_cselect_b32 s27, -1, 0
	s_cmp_neq_f32 s22, 0
	v_mul_lo_u32 v11, v3, s18
	v_mul_lo_u32 v10, v3, s23
	v_lshl_add_u32 v19, v3, 7, v5
	s_cselect_b32 s1, -1, 0
	s_cmp_neq_f32 s26, 1.0
	s_add_nc_u64 s[10:11], s[10:11], s[16:17]
	s_add_nc_u64 s[12:13], s[12:13], s[36:37]
	s_cselect_b32 s3, -1, 0
	s_bfe_u32 s4, ttmp6, 0x4000c
	s_and_b32 s5, ttmp6, 15
	s_add_co_i32 s4, s4, 1
	s_or_b32 s33, s1, s3
	s_mul_i32 s4, ttmp9, s4
	v_lshl_add_u32 v26, v10, 2, v4
	s_add_co_i32 s5, s5, s4
	s_cmp_eq_u32 s2, 0
	v_lshlrev_b32_e32 v27, 2, v11
	s_cselect_b32 s1, ttmp9, s5
	s_ashr_i32 s41, s20, 31
	s_lshl_b32 s38, s1, 7
	s_delay_alu instid0(SALU_CYCLE_1) | instskip(SKIP_2) | instid1(VALU_DEP_2)
	v_dual_lshlrev_b32 v16, 2, v3 :: v_dual_add_nc_u32 v0, s38, v2
	s_cmp_neq_f32 s26, 0
	v_dual_add_nc_u32 v18, s38, v4 :: v_dual_bitop2_b32 v6, s38, v2 bitop3:0x54
	v_mad_u32 v22, s18, v16, s18
	s_delay_alu instid0(VALU_DEP_3)
	v_cmp_gt_i64_e32 vcc_lo, s[40:41], v[0:1]
	v_mul_u64_e32 v[0:1], s[34:35], v[0:1]
	s_cselect_b32 s39, -1, 0
	s_cmp_eq_f32 s26, 0
	v_mul_lo_u32 v2, s34, v6
	v_dual_add_nc_u32 v7, 32, v18 :: v_dual_add_nc_u32 v8, 64, v18
	v_add_nc_u32_e32 v9, 0x60, v18
	s_cselect_b32 s40, -1, 0
	s_ashr_i32 s2, s21, 31
	v_cmp_gt_i32_e64 s1, s20, v18
	s_lshr_b32 s2, s2, 26
	v_cmp_gt_i32_e64 s3, s20, v8
	s_add_co_i32 s41, s21, s2
	v_cmp_gt_i32_e64 s2, s20, v7
	v_cmp_gt_i32_e64 s4, s20, v9
	v_mul_lo_u32 v7, s23, v16
	v_dual_ashrrev_i32 v3, 31, v2 :: v_dual_bitop2_b32 v8, 2, v16 bitop3:0x54
	v_or_b32_e32 v9, 3, v16
	s_and_not1_b32 s41, s41, 63
	v_cmp_gt_i32_e64 s6, s20, v6
	s_delay_alu instid0(VALU_DEP_3)
	v_mad_u32 v20, s23, v8, v4
	v_mul_lo_u32 v23, s18, v8
	v_mad_u32 v21, s23, v9, v4
	v_mul_lo_u32 v24, s18, v9
	s_sub_co_i32 s5, s21, s41
	v_add3_u32 v25, v7, s23, v4
	s_cmp_gt_i32 s5, 0
	v_cmp_gt_i32_e64 s5, s41, v16
	s_cselect_b32 s42, -1, 0
	s_and_b32 s20, s0, vcc_lo
	s_lshl_b32 s43, s23, 6
	s_lshl_b32 s44, s18, 6
	s_branch .LBB548_5
.LBB548_3:                              ;   in Loop: Header=BB548_5 Depth=1
	s_wait_xcnt 0x0
	s_or_b32 exec_lo, exec_lo, s7
.LBB548_4:                              ;   in Loop: Header=BB548_5 Depth=1
	s_add_co_i32 s28, s28, 0x10000
	s_delay_alu instid0(SALU_CYCLE_1)
	s_cmp_lt_u32 s28, s19
	s_cbranch_scc0 .LBB548_70
.LBB548_5:                              ; =>This Loop Header: Depth=1
                                        ;     Child Loop BB548_22 Depth 2
	s_and_not1_b32 vcc_lo, exec_lo, s33
	s_cbranch_vccnz .LBB548_4
; %bb.6:                                ;   in Loop: Header=BB548_5 Depth=1
	s_mul_u64 s[16:17], s[30:31], s[28:29]
	s_and_not1_b32 vcc_lo, exec_lo, s27
	s_lshl_b64 s[16:17], s[16:17], 1
	s_delay_alu instid0(SALU_CYCLE_1)
	s_add_nc_u64 s[16:17], s[12:13], s[16:17]
	s_cbranch_vccnz .LBB548_14
; %bb.7:                                ;   in Loop: Header=BB548_5 Depth=1
	s_mov_b32 s7, 0
	s_mov_b32 s45, 0
                                        ; implicit-def: $vgpr6
	s_and_saveexec_b32 s34, s20
	s_cbranch_execz .LBB548_15
; %bb.8:                                ;   in Loop: Header=BB548_5 Depth=1
	s_and_not1_b32 vcc_lo, exec_lo, s39
	s_cbranch_vccnz .LBB548_67
; %bb.9:                                ;   in Loop: Header=BB548_5 Depth=1
	v_lshl_add_u64 v[4:5], v[0:1], 1, s[16:17]
	global_load_u16 v4, v[4:5], off
	s_wait_loadcnt 0x0
	s_wait_xcnt 0x0
	v_lshlrev_b32_e32 v4, 16, v4
	s_delay_alu instid0(VALU_DEP_1) | instskip(NEXT) | instid1(VALU_DEP_1)
	v_mul_f32_e32 v4, s26, v4
	v_and_b32_e32 v5, 0x7f800000, v4
	s_delay_alu instid0(VALU_DEP_1) | instskip(SKIP_1) | instid1(SALU_CYCLE_1)
	v_cmp_ne_u32_e32 vcc_lo, 0x7f800000, v5
                                        ; implicit-def: $vgpr5
	s_and_saveexec_b32 s35, vcc_lo
	s_xor_b32 s35, exec_lo, s35
; %bb.10:                               ;   in Loop: Header=BB548_5 Depth=1
	v_bfe_u32 v5, v4, 16, 1
	s_delay_alu instid0(VALU_DEP_1)
	v_add3_u32 v5, v4, v5, 0x7fff
                                        ; implicit-def: $vgpr4
; %bb.11:                               ;   in Loop: Header=BB548_5 Depth=1
	s_and_not1_saveexec_b32 s35, s35
; %bb.12:                               ;   in Loop: Header=BB548_5 Depth=1
	v_and_b32_e32 v5, 0xffff, v4
	v_or_b32_e32 v6, 0x10000, v4
	s_delay_alu instid0(VALU_DEP_2) | instskip(NEXT) | instid1(VALU_DEP_2)
	v_cmp_eq_u32_e32 vcc_lo, 0, v5
	v_cndmask_b32_e32 v5, v6, v4, vcc_lo
; %bb.13:                               ;   in Loop: Header=BB548_5 Depth=1
	s_or_b32 exec_lo, exec_lo, s35
	s_delay_alu instid0(VALU_DEP_1) | instskip(SKIP_2) | instid1(SALU_CYCLE_1)
	v_lshrrev_b32_e32 v6, 16, v5
	s_mov_b32 s45, exec_lo
	s_or_b32 exec_lo, exec_lo, s34
	s_and_b32 vcc_lo, exec_lo, s7
	s_cbranch_vccnz .LBB548_16
	s_branch .LBB548_68
.LBB548_14:                             ;   in Loop: Header=BB548_5 Depth=1
	s_mov_b32 s45, 0
                                        ; implicit-def: $vgpr6
	s_cbranch_execnz .LBB548_16
	s_branch .LBB548_68
.LBB548_15:                             ;   in Loop: Header=BB548_5 Depth=1
	s_or_b32 exec_lo, exec_lo, s34
	s_delay_alu instid0(SALU_CYCLE_1)
	s_and_b32 vcc_lo, exec_lo, s7
	s_cbranch_vccz .LBB548_68
.LBB548_16:                             ;   in Loop: Header=BB548_5 Depth=1
	s_mul_u64 s[34:35], s[8:9], s[28:29]
	s_mul_u64 s[36:37], s[24:25], s[28:29]
	v_dual_mov_b32 v28, 0 :: v_dual_mov_b32 v32, v16
	v_dual_mov_b32 v29, 0 :: v_dual_mov_b32 v30, 0
	v_mov_b32_e32 v31, 0
	s_lshl_b64 s[34:35], s[34:35], 1
	s_lshl_b64 s[36:37], s[36:37], 1
	s_add_nc_u64 s[34:35], s[14:15], s[34:35]
	s_add_nc_u64 s[36:37], s[10:11], s[36:37]
	s_and_saveexec_b32 s7, s5
	s_cbranch_execz .LBB548_28
; %bb.17:                               ;   in Loop: Header=BB548_5 Depth=1
	v_dual_mov_b32 v28, 0 :: v_dual_mov_b32 v33, v26
	v_dual_mov_b32 v34, v21 :: v_dual_mov_b32 v35, v20
	;; [unrolled: 1-line block ×4, first 2 shown]
	v_mov_b32_e32 v31, 0
	s_mov_b32 s46, 0
	s_mov_b32 s47, 0
	s_branch .LBB548_22
.LBB548_18:                             ;   in Loop: Header=BB548_22 Depth=2
	s_or_b32 exec_lo, exec_lo, s51
	s_wait_loadcnt 0x2
	v_dual_lshlrev_b32 v9, 16, v48 :: v_dual_lshlrev_b32 v8, 16, v47
	s_delay_alu instid0(VALU_DEP_1) | instskip(SKIP_1) | instid1(VALU_DEP_1)
	v_pk_mul_f32 v[8:9], v[6:7], v[8:9]
	s_wait_loadcnt 0x0
	v_dual_add_f32 v8, v30, v8 :: v_dual_lshlrev_b32 v11, 16, v46
	s_delay_alu instid0(VALU_DEP_1) | instskip(SKIP_1) | instid1(VALU_DEP_1)
	v_add_f32_e32 v12, v8, v9
	v_lshlrev_b32_e32 v10, 16, v45
	v_pk_mul_f32 v[8:9], v[4:5], v[10:11]
	s_delay_alu instid0(VALU_DEP_1) | instskip(NEXT) | instid1(VALU_DEP_1)
	v_add_f32_e32 v8, v12, v8
	v_add_f32_e32 v30, v8, v9
.LBB548_19:                             ;   in Loop: Header=BB548_22 Depth=2
	s_or_b32 exec_lo, exec_lo, s50
	s_wait_loadcnt 0x2
	v_dual_lshlrev_b32 v9, 16, v44 :: v_dual_lshlrev_b32 v8, 16, v43
	s_delay_alu instid0(VALU_DEP_1) | instskip(SKIP_1) | instid1(VALU_DEP_1)
	v_pk_mul_f32 v[8:9], v[6:7], v[8:9]
	s_wait_loadcnt 0x0
	v_dual_add_f32 v8, v29, v8 :: v_dual_lshlrev_b32 v11, 16, v42
	s_delay_alu instid0(VALU_DEP_1) | instskip(SKIP_1) | instid1(VALU_DEP_1)
	v_add_f32_e32 v12, v8, v9
	v_lshlrev_b32_e32 v10, 16, v41
	v_pk_mul_f32 v[8:9], v[4:5], v[10:11]
	s_delay_alu instid0(VALU_DEP_1) | instskip(NEXT) | instid1(VALU_DEP_1)
	v_add_f32_e32 v8, v12, v8
	v_add_f32_e32 v29, v8, v9
.LBB548_20:                             ;   in Loop: Header=BB548_22 Depth=2
	s_or_b32 exec_lo, exec_lo, s49
	s_wait_loadcnt 0x2
	v_dual_lshlrev_b32 v9, 16, v40 :: v_dual_lshlrev_b32 v8, 16, v39
	s_delay_alu instid0(VALU_DEP_1) | instskip(SKIP_2) | instid1(VALU_DEP_2)
	v_pk_mul_f32 v[6:7], v[6:7], v[8:9]
	s_wait_loadcnt 0x0
	v_dual_lshlrev_b32 v9, 16, v38 :: v_dual_lshlrev_b32 v8, 16, v37
	v_add_f32_e32 v6, v28, v6
	s_delay_alu instid0(VALU_DEP_2) | instskip(NEXT) | instid1(VALU_DEP_2)
	v_pk_mul_f32 v[4:5], v[4:5], v[8:9]
	v_add_f32_e32 v6, v6, v7
	s_delay_alu instid0(VALU_DEP_1) | instskip(NEXT) | instid1(VALU_DEP_1)
	v_add_f32_e32 v4, v6, v4
	v_add_f32_e32 v28, v4, v5
.LBB548_21:                             ;   in Loop: Header=BB548_22 Depth=2
	s_or_b32 exec_lo, exec_lo, s48
	v_dual_add_nc_u32 v32, 64, v32 :: v_dual_add_nc_u32 v35, s43, v35
	v_dual_add_nc_u32 v36, s43, v36 :: v_dual_add_nc_u32 v34, s43, v34
	v_add_nc_u32_e32 v33, s43, v33
	s_delay_alu instid0(VALU_DEP_3) | instskip(SKIP_2) | instid1(SALU_CYCLE_1)
	v_cmp_le_i32_e32 vcc_lo, s41, v32
	s_add_co_i32 s47, s47, s44
	s_or_b32 s46, vcc_lo, s46
	s_and_not1_b32 exec_lo, exec_lo, s46
	s_cbranch_execz .LBB548_27
.LBB548_22:                             ;   Parent Loop BB548_5 Depth=1
                                        ; =>  This Inner Loop Header: Depth=2
	s_and_saveexec_b32 s48, s1
	s_cbranch_execz .LBB548_21
; %bb.23:                               ;   in Loop: Header=BB548_22 Depth=2
	v_dual_add_nc_u32 v4, s47, v27 :: v_dual_add_nc_u32 v5, s47, v22
	v_dual_add_nc_u32 v6, s47, v23 :: v_dual_add_nc_u32 v7, s47, v24
	;; [unrolled: 1-line block ×3, first 2 shown]
	s_clause 0x3
	global_load_u16 v9, v4, s[36:37] scale_offset
	global_load_u16 v11, v5, s[36:37] scale_offset
	;; [unrolled: 1-line block ×4, first 2 shown]
	v_dual_add_nc_u32 v12, s38, v35 :: v_dual_add_nc_u32 v14, s38, v34
	s_clause 0x3
	global_load_u16 v39, v8, s[34:35] scale_offset
	global_load_u16 v40, v10, s[34:35] scale_offset
	;; [unrolled: 1-line block ×4, first 2 shown]
	s_wait_loadcnt 0x6
	s_wait_xcnt 0x4
	v_dual_lshlrev_b32 v6, 16, v9 :: v_dual_lshlrev_b32 v7, 16, v11
	s_wait_loadcnt 0x4
	v_dual_lshlrev_b32 v4, 16, v13 :: v_dual_lshlrev_b32 v5, 16, v15
	s_wait_xcnt 0x0
	s_and_saveexec_b32 s49, s2
	s_cbranch_execz .LBB548_20
; %bb.24:                               ;   in Loop: Header=BB548_22 Depth=2
	v_dual_ashrrev_i32 v9, 31, v8 :: v_dual_ashrrev_i32 v11, 31, v10
	v_dual_ashrrev_i32 v13, 31, v12 :: v_dual_ashrrev_i32 v15, 31, v14
	s_delay_alu instid0(VALU_DEP_2) | instskip(NEXT) | instid1(VALU_DEP_3)
	v_lshl_add_u64 v[8:9], v[8:9], 1, s[34:35]
	v_lshl_add_u64 v[10:11], v[10:11], 1, s[34:35]
	s_delay_alu instid0(VALU_DEP_3) | instskip(NEXT) | instid1(VALU_DEP_4)
	v_lshl_add_u64 v[12:13], v[12:13], 1, s[34:35]
	v_lshl_add_u64 v[14:15], v[14:15], 1, s[34:35]
	s_clause 0x3
	global_load_u16 v43, v[8:9], off offset:64
	global_load_u16 v44, v[10:11], off offset:64
	;; [unrolled: 1-line block ×4, first 2 shown]
	s_wait_xcnt 0x0
	s_and_saveexec_b32 s50, s3
	s_cbranch_execz .LBB548_19
; %bb.25:                               ;   in Loop: Header=BB548_22 Depth=2
	s_clause 0x3
	global_load_u16 v47, v[8:9], off offset:128
	global_load_u16 v48, v[10:11], off offset:128
	;; [unrolled: 1-line block ×4, first 2 shown]
	s_wait_xcnt 0x0
	s_and_saveexec_b32 s51, s4
	s_cbranch_execz .LBB548_18
; %bb.26:                               ;   in Loop: Header=BB548_22 Depth=2
	s_clause 0x3
	global_load_u16 v49, v[10:11], off offset:192
	global_load_u16 v50, v[8:9], off offset:192
	;; [unrolled: 1-line block ×4, first 2 shown]
	s_wait_loadcnt 0x2
	s_wait_xcnt 0x2
	v_dual_lshlrev_b32 v9, 16, v49 :: v_dual_lshlrev_b32 v8, 16, v50
	s_delay_alu instid0(VALU_DEP_1) | instskip(SKIP_1) | instid1(VALU_DEP_1)
	v_pk_mul_f32 v[8:9], v[6:7], v[8:9]
	s_wait_loadcnt 0x1
	v_dual_add_f32 v8, v31, v8 :: v_dual_lshlrev_b32 v11, 16, v51
	s_wait_loadcnt 0x0
	s_wait_xcnt 0x0
	s_delay_alu instid0(VALU_DEP_1) | instskip(NEXT) | instid1(VALU_DEP_1)
	v_dual_lshlrev_b32 v10, 16, v52 :: v_dual_add_f32 v12, v8, v9
	v_pk_mul_f32 v[8:9], v[4:5], v[10:11]
	s_delay_alu instid0(VALU_DEP_1) | instskip(NEXT) | instid1(VALU_DEP_1)
	v_add_f32_e32 v8, v12, v8
	v_add_f32_e32 v31, v8, v9
	s_branch .LBB548_18
.LBB548_27:                             ;   in Loop: Header=BB548_5 Depth=1
	s_or_b32 exec_lo, exec_lo, s46
.LBB548_28:                             ;   in Loop: Header=BB548_5 Depth=1
	s_delay_alu instid0(SALU_CYCLE_1) | instskip(NEXT) | instid1(SALU_CYCLE_1)
	s_or_b32 exec_lo, exec_lo, s7
	s_and_not1_b32 vcc_lo, exec_lo, s42
	s_cbranch_vccnz .LBB548_46
; %bb.29:                               ;   in Loop: Header=BB548_5 Depth=1
	v_dual_mov_b32 v4, 0 :: v_dual_bitop2_b32 v8, 1, v32 bitop3:0x54
	v_cmp_gt_i32_e32 vcc_lo, s21, v32
	s_delay_alu instid0(VALU_DEP_2)
	v_dual_mov_b32 v5, v4 :: v_dual_mov_b32 v6, v4
	v_mov_b32_e32 v7, v4
	s_and_saveexec_b32 s46, vcc_lo
	s_cbranch_execz .LBB548_37
; %bb.30:                               ;   in Loop: Header=BB548_5 Depth=1
	v_mul_lo_u32 v4, v32, s18
	v_dual_mov_b32 v7, 0 :: v_dual_mov_b32 v5, 0
	s_mov_b32 s47, exec_lo
	global_load_u16 v6, v4, s[36:37] scale_offset
	s_wait_xcnt 0x0
	v_mov_b32_e32 v4, 0
	v_cmpx_gt_i32_e64 s21, v8
	s_cbranch_execz .LBB548_36
; %bb.31:                               ;   in Loop: Header=BB548_5 Depth=1
	v_mul_lo_u32 v4, v8, s18
	v_dual_mov_b32 v5, 0 :: v_dual_bitop2_b32 v9, 2, v32 bitop3:0x54
	s_mov_b32 s48, exec_lo
	global_load_u16 v7, v4, s[36:37] scale_offset
	s_wait_xcnt 0x0
	v_mov_b32_e32 v4, 0
	v_cmpx_gt_i32_e64 s21, v9
	s_cbranch_execz .LBB548_35
; %bb.32:                               ;   in Loop: Header=BB548_5 Depth=1
	v_mul_lo_u32 v4, v9, s18
	v_dual_mov_b32 v5, 0 :: v_dual_bitop2_b32 v9, 3, v32 bitop3:0x54
	s_mov_b32 s49, exec_lo
	global_load_u16 v4, v4, s[36:37] scale_offset
	s_wait_xcnt 0x0
	v_cmpx_gt_i32_e64 s21, v9
	s_cbranch_execz .LBB548_34
; %bb.33:                               ;   in Loop: Header=BB548_5 Depth=1
	v_mul_lo_u32 v5, v9, s18
	global_load_u16 v5, v5, s[36:37] scale_offset
	s_wait_loadcnt 0x0
	s_wait_xcnt 0x0
	v_lshlrev_b32_e32 v5, 16, v5
.LBB548_34:                             ;   in Loop: Header=BB548_5 Depth=1
	s_or_b32 exec_lo, exec_lo, s49
	s_wait_loadcnt 0x0
	v_lshlrev_b32_e32 v4, 16, v4
.LBB548_35:                             ;   in Loop: Header=BB548_5 Depth=1
	s_or_b32 exec_lo, exec_lo, s48
	s_wait_loadcnt 0x0
	v_lshlrev_b32_e32 v7, 16, v7
.LBB548_36:                             ;   in Loop: Header=BB548_5 Depth=1
	s_or_b32 exec_lo, exec_lo, s47
	s_wait_loadcnt 0x0
	v_lshlrev_b32_e32 v6, 16, v6
.LBB548_37:                             ;   in Loop: Header=BB548_5 Depth=1
	s_or_b32 exec_lo, exec_lo, s46
	s_and_saveexec_b32 s36, s1
	s_cbranch_execz .LBB548_45
; %bb.38:                               ;   in Loop: Header=BB548_5 Depth=1
	v_mul_lo_u32 v11, v8, s23
	v_cmp_gt_i32_e64 s7, s21, v8
	v_or_b32_e32 v9, 2, v32
	v_or_b32_e32 v10, 3, v32
	v_mul_lo_u32 v14, v32, s23
	s_delay_alu instid0(VALU_DEP_2) | instskip(SKIP_3) | instid1(VALU_DEP_1)
	v_mul_lo_u32 v13, v10, s23
	v_cndmask_b32_e64 v8, 0, v11, s7
	v_mul_lo_u32 v12, v9, s23
	v_cmp_gt_i32_e64 s7, s21, v9
	v_dual_cndmask_b32 v9, 0, v12, s7 :: v_dual_cndmask_b32 v12, 0, v14, vcc_lo
	v_cmp_gt_i32_e64 s7, s21, v10
	s_delay_alu instid0(VALU_DEP_2) | instskip(NEXT) | instid1(VALU_DEP_2)
	v_dual_add_nc_u32 v8, v8, v18 :: v_dual_add_nc_u32 v10, v9, v18
	v_dual_add_nc_u32 v12, v12, v18 :: v_dual_cndmask_b32 v11, 0, v13, s7
	s_delay_alu instid0(VALU_DEP_1)
	v_add_nc_u32_e32 v14, v11, v18
	s_clause 0x3
	global_load_u16 v34, v8, s[34:35] scale_offset
	global_load_u16 v32, v10, s[34:35] scale_offset
	;; [unrolled: 1-line block ×4, first 2 shown]
	s_wait_xcnt 0x0
	s_and_saveexec_b32 s7, s2
	s_cbranch_execz .LBB548_44
; %bb.39:                               ;   in Loop: Header=BB548_5 Depth=1
	v_dual_ashrrev_i32 v13, 31, v12 :: v_dual_ashrrev_i32 v11, 31, v10
	v_dual_ashrrev_i32 v9, 31, v8 :: v_dual_ashrrev_i32 v15, 31, v14
	s_delay_alu instid0(VALU_DEP_2) | instskip(NEXT) | instid1(VALU_DEP_3)
	v_lshl_add_u64 v[12:13], v[12:13], 1, s[34:35]
	v_lshl_add_u64 v[10:11], v[10:11], 1, s[34:35]
	s_delay_alu instid0(VALU_DEP_3) | instskip(NEXT) | instid1(VALU_DEP_4)
	v_lshl_add_u64 v[8:9], v[8:9], 1, s[34:35]
	v_lshl_add_u64 v[14:15], v[14:15], 1, s[34:35]
	s_clause 0x3
	global_load_u16 v38, v[12:13], off offset:64
	global_load_u16 v39, v[8:9], off offset:64
	;; [unrolled: 1-line block ×4, first 2 shown]
	s_wait_xcnt 0x0
	s_and_saveexec_b32 s34, s3
	s_cbranch_execz .LBB548_43
; %bb.40:                               ;   in Loop: Header=BB548_5 Depth=1
	s_clause 0x3
	global_load_u16 v42, v[12:13], off offset:128
	global_load_u16 v43, v[8:9], off offset:128
	;; [unrolled: 1-line block ×4, first 2 shown]
	s_wait_xcnt 0x0
	s_and_saveexec_b32 s35, s4
	s_cbranch_execz .LBB548_42
; %bb.41:                               ;   in Loop: Header=BB548_5 Depth=1
	s_clause 0x3
	global_load_u16 v44, v[8:9], off offset:192
	global_load_u16 v45, v[12:13], off offset:192
	global_load_u16 v46, v[14:15], off offset:192
	global_load_u16 v47, v[10:11], off offset:192
	s_wait_loadcnt 0x2
	s_wait_xcnt 0x3
	v_dual_lshlrev_b32 v9, 16, v44 :: v_dual_lshlrev_b32 v8, 16, v45
	s_delay_alu instid0(VALU_DEP_1) | instskip(SKIP_2) | instid1(VALU_DEP_1)
	v_pk_mul_f32 v[8:9], v[6:7], v[8:9]
	s_wait_loadcnt 0x1
	s_wait_xcnt 0x0
	v_dual_add_f32 v8, v31, v8 :: v_dual_lshlrev_b32 v11, 16, v46
	s_wait_loadcnt 0x0
	s_delay_alu instid0(VALU_DEP_1) | instskip(NEXT) | instid1(VALU_DEP_1)
	v_dual_lshlrev_b32 v10, 16, v47 :: v_dual_add_f32 v12, v8, v9
	v_pk_mul_f32 v[8:9], v[4:5], v[10:11]
	s_delay_alu instid0(VALU_DEP_1) | instskip(NEXT) | instid1(VALU_DEP_1)
	v_add_f32_e32 v8, v12, v8
	v_add_f32_e32 v31, v8, v9
.LBB548_42:                             ;   in Loop: Header=BB548_5 Depth=1
	s_or_b32 exec_lo, exec_lo, s35
	s_wait_loadcnt 0x2
	v_dual_lshlrev_b32 v9, 16, v43 :: v_dual_lshlrev_b32 v8, 16, v42
	s_delay_alu instid0(VALU_DEP_1) | instskip(SKIP_1) | instid1(VALU_DEP_1)
	v_pk_mul_f32 v[8:9], v[6:7], v[8:9]
	s_wait_loadcnt 0x0
	v_dual_add_f32 v8, v30, v8 :: v_dual_lshlrev_b32 v11, 16, v41
	s_delay_alu instid0(VALU_DEP_1) | instskip(NEXT) | instid1(VALU_DEP_1)
	v_dual_lshlrev_b32 v10, 16, v40 :: v_dual_add_f32 v12, v8, v9
	v_pk_mul_f32 v[8:9], v[4:5], v[10:11]
	s_delay_alu instid0(VALU_DEP_1) | instskip(NEXT) | instid1(VALU_DEP_1)
	v_add_f32_e32 v8, v12, v8
	v_add_f32_e32 v30, v8, v9
.LBB548_43:                             ;   in Loop: Header=BB548_5 Depth=1
	s_or_b32 exec_lo, exec_lo, s34
	s_wait_loadcnt 0x2
	v_dual_lshlrev_b32 v9, 16, v39 :: v_dual_lshlrev_b32 v8, 16, v38
	s_delay_alu instid0(VALU_DEP_1) | instskip(SKIP_1) | instid1(VALU_DEP_1)
	v_pk_mul_f32 v[8:9], v[6:7], v[8:9]
	s_wait_loadcnt 0x0
	v_dual_add_f32 v8, v29, v8 :: v_dual_lshlrev_b32 v11, 16, v37
	s_delay_alu instid0(VALU_DEP_1) | instskip(NEXT) | instid1(VALU_DEP_1)
	v_dual_lshlrev_b32 v10, 16, v36 :: v_dual_add_f32 v12, v8, v9
	v_pk_mul_f32 v[8:9], v[4:5], v[10:11]
	s_delay_alu instid0(VALU_DEP_1) | instskip(NEXT) | instid1(VALU_DEP_1)
	v_add_f32_e32 v8, v12, v8
	v_add_f32_e32 v29, v8, v9
.LBB548_44:                             ;   in Loop: Header=BB548_5 Depth=1
	s_or_b32 exec_lo, exec_lo, s7
	s_wait_loadcnt 0x0
	v_dual_lshlrev_b32 v9, 16, v34 :: v_dual_lshlrev_b32 v8, 16, v35
	s_delay_alu instid0(VALU_DEP_1) | instskip(NEXT) | instid1(VALU_DEP_1)
	v_pk_mul_f32 v[6:7], v[6:7], v[8:9]
	v_dual_add_f32 v6, v28, v6 :: v_dual_lshlrev_b32 v9, 16, v33
	s_delay_alu instid0(VALU_DEP_1) | instskip(NEXT) | instid1(VALU_DEP_1)
	v_dual_lshlrev_b32 v8, 16, v32 :: v_dual_add_f32 v6, v6, v7
	v_pk_mul_f32 v[4:5], v[4:5], v[8:9]
	s_delay_alu instid0(VALU_DEP_1) | instskip(NEXT) | instid1(VALU_DEP_1)
	v_add_f32_e32 v4, v6, v4
	v_add_f32_e32 v28, v4, v5
.LBB548_45:                             ;   in Loop: Header=BB548_5 Depth=1
	s_or_b32 exec_lo, exec_lo, s36
.LBB548_46:                             ;   in Loop: Header=BB548_5 Depth=1
	ds_store_2addr_b32 v17, v28, v29 offset1:32
	ds_store_2addr_b32 v17, v30, v31 offset0:64 offset1:96
	s_wait_dscnt 0x0
	s_barrier_signal -1
	s_barrier_wait -1
                                        ; implicit-def: $vgpr6
	s_and_saveexec_b32 s7, s0
	s_cbranch_execz .LBB548_66
; %bb.47:                               ;   in Loop: Header=BB548_5 Depth=1
	ds_load_2addr_stride64_b32 v[4:5], v19 offset1:2
	ds_load_2addr_stride64_b32 v[6:7], v19 offset0:4 offset1:6
	ds_load_2addr_stride64_b32 v[8:9], v19 offset0:8 offset1:10
	s_mov_b32 s35, s45
	s_wait_dscnt 0x2
	v_add_f32_e32 v10, v4, v5
	ds_load_2addr_stride64_b32 v[4:5], v19 offset0:12 offset1:14
	s_wait_dscnt 0x2
	v_add_f32_e32 v6, v6, v10
	s_delay_alu instid0(VALU_DEP_1) | instskip(SKIP_3) | instid1(VALU_DEP_1)
	v_add_f32_e32 v10, v7, v6
	ds_load_2addr_stride64_b32 v[6:7], v19 offset0:16 offset1:18
	s_wait_dscnt 0x2
	v_add_f32_e32 v8, v8, v10
	v_add_f32_e32 v10, v9, v8
	ds_load_2addr_stride64_b32 v[8:9], v19 offset0:20 offset1:22
	s_wait_dscnt 0x2
	v_add_f32_e32 v4, v4, v10
	s_delay_alu instid0(VALU_DEP_1) | instskip(SKIP_1) | instid1(VALU_DEP_1)
	v_add_f32_e32 v4, v5, v4
	s_wait_dscnt 0x1
	v_add_f32_e32 v6, v6, v4
	ds_load_2addr_stride64_b32 v[4:5], v19 offset0:24 offset1:26
	v_add_f32_e32 v6, v7, v6
	s_wait_dscnt 0x1
	s_delay_alu instid0(VALU_DEP_1) | instskip(SKIP_3) | instid1(VALU_DEP_1)
	v_add_f32_e32 v8, v8, v6
	ds_load_2addr_stride64_b32 v[6:7], v19 offset0:28 offset1:30
	v_add_f32_e32 v8, v9, v8
	s_wait_dscnt 0x1
	v_add_f32_e32 v4, v4, v8
	s_delay_alu instid0(VALU_DEP_1) | instskip(SKIP_1) | instid1(VALU_DEP_1)
	v_add_f32_e32 v4, v5, v4
	s_wait_dscnt 0x0
	v_add_f32_e32 v4, v6, v4
                                        ; implicit-def: $vgpr6
	s_delay_alu instid0(VALU_DEP_1)
	v_add_f32_e32 v4, v7, v4
	ds_store_b32 v19, v4
	s_and_saveexec_b32 s34, s6
	s_cbranch_execz .LBB548_65
; %bb.48:                               ;   in Loop: Header=BB548_5 Depth=1
	v_mul_f32_e32 v4, s22, v4
	s_and_b32 vcc_lo, exec_lo, s40
	s_mov_b32 s35, -1
                                        ; implicit-def: $vgpr5
	s_cbranch_vccz .LBB548_54
; %bb.49:                               ;   in Loop: Header=BB548_5 Depth=1
	s_delay_alu instid0(VALU_DEP_1) | instskip(NEXT) | instid1(VALU_DEP_1)
	v_and_b32_e32 v5, 0x7f800000, v4
	v_cmp_ne_u32_e32 vcc_lo, 0x7f800000, v5
                                        ; implicit-def: $vgpr5
	s_and_saveexec_b32 s35, vcc_lo
	s_delay_alu instid0(SALU_CYCLE_1)
	s_xor_b32 s35, exec_lo, s35
; %bb.50:                               ;   in Loop: Header=BB548_5 Depth=1
	v_bfe_u32 v5, v4, 16, 1
	s_delay_alu instid0(VALU_DEP_1)
	v_add3_u32 v5, v4, v5, 0x7fff
; %bb.51:                               ;   in Loop: Header=BB548_5 Depth=1
	s_and_not1_saveexec_b32 s35, s35
; %bb.52:                               ;   in Loop: Header=BB548_5 Depth=1
	v_and_b32_e32 v5, 0xffff, v4
	v_or_b32_e32 v6, 0x10000, v4
	s_delay_alu instid0(VALU_DEP_2) | instskip(NEXT) | instid1(VALU_DEP_2)
	v_cmp_eq_u32_e32 vcc_lo, 0, v5
	v_cndmask_b32_e32 v5, v6, v4, vcc_lo
; %bb.53:                               ;   in Loop: Header=BB548_5 Depth=1
	s_or_b32 exec_lo, exec_lo, s35
	s_mov_b32 s35, 0
.LBB548_54:                             ;   in Loop: Header=BB548_5 Depth=1
	s_delay_alu instid0(SALU_CYCLE_1)
	s_and_not1_b32 vcc_lo, exec_lo, s35
	s_cbranch_vccnz .LBB548_64
; %bb.55:                               ;   in Loop: Header=BB548_5 Depth=1
	v_lshl_add_u64 v[6:7], v[2:3], 1, s[16:17]
	global_load_u16 v5, v[6:7], off
	s_wait_loadcnt 0x0
	v_lshlrev_b32_e32 v5, 16, v5
	s_delay_alu instid0(VALU_DEP_1) | instskip(SKIP_1) | instid1(VALU_DEP_1)
	v_mul_f32_e32 v5, s26, v5
	s_wait_xcnt 0x0
	v_and_b32_e32 v6, 0x7f800000, v5
	s_delay_alu instid0(VALU_DEP_1) | instskip(SKIP_1) | instid1(SALU_CYCLE_1)
	v_cmp_ne_u32_e32 vcc_lo, 0x7f800000, v6
                                        ; implicit-def: $vgpr6
	s_and_saveexec_b32 s35, vcc_lo
	s_xor_b32 s35, exec_lo, s35
; %bb.56:                               ;   in Loop: Header=BB548_5 Depth=1
	v_bfe_u32 v6, v5, 16, 1
	s_delay_alu instid0(VALU_DEP_1)
	v_add3_u32 v6, v5, v6, 0x7fff
                                        ; implicit-def: $vgpr5
; %bb.57:                               ;   in Loop: Header=BB548_5 Depth=1
	s_and_not1_saveexec_b32 s35, s35
; %bb.58:                               ;   in Loop: Header=BB548_5 Depth=1
	v_and_b32_e32 v6, 0xffff, v5
	v_or_b32_e32 v7, 0x10000, v5
	s_delay_alu instid0(VALU_DEP_2) | instskip(NEXT) | instid1(VALU_DEP_2)
	v_cmp_eq_u32_e32 vcc_lo, 0, v6
	v_cndmask_b32_e32 v6, v7, v5, vcc_lo
; %bb.59:                               ;   in Loop: Header=BB548_5 Depth=1
	s_or_b32 exec_lo, exec_lo, s35
	s_delay_alu instid0(VALU_DEP_1) | instskip(NEXT) | instid1(VALU_DEP_1)
	v_and_b32_e32 v5, 0xffff0000, v6
	v_add_f32_e32 v4, v4, v5
	s_delay_alu instid0(VALU_DEP_1) | instskip(NEXT) | instid1(VALU_DEP_1)
	v_and_b32_e32 v5, 0x7f800000, v4
	v_cmp_ne_u32_e32 vcc_lo, 0x7f800000, v5
                                        ; implicit-def: $vgpr5
	s_and_saveexec_b32 s35, vcc_lo
	s_delay_alu instid0(SALU_CYCLE_1)
	s_xor_b32 s35, exec_lo, s35
; %bb.60:                               ;   in Loop: Header=BB548_5 Depth=1
	v_bfe_u32 v5, v4, 16, 1
	s_delay_alu instid0(VALU_DEP_1)
	v_add3_u32 v5, v4, v5, 0x7fff
                                        ; implicit-def: $vgpr4
; %bb.61:                               ;   in Loop: Header=BB548_5 Depth=1
	s_and_not1_saveexec_b32 s35, s35
; %bb.62:                               ;   in Loop: Header=BB548_5 Depth=1
	v_and_b32_e32 v5, 0xffff, v4
	v_or_b32_e32 v6, 0x10000, v4
	s_delay_alu instid0(VALU_DEP_2) | instskip(NEXT) | instid1(VALU_DEP_2)
	v_cmp_eq_u32_e32 vcc_lo, 0, v5
	v_cndmask_b32_e32 v5, v6, v4, vcc_lo
; %bb.63:                               ;   in Loop: Header=BB548_5 Depth=1
	s_or_b32 exec_lo, exec_lo, s35
.LBB548_64:                             ;   in Loop: Header=BB548_5 Depth=1
	s_delay_alu instid0(VALU_DEP_1)
	v_lshrrev_b32_e32 v6, 16, v5
	s_or_b32 s35, s45, exec_lo
.LBB548_65:                             ;   in Loop: Header=BB548_5 Depth=1
	s_or_b32 exec_lo, exec_lo, s34
	s_delay_alu instid0(SALU_CYCLE_1) | instskip(SKIP_1) | instid1(SALU_CYCLE_1)
	s_and_not1_b32 s34, s45, exec_lo
	s_and_b32 s35, s35, exec_lo
	s_or_b32 s45, s34, s35
.LBB548_66:                             ;   in Loop: Header=BB548_5 Depth=1
	s_or_b32 exec_lo, exec_lo, s7
	v_mov_b64_e32 v[4:5], v[2:3]
	s_and_saveexec_b32 s7, s45
	s_cbranch_execz .LBB548_3
	s_branch .LBB548_69
.LBB548_67:                             ;   in Loop: Header=BB548_5 Depth=1
	v_mov_b32_e32 v6, 0
	s_mov_b32 s45, exec_lo
	s_or_b32 exec_lo, exec_lo, s34
	s_delay_alu instid0(SALU_CYCLE_1)
	s_and_b32 vcc_lo, exec_lo, s7
	s_cbranch_vccnz .LBB548_16
.LBB548_68:                             ;   in Loop: Header=BB548_5 Depth=1
	v_mov_b64_e32 v[4:5], v[0:1]
	s_and_saveexec_b32 s7, s45
	s_cbranch_execz .LBB548_3
.LBB548_69:                             ;   in Loop: Header=BB548_5 Depth=1
	s_delay_alu instid0(VALU_DEP_1)
	v_lshl_add_u64 v[4:5], v[4:5], 1, s[16:17]
	global_store_b16 v[4:5], v6, off
	s_branch .LBB548_3
.LBB548_70:
	s_endpgm
	.section	.rodata,"a",@progbits
	.p2align	6, 0x0
	.amdhsa_kernel _ZL20rocblas_gemvn_kernelILi32ELi16Ei16rocblas_bfloat16fS0_EviiT3_lPKT2_lT1_lS4_lS5_lS1_lPT4_lS5_li
		.amdhsa_group_segment_fixed_size 8192
		.amdhsa_private_segment_fixed_size 0
		.amdhsa_kernarg_size 400
		.amdhsa_user_sgpr_count 2
		.amdhsa_user_sgpr_dispatch_ptr 0
		.amdhsa_user_sgpr_queue_ptr 0
		.amdhsa_user_sgpr_kernarg_segment_ptr 1
		.amdhsa_user_sgpr_dispatch_id 0
		.amdhsa_user_sgpr_kernarg_preload_length 0
		.amdhsa_user_sgpr_kernarg_preload_offset 0
		.amdhsa_user_sgpr_private_segment_size 0
		.amdhsa_wavefront_size32 1
		.amdhsa_uses_dynamic_stack 0
		.amdhsa_enable_private_segment 0
		.amdhsa_system_sgpr_workgroup_id_x 1
		.amdhsa_system_sgpr_workgroup_id_y 0
		.amdhsa_system_sgpr_workgroup_id_z 1
		.amdhsa_system_sgpr_workgroup_info 0
		.amdhsa_system_vgpr_workitem_id 1
		.amdhsa_next_free_vgpr 53
		.amdhsa_next_free_sgpr 52
		.amdhsa_named_barrier_count 0
		.amdhsa_reserve_vcc 1
		.amdhsa_float_round_mode_32 0
		.amdhsa_float_round_mode_16_64 0
		.amdhsa_float_denorm_mode_32 3
		.amdhsa_float_denorm_mode_16_64 3
		.amdhsa_fp16_overflow 0
		.amdhsa_memory_ordered 1
		.amdhsa_forward_progress 1
		.amdhsa_inst_pref_size 29
		.amdhsa_round_robin_scheduling 0
		.amdhsa_exception_fp_ieee_invalid_op 0
		.amdhsa_exception_fp_denorm_src 0
		.amdhsa_exception_fp_ieee_div_zero 0
		.amdhsa_exception_fp_ieee_overflow 0
		.amdhsa_exception_fp_ieee_underflow 0
		.amdhsa_exception_fp_ieee_inexact 0
		.amdhsa_exception_int_div_zero 0
	.end_amdhsa_kernel
	.section	.text._ZL20rocblas_gemvn_kernelILi32ELi16Ei16rocblas_bfloat16fS0_EviiT3_lPKT2_lT1_lS4_lS5_lS1_lPT4_lS5_li,"axG",@progbits,_ZL20rocblas_gemvn_kernelILi32ELi16Ei16rocblas_bfloat16fS0_EviiT3_lPKT2_lT1_lS4_lS5_lS1_lPT4_lS5_li,comdat
.Lfunc_end548:
	.size	_ZL20rocblas_gemvn_kernelILi32ELi16Ei16rocblas_bfloat16fS0_EviiT3_lPKT2_lT1_lS4_lS5_lS1_lPT4_lS5_li, .Lfunc_end548-_ZL20rocblas_gemvn_kernelILi32ELi16Ei16rocblas_bfloat16fS0_EviiT3_lPKT2_lT1_lS4_lS5_lS1_lPT4_lS5_li
                                        ; -- End function
	.set _ZL20rocblas_gemvn_kernelILi32ELi16Ei16rocblas_bfloat16fS0_EviiT3_lPKT2_lT1_lS4_lS5_lS1_lPT4_lS5_li.num_vgpr, 53
	.set _ZL20rocblas_gemvn_kernelILi32ELi16Ei16rocblas_bfloat16fS0_EviiT3_lPKT2_lT1_lS4_lS5_lS1_lPT4_lS5_li.num_agpr, 0
	.set _ZL20rocblas_gemvn_kernelILi32ELi16Ei16rocblas_bfloat16fS0_EviiT3_lPKT2_lT1_lS4_lS5_lS1_lPT4_lS5_li.numbered_sgpr, 52
	.set _ZL20rocblas_gemvn_kernelILi32ELi16Ei16rocblas_bfloat16fS0_EviiT3_lPKT2_lT1_lS4_lS5_lS1_lPT4_lS5_li.num_named_barrier, 0
	.set _ZL20rocblas_gemvn_kernelILi32ELi16Ei16rocblas_bfloat16fS0_EviiT3_lPKT2_lT1_lS4_lS5_lS1_lPT4_lS5_li.private_seg_size, 0
	.set _ZL20rocblas_gemvn_kernelILi32ELi16Ei16rocblas_bfloat16fS0_EviiT3_lPKT2_lT1_lS4_lS5_lS1_lPT4_lS5_li.uses_vcc, 1
	.set _ZL20rocblas_gemvn_kernelILi32ELi16Ei16rocblas_bfloat16fS0_EviiT3_lPKT2_lT1_lS4_lS5_lS1_lPT4_lS5_li.uses_flat_scratch, 0
	.set _ZL20rocblas_gemvn_kernelILi32ELi16Ei16rocblas_bfloat16fS0_EviiT3_lPKT2_lT1_lS4_lS5_lS1_lPT4_lS5_li.has_dyn_sized_stack, 0
	.set _ZL20rocblas_gemvn_kernelILi32ELi16Ei16rocblas_bfloat16fS0_EviiT3_lPKT2_lT1_lS4_lS5_lS1_lPT4_lS5_li.has_recursion, 0
	.set _ZL20rocblas_gemvn_kernelILi32ELi16Ei16rocblas_bfloat16fS0_EviiT3_lPKT2_lT1_lS4_lS5_lS1_lPT4_lS5_li.has_indirect_call, 0
	.section	.AMDGPU.csdata,"",@progbits
; Kernel info:
; codeLenInByte = 3640
; TotalNumSgprs: 54
; NumVgprs: 53
; ScratchSize: 0
; MemoryBound: 0
; FloatMode: 240
; IeeeMode: 1
; LDSByteSize: 8192 bytes/workgroup (compile time only)
; SGPRBlocks: 0
; VGPRBlocks: 3
; NumSGPRsForWavesPerEU: 54
; NumVGPRsForWavesPerEU: 53
; NamedBarCnt: 0
; Occupancy: 16
; WaveLimiterHint : 1
; COMPUTE_PGM_RSRC2:SCRATCH_EN: 0
; COMPUTE_PGM_RSRC2:USER_SGPR: 2
; COMPUTE_PGM_RSRC2:TRAP_HANDLER: 0
; COMPUTE_PGM_RSRC2:TGID_X_EN: 1
; COMPUTE_PGM_RSRC2:TGID_Y_EN: 0
; COMPUTE_PGM_RSRC2:TGID_Z_EN: 1
; COMPUTE_PGM_RSRC2:TIDIG_COMP_CNT: 1
	.section	.text._ZL20rocblas_gemvn_kernelILi32ELi16El16rocblas_bfloat16fS0_EviiT3_lPKT2_lT1_lS4_lS5_lS1_lPT4_lS5_li,"axG",@progbits,_ZL20rocblas_gemvn_kernelILi32ELi16El16rocblas_bfloat16fS0_EviiT3_lPKT2_lT1_lS4_lS5_lS1_lPT4_lS5_li,comdat
	.globl	_ZL20rocblas_gemvn_kernelILi32ELi16El16rocblas_bfloat16fS0_EviiT3_lPKT2_lT1_lS4_lS5_lS1_lPT4_lS5_li ; -- Begin function _ZL20rocblas_gemvn_kernelILi32ELi16El16rocblas_bfloat16fS0_EviiT3_lPKT2_lT1_lS4_lS5_lS1_lPT4_lS5_li
	.p2align	8
	.type	_ZL20rocblas_gemvn_kernelILi32ELi16El16rocblas_bfloat16fS0_EviiT3_lPKT2_lT1_lS4_lS5_lS1_lPT4_lS5_li,@function
_ZL20rocblas_gemvn_kernelILi32ELi16El16rocblas_bfloat16fS0_EviiT3_lPKT2_lT1_lS4_lS5_lS1_lPT4_lS5_li: ; @_ZL20rocblas_gemvn_kernelILi32ELi16El16rocblas_bfloat16fS0_EviiT3_lPKT2_lT1_lS4_lS5_lS1_lPT4_lS5_li
; %bb.0:
	s_load_b64 s[2:3], s[0:1], 0x9c
	s_wait_kmcnt 0x0
	s_lshr_b32 s4, s2, 16
	s_and_b32 s2, s2, 0xffff
	s_and_b32 s3, s3, 0xffff
	s_mul_i32 s2, s4, s2
	s_delay_alu instid0(SALU_CYCLE_1) | instskip(NEXT) | instid1(SALU_CYCLE_1)
	s_mul_i32 s2, s2, s3
	s_cmp_lg_u32 s2, 0x200
	s_cbranch_scc1 .LBB549_70
; %bb.1:
	s_load_b32 s33, s[0:1], 0x88
	s_bfe_u32 s2, ttmp6, 0x40014
	s_lshr_b32 s3, ttmp7, 16
	s_add_co_i32 s2, s2, 1
	s_bfe_u32 s4, ttmp6, 0x40008
	s_mul_i32 s2, s3, s2
	s_getreg_b32 s6, hwreg(HW_REG_IB_STS2, 6, 4)
	s_add_co_i32 s4, s4, s2
	s_cmp_eq_u32 s6, 0
	s_mov_b32 s35, 0
	s_cselect_b32 s34, s3, s4
	s_wait_kmcnt 0x0
	s_cmp_ge_u32 s34, s33
	s_cbranch_scc1 .LBB549_70
; %bb.2:
	s_clause 0x3
	s_load_b512 s[8:23], s[0:1], 0x18
	s_load_b256 s[24:31], s[0:1], 0x68
	s_load_b96 s[36:38], s[0:1], 0x0
	s_load_b32 s39, s[0:1], 0x58
	v_and_b32_e32 v8, 0x3ff, v0
	v_bfe_u32 v2, v0, 10, 10
	s_delay_alu instid0(VALU_DEP_2) | instskip(NEXT) | instid1(VALU_DEP_2)
	v_dual_mov_b32 v1, 0 :: v_dual_lshlrev_b32 v0, 2, v8
	v_lshl_add_u32 v9, v2, 5, v8
	s_delay_alu instid0(VALU_DEP_2) | instskip(NEXT) | instid1(VALU_DEP_3)
	v_dual_mov_b32 v3, v1 :: v_dual_lshlrev_b32 v52, 2, v2
	v_lshl_add_u32 v53, v2, 9, v0
	v_lshl_add_u32 v54, v2, 7, v0
	s_wait_xcnt 0x0
	v_cmp_gt_u32_e64 s0, 0x80, v9
	s_wait_kmcnt 0x0
	s_lshl_b64 s[4:5], s[10:11], 1
	s_lshl_b64 s[10:11], s[18:19], 1
	;; [unrolled: 1-line block ×3, first 2 shown]
	s_cmp_eq_f32 s38, 0
	s_mov_b32 s40, s36
	v_mul_u64_e32 v[10:11], s[20:21], v[2:3]
	v_mul_u64_e32 v[12:13], s[12:13], v[2:3]
	s_cselect_b32 s46, -1, 0
	s_cmp_neq_f32 s38, 0
	v_mad_nc_u64_u32 v[4:5], s20, v52, s[20:21]
	v_mad_nc_u64_u32 v[6:7], s12, v52, s[12:13]
	s_add_nc_u64 s[24:25], s[24:25], s[2:3]
	s_cselect_b32 s1, -1, 0
	s_cmp_neq_f32 s39, 1.0
	s_add_nc_u64 s[26:27], s[16:17], s[10:11]
	s_cselect_b32 s7, -1, 0
	s_bfe_u32 s18, ttmp6, 0x4000c
	s_and_b32 s19, ttmp6, 15
	s_add_co_i32 s18, s18, 1
	s_or_b32 s47, s1, s7
	s_mul_i32 s18, ttmp9, s18
	v_mad_u32 v5, s21, v52, v5
	s_add_co_i32 s19, s19, s18
	s_cmp_eq_u32 s6, 0
	v_mad_u32 v7, s13, v52, v7
	s_cselect_b32 s1, ttmp9, s19
	s_ashr_i32 s41, s36, 31
	s_lshl_b32 s1, s1, 7
	s_cmp_neq_f32 s39, 0
	v_dual_add_nc_u32 v0, s1, v9 :: v_dual_bitop2_b32 v14, s1, v9 bitop3:0x54
	v_add_nc_u32_e32 v20, s1, v8
	s_cselect_b32 s48, -1, 0
	s_cmp_eq_f32 s39, 0
	s_delay_alu instid0(VALU_DEP_2)
	v_cmp_gt_i64_e32 vcc_lo, s[40:41], v[0:1]
	v_mul_u64_e32 v[2:3], s[28:29], v[0:1]
	v_dual_ashrrev_i32 v15, 31, v14 :: v_dual_bitop2_b32 v0, 3, v52 bitop3:0x54
	s_cselect_b32 s49, -1, 0
	s_ashr_i32 s3, s37, 31
	s_add_nc_u64 s[18:19], s[8:9], s[4:5]
	s_delay_alu instid0(VALU_DEP_1)
	v_mul_u64_e32 v[16:17], s[12:13], v[0:1]
	v_mul_u64_e32 v[18:19], s[20:21], v[0:1]
	v_or_b32_e32 v0, 2, v52
	v_mul_u64_e32 v[8:9], s[28:29], v[14:15]
	s_lshr_b32 s4, s3, 26
	v_dual_ashrrev_i32 v21, 31, v20 :: v_dual_add_nc_u32 v15, 64, v20
	s_delay_alu instid0(VALU_DEP_3)
	v_mul_u64_e32 v[22:23], s[12:13], v[0:1]
	v_mul_u64_e32 v[24:25], s[20:21], v[0:1]
	s_add_co_i32 s50, s37, s4
	v_add_nc_u32_e32 v0, 32, v20
	v_add_nc_u32_e32 v26, 0x60, v20
	s_and_not1_b32 s50, s50, 63
	v_cmp_gt_i32_e64 s2, s36, v14
	v_cmp_gt_i32_e64 s4, s36, v15
	s_sub_co_i32 s6, s37, s50
	v_lshlrev_b64_e32 v[14:15], 1, v[20:21]
	v_lshl_add_u64 v[4:5], v[4:5], 1, s[16:17]
	v_lshl_add_u64 v[6:7], v[6:7], 1, s[18:19]
	v_cmp_gt_i32_e64 s1, s36, v20
	v_lshl_add_u64 v[10:11], v[10:11], 3, s[16:17]
	v_lshl_add_u64 v[12:13], v[12:13], 3, s[18:19]
	v_cmp_gt_i32_e64 s3, s36, v0
	v_cmp_gt_i32_e64 s5, s36, v26
	s_cmp_gt_i32 s6, 0
	v_cmp_gt_i32_e64 s6, s50, v52
	s_cselect_b32 s36, -1, 0
	s_and_b32 s51, s0, vcc_lo
	s_lshl_b64 s[28:29], s[22:23], 1
	s_lshl_b64 s[40:41], s[14:15], 1
	;; [unrolled: 1-line block ×3, first 2 shown]
	v_lshl_add_u64 v[16:17], v[16:17], 1, s[18:19]
	v_lshl_add_u64 v[18:19], v[18:19], 1, s[16:17]
	;; [unrolled: 1-line block ×4, first 2 shown]
	s_lshl_b64 s[16:17], s[20:21], 7
	s_branch .LBB549_5
.LBB549_3:                              ;   in Loop: Header=BB549_5 Depth=1
	s_wait_xcnt 0x0
	s_or_b32 exec_lo, exec_lo, s7
.LBB549_4:                              ;   in Loop: Header=BB549_5 Depth=1
	s_add_co_i32 s34, s34, 0x10000
	s_delay_alu instid0(SALU_CYCLE_1)
	s_cmp_lt_u32 s34, s33
	s_cbranch_scc0 .LBB549_70
.LBB549_5:                              ; =>This Loop Header: Depth=1
                                        ;     Child Loop BB549_22 Depth 2
	s_and_not1_b32 vcc_lo, exec_lo, s47
	s_cbranch_vccnz .LBB549_4
; %bb.6:                                ;   in Loop: Header=BB549_5 Depth=1
	s_mul_u64 s[8:9], s[30:31], s[34:35]
	s_and_not1_b32 vcc_lo, exec_lo, s46
	s_lshl_b64 s[8:9], s[8:9], 1
	s_delay_alu instid0(SALU_CYCLE_1)
	s_add_nc_u64 s[44:45], s[24:25], s[8:9]
	s_cbranch_vccnz .LBB549_14
; %bb.7:                                ;   in Loop: Header=BB549_5 Depth=1
	s_mov_b32 s7, 0
	s_mov_b32 s52, 0
                                        ; implicit-def: $vgpr0
	s_and_saveexec_b32 s8, s51
	s_cbranch_execz .LBB549_15
; %bb.8:                                ;   in Loop: Header=BB549_5 Depth=1
	s_and_not1_b32 vcc_lo, exec_lo, s48
	s_cbranch_vccnz .LBB549_67
; %bb.9:                                ;   in Loop: Header=BB549_5 Depth=1
	v_lshl_add_u64 v[24:25], v[2:3], 1, s[44:45]
	global_load_u16 v0, v[24:25], off
	s_wait_loadcnt 0x0
	v_lshlrev_b32_e32 v0, 16, v0
	s_delay_alu instid0(VALU_DEP_1) | instskip(SKIP_1) | instid1(VALU_DEP_1)
	v_mul_f32_e32 v0, s39, v0
	s_wait_xcnt 0x0
	v_and_b32_e32 v24, 0x7f800000, v0
	s_delay_alu instid0(VALU_DEP_1) | instskip(SKIP_1) | instid1(SALU_CYCLE_1)
	v_cmp_ne_u32_e32 vcc_lo, 0x7f800000, v24
                                        ; implicit-def: $vgpr24
	s_and_saveexec_b32 s9, vcc_lo
	s_xor_b32 s9, exec_lo, s9
; %bb.10:                               ;   in Loop: Header=BB549_5 Depth=1
	v_bfe_u32 v24, v0, 16, 1
	s_delay_alu instid0(VALU_DEP_1)
	v_add3_u32 v24, v0, v24, 0x7fff
                                        ; implicit-def: $vgpr0
; %bb.11:                               ;   in Loop: Header=BB549_5 Depth=1
	s_and_not1_saveexec_b32 s9, s9
; %bb.12:                               ;   in Loop: Header=BB549_5 Depth=1
	v_and_b32_e32 v24, 0xffff, v0
	v_or_b32_e32 v25, 0x10000, v0
	s_delay_alu instid0(VALU_DEP_2) | instskip(NEXT) | instid1(VALU_DEP_2)
	v_cmp_eq_u32_e32 vcc_lo, 0, v24
	v_cndmask_b32_e32 v24, v25, v0, vcc_lo
; %bb.13:                               ;   in Loop: Header=BB549_5 Depth=1
	s_or_b32 exec_lo, exec_lo, s9
	s_delay_alu instid0(VALU_DEP_1) | instskip(SKIP_2) | instid1(SALU_CYCLE_1)
	v_lshrrev_b32_e32 v0, 16, v24
	s_mov_b32 s52, exec_lo
	s_or_b32 exec_lo, exec_lo, s8
	s_and_b32 vcc_lo, exec_lo, s7
	s_cbranch_vccnz .LBB549_16
	s_branch .LBB549_68
.LBB549_14:                             ;   in Loop: Header=BB549_5 Depth=1
	s_mov_b32 s52, 0
                                        ; implicit-def: $vgpr0
	s_cbranch_execnz .LBB549_16
	s_branch .LBB549_68
.LBB549_15:                             ;   in Loop: Header=BB549_5 Depth=1
	s_or_b32 exec_lo, exec_lo, s8
	s_delay_alu instid0(SALU_CYCLE_1)
	s_and_b32 vcc_lo, exec_lo, s7
	s_cbranch_vccz .LBB549_68
.LBB549_16:                             ;   in Loop: Header=BB549_5 Depth=1
	v_dual_mov_b32 v55, 0 :: v_dual_mov_b32 v0, v52
	v_dual_mov_b32 v56, 0 :: v_dual_mov_b32 v57, 0
	v_mov_b32_e32 v58, 0
	s_and_saveexec_b32 s7, s6
	s_cbranch_execz .LBB549_28
; %bb.17:                               ;   in Loop: Header=BB549_5 Depth=1
	s_mul_u64 s[8:9], s[28:29], s[34:35]
	s_mul_u64 s[54:55], s[40:41], s[34:35]
	v_add_nc_u64_e32 v[24:25], s[8:9], v[10:11]
	v_add_nc_u64_e32 v[26:27], s[54:55], v[16:17]
	;; [unrolled: 1-line block ×8, first 2 shown]
	v_dual_mov_b32 v55, 0 :: v_dual_mov_b32 v0, v52
	v_dual_mov_b32 v56, 0 :: v_dual_mov_b32 v57, 0
	v_mov_b32_e32 v58, 0
	s_mov_b32 s8, 0
	s_branch .LBB549_22
.LBB549_18:                             ;   in Loop: Header=BB549_22 Depth=2
	s_or_b32 exec_lo, exec_lo, s55
	s_wait_loadcnt 0x2
	v_dual_lshlrev_b32 v45, 16, v70 :: v_dual_lshlrev_b32 v44, 16, v69
	s_wait_loadcnt 0x0
	v_dual_lshlrev_b32 v47, 16, v68 :: v_dual_lshlrev_b32 v46, 16, v67
	s_delay_alu instid0(VALU_DEP_2) | instskip(NEXT) | instid1(VALU_DEP_1)
	v_pk_mul_f32 v[44:45], v[42:43], v[44:45]
	v_add_f32_e32 v44, v57, v44
	s_delay_alu instid0(VALU_DEP_1) | instskip(NEXT) | instid1(VALU_DEP_4)
	v_add_f32_e32 v48, v44, v45
	v_pk_mul_f32 v[44:45], v[40:41], v[46:47]
	s_delay_alu instid0(VALU_DEP_1) | instskip(NEXT) | instid1(VALU_DEP_1)
	v_add_f32_e32 v44, v48, v44
	v_add_f32_e32 v57, v44, v45
.LBB549_19:                             ;   in Loop: Header=BB549_22 Depth=2
	s_or_b32 exec_lo, exec_lo, s54
	s_wait_loadcnt 0x2
	v_dual_lshlrev_b32 v45, 16, v66 :: v_dual_lshlrev_b32 v44, 16, v65
	s_wait_loadcnt 0x0
	v_dual_lshlrev_b32 v47, 16, v64 :: v_dual_lshlrev_b32 v46, 16, v63
	s_delay_alu instid0(VALU_DEP_2) | instskip(NEXT) | instid1(VALU_DEP_1)
	v_pk_mul_f32 v[44:45], v[42:43], v[44:45]
	v_add_f32_e32 v44, v56, v44
	s_delay_alu instid0(VALU_DEP_1) | instskip(NEXT) | instid1(VALU_DEP_4)
	v_add_f32_e32 v48, v44, v45
	v_pk_mul_f32 v[44:45], v[40:41], v[46:47]
	s_delay_alu instid0(VALU_DEP_1) | instskip(NEXT) | instid1(VALU_DEP_1)
	v_add_f32_e32 v44, v48, v44
	v_add_f32_e32 v56, v44, v45
.LBB549_20:                             ;   in Loop: Header=BB549_22 Depth=2
	s_or_b32 exec_lo, exec_lo, s53
	s_wait_loadcnt 0x2
	v_dual_lshlrev_b32 v45, 16, v62 :: v_dual_lshlrev_b32 v44, 16, v61
	s_delay_alu instid0(VALU_DEP_1) | instskip(SKIP_1) | instid1(VALU_DEP_1)
	v_pk_mul_f32 v[42:43], v[42:43], v[44:45]
	s_wait_loadcnt 0x0
	v_dual_add_f32 v42, v55, v42 :: v_dual_lshlrev_b32 v45, 16, v60
	s_delay_alu instid0(VALU_DEP_1) | instskip(SKIP_1) | instid1(VALU_DEP_1)
	v_add_f32_e32 v42, v42, v43
	v_lshlrev_b32_e32 v44, 16, v59
	v_pk_mul_f32 v[40:41], v[40:41], v[44:45]
	s_delay_alu instid0(VALU_DEP_1) | instskip(NEXT) | instid1(VALU_DEP_1)
	v_add_f32_e32 v40, v42, v40
	v_add_f32_e32 v55, v40, v41
.LBB549_21:                             ;   in Loop: Header=BB549_22 Depth=2
	s_or_b32 exec_lo, exec_lo, s9
	v_add_nc_u32_e32 v0, 64, v0
	v_add_nc_u64_e32 v[24:25], s[16:17], v[24:25]
	v_add_nc_u64_e32 v[26:27], s[42:43], v[26:27]
	;; [unrolled: 1-line block ×7, first 2 shown]
	v_cmp_le_i32_e32 vcc_lo, s50, v0
	v_add_nc_u64_e32 v[38:39], s[42:43], v[38:39]
	s_or_b32 s8, vcc_lo, s8
	s_delay_alu instid0(SALU_CYCLE_1)
	s_and_not1_b32 exec_lo, exec_lo, s8
	s_cbranch_execz .LBB549_27
.LBB549_22:                             ;   Parent Loop BB549_5 Depth=1
                                        ; =>  This Inner Loop Header: Depth=2
	s_and_saveexec_b32 s9, s1
	s_cbranch_execz .LBB549_21
; %bb.23:                               ;   in Loop: Header=BB549_22 Depth=2
	v_add_nc_u64_e32 v[40:41], s[10:11], v[24:25]
	v_add_nc_u64_e32 v[42:43], s[10:11], v[36:37]
	;; [unrolled: 1-line block ×7, first 2 shown]
	global_load_u16 v63, v[40:41], off
	global_load_u16 v68, v[42:43], off
	v_add_nc_u64_e32 v[48:49], v[26:27], v[14:15]
	global_load_u16 v40, v[66:67], off
	global_load_u16 v69, v[64:65], off
	;; [unrolled: 1-line block ×6, first 2 shown]
	s_wait_loadcnt 0x4
	v_dual_lshlrev_b32 v41, 16, v40 :: v_dual_lshlrev_b32 v40, 16, v69
	s_wait_xcnt 0x6
	v_dual_lshlrev_b32 v43, 16, v68 :: v_dual_lshlrev_b32 v42, 16, v63
	s_wait_xcnt 0x0
	s_and_saveexec_b32 s53, s3
	s_cbranch_execz .LBB549_20
; %bb.24:                               ;   in Loop: Header=BB549_22 Depth=2
	global_load_u16 v65, v[46:47], off offset:64
	global_load_u16 v66, v[50:51], off offset:64
	global_load_u16 v63, v[44:45], off offset:64
	global_load_u16 v64, v[48:49], off offset:64
	s_wait_xcnt 0x0
	s_and_saveexec_b32 s54, s4
	s_cbranch_execz .LBB549_19
; %bb.25:                               ;   in Loop: Header=BB549_22 Depth=2
	global_load_u16 v69, v[46:47], off offset:128
	global_load_u16 v70, v[50:51], off offset:128
	global_load_u16 v67, v[44:45], off offset:128
	global_load_u16 v68, v[48:49], off offset:128
	;; [unrolled: 8-line block ×3, first 2 shown]
	s_wait_loadcnt 0x3
	s_wait_xcnt 0x0
	v_lshlrev_b32_e32 v45, 16, v50
	s_wait_loadcnt 0x1
	v_dual_lshlrev_b32 v44, 16, v46 :: v_dual_lshlrev_b32 v47, 16, v47
	s_wait_loadcnt 0x0
	v_lshlrev_b32_e32 v46, 16, v48
	s_delay_alu instid0(VALU_DEP_2) | instskip(NEXT) | instid1(VALU_DEP_1)
	v_pk_mul_f32 v[44:45], v[42:43], v[44:45]
	v_add_f32_e32 v44, v58, v44
	s_delay_alu instid0(VALU_DEP_1) | instskip(NEXT) | instid1(VALU_DEP_4)
	v_add_f32_e32 v48, v44, v45
	v_pk_mul_f32 v[44:45], v[40:41], v[46:47]
	s_delay_alu instid0(VALU_DEP_1) | instskip(NEXT) | instid1(VALU_DEP_1)
	v_add_f32_e32 v44, v48, v44
	v_add_f32_e32 v58, v44, v45
	s_branch .LBB549_18
.LBB549_27:                             ;   in Loop: Header=BB549_5 Depth=1
	s_or_b32 exec_lo, exec_lo, s8
.LBB549_28:                             ;   in Loop: Header=BB549_5 Depth=1
	s_delay_alu instid0(SALU_CYCLE_1) | instskip(NEXT) | instid1(SALU_CYCLE_1)
	s_or_b32 exec_lo, exec_lo, s7
	s_and_not1_b32 vcc_lo, exec_lo, s36
	s_cbranch_vccnz .LBB549_46
; %bb.29:                               ;   in Loop: Header=BB549_5 Depth=1
	v_dual_mov_b32 v24, 0 :: v_dual_bitop2_b32 v28, 1, v0 bitop3:0x54
	v_cmp_gt_i32_e32 vcc_lo, s37, v0
	s_delay_alu instid0(VALU_DEP_2)
	v_dual_mov_b32 v25, v24 :: v_dual_mov_b32 v26, v24
	v_mov_b32_e32 v27, v24
	s_and_saveexec_b32 s53, vcc_lo
	s_cbranch_execz .LBB549_37
; %bb.30:                               ;   in Loop: Header=BB549_5 Depth=1
	v_mul_u64_e32 v[24:25], s[20:21], v[0:1]
	s_mul_u64 s[8:9], s[22:23], s[34:35]
	v_mov_b32_e32 v27, 0
	s_lshl_b64 s[8:9], s[8:9], 1
	s_mov_b32 s54, exec_lo
	s_add_nc_u64 s[8:9], s[26:27], s[8:9]
	s_delay_alu instid0(VALU_DEP_2) | instid1(SALU_CYCLE_1)
	v_lshl_add_u64 v[24:25], v[24:25], 1, s[8:9]
	global_load_u16 v30, v[24:25], off
	s_wait_xcnt 0x0
	v_dual_mov_b32 v25, 0 :: v_dual_mov_b32 v24, 0
	v_cmpx_gt_i32_e64 s37, v28
	s_cbranch_execz .LBB549_36
; %bb.31:                               ;   in Loop: Header=BB549_5 Depth=1
	v_dual_mov_b32 v29, v1 :: v_dual_bitop2_b32 v26, 2, v0 bitop3:0x54
	s_mov_b32 s55, exec_lo
	s_delay_alu instid0(VALU_DEP_1) | instskip(NEXT) | instid1(VALU_DEP_1)
	v_mul_u64_e32 v[24:25], s[20:21], v[28:29]
	v_lshl_add_u64 v[24:25], v[24:25], 1, s[8:9]
	global_load_u16 v29, v[24:25], off
	s_wait_xcnt 0x0
	v_dual_mov_b32 v25, 0 :: v_dual_mov_b32 v24, 0
	v_cmpx_gt_i32_e64 s37, v26
	s_cbranch_execz .LBB549_35
; %bb.32:                               ;   in Loop: Header=BB549_5 Depth=1
	v_mov_b32_e32 v27, v1
	s_mov_b32 s56, exec_lo
	s_delay_alu instid0(VALU_DEP_1) | instskip(NEXT) | instid1(VALU_DEP_1)
	v_mul_u64_e32 v[24:25], s[20:21], v[26:27]
	v_lshl_add_u64 v[24:25], v[24:25], 1, s[8:9]
	global_load_u16 v26, v[24:25], off
	s_wait_xcnt 0x0
	v_dual_mov_b32 v25, 0 :: v_dual_bitop2_b32 v24, 3, v0 bitop3:0x54
	s_delay_alu instid0(VALU_DEP_1)
	v_cmpx_gt_i32_e64 s37, v24
	s_cbranch_execz .LBB549_34
; %bb.33:                               ;   in Loop: Header=BB549_5 Depth=1
	v_mov_b32_e32 v25, v1
	s_delay_alu instid0(VALU_DEP_1) | instskip(NEXT) | instid1(VALU_DEP_1)
	v_mul_u64_e32 v[24:25], s[20:21], v[24:25]
	v_lshl_add_u64 v[24:25], v[24:25], 1, s[8:9]
	global_load_u16 v24, v[24:25], off
	s_wait_loadcnt 0x0
	s_wait_xcnt 0x0
	v_lshlrev_b32_e32 v25, 16, v24
.LBB549_34:                             ;   in Loop: Header=BB549_5 Depth=1
	s_or_b32 exec_lo, exec_lo, s56
	s_wait_loadcnt 0x0
	v_lshlrev_b32_e32 v24, 16, v26
.LBB549_35:                             ;   in Loop: Header=BB549_5 Depth=1
	s_or_b32 exec_lo, exec_lo, s55
	s_wait_loadcnt 0x0
	v_lshlrev_b32_e32 v27, 16, v29
.LBB549_36:                             ;   in Loop: Header=BB549_5 Depth=1
	s_or_b32 exec_lo, exec_lo, s54
	s_wait_loadcnt 0x0
	v_lshlrev_b32_e32 v26, 16, v30
.LBB549_37:                             ;   in Loop: Header=BB549_5 Depth=1
	s_or_b32 exec_lo, exec_lo, s53
	s_and_saveexec_b32 s53, s1
	s_cbranch_execz .LBB549_45
; %bb.38:                               ;   in Loop: Header=BB549_5 Depth=1
	v_dual_mov_b32 v29, v1 :: v_dual_bitop2_b32 v30, 2, v0 bitop3:0x54
	v_mov_b32_e32 v31, v1
	v_mul_u64_e32 v[32:33], s[12:13], v[0:1]
	v_or_b32_e32 v0, 3, v0
	s_delay_alu instid0(VALU_DEP_4)
	v_mul_u64_e32 v[34:35], s[12:13], v[28:29]
	s_mul_u64 s[8:9], s[14:15], s[34:35]
	v_mul_u64_e32 v[36:37], s[12:13], v[30:31]
	v_cmp_gt_i32_e64 s7, s37, v28
	v_mul_u64_e32 v[38:39], s[12:13], v[0:1]
	s_lshl_b64 s[54:55], s[8:9], 1
	v_cmp_gt_i32_e64 s8, s37, v30
	v_cmp_gt_i32_e64 s9, s37, v0
	v_dual_cndmask_b32 v29, 0, v33 :: v_dual_cndmask_b32 v28, 0, v32
	v_dual_cndmask_b32 v31, 0, v35, s7 :: v_dual_cndmask_b32 v30, 0, v34, s7
	s_delay_alu instid0(VALU_DEP_4) | instskip(NEXT) | instid1(VALU_DEP_4)
	v_dual_cndmask_b32 v33, 0, v37, s8 :: v_dual_cndmask_b32 v32, 0, v36, s8
	v_dual_cndmask_b32 v35, 0, v39, s9 :: v_dual_cndmask_b32 v34, 0, v38, s9
	s_add_nc_u64 s[8:9], s[18:19], s[54:55]
	s_delay_alu instid0(VALU_DEP_3) | instid1(SALU_CYCLE_1)
	v_lshl_add_u64 v[30:31], v[30:31], 1, s[8:9]
	s_delay_alu instid0(VALU_DEP_3) | instskip(NEXT) | instid1(VALU_DEP_3)
	v_lshl_add_u64 v[36:37], v[32:33], 1, s[8:9]
	v_lshl_add_u64 v[34:35], v[34:35], 1, s[8:9]
	;; [unrolled: 1-line block ×3, first 2 shown]
	s_delay_alu instid0(VALU_DEP_4) | instskip(NEXT) | instid1(VALU_DEP_4)
	v_add_nc_u64_e32 v[32:33], v[30:31], v[14:15]
	v_add_nc_u64_e32 v[28:29], v[36:37], v[14:15]
	s_delay_alu instid0(VALU_DEP_4) | instskip(NEXT) | instid1(VALU_DEP_4)
	v_add_nc_u64_e32 v[30:31], v[34:35], v[14:15]
	v_add_nc_u64_e32 v[34:35], v[38:39], v[14:15]
	s_clause 0x3
	global_load_u16 v37, v[32:33], off
	global_load_u16 v0, v[28:29], off
	;; [unrolled: 1-line block ×4, first 2 shown]
	s_wait_xcnt 0x0
	s_and_saveexec_b32 s7, s3
	s_cbranch_execz .LBB549_44
; %bb.39:                               ;   in Loop: Header=BB549_5 Depth=1
	s_clause 0x3
	global_load_u16 v41, v[34:35], off offset:64
	global_load_u16 v42, v[32:33], off offset:64
	global_load_u16 v39, v[28:29], off offset:64
	global_load_u16 v40, v[30:31], off offset:64
	s_wait_xcnt 0x0
	s_and_saveexec_b32 s8, s4
	s_cbranch_execz .LBB549_43
; %bb.40:                               ;   in Loop: Header=BB549_5 Depth=1
	s_clause 0x3
	global_load_u16 v45, v[34:35], off offset:128
	global_load_u16 v46, v[32:33], off offset:128
	global_load_u16 v43, v[28:29], off offset:128
	global_load_u16 v44, v[30:31], off offset:128
	;; [unrolled: 9-line block ×3, first 2 shown]
	s_wait_loadcnt 0x2
	s_wait_xcnt 0x0
	v_dual_lshlrev_b32 v29, 16, v32 :: v_dual_lshlrev_b32 v28, 16, v33
	s_delay_alu instid0(VALU_DEP_1) | instskip(SKIP_1) | instid1(VALU_DEP_1)
	v_pk_mul_f32 v[28:29], v[26:27], v[28:29]
	s_wait_loadcnt 0x1
	v_dual_add_f32 v28, v58, v28 :: v_dual_lshlrev_b32 v31, 16, v30
	s_wait_loadcnt 0x0
	s_delay_alu instid0(VALU_DEP_1) | instskip(NEXT) | instid1(VALU_DEP_1)
	v_dual_lshlrev_b32 v30, 16, v34 :: v_dual_add_f32 v32, v28, v29
	v_pk_mul_f32 v[28:29], v[24:25], v[30:31]
	s_delay_alu instid0(VALU_DEP_1) | instskip(NEXT) | instid1(VALU_DEP_1)
	v_add_f32_e32 v28, v32, v28
	v_add_f32_e32 v58, v28, v29
.LBB549_42:                             ;   in Loop: Header=BB549_5 Depth=1
	s_or_b32 exec_lo, exec_lo, s9
	s_wait_loadcnt 0x2
	v_dual_lshlrev_b32 v29, 16, v46 :: v_dual_lshlrev_b32 v28, 16, v45
	s_wait_loadcnt 0x0
	v_dual_lshlrev_b32 v31, 16, v44 :: v_dual_lshlrev_b32 v30, 16, v43
	s_delay_alu instid0(VALU_DEP_2) | instskip(NEXT) | instid1(VALU_DEP_1)
	v_pk_mul_f32 v[28:29], v[26:27], v[28:29]
	v_add_f32_e32 v28, v57, v28
	s_delay_alu instid0(VALU_DEP_1) | instskip(NEXT) | instid1(VALU_DEP_4)
	v_add_f32_e32 v32, v28, v29
	v_pk_mul_f32 v[28:29], v[24:25], v[30:31]
	s_delay_alu instid0(VALU_DEP_1) | instskip(NEXT) | instid1(VALU_DEP_1)
	v_add_f32_e32 v28, v32, v28
	v_add_f32_e32 v57, v28, v29
.LBB549_43:                             ;   in Loop: Header=BB549_5 Depth=1
	s_or_b32 exec_lo, exec_lo, s8
	s_wait_loadcnt 0x2
	v_dual_lshlrev_b32 v29, 16, v42 :: v_dual_lshlrev_b32 v28, 16, v41
	s_wait_loadcnt 0x0
	v_dual_lshlrev_b32 v31, 16, v40 :: v_dual_lshlrev_b32 v30, 16, v39
	s_delay_alu instid0(VALU_DEP_2) | instskip(NEXT) | instid1(VALU_DEP_1)
	v_pk_mul_f32 v[28:29], v[26:27], v[28:29]
	v_add_f32_e32 v28, v56, v28
	s_delay_alu instid0(VALU_DEP_1) | instskip(NEXT) | instid1(VALU_DEP_4)
	v_add_f32_e32 v32, v28, v29
	v_pk_mul_f32 v[28:29], v[24:25], v[30:31]
	s_delay_alu instid0(VALU_DEP_1) | instskip(NEXT) | instid1(VALU_DEP_1)
	v_add_f32_e32 v28, v32, v28
	v_add_f32_e32 v56, v28, v29
.LBB549_44:                             ;   in Loop: Header=BB549_5 Depth=1
	s_or_b32 exec_lo, exec_lo, s7
	s_wait_loadcnt 0x0
	v_dual_lshlrev_b32 v29, 16, v37 :: v_dual_lshlrev_b32 v28, 16, v38
	s_delay_alu instid0(VALU_DEP_1) | instskip(NEXT) | instid1(VALU_DEP_1)
	v_pk_mul_f32 v[26:27], v[26:27], v[28:29]
	v_dual_add_f32 v26, v55, v26 :: v_dual_lshlrev_b32 v29, 16, v36
	s_delay_alu instid0(VALU_DEP_1) | instskip(NEXT) | instid1(VALU_DEP_1)
	v_dual_lshlrev_b32 v28, 16, v0 :: v_dual_add_f32 v0, v26, v27
	v_pk_mul_f32 v[24:25], v[24:25], v[28:29]
	s_delay_alu instid0(VALU_DEP_1) | instskip(NEXT) | instid1(VALU_DEP_1)
	v_add_f32_e32 v0, v0, v24
	v_add_f32_e32 v55, v0, v25
.LBB549_45:                             ;   in Loop: Header=BB549_5 Depth=1
	s_or_b32 exec_lo, exec_lo, s53
.LBB549_46:                             ;   in Loop: Header=BB549_5 Depth=1
	ds_store_2addr_b32 v53, v55, v56 offset1:32
	ds_store_2addr_b32 v53, v57, v58 offset0:64 offset1:96
	s_wait_dscnt 0x0
	s_barrier_signal -1
	s_barrier_wait -1
                                        ; implicit-def: $vgpr0
	s_and_saveexec_b32 s7, s0
	s_cbranch_execz .LBB549_66
; %bb.47:                               ;   in Loop: Header=BB549_5 Depth=1
	ds_load_2addr_stride64_b32 v[24:25], v54 offset1:2
	ds_load_2addr_stride64_b32 v[26:27], v54 offset0:4 offset1:6
	ds_load_2addr_stride64_b32 v[28:29], v54 offset0:8 offset1:10
	s_mov_b32 s9, s52
	s_wait_dscnt 0x2
	v_add_f32_e32 v0, v24, v25
	ds_load_2addr_stride64_b32 v[24:25], v54 offset0:12 offset1:14
	s_wait_dscnt 0x2
	v_add_f32_e32 v0, v26, v0
	s_delay_alu instid0(VALU_DEP_1) | instskip(SKIP_3) | instid1(VALU_DEP_1)
	v_add_f32_e32 v0, v27, v0
	ds_load_2addr_stride64_b32 v[26:27], v54 offset0:16 offset1:18
	s_wait_dscnt 0x2
	v_add_f32_e32 v0, v28, v0
	v_add_f32_e32 v0, v29, v0
	ds_load_2addr_stride64_b32 v[28:29], v54 offset0:20 offset1:22
	s_wait_dscnt 0x2
	v_add_f32_e32 v0, v24, v0
	s_delay_alu instid0(VALU_DEP_1) | instskip(SKIP_3) | instid1(VALU_DEP_1)
	v_add_f32_e32 v0, v25, v0
	ds_load_2addr_stride64_b32 v[24:25], v54 offset0:24 offset1:26
	s_wait_dscnt 0x2
	v_add_f32_e32 v0, v26, v0
	v_add_f32_e32 v0, v27, v0
	ds_load_2addr_stride64_b32 v[26:27], v54 offset0:28 offset1:30
	s_wait_dscnt 0x2
	v_add_f32_e32 v0, v28, v0
	s_delay_alu instid0(VALU_DEP_1) | instskip(SKIP_1) | instid1(VALU_DEP_1)
	v_add_f32_e32 v0, v29, v0
	s_wait_dscnt 0x1
	v_add_f32_e32 v0, v24, v0
	s_delay_alu instid0(VALU_DEP_1) | instskip(SKIP_1) | instid1(VALU_DEP_1)
	v_add_f32_e32 v0, v25, v0
	s_wait_dscnt 0x0
	v_add_f32_e32 v0, v26, v0
	s_delay_alu instid0(VALU_DEP_1)
	v_add_f32_e32 v24, v27, v0
                                        ; implicit-def: $vgpr0
	ds_store_b32 v54, v24
	s_and_saveexec_b32 s8, s2
	s_cbranch_execz .LBB549_65
; %bb.48:                               ;   in Loop: Header=BB549_5 Depth=1
	v_mul_f32_e32 v0, s38, v24
	s_and_b32 vcc_lo, exec_lo, s49
	s_mov_b32 s9, -1
                                        ; implicit-def: $vgpr24
	s_cbranch_vccz .LBB549_54
; %bb.49:                               ;   in Loop: Header=BB549_5 Depth=1
	s_delay_alu instid0(VALU_DEP_1) | instskip(NEXT) | instid1(VALU_DEP_1)
	v_and_b32_e32 v24, 0x7f800000, v0
	v_cmp_ne_u32_e32 vcc_lo, 0x7f800000, v24
                                        ; implicit-def: $vgpr24
	s_and_saveexec_b32 s9, vcc_lo
	s_delay_alu instid0(SALU_CYCLE_1)
	s_xor_b32 s9, exec_lo, s9
; %bb.50:                               ;   in Loop: Header=BB549_5 Depth=1
	v_bfe_u32 v24, v0, 16, 1
	s_delay_alu instid0(VALU_DEP_1)
	v_add3_u32 v24, v0, v24, 0x7fff
; %bb.51:                               ;   in Loop: Header=BB549_5 Depth=1
	s_and_not1_saveexec_b32 s9, s9
; %bb.52:                               ;   in Loop: Header=BB549_5 Depth=1
	v_and_b32_e32 v24, 0xffff, v0
	v_or_b32_e32 v25, 0x10000, v0
	s_delay_alu instid0(VALU_DEP_2) | instskip(NEXT) | instid1(VALU_DEP_2)
	v_cmp_eq_u32_e32 vcc_lo, 0, v24
	v_cndmask_b32_e32 v24, v25, v0, vcc_lo
; %bb.53:                               ;   in Loop: Header=BB549_5 Depth=1
	s_or_b32 exec_lo, exec_lo, s9
	s_mov_b32 s9, 0
.LBB549_54:                             ;   in Loop: Header=BB549_5 Depth=1
	s_delay_alu instid0(SALU_CYCLE_1)
	s_and_not1_b32 vcc_lo, exec_lo, s9
	s_cbranch_vccnz .LBB549_64
; %bb.55:                               ;   in Loop: Header=BB549_5 Depth=1
	v_lshl_add_u64 v[24:25], v[8:9], 1, s[44:45]
	global_load_u16 v24, v[24:25], off
	s_wait_loadcnt 0x0
	s_wait_xcnt 0x0
	v_lshlrev_b32_e32 v24, 16, v24
	s_delay_alu instid0(VALU_DEP_1) | instskip(NEXT) | instid1(VALU_DEP_1)
	v_mul_f32_e32 v24, s39, v24
	v_and_b32_e32 v25, 0x7f800000, v24
	s_delay_alu instid0(VALU_DEP_1) | instskip(SKIP_1) | instid1(SALU_CYCLE_1)
	v_cmp_ne_u32_e32 vcc_lo, 0x7f800000, v25
                                        ; implicit-def: $vgpr25
	s_and_saveexec_b32 s9, vcc_lo
	s_xor_b32 s9, exec_lo, s9
; %bb.56:                               ;   in Loop: Header=BB549_5 Depth=1
	v_bfe_u32 v25, v24, 16, 1
	s_delay_alu instid0(VALU_DEP_1)
	v_add3_u32 v25, v24, v25, 0x7fff
                                        ; implicit-def: $vgpr24
; %bb.57:                               ;   in Loop: Header=BB549_5 Depth=1
	s_and_not1_saveexec_b32 s9, s9
; %bb.58:                               ;   in Loop: Header=BB549_5 Depth=1
	v_and_b32_e32 v25, 0xffff, v24
	v_or_b32_e32 v26, 0x10000, v24
	s_delay_alu instid0(VALU_DEP_2) | instskip(NEXT) | instid1(VALU_DEP_2)
	v_cmp_eq_u32_e32 vcc_lo, 0, v25
	v_cndmask_b32_e32 v25, v26, v24, vcc_lo
; %bb.59:                               ;   in Loop: Header=BB549_5 Depth=1
	s_or_b32 exec_lo, exec_lo, s9
	s_delay_alu instid0(VALU_DEP_1) | instskip(NEXT) | instid1(VALU_DEP_1)
	v_and_b32_e32 v24, 0xffff0000, v25
	v_add_f32_e32 v0, v0, v24
	s_delay_alu instid0(VALU_DEP_1) | instskip(NEXT) | instid1(VALU_DEP_1)
	v_and_b32_e32 v24, 0x7f800000, v0
	v_cmp_ne_u32_e32 vcc_lo, 0x7f800000, v24
                                        ; implicit-def: $vgpr24
	s_and_saveexec_b32 s9, vcc_lo
	s_delay_alu instid0(SALU_CYCLE_1)
	s_xor_b32 s9, exec_lo, s9
; %bb.60:                               ;   in Loop: Header=BB549_5 Depth=1
	v_bfe_u32 v24, v0, 16, 1
	s_delay_alu instid0(VALU_DEP_1)
	v_add3_u32 v24, v0, v24, 0x7fff
                                        ; implicit-def: $vgpr0
; %bb.61:                               ;   in Loop: Header=BB549_5 Depth=1
	s_and_not1_saveexec_b32 s9, s9
; %bb.62:                               ;   in Loop: Header=BB549_5 Depth=1
	v_and_b32_e32 v24, 0xffff, v0
	v_or_b32_e32 v25, 0x10000, v0
	s_delay_alu instid0(VALU_DEP_2) | instskip(NEXT) | instid1(VALU_DEP_2)
	v_cmp_eq_u32_e32 vcc_lo, 0, v24
	v_cndmask_b32_e32 v24, v25, v0, vcc_lo
; %bb.63:                               ;   in Loop: Header=BB549_5 Depth=1
	s_or_b32 exec_lo, exec_lo, s9
.LBB549_64:                             ;   in Loop: Header=BB549_5 Depth=1
	s_delay_alu instid0(VALU_DEP_1)
	v_lshrrev_b32_e32 v0, 16, v24
	s_or_b32 s9, s52, exec_lo
.LBB549_65:                             ;   in Loop: Header=BB549_5 Depth=1
	s_or_b32 exec_lo, exec_lo, s8
	s_delay_alu instid0(SALU_CYCLE_1) | instskip(SKIP_1) | instid1(SALU_CYCLE_1)
	s_and_not1_b32 s8, s52, exec_lo
	s_and_b32 s9, s9, exec_lo
	s_or_b32 s52, s8, s9
.LBB549_66:                             ;   in Loop: Header=BB549_5 Depth=1
	s_or_b32 exec_lo, exec_lo, s7
	v_mov_b64_e32 v[24:25], v[8:9]
	s_and_saveexec_b32 s7, s52
	s_cbranch_execz .LBB549_3
	s_branch .LBB549_69
.LBB549_67:                             ;   in Loop: Header=BB549_5 Depth=1
	v_mov_b32_e32 v0, 0
	s_mov_b32 s52, exec_lo
	s_or_b32 exec_lo, exec_lo, s8
	s_delay_alu instid0(SALU_CYCLE_1)
	s_and_b32 vcc_lo, exec_lo, s7
	s_cbranch_vccnz .LBB549_16
.LBB549_68:                             ;   in Loop: Header=BB549_5 Depth=1
	v_mov_b64_e32 v[24:25], v[2:3]
	s_and_saveexec_b32 s7, s52
	s_cbranch_execz .LBB549_3
.LBB549_69:                             ;   in Loop: Header=BB549_5 Depth=1
	s_delay_alu instid0(VALU_DEP_1)
	v_lshl_add_u64 v[24:25], v[24:25], 1, s[44:45]
	global_store_b16 v[24:25], v0, off
	s_branch .LBB549_3
.LBB549_70:
	s_sendmsg sendmsg(MSG_DEALLOC_VGPRS)
	s_endpgm
	.section	.rodata,"a",@progbits
	.p2align	6, 0x0
	.amdhsa_kernel _ZL20rocblas_gemvn_kernelILi32ELi16El16rocblas_bfloat16fS0_EviiT3_lPKT2_lT1_lS4_lS5_lS1_lPT4_lS5_li
		.amdhsa_group_segment_fixed_size 8192
		.amdhsa_private_segment_fixed_size 0
		.amdhsa_kernarg_size 400
		.amdhsa_user_sgpr_count 2
		.amdhsa_user_sgpr_dispatch_ptr 0
		.amdhsa_user_sgpr_queue_ptr 0
		.amdhsa_user_sgpr_kernarg_segment_ptr 1
		.amdhsa_user_sgpr_dispatch_id 0
		.amdhsa_user_sgpr_kernarg_preload_length 0
		.amdhsa_user_sgpr_kernarg_preload_offset 0
		.amdhsa_user_sgpr_private_segment_size 0
		.amdhsa_wavefront_size32 1
		.amdhsa_uses_dynamic_stack 0
		.amdhsa_enable_private_segment 0
		.amdhsa_system_sgpr_workgroup_id_x 1
		.amdhsa_system_sgpr_workgroup_id_y 0
		.amdhsa_system_sgpr_workgroup_id_z 1
		.amdhsa_system_sgpr_workgroup_info 0
		.amdhsa_system_vgpr_workitem_id 1
		.amdhsa_next_free_vgpr 71
		.amdhsa_next_free_sgpr 57
		.amdhsa_named_barrier_count 0
		.amdhsa_reserve_vcc 1
		.amdhsa_float_round_mode_32 0
		.amdhsa_float_round_mode_16_64 0
		.amdhsa_float_denorm_mode_32 3
		.amdhsa_float_denorm_mode_16_64 3
		.amdhsa_fp16_overflow 0
		.amdhsa_memory_ordered 1
		.amdhsa_forward_progress 1
		.amdhsa_inst_pref_size 28
		.amdhsa_round_robin_scheduling 0
		.amdhsa_exception_fp_ieee_invalid_op 0
		.amdhsa_exception_fp_denorm_src 0
		.amdhsa_exception_fp_ieee_div_zero 0
		.amdhsa_exception_fp_ieee_overflow 0
		.amdhsa_exception_fp_ieee_underflow 0
		.amdhsa_exception_fp_ieee_inexact 0
		.amdhsa_exception_int_div_zero 0
	.end_amdhsa_kernel
	.section	.text._ZL20rocblas_gemvn_kernelILi32ELi16El16rocblas_bfloat16fS0_EviiT3_lPKT2_lT1_lS4_lS5_lS1_lPT4_lS5_li,"axG",@progbits,_ZL20rocblas_gemvn_kernelILi32ELi16El16rocblas_bfloat16fS0_EviiT3_lPKT2_lT1_lS4_lS5_lS1_lPT4_lS5_li,comdat
.Lfunc_end549:
	.size	_ZL20rocblas_gemvn_kernelILi32ELi16El16rocblas_bfloat16fS0_EviiT3_lPKT2_lT1_lS4_lS5_lS1_lPT4_lS5_li, .Lfunc_end549-_ZL20rocblas_gemvn_kernelILi32ELi16El16rocblas_bfloat16fS0_EviiT3_lPKT2_lT1_lS4_lS5_lS1_lPT4_lS5_li
                                        ; -- End function
	.set _ZL20rocblas_gemvn_kernelILi32ELi16El16rocblas_bfloat16fS0_EviiT3_lPKT2_lT1_lS4_lS5_lS1_lPT4_lS5_li.num_vgpr, 71
	.set _ZL20rocblas_gemvn_kernelILi32ELi16El16rocblas_bfloat16fS0_EviiT3_lPKT2_lT1_lS4_lS5_lS1_lPT4_lS5_li.num_agpr, 0
	.set _ZL20rocblas_gemvn_kernelILi32ELi16El16rocblas_bfloat16fS0_EviiT3_lPKT2_lT1_lS4_lS5_lS1_lPT4_lS5_li.numbered_sgpr, 57
	.set _ZL20rocblas_gemvn_kernelILi32ELi16El16rocblas_bfloat16fS0_EviiT3_lPKT2_lT1_lS4_lS5_lS1_lPT4_lS5_li.num_named_barrier, 0
	.set _ZL20rocblas_gemvn_kernelILi32ELi16El16rocblas_bfloat16fS0_EviiT3_lPKT2_lT1_lS4_lS5_lS1_lPT4_lS5_li.private_seg_size, 0
	.set _ZL20rocblas_gemvn_kernelILi32ELi16El16rocblas_bfloat16fS0_EviiT3_lPKT2_lT1_lS4_lS5_lS1_lPT4_lS5_li.uses_vcc, 1
	.set _ZL20rocblas_gemvn_kernelILi32ELi16El16rocblas_bfloat16fS0_EviiT3_lPKT2_lT1_lS4_lS5_lS1_lPT4_lS5_li.uses_flat_scratch, 0
	.set _ZL20rocblas_gemvn_kernelILi32ELi16El16rocblas_bfloat16fS0_EviiT3_lPKT2_lT1_lS4_lS5_lS1_lPT4_lS5_li.has_dyn_sized_stack, 0
	.set _ZL20rocblas_gemvn_kernelILi32ELi16El16rocblas_bfloat16fS0_EviiT3_lPKT2_lT1_lS4_lS5_lS1_lPT4_lS5_li.has_recursion, 0
	.set _ZL20rocblas_gemvn_kernelILi32ELi16El16rocblas_bfloat16fS0_EviiT3_lPKT2_lT1_lS4_lS5_lS1_lPT4_lS5_li.has_indirect_call, 0
	.section	.AMDGPU.csdata,"",@progbits
; Kernel info:
; codeLenInByte = 3584
; TotalNumSgprs: 59
; NumVgprs: 71
; ScratchSize: 0
; MemoryBound: 0
; FloatMode: 240
; IeeeMode: 1
; LDSByteSize: 8192 bytes/workgroup (compile time only)
; SGPRBlocks: 0
; VGPRBlocks: 4
; NumSGPRsForWavesPerEU: 59
; NumVGPRsForWavesPerEU: 71
; NamedBarCnt: 0
; Occupancy: 12
; WaveLimiterHint : 1
; COMPUTE_PGM_RSRC2:SCRATCH_EN: 0
; COMPUTE_PGM_RSRC2:USER_SGPR: 2
; COMPUTE_PGM_RSRC2:TRAP_HANDLER: 0
; COMPUTE_PGM_RSRC2:TGID_X_EN: 1
; COMPUTE_PGM_RSRC2:TGID_Y_EN: 0
; COMPUTE_PGM_RSRC2:TGID_Z_EN: 1
; COMPUTE_PGM_RSRC2:TIDIG_COMP_CNT: 1
	.section	.text._ZL20rocblas_gemvn_kernelILi64ELi16Ei16rocblas_bfloat16PKfS0_EviiT3_lPKT2_lT1_lS6_lS7_lS3_lPT4_lS7_li,"axG",@progbits,_ZL20rocblas_gemvn_kernelILi64ELi16Ei16rocblas_bfloat16PKfS0_EviiT3_lPKT2_lT1_lS6_lS7_lS3_lPT4_lS7_li,comdat
	.globl	_ZL20rocblas_gemvn_kernelILi64ELi16Ei16rocblas_bfloat16PKfS0_EviiT3_lPKT2_lT1_lS6_lS7_lS3_lPT4_lS7_li ; -- Begin function _ZL20rocblas_gemvn_kernelILi64ELi16Ei16rocblas_bfloat16PKfS0_EviiT3_lPKT2_lT1_lS6_lS7_lS3_lPT4_lS7_li
	.p2align	8
	.type	_ZL20rocblas_gemvn_kernelILi64ELi16Ei16rocblas_bfloat16PKfS0_EviiT3_lPKT2_lT1_lS6_lS7_lS3_lPT4_lS7_li,@function
_ZL20rocblas_gemvn_kernelILi64ELi16Ei16rocblas_bfloat16PKfS0_EviiT3_lPKT2_lT1_lS6_lS7_lS3_lPT4_lS7_li: ; @_ZL20rocblas_gemvn_kernelILi64ELi16Ei16rocblas_bfloat16PKfS0_EviiT3_lPKT2_lT1_lS6_lS7_lS3_lPT4_lS7_li
; %bb.0:
	s_load_b64 s[2:3], s[0:1], 0x9c
	s_wait_kmcnt 0x0
	s_lshr_b32 s4, s2, 16
	s_and_b32 s2, s2, 0xffff
	s_and_b32 s3, s3, 0xffff
	s_mul_i32 s2, s4, s2
	s_delay_alu instid0(SALU_CYCLE_1) | instskip(NEXT) | instid1(SALU_CYCLE_1)
	s_mul_i32 s2, s2, s3
	s_cmp_lg_u32 s2, 0x400
	s_cbranch_scc1 .LBB550_70
; %bb.1:
	s_load_b32 s31, s[0:1], 0x88
	s_bfe_u32 s2, ttmp6, 0x40014
	s_lshr_b32 s3, ttmp7, 16
	s_add_co_i32 s2, s2, 1
	s_bfe_u32 s5, ttmp6, 0x40008
	s_mul_i32 s4, s3, s2
	s_getreg_b32 s2, hwreg(HW_REG_IB_STS2, 6, 4)
	s_add_co_i32 s5, s5, s4
	s_cmp_eq_u32 s2, 0
	s_mov_b32 s35, 0
	s_cselect_b32 s34, s3, s5
	s_wait_kmcnt 0x0
	s_cmp_ge_u32 s34, s31
	s_cbranch_scc1 .LBB550_70
; %bb.2:
	s_clause 0x7
	s_load_b256 s[8:15], s[0:1], 0x8
	s_load_b96 s[28:30], s[0:1], 0x40
	s_load_b96 s[4:6], s[0:1], 0x70
	s_load_b64 s[36:37], s[0:1], 0x0
	s_load_b32 s33, s[0:1], 0x28
	s_load_b128 s[24:27], s[0:1], 0x30
	s_load_b256 s[16:23], s[0:1], 0x50
	s_load_b64 s[38:39], s[0:1], 0x80
	s_wait_xcnt 0x0
	s_bfe_u32 s0, ttmp6, 0x4000c
	v_and_b32_e32 v6, 0x3ff, v0
	s_add_co_i32 s0, s0, 1
	v_bfe_u32 v5, v0, 10, 10
	s_and_b32 s1, ttmp6, 15
	s_mul_i32 s0, ttmp9, s0
	s_delay_alu instid0(SALU_CYCLE_1) | instskip(NEXT) | instid1(VALU_DEP_1)
	s_add_co_i32 s7, s1, s0
	v_lshl_add_u32 v4, v5, 6, v6
	v_dual_lshlrev_b32 v23, 2, v5 :: v_dual_lshlrev_b32 v9, 2, v6
	s_wait_kmcnt 0x0
	s_lshl_b64 s[0:1], s[14:15], 1
	s_lshl_b64 s[14:15], s[28:29], 1
	;; [unrolled: 1-line block ×3, first 2 shown]
	s_ashr_i32 s3, s6, 31
	s_cmp_eq_u32 s2, 0
	s_mov_b32 s2, s6
	s_cselect_b32 s7, ttmp9, s7
	s_add_nc_u64 s[12:13], s[12:13], s[0:1]
	s_lshl_b32 s42, s7, 8
	s_delay_alu instid0(SALU_CYCLE_1)
	v_dual_mov_b32 v1, 0 :: v_dual_add_nc_u32 v0, s42, v4
	v_add_nc_u32_e32 v22, s42, v6
	s_ashr_i32 s0, s37, 31
	s_mov_b32 s28, s36
	s_lshr_b32 s0, s0, 26
	v_mul_u64_e32 v[2:3], s[2:3], v[0:1]
	v_add_nc_u32_e32 v7, 0x80, v22
	s_ashr_i32 s29, s36, 31
	s_add_co_i32 s43, s37, s0
	v_cmp_gt_i64_e32 vcc_lo, s[28:29], v[0:1]
	v_add_nc_u32_e32 v0, 64, v22
	v_cmp_gt_i32_e64 s3, s36, v7
	v_or_b32_e32 v7, s42, v4
	s_and_not1_b32 s43, s43, 63
	s_add_nc_u64 s[22:23], s[22:23], s[4:5]
	s_sub_co_i32 s5, s37, s43
	v_add_nc_u32_e32 v8, 0xc0, v22
	s_cmp_gt_i32 s5, 0
	v_cmp_gt_u32_e64 s5, 0x100, v4
	v_mul_lo_u32 v4, s6, v7
	v_or_b32_e32 v10, 2, v23
	v_cmp_gt_i32_e64 s4, s36, v8
	v_mul_lo_u32 v8, s33, v23
	v_or_b32_e32 v11, 3, v23
	v_mul_lo_u32 v12, v5, s33
	v_mul_lo_u32 v13, v5, s30
	v_cmp_gt_i32_e64 s2, s36, v0
	v_lshl_add_u32 v0, v5, 10, v9
	v_lshl_add_u32 v24, v5, 8, v9
	v_mad_u32 v25, s33, v10, v6
	v_mad_u32 v27, s30, v23, s30
	v_mul_lo_u32 v28, s30, v10
	v_ashrrev_i32_e32 v5, 31, v4
	v_mad_u32 v26, s33, v11, v6
	v_mul_lo_u32 v29, s30, v11
	v_cmp_gt_i32_e64 s0, s43, v23
	v_cmp_gt_i32_e64 s1, s36, v22
	;; [unrolled: 1-line block ×3, first 2 shown]
	v_add3_u32 v30, v8, s33, v6
	v_lshl_add_u32 v31, v12, 2, v6
	v_lshlrev_b32_e32 v32, 2, v13
	s_add_nc_u64 s[14:15], s[26:27], s[14:15]
	s_cselect_b32 s36, -1, 0
	s_and_b32 s44, s5, vcc_lo
	s_lshl_b32 s45, s33, 6
	s_lshl_b32 s46, s30, 6
	s_branch .LBB550_5
.LBB550_3:                              ;   in Loop: Header=BB550_5 Depth=1
	s_wait_xcnt 0x0
	s_or_b32 exec_lo, exec_lo, s7
.LBB550_4:                              ;   in Loop: Header=BB550_5 Depth=1
	s_add_co_i32 s34, s34, 0x10000
	s_delay_alu instid0(SALU_CYCLE_1)
	s_cmp_lt_u32 s34, s31
	s_cbranch_scc0 .LBB550_70
.LBB550_5:                              ; =>This Loop Header: Depth=1
                                        ;     Child Loop BB550_22 Depth 2
	s_wait_xcnt 0x1
	s_mul_u64 s[26:27], s[10:11], s[34:35]
	s_wait_xcnt 0x0
	s_mul_u64 s[28:29], s[20:21], s[34:35]
	s_lshl_b64 s[26:27], s[26:27], 2
	s_lshl_b64 s[28:29], s[28:29], 2
	s_add_nc_u64 s[26:27], s[8:9], s[26:27]
	s_add_nc_u64 s[28:29], s[18:19], s[28:29]
	s_clause 0x1
	global_load_b32 v33, v1, s[26:27]
	global_load_b32 v6, v1, s[28:29]
	s_wait_loadcnt 0x1
	v_cmp_eq_f32_e32 vcc_lo, 0, v33
	s_wait_loadcnt 0x0
	v_cmp_eq_f32_e64 s7, 1.0, v6
	v_readfirstlane_b32 s48, v6
	s_and_b32 s7, vcc_lo, s7
	s_delay_alu instid0(SALU_CYCLE_1)
	s_and_b32 vcc_lo, exec_lo, s7
	s_cbranch_vccnz .LBB550_4
; %bb.6:                                ;   in Loop: Header=BB550_5 Depth=1
	v_cmp_neq_f32_e32 vcc_lo, 0, v33
	s_wait_xcnt 0x1
	s_mul_u64 s[26:27], s[38:39], s[34:35]
	s_delay_alu instid0(SALU_CYCLE_1) | instskip(NEXT) | instid1(SALU_CYCLE_1)
	s_lshl_b64 s[26:27], s[26:27], 1
	s_add_nc_u64 s[26:27], s[22:23], s[26:27]
	s_cbranch_vccnz .LBB550_14
; %bb.7:                                ;   in Loop: Header=BB550_5 Depth=1
	s_mov_b32 s7, 0
	s_mov_b32 s47, 0
                                        ; implicit-def: $vgpr8
	s_wait_xcnt 0x0
	s_and_saveexec_b32 s28, s44
	s_cbranch_execz .LBB550_15
; %bb.8:                                ;   in Loop: Header=BB550_5 Depth=1
	s_cmp_eq_f32 s48, 0
	s_cbranch_scc1 .LBB550_54
; %bb.9:                                ;   in Loop: Header=BB550_5 Depth=1
	v_lshl_add_u64 v[6:7], v[2:3], 1, s[26:27]
	global_load_u16 v6, v[6:7], off
	s_wait_loadcnt 0x0
	s_wait_xcnt 0x0
	v_lshlrev_b32_e32 v6, 16, v6
	s_delay_alu instid0(VALU_DEP_1) | instskip(NEXT) | instid1(VALU_DEP_1)
	v_mul_f32_e32 v6, s48, v6
	v_and_b32_e32 v7, 0x7f800000, v6
	s_delay_alu instid0(VALU_DEP_1) | instskip(SKIP_1) | instid1(SALU_CYCLE_1)
	v_cmp_ne_u32_e32 vcc_lo, 0x7f800000, v7
                                        ; implicit-def: $vgpr7
	s_and_saveexec_b32 s29, vcc_lo
	s_xor_b32 s29, exec_lo, s29
; %bb.10:                               ;   in Loop: Header=BB550_5 Depth=1
	v_bfe_u32 v7, v6, 16, 1
	s_delay_alu instid0(VALU_DEP_1)
	v_add3_u32 v7, v6, v7, 0x7fff
                                        ; implicit-def: $vgpr6
; %bb.11:                               ;   in Loop: Header=BB550_5 Depth=1
	s_and_not1_saveexec_b32 s29, s29
; %bb.12:                               ;   in Loop: Header=BB550_5 Depth=1
	v_and_b32_e32 v7, 0xffff, v6
	v_or_b32_e32 v8, 0x10000, v6
	s_delay_alu instid0(VALU_DEP_2) | instskip(NEXT) | instid1(VALU_DEP_2)
	v_cmp_eq_u32_e32 vcc_lo, 0, v7
	v_cndmask_b32_e32 v7, v8, v6, vcc_lo
; %bb.13:                               ;   in Loop: Header=BB550_5 Depth=1
	s_or_b32 exec_lo, exec_lo, s29
	s_delay_alu instid0(VALU_DEP_1) | instskip(SKIP_2) | instid1(SALU_CYCLE_1)
	v_lshrrev_b32_e32 v8, 16, v7
	s_mov_b32 s47, exec_lo
	s_or_b32 exec_lo, exec_lo, s28
	s_and_b32 vcc_lo, exec_lo, s7
	s_cbranch_vccnz .LBB550_16
	s_branch .LBB550_55
.LBB550_14:                             ;   in Loop: Header=BB550_5 Depth=1
	s_mov_b32 s47, 0
                                        ; implicit-def: $vgpr8
	s_cbranch_execnz .LBB550_16
	s_branch .LBB550_55
.LBB550_15:                             ;   in Loop: Header=BB550_5 Depth=1
	s_or_b32 exec_lo, exec_lo, s28
	s_delay_alu instid0(SALU_CYCLE_1)
	s_and_b32 vcc_lo, exec_lo, s7
	s_cbranch_vccz .LBB550_55
.LBB550_16:                             ;   in Loop: Header=BB550_5 Depth=1
	s_wait_xcnt 0x0
	s_mul_u64 s[28:29], s[24:25], s[34:35]
	s_mul_u64 s[40:41], s[16:17], s[34:35]
	v_dual_mov_b32 v34, 0 :: v_dual_mov_b32 v38, v23
	v_dual_mov_b32 v35, 0 :: v_dual_mov_b32 v36, 0
	v_mov_b32_e32 v37, 0
	s_lshl_b64 s[28:29], s[28:29], 1
	s_lshl_b64 s[40:41], s[40:41], 1
	s_add_nc_u64 s[28:29], s[12:13], s[28:29]
	s_add_nc_u64 s[40:41], s[14:15], s[40:41]
	s_and_saveexec_b32 s7, s0
	s_cbranch_execz .LBB550_28
; %bb.17:                               ;   in Loop: Header=BB550_5 Depth=1
	v_dual_mov_b32 v34, 0 :: v_dual_mov_b32 v39, v31
	v_dual_mov_b32 v40, v26 :: v_dual_mov_b32 v41, v25
	;; [unrolled: 1-line block ×4, first 2 shown]
	v_mov_b32_e32 v37, 0
	s_mov_b32 s49, 0
	s_mov_b32 s50, 0
	s_branch .LBB550_22
.LBB550_18:                             ;   in Loop: Header=BB550_22 Depth=2
	s_or_b32 exec_lo, exec_lo, s54
	s_wait_loadcnt 0x2
	v_dual_lshlrev_b32 v11, 16, v50 :: v_dual_lshlrev_b32 v10, 16, v49
	s_delay_alu instid0(VALU_DEP_1) | instskip(SKIP_1) | instid1(VALU_DEP_1)
	v_pk_mul_f32 v[10:11], v[8:9], v[10:11]
	s_wait_loadcnt 0x0
	v_dual_add_f32 v10, v36, v10 :: v_dual_lshlrev_b32 v13, 16, v48
	s_delay_alu instid0(VALU_DEP_1) | instskip(SKIP_1) | instid1(VALU_DEP_1)
	v_add_f32_e32 v18, v10, v11
	v_lshlrev_b32_e32 v12, 16, v47
	v_pk_mul_f32 v[10:11], v[6:7], v[12:13]
	s_delay_alu instid0(VALU_DEP_1) | instskip(NEXT) | instid1(VALU_DEP_1)
	v_add_f32_e32 v10, v18, v10
	v_add_f32_e32 v36, v10, v11
.LBB550_19:                             ;   in Loop: Header=BB550_22 Depth=2
	s_or_b32 exec_lo, exec_lo, s53
	s_wait_loadcnt 0x2
	v_dual_lshlrev_b32 v11, 16, v17 :: v_dual_lshlrev_b32 v10, 16, v16
	s_delay_alu instid0(VALU_DEP_1) | instskip(SKIP_1) | instid1(VALU_DEP_1)
	v_pk_mul_f32 v[10:11], v[8:9], v[10:11]
	s_wait_loadcnt 0x0
	v_dual_add_f32 v10, v35, v10 :: v_dual_lshlrev_b32 v13, 16, v15
	s_delay_alu instid0(VALU_DEP_1) | instskip(NEXT) | instid1(VALU_DEP_1)
	v_dual_lshlrev_b32 v12, 16, v14 :: v_dual_add_f32 v14, v10, v11
	v_pk_mul_f32 v[10:11], v[6:7], v[12:13]
	s_delay_alu instid0(VALU_DEP_1) | instskip(NEXT) | instid1(VALU_DEP_1)
	v_add_f32_e32 v10, v14, v10
	v_add_f32_e32 v35, v10, v11
.LBB550_20:                             ;   in Loop: Header=BB550_22 Depth=2
	s_or_b32 exec_lo, exec_lo, s52
	s_wait_loadcnt 0x2
	v_dual_lshlrev_b32 v11, 16, v46 :: v_dual_lshlrev_b32 v10, 16, v45
	s_delay_alu instid0(VALU_DEP_1) | instskip(SKIP_2) | instid1(VALU_DEP_2)
	v_pk_mul_f32 v[8:9], v[8:9], v[10:11]
	s_wait_loadcnt 0x0
	v_dual_lshlrev_b32 v11, 16, v44 :: v_dual_lshlrev_b32 v10, 16, v43
	v_add_f32_e32 v8, v34, v8
	s_delay_alu instid0(VALU_DEP_2) | instskip(NEXT) | instid1(VALU_DEP_2)
	v_pk_mul_f32 v[6:7], v[6:7], v[10:11]
	v_add_f32_e32 v8, v8, v9
	s_delay_alu instid0(VALU_DEP_1) | instskip(NEXT) | instid1(VALU_DEP_1)
	v_add_f32_e32 v6, v8, v6
	v_add_f32_e32 v34, v6, v7
.LBB550_21:                             ;   in Loop: Header=BB550_22 Depth=2
	s_or_b32 exec_lo, exec_lo, s51
	v_dual_add_nc_u32 v38, 64, v38 :: v_dual_add_nc_u32 v41, s45, v41
	v_dual_add_nc_u32 v42, s45, v42 :: v_dual_add_nc_u32 v40, s45, v40
	v_add_nc_u32_e32 v39, s45, v39
	s_delay_alu instid0(VALU_DEP_3) | instskip(SKIP_2) | instid1(SALU_CYCLE_1)
	v_cmp_le_i32_e32 vcc_lo, s43, v38
	s_add_co_i32 s50, s50, s46
	s_or_b32 s49, vcc_lo, s49
	s_and_not1_b32 exec_lo, exec_lo, s49
	s_cbranch_execz .LBB550_27
.LBB550_22:                             ;   Parent Loop BB550_5 Depth=1
                                        ; =>  This Inner Loop Header: Depth=2
	s_and_saveexec_b32 s51, s1
	s_cbranch_execz .LBB550_21
; %bb.23:                               ;   in Loop: Header=BB550_22 Depth=2
	v_dual_add_nc_u32 v6, s50, v32 :: v_dual_add_nc_u32 v7, s50, v27
	v_dual_add_nc_u32 v8, s50, v28 :: v_dual_add_nc_u32 v9, s50, v29
	;; [unrolled: 1-line block ×3, first 2 shown]
	s_clause 0x3
	global_load_u16 v11, v6, s[40:41] scale_offset
	global_load_u16 v13, v7, s[40:41] scale_offset
	global_load_u16 v15, v8, s[40:41] scale_offset
	global_load_u16 v17, v9, s[40:41] scale_offset
	v_dual_add_nc_u32 v16, s42, v41 :: v_dual_add_nc_u32 v14, s42, v40
	s_clause 0x3
	global_load_u16 v45, v10, s[28:29] scale_offset
	global_load_u16 v46, v12, s[28:29] scale_offset
	;; [unrolled: 1-line block ×4, first 2 shown]
	s_wait_loadcnt 0x6
	s_wait_xcnt 0x4
	v_dual_lshlrev_b32 v8, 16, v11 :: v_dual_lshlrev_b32 v9, 16, v13
	s_wait_loadcnt 0x4
	v_dual_lshlrev_b32 v6, 16, v15 :: v_dual_lshlrev_b32 v7, 16, v17
	s_wait_xcnt 0x0
	s_and_saveexec_b32 s52, s2
	s_cbranch_execz .LBB550_20
; %bb.24:                               ;   in Loop: Header=BB550_22 Depth=2
	v_dual_ashrrev_i32 v11, 31, v10 :: v_dual_ashrrev_i32 v13, 31, v12
	v_dual_ashrrev_i32 v17, 31, v16 :: v_dual_ashrrev_i32 v15, 31, v14
	s_delay_alu instid0(VALU_DEP_2) | instskip(NEXT) | instid1(VALU_DEP_3)
	v_lshl_add_u64 v[18:19], v[10:11], 1, s[28:29]
	v_lshl_add_u64 v[20:21], v[12:13], 1, s[28:29]
	s_delay_alu instid0(VALU_DEP_3) | instskip(NEXT) | instid1(VALU_DEP_4)
	v_lshl_add_u64 v[10:11], v[16:17], 1, s[28:29]
	v_lshl_add_u64 v[12:13], v[14:15], 1, s[28:29]
	s_clause 0x3
	global_load_u16 v16, v[18:19], off offset:128
	global_load_u16 v17, v[20:21], off offset:128
	;; [unrolled: 1-line block ×4, first 2 shown]
	s_wait_xcnt 0x0
	s_and_saveexec_b32 s53, s3
	s_cbranch_execz .LBB550_19
; %bb.25:                               ;   in Loop: Header=BB550_22 Depth=2
	s_clause 0x3
	global_load_u16 v49, v[18:19], off offset:256
	global_load_u16 v50, v[20:21], off offset:256
	;; [unrolled: 1-line block ×4, first 2 shown]
	s_wait_xcnt 0x0
	s_and_saveexec_b32 s54, s4
	s_cbranch_execz .LBB550_18
; %bb.26:                               ;   in Loop: Header=BB550_22 Depth=2
	s_clause 0x3
	global_load_u16 v20, v[20:21], off offset:384
	global_load_u16 v18, v[18:19], off offset:384
	;; [unrolled: 1-line block ×4, first 2 shown]
	s_wait_loadcnt 0x2
	s_wait_xcnt 0x0
	v_dual_lshlrev_b32 v11, 16, v20 :: v_dual_lshlrev_b32 v10, 16, v18
	s_delay_alu instid0(VALU_DEP_1) | instskip(SKIP_1) | instid1(VALU_DEP_1)
	v_pk_mul_f32 v[10:11], v[8:9], v[10:11]
	s_wait_loadcnt 0x1
	v_dual_add_f32 v10, v37, v10 :: v_dual_lshlrev_b32 v13, 16, v12
	s_delay_alu instid0(VALU_DEP_1) | instskip(SKIP_2) | instid1(VALU_DEP_1)
	v_add_f32_e32 v18, v10, v11
	s_wait_loadcnt 0x0
	v_lshlrev_b32_e32 v12, 16, v19
	v_pk_mul_f32 v[10:11], v[6:7], v[12:13]
	s_delay_alu instid0(VALU_DEP_1) | instskip(NEXT) | instid1(VALU_DEP_1)
	v_add_f32_e32 v10, v18, v10
	v_add_f32_e32 v37, v10, v11
	s_branch .LBB550_18
.LBB550_27:                             ;   in Loop: Header=BB550_5 Depth=1
	s_or_b32 exec_lo, exec_lo, s49
.LBB550_28:                             ;   in Loop: Header=BB550_5 Depth=1
	s_delay_alu instid0(SALU_CYCLE_1) | instskip(NEXT) | instid1(SALU_CYCLE_1)
	s_or_b32 exec_lo, exec_lo, s7
	s_and_not1_b32 vcc_lo, exec_lo, s36
	s_cbranch_vccnz .LBB550_46
; %bb.29:                               ;   in Loop: Header=BB550_5 Depth=1
	v_dual_mov_b32 v6, 0 :: v_dual_bitop2_b32 v10, 1, v38 bitop3:0x54
	v_cmp_gt_i32_e32 vcc_lo, s37, v38
	s_delay_alu instid0(VALU_DEP_2)
	v_dual_mov_b32 v7, v6 :: v_dual_mov_b32 v8, v6
	v_mov_b32_e32 v9, v6
	s_and_saveexec_b32 s49, vcc_lo
	s_cbranch_execz .LBB550_37
; %bb.30:                               ;   in Loop: Header=BB550_5 Depth=1
	v_mul_lo_u32 v6, v38, s30
	v_dual_mov_b32 v9, 0 :: v_dual_mov_b32 v7, 0
	s_mov_b32 s50, exec_lo
	global_load_u16 v8, v6, s[40:41] scale_offset
	s_wait_xcnt 0x0
	v_mov_b32_e32 v6, 0
	v_cmpx_gt_i32_e64 s37, v10
	s_cbranch_execz .LBB550_36
; %bb.31:                               ;   in Loop: Header=BB550_5 Depth=1
	v_mul_lo_u32 v6, v10, s30
	v_dual_mov_b32 v7, 0 :: v_dual_bitop2_b32 v11, 2, v38 bitop3:0x54
	s_mov_b32 s51, exec_lo
	global_load_u16 v9, v6, s[40:41] scale_offset
	s_wait_xcnt 0x0
	v_mov_b32_e32 v6, 0
	v_cmpx_gt_i32_e64 s37, v11
	s_cbranch_execz .LBB550_35
; %bb.32:                               ;   in Loop: Header=BB550_5 Depth=1
	v_mul_lo_u32 v6, v11, s30
	v_dual_mov_b32 v7, 0 :: v_dual_bitop2_b32 v11, 3, v38 bitop3:0x54
	s_mov_b32 s52, exec_lo
	global_load_u16 v6, v6, s[40:41] scale_offset
	s_wait_xcnt 0x0
	v_cmpx_gt_i32_e64 s37, v11
	s_cbranch_execz .LBB550_34
; %bb.33:                               ;   in Loop: Header=BB550_5 Depth=1
	v_mul_lo_u32 v7, v11, s30
	global_load_u16 v7, v7, s[40:41] scale_offset
	s_wait_loadcnt 0x0
	s_wait_xcnt 0x0
	v_lshlrev_b32_e32 v7, 16, v7
.LBB550_34:                             ;   in Loop: Header=BB550_5 Depth=1
	s_or_b32 exec_lo, exec_lo, s52
	s_wait_loadcnt 0x0
	v_lshlrev_b32_e32 v6, 16, v6
.LBB550_35:                             ;   in Loop: Header=BB550_5 Depth=1
	s_or_b32 exec_lo, exec_lo, s51
	s_wait_loadcnt 0x0
	v_lshlrev_b32_e32 v9, 16, v9
.LBB550_36:                             ;   in Loop: Header=BB550_5 Depth=1
	s_or_b32 exec_lo, exec_lo, s50
	s_wait_loadcnt 0x0
	v_lshlrev_b32_e32 v8, 16, v8
.LBB550_37:                             ;   in Loop: Header=BB550_5 Depth=1
	s_or_b32 exec_lo, exec_lo, s49
	s_and_saveexec_b32 s40, s1
	s_cbranch_execz .LBB550_45
; %bb.38:                               ;   in Loop: Header=BB550_5 Depth=1
	v_mul_lo_u32 v13, v10, s33
	v_cmp_gt_i32_e64 s7, s37, v10
	v_or_b32_e32 v11, 2, v38
	v_or_b32_e32 v12, 3, v38
	v_mul_lo_u32 v16, v38, s33
	s_delay_alu instid0(VALU_DEP_2) | instskip(SKIP_3) | instid1(VALU_DEP_1)
	v_mul_lo_u32 v15, v12, s33
	v_cndmask_b32_e64 v10, 0, v13, s7
	v_mul_lo_u32 v14, v11, s33
	v_cmp_gt_i32_e64 s7, s37, v11
	v_dual_cndmask_b32 v11, 0, v14, s7 :: v_dual_cndmask_b32 v14, 0, v16, vcc_lo
	v_cmp_gt_i32_e64 s7, s37, v12
	s_delay_alu instid0(VALU_DEP_2) | instskip(NEXT) | instid1(VALU_DEP_2)
	v_dual_add_nc_u32 v10, v10, v22 :: v_dual_add_nc_u32 v12, v11, v22
	v_dual_add_nc_u32 v14, v14, v22 :: v_dual_cndmask_b32 v13, 0, v15, s7
	s_delay_alu instid0(VALU_DEP_1)
	v_add_nc_u32_e32 v16, v13, v22
	s_clause 0x3
	global_load_u16 v20, v10, s[28:29] scale_offset
	global_load_u16 v18, v12, s[28:29] scale_offset
	;; [unrolled: 1-line block ×4, first 2 shown]
	s_wait_xcnt 0x0
	s_and_saveexec_b32 s7, s2
	s_cbranch_execz .LBB550_44
; %bb.39:                               ;   in Loop: Header=BB550_5 Depth=1
	v_dual_ashrrev_i32 v15, 31, v14 :: v_dual_ashrrev_i32 v13, 31, v12
	v_dual_ashrrev_i32 v11, 31, v10 :: v_dual_ashrrev_i32 v17, 31, v16
	s_delay_alu instid0(VALU_DEP_2) | instskip(NEXT) | instid1(VALU_DEP_3)
	v_lshl_add_u64 v[14:15], v[14:15], 1, s[28:29]
	v_lshl_add_u64 v[12:13], v[12:13], 1, s[28:29]
	s_delay_alu instid0(VALU_DEP_3) | instskip(NEXT) | instid1(VALU_DEP_4)
	v_lshl_add_u64 v[10:11], v[10:11], 1, s[28:29]
	v_lshl_add_u64 v[16:17], v[16:17], 1, s[28:29]
	s_clause 0x3
	global_load_u16 v40, v[14:15], off offset:128
	global_load_u16 v41, v[10:11], off offset:128
	;; [unrolled: 1-line block ×4, first 2 shown]
	s_wait_xcnt 0x0
	s_and_saveexec_b32 s28, s3
	s_cbranch_execz .LBB550_43
; %bb.40:                               ;   in Loop: Header=BB550_5 Depth=1
	s_clause 0x3
	global_load_u16 v44, v[14:15], off offset:256
	global_load_u16 v45, v[10:11], off offset:256
	;; [unrolled: 1-line block ×4, first 2 shown]
	s_wait_xcnt 0x0
	s_and_saveexec_b32 s29, s4
	s_cbranch_execz .LBB550_42
; %bb.41:                               ;   in Loop: Header=BB550_5 Depth=1
	s_clause 0x3
	global_load_u16 v46, v[10:11], off offset:384
	global_load_u16 v47, v[14:15], off offset:384
	global_load_u16 v48, v[16:17], off offset:384
	global_load_u16 v49, v[12:13], off offset:384
	s_wait_loadcnt 0x2
	s_wait_xcnt 0x3
	v_dual_lshlrev_b32 v11, 16, v46 :: v_dual_lshlrev_b32 v10, 16, v47
	s_delay_alu instid0(VALU_DEP_1) | instskip(SKIP_2) | instid1(VALU_DEP_1)
	v_pk_mul_f32 v[10:11], v[8:9], v[10:11]
	s_wait_loadcnt 0x1
	s_wait_xcnt 0x0
	v_dual_add_f32 v10, v37, v10 :: v_dual_lshlrev_b32 v13, 16, v48
	s_wait_loadcnt 0x0
	s_delay_alu instid0(VALU_DEP_1) | instskip(NEXT) | instid1(VALU_DEP_1)
	v_dual_lshlrev_b32 v12, 16, v49 :: v_dual_add_f32 v14, v10, v11
	v_pk_mul_f32 v[10:11], v[6:7], v[12:13]
	s_delay_alu instid0(VALU_DEP_1) | instskip(NEXT) | instid1(VALU_DEP_1)
	v_add_f32_e32 v10, v14, v10
	v_add_f32_e32 v37, v10, v11
.LBB550_42:                             ;   in Loop: Header=BB550_5 Depth=1
	s_or_b32 exec_lo, exec_lo, s29
	s_wait_loadcnt 0x2
	v_dual_lshlrev_b32 v11, 16, v45 :: v_dual_lshlrev_b32 v10, 16, v44
	s_delay_alu instid0(VALU_DEP_1) | instskip(SKIP_1) | instid1(VALU_DEP_1)
	v_pk_mul_f32 v[10:11], v[8:9], v[10:11]
	s_wait_loadcnt 0x0
	v_dual_add_f32 v10, v36, v10 :: v_dual_lshlrev_b32 v13, 16, v43
	s_delay_alu instid0(VALU_DEP_1) | instskip(NEXT) | instid1(VALU_DEP_1)
	v_dual_lshlrev_b32 v12, 16, v42 :: v_dual_add_f32 v14, v10, v11
	v_pk_mul_f32 v[10:11], v[6:7], v[12:13]
	s_delay_alu instid0(VALU_DEP_1) | instskip(NEXT) | instid1(VALU_DEP_1)
	v_add_f32_e32 v10, v14, v10
	v_add_f32_e32 v36, v10, v11
.LBB550_43:                             ;   in Loop: Header=BB550_5 Depth=1
	s_or_b32 exec_lo, exec_lo, s28
	s_wait_loadcnt 0x2
	v_dual_lshlrev_b32 v11, 16, v41 :: v_dual_lshlrev_b32 v10, 16, v40
	s_delay_alu instid0(VALU_DEP_1) | instskip(SKIP_1) | instid1(VALU_DEP_1)
	v_pk_mul_f32 v[10:11], v[8:9], v[10:11]
	s_wait_loadcnt 0x0
	v_dual_add_f32 v10, v35, v10 :: v_dual_lshlrev_b32 v13, 16, v39
	s_delay_alu instid0(VALU_DEP_1) | instskip(NEXT) | instid1(VALU_DEP_1)
	v_dual_lshlrev_b32 v12, 16, v38 :: v_dual_add_f32 v14, v10, v11
	v_pk_mul_f32 v[10:11], v[6:7], v[12:13]
	s_delay_alu instid0(VALU_DEP_1) | instskip(NEXT) | instid1(VALU_DEP_1)
	v_add_f32_e32 v10, v14, v10
	v_add_f32_e32 v35, v10, v11
.LBB550_44:                             ;   in Loop: Header=BB550_5 Depth=1
	s_or_b32 exec_lo, exec_lo, s7
	s_wait_loadcnt 0x0
	v_dual_lshlrev_b32 v11, 16, v20 :: v_dual_lshlrev_b32 v10, 16, v21
	s_delay_alu instid0(VALU_DEP_1) | instskip(NEXT) | instid1(VALU_DEP_1)
	v_pk_mul_f32 v[8:9], v[8:9], v[10:11]
	v_dual_add_f32 v8, v34, v8 :: v_dual_lshlrev_b32 v11, 16, v19
	s_delay_alu instid0(VALU_DEP_1) | instskip(NEXT) | instid1(VALU_DEP_1)
	v_dual_lshlrev_b32 v10, 16, v18 :: v_dual_add_f32 v8, v8, v9
	v_pk_mul_f32 v[6:7], v[6:7], v[10:11]
	s_delay_alu instid0(VALU_DEP_1) | instskip(NEXT) | instid1(VALU_DEP_1)
	v_add_f32_e32 v6, v8, v6
	v_add_f32_e32 v34, v6, v7
.LBB550_45:                             ;   in Loop: Header=BB550_5 Depth=1
	s_or_b32 exec_lo, exec_lo, s40
.LBB550_46:                             ;   in Loop: Header=BB550_5 Depth=1
	ds_store_2addr_stride64_b32 v0, v34, v35 offset1:1
	ds_store_2addr_stride64_b32 v0, v36, v37 offset0:2 offset1:3
	s_wait_dscnt 0x0
	s_barrier_signal -1
	s_barrier_wait -1
                                        ; implicit-def: $vgpr8
	s_and_saveexec_b32 s7, s5
	s_cbranch_execz .LBB550_68
; %bb.47:                               ;   in Loop: Header=BB550_5 Depth=1
	ds_load_2addr_stride64_b32 v[6:7], v24 offset1:4
	ds_load_2addr_stride64_b32 v[8:9], v24 offset0:8 offset1:12
	ds_load_2addr_stride64_b32 v[10:11], v24 offset0:16 offset1:20
	s_mov_b32 s29, s47
	s_wait_dscnt 0x2
	v_add_f32_e32 v12, v6, v7
	ds_load_2addr_stride64_b32 v[6:7], v24 offset0:24 offset1:28
	s_wait_dscnt 0x2
	v_add_f32_e32 v8, v8, v12
	s_delay_alu instid0(VALU_DEP_1) | instskip(SKIP_3) | instid1(VALU_DEP_1)
	v_add_f32_e32 v12, v9, v8
	ds_load_2addr_stride64_b32 v[8:9], v24 offset0:32 offset1:36
	s_wait_dscnt 0x2
	v_add_f32_e32 v10, v10, v12
	v_add_f32_e32 v12, v11, v10
	ds_load_2addr_stride64_b32 v[10:11], v24 offset0:40 offset1:44
	s_wait_dscnt 0x2
	v_add_f32_e32 v6, v6, v12
	s_delay_alu instid0(VALU_DEP_1) | instskip(SKIP_1) | instid1(VALU_DEP_1)
	v_add_f32_e32 v6, v7, v6
	s_wait_dscnt 0x1
	v_add_f32_e32 v8, v8, v6
	ds_load_2addr_stride64_b32 v[6:7], v24 offset0:48 offset1:52
	v_add_f32_e32 v8, v9, v8
	s_wait_dscnt 0x1
	s_delay_alu instid0(VALU_DEP_1) | instskip(SKIP_3) | instid1(VALU_DEP_1)
	v_add_f32_e32 v10, v10, v8
	ds_load_2addr_stride64_b32 v[8:9], v24 offset0:56 offset1:60
	v_add_f32_e32 v10, v11, v10
	s_wait_dscnt 0x1
	v_add_f32_e32 v6, v6, v10
	s_delay_alu instid0(VALU_DEP_1) | instskip(SKIP_1) | instid1(VALU_DEP_1)
	v_add_f32_e32 v6, v7, v6
	s_wait_dscnt 0x0
	v_add_f32_e32 v6, v8, v6
                                        ; implicit-def: $vgpr8
	s_delay_alu instid0(VALU_DEP_1)
	v_add_f32_e32 v6, v9, v6
	ds_store_b32 v24, v6
	s_and_saveexec_b32 s28, s6
	s_cbranch_execz .LBB550_67
; %bb.48:                               ;   in Loop: Header=BB550_5 Depth=1
	v_mul_f32_e32 v6, v33, v6
	s_cmp_eq_f32 s48, 0
	s_cbranch_scc0 .LBB550_56
; %bb.49:                               ;   in Loop: Header=BB550_5 Depth=1
	s_delay_alu instid0(VALU_DEP_1) | instskip(NEXT) | instid1(VALU_DEP_1)
	v_and_b32_e32 v7, 0x7f800000, v6
	v_cmp_ne_u32_e32 vcc_lo, 0x7f800000, v7
                                        ; implicit-def: $vgpr7
	s_and_saveexec_b32 s29, vcc_lo
	s_delay_alu instid0(SALU_CYCLE_1)
	s_xor_b32 s29, exec_lo, s29
; %bb.50:                               ;   in Loop: Header=BB550_5 Depth=1
	v_bfe_u32 v7, v6, 16, 1
	s_delay_alu instid0(VALU_DEP_1)
	v_add3_u32 v7, v6, v7, 0x7fff
; %bb.51:                               ;   in Loop: Header=BB550_5 Depth=1
	s_and_not1_saveexec_b32 s29, s29
; %bb.52:                               ;   in Loop: Header=BB550_5 Depth=1
	v_and_b32_e32 v7, 0xffff, v6
	v_or_b32_e32 v8, 0x10000, v6
	s_delay_alu instid0(VALU_DEP_2) | instskip(NEXT) | instid1(VALU_DEP_2)
	v_cmp_eq_u32_e32 vcc_lo, 0, v7
	v_cndmask_b32_e32 v7, v8, v6, vcc_lo
; %bb.53:                               ;   in Loop: Header=BB550_5 Depth=1
	s_or_b32 exec_lo, exec_lo, s29
	s_cbranch_execz .LBB550_57
	s_branch .LBB550_66
.LBB550_54:                             ;   in Loop: Header=BB550_5 Depth=1
	v_mov_b32_e32 v8, 0
	s_mov_b32 s47, exec_lo
	s_or_b32 exec_lo, exec_lo, s28
	s_delay_alu instid0(SALU_CYCLE_1)
	s_and_b32 vcc_lo, exec_lo, s7
	s_cbranch_vccnz .LBB550_16
.LBB550_55:                             ;   in Loop: Header=BB550_5 Depth=1
	v_mov_b64_e32 v[6:7], v[2:3]
	s_wait_xcnt 0x0
	s_and_saveexec_b32 s7, s47
	s_cbranch_execz .LBB550_3
	s_branch .LBB550_69
.LBB550_56:                             ;   in Loop: Header=BB550_5 Depth=1
                                        ; implicit-def: $vgpr7
.LBB550_57:                             ;   in Loop: Header=BB550_5 Depth=1
	v_lshl_add_u64 v[8:9], v[4:5], 1, s[26:27]
	global_load_u16 v7, v[8:9], off
	s_wait_loadcnt 0x0
	v_lshlrev_b32_e32 v7, 16, v7
	s_delay_alu instid0(VALU_DEP_1) | instskip(SKIP_1) | instid1(VALU_DEP_1)
	v_mul_f32_e32 v7, s48, v7
	s_wait_xcnt 0x0
	v_and_b32_e32 v8, 0x7f800000, v7
	s_delay_alu instid0(VALU_DEP_1) | instskip(SKIP_1) | instid1(SALU_CYCLE_1)
	v_cmp_ne_u32_e32 vcc_lo, 0x7f800000, v8
                                        ; implicit-def: $vgpr8
	s_and_saveexec_b32 s29, vcc_lo
	s_xor_b32 s29, exec_lo, s29
; %bb.58:                               ;   in Loop: Header=BB550_5 Depth=1
	v_bfe_u32 v8, v7, 16, 1
	s_delay_alu instid0(VALU_DEP_1)
	v_add3_u32 v8, v7, v8, 0x7fff
                                        ; implicit-def: $vgpr7
; %bb.59:                               ;   in Loop: Header=BB550_5 Depth=1
	s_and_not1_saveexec_b32 s29, s29
; %bb.60:                               ;   in Loop: Header=BB550_5 Depth=1
	v_and_b32_e32 v8, 0xffff, v7
	v_or_b32_e32 v9, 0x10000, v7
	s_delay_alu instid0(VALU_DEP_2) | instskip(NEXT) | instid1(VALU_DEP_2)
	v_cmp_eq_u32_e32 vcc_lo, 0, v8
	v_cndmask_b32_e32 v8, v9, v7, vcc_lo
; %bb.61:                               ;   in Loop: Header=BB550_5 Depth=1
	s_or_b32 exec_lo, exec_lo, s29
	s_delay_alu instid0(VALU_DEP_1) | instskip(NEXT) | instid1(VALU_DEP_1)
	v_and_b32_e32 v7, 0xffff0000, v8
	v_add_f32_e32 v6, v6, v7
	s_delay_alu instid0(VALU_DEP_1) | instskip(NEXT) | instid1(VALU_DEP_1)
	v_and_b32_e32 v7, 0x7f800000, v6
	v_cmp_ne_u32_e32 vcc_lo, 0x7f800000, v7
                                        ; implicit-def: $vgpr7
	s_and_saveexec_b32 s29, vcc_lo
	s_delay_alu instid0(SALU_CYCLE_1)
	s_xor_b32 s29, exec_lo, s29
; %bb.62:                               ;   in Loop: Header=BB550_5 Depth=1
	v_bfe_u32 v7, v6, 16, 1
	s_delay_alu instid0(VALU_DEP_1)
	v_add3_u32 v7, v6, v7, 0x7fff
                                        ; implicit-def: $vgpr6
; %bb.63:                               ;   in Loop: Header=BB550_5 Depth=1
	s_and_not1_saveexec_b32 s29, s29
; %bb.64:                               ;   in Loop: Header=BB550_5 Depth=1
	v_and_b32_e32 v7, 0xffff, v6
	v_or_b32_e32 v8, 0x10000, v6
	s_delay_alu instid0(VALU_DEP_2) | instskip(NEXT) | instid1(VALU_DEP_2)
	v_cmp_eq_u32_e32 vcc_lo, 0, v7
	v_cndmask_b32_e32 v7, v8, v6, vcc_lo
; %bb.65:                               ;   in Loop: Header=BB550_5 Depth=1
	s_or_b32 exec_lo, exec_lo, s29
.LBB550_66:                             ;   in Loop: Header=BB550_5 Depth=1
	s_delay_alu instid0(VALU_DEP_1)
	v_lshrrev_b32_e32 v8, 16, v7
	s_or_b32 s29, s47, exec_lo
.LBB550_67:                             ;   in Loop: Header=BB550_5 Depth=1
	s_or_b32 exec_lo, exec_lo, s28
	s_delay_alu instid0(SALU_CYCLE_1) | instskip(SKIP_1) | instid1(SALU_CYCLE_1)
	s_and_not1_b32 s28, s47, exec_lo
	s_and_b32 s29, s29, exec_lo
	s_or_b32 s47, s28, s29
.LBB550_68:                             ;   in Loop: Header=BB550_5 Depth=1
	s_or_b32 exec_lo, exec_lo, s7
	v_mov_b64_e32 v[6:7], v[4:5]
	s_and_saveexec_b32 s7, s47
	s_cbranch_execz .LBB550_3
.LBB550_69:                             ;   in Loop: Header=BB550_5 Depth=1
	s_delay_alu instid0(VALU_DEP_1)
	v_lshl_add_u64 v[6:7], v[6:7], 1, s[26:27]
	global_store_b16 v[6:7], v8, off
	s_branch .LBB550_3
.LBB550_70:
	s_endpgm
	.section	.rodata,"a",@progbits
	.p2align	6, 0x0
	.amdhsa_kernel _ZL20rocblas_gemvn_kernelILi64ELi16Ei16rocblas_bfloat16PKfS0_EviiT3_lPKT2_lT1_lS6_lS7_lS3_lPT4_lS7_li
		.amdhsa_group_segment_fixed_size 16384
		.amdhsa_private_segment_fixed_size 0
		.amdhsa_kernarg_size 400
		.amdhsa_user_sgpr_count 2
		.amdhsa_user_sgpr_dispatch_ptr 0
		.amdhsa_user_sgpr_queue_ptr 0
		.amdhsa_user_sgpr_kernarg_segment_ptr 1
		.amdhsa_user_sgpr_dispatch_id 0
		.amdhsa_user_sgpr_kernarg_preload_length 0
		.amdhsa_user_sgpr_kernarg_preload_offset 0
		.amdhsa_user_sgpr_private_segment_size 0
		.amdhsa_wavefront_size32 1
		.amdhsa_uses_dynamic_stack 0
		.amdhsa_enable_private_segment 0
		.amdhsa_system_sgpr_workgroup_id_x 1
		.amdhsa_system_sgpr_workgroup_id_y 0
		.amdhsa_system_sgpr_workgroup_id_z 1
		.amdhsa_system_sgpr_workgroup_info 0
		.amdhsa_system_vgpr_workitem_id 1
		.amdhsa_next_free_vgpr 51
		.amdhsa_next_free_sgpr 55
		.amdhsa_named_barrier_count 0
		.amdhsa_reserve_vcc 1
		.amdhsa_float_round_mode_32 0
		.amdhsa_float_round_mode_16_64 0
		.amdhsa_float_denorm_mode_32 3
		.amdhsa_float_denorm_mode_16_64 3
		.amdhsa_fp16_overflow 0
		.amdhsa_memory_ordered 1
		.amdhsa_forward_progress 1
		.amdhsa_inst_pref_size 29
		.amdhsa_round_robin_scheduling 0
		.amdhsa_exception_fp_ieee_invalid_op 0
		.amdhsa_exception_fp_denorm_src 0
		.amdhsa_exception_fp_ieee_div_zero 0
		.amdhsa_exception_fp_ieee_overflow 0
		.amdhsa_exception_fp_ieee_underflow 0
		.amdhsa_exception_fp_ieee_inexact 0
		.amdhsa_exception_int_div_zero 0
	.end_amdhsa_kernel
	.section	.text._ZL20rocblas_gemvn_kernelILi64ELi16Ei16rocblas_bfloat16PKfS0_EviiT3_lPKT2_lT1_lS6_lS7_lS3_lPT4_lS7_li,"axG",@progbits,_ZL20rocblas_gemvn_kernelILi64ELi16Ei16rocblas_bfloat16PKfS0_EviiT3_lPKT2_lT1_lS6_lS7_lS3_lPT4_lS7_li,comdat
.Lfunc_end550:
	.size	_ZL20rocblas_gemvn_kernelILi64ELi16Ei16rocblas_bfloat16PKfS0_EviiT3_lPKT2_lT1_lS6_lS7_lS3_lPT4_lS7_li, .Lfunc_end550-_ZL20rocblas_gemvn_kernelILi64ELi16Ei16rocblas_bfloat16PKfS0_EviiT3_lPKT2_lT1_lS6_lS7_lS3_lPT4_lS7_li
                                        ; -- End function
	.set _ZL20rocblas_gemvn_kernelILi64ELi16Ei16rocblas_bfloat16PKfS0_EviiT3_lPKT2_lT1_lS6_lS7_lS3_lPT4_lS7_li.num_vgpr, 51
	.set _ZL20rocblas_gemvn_kernelILi64ELi16Ei16rocblas_bfloat16PKfS0_EviiT3_lPKT2_lT1_lS6_lS7_lS3_lPT4_lS7_li.num_agpr, 0
	.set _ZL20rocblas_gemvn_kernelILi64ELi16Ei16rocblas_bfloat16PKfS0_EviiT3_lPKT2_lT1_lS6_lS7_lS3_lPT4_lS7_li.numbered_sgpr, 55
	.set _ZL20rocblas_gemvn_kernelILi64ELi16Ei16rocblas_bfloat16PKfS0_EviiT3_lPKT2_lT1_lS6_lS7_lS3_lPT4_lS7_li.num_named_barrier, 0
	.set _ZL20rocblas_gemvn_kernelILi64ELi16Ei16rocblas_bfloat16PKfS0_EviiT3_lPKT2_lT1_lS6_lS7_lS3_lPT4_lS7_li.private_seg_size, 0
	.set _ZL20rocblas_gemvn_kernelILi64ELi16Ei16rocblas_bfloat16PKfS0_EviiT3_lPKT2_lT1_lS6_lS7_lS3_lPT4_lS7_li.uses_vcc, 1
	.set _ZL20rocblas_gemvn_kernelILi64ELi16Ei16rocblas_bfloat16PKfS0_EviiT3_lPKT2_lT1_lS6_lS7_lS3_lPT4_lS7_li.uses_flat_scratch, 0
	.set _ZL20rocblas_gemvn_kernelILi64ELi16Ei16rocblas_bfloat16PKfS0_EviiT3_lPKT2_lT1_lS6_lS7_lS3_lPT4_lS7_li.has_dyn_sized_stack, 0
	.set _ZL20rocblas_gemvn_kernelILi64ELi16Ei16rocblas_bfloat16PKfS0_EviiT3_lPKT2_lT1_lS6_lS7_lS3_lPT4_lS7_li.has_recursion, 0
	.set _ZL20rocblas_gemvn_kernelILi64ELi16Ei16rocblas_bfloat16PKfS0_EviiT3_lPKT2_lT1_lS6_lS7_lS3_lPT4_lS7_li.has_indirect_call, 0
	.section	.AMDGPU.csdata,"",@progbits
; Kernel info:
; codeLenInByte = 3664
; TotalNumSgprs: 57
; NumVgprs: 51
; ScratchSize: 0
; MemoryBound: 0
; FloatMode: 240
; IeeeMode: 1
; LDSByteSize: 16384 bytes/workgroup (compile time only)
; SGPRBlocks: 0
; VGPRBlocks: 3
; NumSGPRsForWavesPerEU: 57
; NumVGPRsForWavesPerEU: 51
; NamedBarCnt: 0
; Occupancy: 16
; WaveLimiterHint : 1
; COMPUTE_PGM_RSRC2:SCRATCH_EN: 0
; COMPUTE_PGM_RSRC2:USER_SGPR: 2
; COMPUTE_PGM_RSRC2:TRAP_HANDLER: 0
; COMPUTE_PGM_RSRC2:TGID_X_EN: 1
; COMPUTE_PGM_RSRC2:TGID_Y_EN: 0
; COMPUTE_PGM_RSRC2:TGID_Z_EN: 1
; COMPUTE_PGM_RSRC2:TIDIG_COMP_CNT: 1
	.section	.text._ZL20rocblas_gemvn_kernelILi64ELi16El16rocblas_bfloat16PKfS0_EviiT3_lPKT2_lT1_lS6_lS7_lS3_lPT4_lS7_li,"axG",@progbits,_ZL20rocblas_gemvn_kernelILi64ELi16El16rocblas_bfloat16PKfS0_EviiT3_lPKT2_lT1_lS6_lS7_lS3_lPT4_lS7_li,comdat
	.globl	_ZL20rocblas_gemvn_kernelILi64ELi16El16rocblas_bfloat16PKfS0_EviiT3_lPKT2_lT1_lS6_lS7_lS3_lPT4_lS7_li ; -- Begin function _ZL20rocblas_gemvn_kernelILi64ELi16El16rocblas_bfloat16PKfS0_EviiT3_lPKT2_lT1_lS6_lS7_lS3_lPT4_lS7_li
	.p2align	8
	.type	_ZL20rocblas_gemvn_kernelILi64ELi16El16rocblas_bfloat16PKfS0_EviiT3_lPKT2_lT1_lS6_lS7_lS3_lPT4_lS7_li,@function
_ZL20rocblas_gemvn_kernelILi64ELi16El16rocblas_bfloat16PKfS0_EviiT3_lPKT2_lT1_lS6_lS7_lS3_lPT4_lS7_li: ; @_ZL20rocblas_gemvn_kernelILi64ELi16El16rocblas_bfloat16PKfS0_EviiT3_lPKT2_lT1_lS6_lS7_lS3_lPT4_lS7_li
; %bb.0:
	s_load_b64 s[2:3], s[0:1], 0x9c
	s_wait_kmcnt 0x0
	s_lshr_b32 s4, s2, 16
	s_and_b32 s2, s2, 0xffff
	s_and_b32 s3, s3, 0xffff
	s_mul_i32 s2, s4, s2
	s_delay_alu instid0(SALU_CYCLE_1) | instskip(NEXT) | instid1(SALU_CYCLE_1)
	s_mul_i32 s2, s2, s3
	s_cmp_lg_u32 s2, 0x400
	s_cbranch_scc1 .LBB551_70
; %bb.1:
	s_load_b32 s33, s[0:1], 0x88
	s_bfe_u32 s2, ttmp6, 0x40014
	s_lshr_b32 s3, ttmp7, 16
	s_add_co_i32 s2, s2, 1
	s_bfe_u32 s5, ttmp6, 0x40008
	s_mul_i32 s4, s3, s2
	s_getreg_b32 s2, hwreg(HW_REG_IB_STS2, 6, 4)
	s_add_co_i32 s5, s5, s4
	s_cmp_eq_u32 s2, 0
	s_mov_b32 s11, 0
	s_cselect_b32 s10, s3, s5
	s_wait_kmcnt 0x0
	s_cmp_ge_u32 s10, s33
	s_cbranch_scc1 .LBB551_70
; %bb.2:
	s_clause 0x2
	s_load_b512 s[12:27], s[0:1], 0x8
	s_load_b512 s[36:51], s[0:1], 0x48
	s_load_b64 s[28:29], s[0:1], 0x0
	s_wait_xcnt 0x0
	s_bfe_u32 s0, ttmp6, 0x4000c
	v_and_b32_e32 v24, 0x3ff, v0
	s_add_co_i32 s0, s0, 1
	v_bfe_u32 v4, v0, 10, 10
	s_and_b32 s1, ttmp6, 15
	s_mul_i32 s0, ttmp9, s0
	v_dual_mov_b32 v1, 0 :: v_dual_lshlrev_b32 v2, 2, v24
	s_add_co_i32 s1, s1, s0
	v_lshl_add_u32 v6, v4, 6, v24
	s_delay_alu instid0(VALU_DEP_2) | instskip(NEXT) | instid1(VALU_DEP_3)
	v_dual_mov_b32 v5, v1 :: v_dual_lshlrev_b32 v52, 2, v4
	v_lshl_add_u32 v53, v4, 10, v2
	v_lshl_add_u32 v54, v4, 8, v2
	s_wait_kmcnt 0x0
	s_lshl_b64 s[4:5], s[18:19], 1
	s_lshl_b64 s[18:19], s[26:27], 1
	;; [unrolled: 1-line block ×3, first 2 shown]
	s_cmp_eq_u32 s2, 0
	s_mov_b32 s2, s28
	s_cselect_b32 s0, ttmp9, s1
	s_ashr_i32 s3, s28, 31
	s_lshl_b32 s1, s0, 8
	v_cmp_gt_u32_e64 s0, 0x100, v6
	v_dual_add_nc_u32 v0, s1, v6 :: v_dual_bitop2_b32 v6, s1, v6 bitop3:0x54
	v_mul_u64_e32 v[10:11], s[36:37], v[4:5]
	v_mul_u64_e32 v[12:13], s[20:21], v[4:5]
	v_mad_nc_u64_u32 v[8:9], s36, v52, s[36:37]
	s_delay_alu instid0(VALU_DEP_4)
	v_cmp_gt_i64_e32 vcc_lo, s[2:3], v[0:1]
	v_mul_u64_e32 v[2:3], s[48:49], v[0:1]
	v_dual_ashrrev_i32 v7, 31, v6 :: v_dual_bitop2_b32 v0, 3, v52 bitop3:0x54
	v_mad_nc_u64_u32 v[22:23], s20, v52, s[20:21]
	s_ashr_i32 s2, s29, 31
	v_add_nc_u32_e32 v24, s1, v24
	s_delay_alu instid0(VALU_DEP_3)
	v_mul_u64_e32 v[14:15], s[20:21], v[0:1]
	v_mul_u64_e32 v[16:17], s[36:37], v[0:1]
	v_or_b32_e32 v0, 2, v52
	v_mul_u64_e32 v[4:5], s[48:49], v[6:7]
	v_mad_u32 v9, s37, v52, v9
	s_lshr_b32 s2, s2, 26
	v_ashrrev_i32_e32 v25, 31, v24
	v_mul_u64_e32 v[18:19], s[20:21], v[0:1]
	v_mul_u64_e32 v[20:21], s[36:37], v[0:1]
	v_mad_u32 v23, s21, v52, v23
	s_add_co_i32 s52, s29, s2
	v_add_nc_u32_e32 v7, 0x80, v24
	s_and_not1_b32 s52, s52, 63
	v_add_nc_u32_e32 v0, 64, v24
	v_add_nc_u32_e32 v26, 0xc0, v24
	s_sub_co_i32 s3, s29, s52
	s_add_nc_u64 s[16:17], s[16:17], s[4:5]
	s_cmp_gt_i32 s3, 0
	v_cmp_gt_i32_e64 s3, s28, v6
	v_cmp_gt_i32_e64 s5, s28, v7
	v_lshlrev_b64_e32 v[6:7], 1, v[24:25]
	s_add_nc_u64 s[30:31], s[44:45], s[6:7]
	v_cmp_gt_i32_e64 s1, s52, v52
	v_cmp_gt_i32_e64 s2, s28, v24
	;; [unrolled: 1-line block ×4, first 2 shown]
	v_lshl_add_u64 v[8:9], v[8:9], 1, s[24:25]
	v_lshl_add_u64 v[10:11], v[10:11], 3, s[24:25]
	;; [unrolled: 1-line block ×4, first 2 shown]
	s_add_nc_u64 s[26:27], s[24:25], s[18:19]
	s_cselect_b32 s53, -1, 0
	v_lshl_add_u64 v[14:15], v[14:15], 1, s[16:17]
	v_lshl_add_u64 v[16:17], v[16:17], 1, s[24:25]
	s_lshl_b64 s[34:35], s[38:39], 1
	s_and_b32 s28, s0, vcc_lo
	s_lshl_b64 s[44:45], s[22:23], 1
	s_lshl_b64 s[46:47], s[20:21], 7
	v_lshl_add_u64 v[18:19], v[18:19], 1, s[16:17]
	v_lshl_add_u64 v[20:21], v[20:21], 1, s[24:25]
	s_lshl_b64 s[24:25], s[36:37], 7
	s_branch .LBB551_5
.LBB551_3:                              ;   in Loop: Header=BB551_5 Depth=1
	s_wait_xcnt 0x0
	s_or_b32 exec_lo, exec_lo, s7
.LBB551_4:                              ;   in Loop: Header=BB551_5 Depth=1
	s_add_co_i32 s10, s10, 0x10000
	s_delay_alu instid0(SALU_CYCLE_1)
	s_cmp_lt_u32 s10, s33
	s_cbranch_scc0 .LBB551_70
.LBB551_5:                              ; =>This Loop Header: Depth=1
                                        ;     Child Loop BB551_22 Depth 2
	s_wait_xcnt 0x1
	s_mul_u64 s[8:9], s[14:15], s[10:11]
	s_wait_xcnt 0x0
	s_mul_u64 s[48:49], s[42:43], s[10:11]
	s_lshl_b64 s[8:9], s[8:9], 2
	s_lshl_b64 s[48:49], s[48:49], 2
	s_add_nc_u64 s[8:9], s[12:13], s[8:9]
	s_add_nc_u64 s[48:49], s[40:41], s[48:49]
	s_clause 0x1
	global_load_b32 v55, v1, s[8:9]
	global_load_b32 v0, v1, s[48:49]
	s_wait_loadcnt 0x1
	v_cmp_eq_f32_e32 vcc_lo, 0, v55
	s_wait_loadcnt 0x0
	v_cmp_eq_f32_e64 s7, 1.0, v0
	v_readfirstlane_b32 s55, v0
	s_and_b32 s7, vcc_lo, s7
	s_delay_alu instid0(SALU_CYCLE_1)
	s_and_b32 vcc_lo, exec_lo, s7
	s_cbranch_vccnz .LBB551_4
; %bb.6:                                ;   in Loop: Header=BB551_5 Depth=1
	v_cmp_neq_f32_e32 vcc_lo, 0, v55
	s_wait_xcnt 0x1
	s_mul_u64 s[8:9], s[50:51], s[10:11]
	s_delay_alu instid0(SALU_CYCLE_1)
	s_lshl_b64 s[8:9], s[8:9], 1
	s_wait_xcnt 0x0
	s_add_nc_u64 s[48:49], s[30:31], s[8:9]
	s_cbranch_vccnz .LBB551_14
; %bb.7:                                ;   in Loop: Header=BB551_5 Depth=1
	s_mov_b32 s7, 0
	s_mov_b32 s54, 0
                                        ; implicit-def: $vgpr0
	s_and_saveexec_b32 s8, s28
	s_cbranch_execz .LBB551_15
; %bb.8:                                ;   in Loop: Header=BB551_5 Depth=1
	s_cmp_eq_f32 s55, 0
	s_cbranch_scc1 .LBB551_54
; %bb.9:                                ;   in Loop: Header=BB551_5 Depth=1
	v_lshl_add_u64 v[24:25], v[2:3], 1, s[48:49]
	global_load_u16 v0, v[24:25], off
	s_wait_loadcnt 0x0
	v_lshlrev_b32_e32 v0, 16, v0
	s_delay_alu instid0(VALU_DEP_1) | instskip(SKIP_1) | instid1(VALU_DEP_1)
	v_mul_f32_e32 v0, s55, v0
	s_wait_xcnt 0x0
	v_and_b32_e32 v24, 0x7f800000, v0
	s_delay_alu instid0(VALU_DEP_1) | instskip(SKIP_1) | instid1(SALU_CYCLE_1)
	v_cmp_ne_u32_e32 vcc_lo, 0x7f800000, v24
                                        ; implicit-def: $vgpr24
	s_and_saveexec_b32 s9, vcc_lo
	s_xor_b32 s9, exec_lo, s9
; %bb.10:                               ;   in Loop: Header=BB551_5 Depth=1
	v_bfe_u32 v24, v0, 16, 1
	s_delay_alu instid0(VALU_DEP_1)
	v_add3_u32 v24, v0, v24, 0x7fff
                                        ; implicit-def: $vgpr0
; %bb.11:                               ;   in Loop: Header=BB551_5 Depth=1
	s_and_not1_saveexec_b32 s9, s9
; %bb.12:                               ;   in Loop: Header=BB551_5 Depth=1
	v_and_b32_e32 v24, 0xffff, v0
	v_or_b32_e32 v25, 0x10000, v0
	s_delay_alu instid0(VALU_DEP_2) | instskip(NEXT) | instid1(VALU_DEP_2)
	v_cmp_eq_u32_e32 vcc_lo, 0, v24
	v_cndmask_b32_e32 v24, v25, v0, vcc_lo
; %bb.13:                               ;   in Loop: Header=BB551_5 Depth=1
	s_or_b32 exec_lo, exec_lo, s9
	s_delay_alu instid0(VALU_DEP_1) | instskip(SKIP_2) | instid1(SALU_CYCLE_1)
	v_lshrrev_b32_e32 v0, 16, v24
	s_mov_b32 s54, exec_lo
	s_or_b32 exec_lo, exec_lo, s8
	s_and_b32 vcc_lo, exec_lo, s7
	s_cbranch_vccnz .LBB551_16
	s_branch .LBB551_55
.LBB551_14:                             ;   in Loop: Header=BB551_5 Depth=1
	s_mov_b32 s54, 0
                                        ; implicit-def: $vgpr0
	s_cbranch_execnz .LBB551_16
	s_branch .LBB551_55
.LBB551_15:                             ;   in Loop: Header=BB551_5 Depth=1
	s_or_b32 exec_lo, exec_lo, s8
	s_delay_alu instid0(SALU_CYCLE_1)
	s_and_b32 vcc_lo, exec_lo, s7
	s_cbranch_vccz .LBB551_55
.LBB551_16:                             ;   in Loop: Header=BB551_5 Depth=1
	v_dual_mov_b32 v56, 0 :: v_dual_mov_b32 v0, v52
	v_dual_mov_b32 v57, 0 :: v_dual_mov_b32 v58, 0
	v_mov_b32_e32 v59, 0
	s_and_saveexec_b32 s7, s1
	s_cbranch_execz .LBB551_28
; %bb.17:                               ;   in Loop: Header=BB551_5 Depth=1
	s_mul_u64 s[8:9], s[34:35], s[10:11]
	s_mul_u64 s[56:57], s[44:45], s[10:11]
	v_add_nc_u64_e32 v[24:25], s[8:9], v[10:11]
	v_add_nc_u64_e32 v[26:27], s[56:57], v[14:15]
	v_add_nc_u64_e32 v[28:29], s[8:9], v[16:17]
	v_add_nc_u64_e32 v[30:31], s[56:57], v[12:13]
	v_add_nc_u64_e32 v[32:33], s[56:57], v[18:19]
	v_add_nc_u64_e32 v[34:35], s[8:9], v[20:21]
	v_add_nc_u64_e32 v[36:37], s[8:9], v[8:9]
	v_add_nc_u64_e32 v[38:39], s[56:57], v[22:23]
	v_dual_mov_b32 v56, 0 :: v_dual_mov_b32 v0, v52
	v_dual_mov_b32 v57, 0 :: v_dual_mov_b32 v58, 0
	v_mov_b32_e32 v59, 0
	s_mov_b32 s8, 0
	s_branch .LBB551_22
.LBB551_18:                             ;   in Loop: Header=BB551_22 Depth=2
	s_or_b32 exec_lo, exec_lo, s58
	s_wait_loadcnt 0x2
	v_dual_lshlrev_b32 v45, 16, v71 :: v_dual_lshlrev_b32 v44, 16, v70
	s_delay_alu instid0(VALU_DEP_1) | instskip(SKIP_1) | instid1(VALU_DEP_1)
	v_pk_mul_f32 v[44:45], v[42:43], v[44:45]
	s_wait_loadcnt 0x0
	v_dual_add_f32 v44, v58, v44 :: v_dual_lshlrev_b32 v47, 16, v69
	s_delay_alu instid0(VALU_DEP_1) | instskip(NEXT) | instid1(VALU_DEP_1)
	v_dual_lshlrev_b32 v46, 16, v68 :: v_dual_add_f32 v48, v44, v45
	v_pk_mul_f32 v[44:45], v[40:41], v[46:47]
	s_delay_alu instid0(VALU_DEP_1) | instskip(NEXT) | instid1(VALU_DEP_1)
	v_add_f32_e32 v44, v48, v44
	v_add_f32_e32 v58, v44, v45
.LBB551_19:                             ;   in Loop: Header=BB551_22 Depth=2
	s_or_b32 exec_lo, exec_lo, s57
	s_wait_loadcnt 0x2
	v_dual_lshlrev_b32 v45, 16, v67 :: v_dual_lshlrev_b32 v44, 16, v66
	s_delay_alu instid0(VALU_DEP_1) | instskip(SKIP_1) | instid1(VALU_DEP_1)
	v_pk_mul_f32 v[44:45], v[42:43], v[44:45]
	s_wait_loadcnt 0x0
	v_dual_add_f32 v44, v57, v44 :: v_dual_lshlrev_b32 v47, 16, v65
	s_delay_alu instid0(VALU_DEP_1) | instskip(NEXT) | instid1(VALU_DEP_1)
	v_dual_lshlrev_b32 v46, 16, v64 :: v_dual_add_f32 v48, v44, v45
	v_pk_mul_f32 v[44:45], v[40:41], v[46:47]
	s_delay_alu instid0(VALU_DEP_1) | instskip(NEXT) | instid1(VALU_DEP_1)
	v_add_f32_e32 v44, v48, v44
	v_add_f32_e32 v57, v44, v45
.LBB551_20:                             ;   in Loop: Header=BB551_22 Depth=2
	s_or_b32 exec_lo, exec_lo, s56
	s_wait_loadcnt 0x2
	v_dual_lshlrev_b32 v45, 16, v63 :: v_dual_lshlrev_b32 v44, 16, v62
	s_delay_alu instid0(VALU_DEP_1) | instskip(SKIP_1) | instid1(VALU_DEP_1)
	v_pk_mul_f32 v[42:43], v[42:43], v[44:45]
	s_wait_loadcnt 0x0
	v_dual_add_f32 v42, v56, v42 :: v_dual_lshlrev_b32 v45, 16, v61
	s_delay_alu instid0(VALU_DEP_1) | instskip(NEXT) | instid1(VALU_DEP_1)
	v_dual_lshlrev_b32 v44, 16, v60 :: v_dual_add_f32 v42, v42, v43
	v_pk_mul_f32 v[40:41], v[40:41], v[44:45]
	s_delay_alu instid0(VALU_DEP_1) | instskip(NEXT) | instid1(VALU_DEP_1)
	v_add_f32_e32 v40, v42, v40
	v_add_f32_e32 v56, v40, v41
.LBB551_21:                             ;   in Loop: Header=BB551_22 Depth=2
	s_or_b32 exec_lo, exec_lo, s9
	v_add_nc_u32_e32 v0, 64, v0
	v_add_nc_u64_e32 v[24:25], s[24:25], v[24:25]
	v_add_nc_u64_e32 v[26:27], s[46:47], v[26:27]
	;; [unrolled: 1-line block ×7, first 2 shown]
	v_cmp_le_i32_e32 vcc_lo, s52, v0
	v_add_nc_u64_e32 v[38:39], s[46:47], v[38:39]
	s_or_b32 s8, vcc_lo, s8
	s_delay_alu instid0(SALU_CYCLE_1)
	s_and_not1_b32 exec_lo, exec_lo, s8
	s_cbranch_execz .LBB551_27
.LBB551_22:                             ;   Parent Loop BB551_5 Depth=1
                                        ; =>  This Inner Loop Header: Depth=2
	s_and_saveexec_b32 s9, s2
	s_cbranch_execz .LBB551_21
; %bb.23:                               ;   in Loop: Header=BB551_22 Depth=2
	v_add_nc_u64_e32 v[40:41], s[18:19], v[24:25]
	v_add_nc_u64_e32 v[42:43], s[18:19], v[36:37]
	;; [unrolled: 1-line block ×7, first 2 shown]
	global_load_u16 v40, v[40:41], off
	global_load_u16 v41, v[42:43], off
	v_add_nc_u64_e32 v[46:47], v[26:27], v[6:7]
	global_load_u16 v64, v[62:63], off
	global_load_u16 v65, v[60:61], off
	;; [unrolled: 1-line block ×6, first 2 shown]
	s_wait_loadcnt 0x6
	v_dual_lshlrev_b32 v42, 16, v40 :: v_dual_lshlrev_b32 v43, 16, v41
	s_wait_loadcnt 0x4
	v_dual_lshlrev_b32 v41, 16, v64 :: v_dual_lshlrev_b32 v40, 16, v65
	s_wait_xcnt 0x0
	s_and_saveexec_b32 s56, s4
	s_cbranch_execz .LBB551_20
; %bb.24:                               ;   in Loop: Header=BB551_22 Depth=2
	global_load_u16 v66, v[48:49], off offset:128
	global_load_u16 v67, v[50:51], off offset:128
	global_load_u16 v64, v[44:45], off offset:128
	global_load_u16 v65, v[46:47], off offset:128
	s_wait_xcnt 0x0
	s_and_saveexec_b32 s57, s5
	s_cbranch_execz .LBB551_19
; %bb.25:                               ;   in Loop: Header=BB551_22 Depth=2
	global_load_u16 v70, v[48:49], off offset:256
	global_load_u16 v71, v[50:51], off offset:256
	global_load_u16 v68, v[44:45], off offset:256
	global_load_u16 v69, v[46:47], off offset:256
	;; [unrolled: 8-line block ×3, first 2 shown]
	s_wait_loadcnt 0x2
	s_wait_xcnt 0x0
	v_dual_lshlrev_b32 v45, 16, v50 :: v_dual_lshlrev_b32 v44, 16, v48
	s_delay_alu instid0(VALU_DEP_1) | instskip(SKIP_1) | instid1(VALU_DEP_1)
	v_pk_mul_f32 v[44:45], v[42:43], v[44:45]
	s_wait_loadcnt 0x1
	v_dual_add_f32 v44, v59, v44 :: v_dual_lshlrev_b32 v47, 16, v46
	s_delay_alu instid0(VALU_DEP_1) | instskip(SKIP_2) | instid1(VALU_DEP_1)
	v_add_f32_e32 v48, v44, v45
	s_wait_loadcnt 0x0
	v_lshlrev_b32_e32 v46, 16, v49
	v_pk_mul_f32 v[44:45], v[40:41], v[46:47]
	s_delay_alu instid0(VALU_DEP_1) | instskip(NEXT) | instid1(VALU_DEP_1)
	v_add_f32_e32 v44, v48, v44
	v_add_f32_e32 v59, v44, v45
	s_branch .LBB551_18
.LBB551_27:                             ;   in Loop: Header=BB551_5 Depth=1
	s_or_b32 exec_lo, exec_lo, s8
.LBB551_28:                             ;   in Loop: Header=BB551_5 Depth=1
	s_delay_alu instid0(SALU_CYCLE_1) | instskip(NEXT) | instid1(SALU_CYCLE_1)
	s_or_b32 exec_lo, exec_lo, s7
	s_and_not1_b32 vcc_lo, exec_lo, s53
	s_cbranch_vccnz .LBB551_46
; %bb.29:                               ;   in Loop: Header=BB551_5 Depth=1
	v_dual_mov_b32 v24, 0 :: v_dual_bitop2_b32 v28, 1, v0 bitop3:0x54
	v_cmp_gt_i32_e32 vcc_lo, s29, v0
	s_delay_alu instid0(VALU_DEP_2)
	v_dual_mov_b32 v25, v24 :: v_dual_mov_b32 v26, v24
	v_mov_b32_e32 v27, v24
	s_and_saveexec_b32 s56, vcc_lo
	s_cbranch_execz .LBB551_37
; %bb.30:                               ;   in Loop: Header=BB551_5 Depth=1
	v_mul_u64_e32 v[24:25], s[36:37], v[0:1]
	s_mul_u64 s[8:9], s[38:39], s[10:11]
	v_mov_b32_e32 v27, 0
	s_lshl_b64 s[8:9], s[8:9], 1
	s_mov_b32 s57, exec_lo
	s_add_nc_u64 s[8:9], s[26:27], s[8:9]
	s_delay_alu instid0(VALU_DEP_2) | instid1(SALU_CYCLE_1)
	v_lshl_add_u64 v[24:25], v[24:25], 1, s[8:9]
	global_load_u16 v30, v[24:25], off
	s_wait_xcnt 0x0
	v_dual_mov_b32 v25, 0 :: v_dual_mov_b32 v24, 0
	v_cmpx_gt_i32_e64 s29, v28
	s_cbranch_execz .LBB551_36
; %bb.31:                               ;   in Loop: Header=BB551_5 Depth=1
	v_dual_mov_b32 v29, v1 :: v_dual_bitop2_b32 v26, 2, v0 bitop3:0x54
	s_mov_b32 s58, exec_lo
	s_delay_alu instid0(VALU_DEP_1) | instskip(NEXT) | instid1(VALU_DEP_1)
	v_mul_u64_e32 v[24:25], s[36:37], v[28:29]
	v_lshl_add_u64 v[24:25], v[24:25], 1, s[8:9]
	global_load_u16 v29, v[24:25], off
	s_wait_xcnt 0x0
	v_dual_mov_b32 v25, 0 :: v_dual_mov_b32 v24, 0
	v_cmpx_gt_i32_e64 s29, v26
	s_cbranch_execz .LBB551_35
; %bb.32:                               ;   in Loop: Header=BB551_5 Depth=1
	v_mov_b32_e32 v27, v1
	s_mov_b32 s59, exec_lo
	s_delay_alu instid0(VALU_DEP_1) | instskip(NEXT) | instid1(VALU_DEP_1)
	v_mul_u64_e32 v[24:25], s[36:37], v[26:27]
	v_lshl_add_u64 v[24:25], v[24:25], 1, s[8:9]
	global_load_u16 v26, v[24:25], off
	s_wait_xcnt 0x0
	v_dual_mov_b32 v25, 0 :: v_dual_bitop2_b32 v24, 3, v0 bitop3:0x54
	s_delay_alu instid0(VALU_DEP_1)
	v_cmpx_gt_i32_e64 s29, v24
	s_cbranch_execz .LBB551_34
; %bb.33:                               ;   in Loop: Header=BB551_5 Depth=1
	v_mov_b32_e32 v25, v1
	s_delay_alu instid0(VALU_DEP_1) | instskip(NEXT) | instid1(VALU_DEP_1)
	v_mul_u64_e32 v[24:25], s[36:37], v[24:25]
	v_lshl_add_u64 v[24:25], v[24:25], 1, s[8:9]
	global_load_u16 v24, v[24:25], off
	s_wait_loadcnt 0x0
	s_wait_xcnt 0x0
	v_lshlrev_b32_e32 v25, 16, v24
.LBB551_34:                             ;   in Loop: Header=BB551_5 Depth=1
	s_or_b32 exec_lo, exec_lo, s59
	s_wait_loadcnt 0x0
	v_lshlrev_b32_e32 v24, 16, v26
.LBB551_35:                             ;   in Loop: Header=BB551_5 Depth=1
	s_or_b32 exec_lo, exec_lo, s58
	s_wait_loadcnt 0x0
	v_lshlrev_b32_e32 v27, 16, v29
.LBB551_36:                             ;   in Loop: Header=BB551_5 Depth=1
	s_or_b32 exec_lo, exec_lo, s57
	s_wait_loadcnt 0x0
	v_lshlrev_b32_e32 v26, 16, v30
.LBB551_37:                             ;   in Loop: Header=BB551_5 Depth=1
	s_or_b32 exec_lo, exec_lo, s56
	s_and_saveexec_b32 s56, s2
	s_cbranch_execz .LBB551_45
; %bb.38:                               ;   in Loop: Header=BB551_5 Depth=1
	v_dual_mov_b32 v29, v1 :: v_dual_bitop2_b32 v30, 2, v0 bitop3:0x54
	v_mov_b32_e32 v31, v1
	v_mul_u64_e32 v[32:33], s[20:21], v[0:1]
	v_or_b32_e32 v0, 3, v0
	s_delay_alu instid0(VALU_DEP_4)
	v_mul_u64_e32 v[34:35], s[20:21], v[28:29]
	s_mul_u64 s[8:9], s[22:23], s[10:11]
	v_mul_u64_e32 v[36:37], s[20:21], v[30:31]
	v_cmp_gt_i32_e64 s7, s29, v28
	v_mul_u64_e32 v[38:39], s[20:21], v[0:1]
	s_lshl_b64 s[58:59], s[8:9], 1
	v_cmp_gt_i32_e64 s8, s29, v30
	v_cmp_gt_i32_e64 s9, s29, v0
	v_dual_cndmask_b32 v29, 0, v33 :: v_dual_cndmask_b32 v28, 0, v32
	v_dual_cndmask_b32 v31, 0, v35, s7 :: v_dual_cndmask_b32 v30, 0, v34, s7
	s_delay_alu instid0(VALU_DEP_4) | instskip(NEXT) | instid1(VALU_DEP_4)
	v_dual_cndmask_b32 v33, 0, v37, s8 :: v_dual_cndmask_b32 v32, 0, v36, s8
	v_dual_cndmask_b32 v35, 0, v39, s9 :: v_dual_cndmask_b32 v34, 0, v38, s9
	s_add_nc_u64 s[8:9], s[16:17], s[58:59]
	s_delay_alu instid0(VALU_DEP_3) | instid1(SALU_CYCLE_1)
	v_lshl_add_u64 v[30:31], v[30:31], 1, s[8:9]
	s_delay_alu instid0(VALU_DEP_3) | instskip(NEXT) | instid1(VALU_DEP_3)
	v_lshl_add_u64 v[36:37], v[32:33], 1, s[8:9]
	v_lshl_add_u64 v[34:35], v[34:35], 1, s[8:9]
	;; [unrolled: 1-line block ×3, first 2 shown]
	s_delay_alu instid0(VALU_DEP_4) | instskip(NEXT) | instid1(VALU_DEP_4)
	v_add_nc_u64_e32 v[32:33], v[30:31], v[6:7]
	v_add_nc_u64_e32 v[28:29], v[36:37], v[6:7]
	s_delay_alu instid0(VALU_DEP_4) | instskip(NEXT) | instid1(VALU_DEP_4)
	v_add_nc_u64_e32 v[30:31], v[34:35], v[6:7]
	v_add_nc_u64_e32 v[34:35], v[38:39], v[6:7]
	s_clause 0x3
	global_load_u16 v37, v[32:33], off
	global_load_u16 v0, v[28:29], off
	;; [unrolled: 1-line block ×4, first 2 shown]
	s_wait_xcnt 0x0
	s_and_saveexec_b32 s7, s4
	s_cbranch_execz .LBB551_44
; %bb.39:                               ;   in Loop: Header=BB551_5 Depth=1
	s_clause 0x3
	global_load_u16 v41, v[34:35], off offset:128
	global_load_u16 v42, v[32:33], off offset:128
	global_load_u16 v39, v[28:29], off offset:128
	global_load_u16 v40, v[30:31], off offset:128
	s_wait_xcnt 0x0
	s_and_saveexec_b32 s8, s5
	s_cbranch_execz .LBB551_43
; %bb.40:                               ;   in Loop: Header=BB551_5 Depth=1
	s_clause 0x3
	global_load_u16 v45, v[34:35], off offset:256
	global_load_u16 v46, v[32:33], off offset:256
	global_load_u16 v43, v[28:29], off offset:256
	global_load_u16 v44, v[30:31], off offset:256
	;; [unrolled: 9-line block ×3, first 2 shown]
	s_wait_loadcnt 0x2
	s_wait_xcnt 0x0
	v_dual_lshlrev_b32 v29, 16, v32 :: v_dual_lshlrev_b32 v28, 16, v33
	s_delay_alu instid0(VALU_DEP_1) | instskip(SKIP_1) | instid1(VALU_DEP_1)
	v_pk_mul_f32 v[28:29], v[26:27], v[28:29]
	s_wait_loadcnt 0x1
	v_dual_add_f32 v28, v59, v28 :: v_dual_lshlrev_b32 v31, 16, v30
	s_wait_loadcnt 0x0
	s_delay_alu instid0(VALU_DEP_1) | instskip(NEXT) | instid1(VALU_DEP_1)
	v_dual_lshlrev_b32 v30, 16, v34 :: v_dual_add_f32 v32, v28, v29
	v_pk_mul_f32 v[28:29], v[24:25], v[30:31]
	s_delay_alu instid0(VALU_DEP_1) | instskip(NEXT) | instid1(VALU_DEP_1)
	v_add_f32_e32 v28, v32, v28
	v_add_f32_e32 v59, v28, v29
.LBB551_42:                             ;   in Loop: Header=BB551_5 Depth=1
	s_or_b32 exec_lo, exec_lo, s9
	s_wait_loadcnt 0x2
	v_dual_lshlrev_b32 v29, 16, v46 :: v_dual_lshlrev_b32 v28, 16, v45
	s_wait_loadcnt 0x0
	v_dual_lshlrev_b32 v31, 16, v44 :: v_dual_lshlrev_b32 v30, 16, v43
	s_delay_alu instid0(VALU_DEP_2) | instskip(NEXT) | instid1(VALU_DEP_1)
	v_pk_mul_f32 v[28:29], v[26:27], v[28:29]
	v_add_f32_e32 v28, v58, v28
	s_delay_alu instid0(VALU_DEP_1) | instskip(NEXT) | instid1(VALU_DEP_4)
	v_add_f32_e32 v32, v28, v29
	v_pk_mul_f32 v[28:29], v[24:25], v[30:31]
	s_delay_alu instid0(VALU_DEP_1) | instskip(NEXT) | instid1(VALU_DEP_1)
	v_add_f32_e32 v28, v32, v28
	v_add_f32_e32 v58, v28, v29
.LBB551_43:                             ;   in Loop: Header=BB551_5 Depth=1
	s_or_b32 exec_lo, exec_lo, s8
	s_wait_loadcnt 0x2
	v_dual_lshlrev_b32 v29, 16, v42 :: v_dual_lshlrev_b32 v28, 16, v41
	s_wait_loadcnt 0x0
	v_dual_lshlrev_b32 v31, 16, v40 :: v_dual_lshlrev_b32 v30, 16, v39
	s_delay_alu instid0(VALU_DEP_2) | instskip(NEXT) | instid1(VALU_DEP_1)
	v_pk_mul_f32 v[28:29], v[26:27], v[28:29]
	v_add_f32_e32 v28, v57, v28
	s_delay_alu instid0(VALU_DEP_1) | instskip(NEXT) | instid1(VALU_DEP_4)
	v_add_f32_e32 v32, v28, v29
	v_pk_mul_f32 v[28:29], v[24:25], v[30:31]
	s_delay_alu instid0(VALU_DEP_1) | instskip(NEXT) | instid1(VALU_DEP_1)
	v_add_f32_e32 v28, v32, v28
	v_add_f32_e32 v57, v28, v29
.LBB551_44:                             ;   in Loop: Header=BB551_5 Depth=1
	s_or_b32 exec_lo, exec_lo, s7
	s_wait_loadcnt 0x0
	v_dual_lshlrev_b32 v29, 16, v37 :: v_dual_lshlrev_b32 v28, 16, v38
	s_delay_alu instid0(VALU_DEP_1) | instskip(NEXT) | instid1(VALU_DEP_1)
	v_pk_mul_f32 v[26:27], v[26:27], v[28:29]
	v_dual_add_f32 v26, v56, v26 :: v_dual_lshlrev_b32 v29, 16, v36
	s_delay_alu instid0(VALU_DEP_1) | instskip(NEXT) | instid1(VALU_DEP_1)
	v_dual_lshlrev_b32 v28, 16, v0 :: v_dual_add_f32 v0, v26, v27
	v_pk_mul_f32 v[24:25], v[24:25], v[28:29]
	s_delay_alu instid0(VALU_DEP_1) | instskip(NEXT) | instid1(VALU_DEP_1)
	v_add_f32_e32 v0, v0, v24
	v_add_f32_e32 v56, v0, v25
.LBB551_45:                             ;   in Loop: Header=BB551_5 Depth=1
	s_or_b32 exec_lo, exec_lo, s56
.LBB551_46:                             ;   in Loop: Header=BB551_5 Depth=1
	ds_store_2addr_stride64_b32 v53, v56, v57 offset1:1
	ds_store_2addr_stride64_b32 v53, v58, v59 offset0:2 offset1:3
	s_wait_dscnt 0x0
	s_barrier_signal -1
	s_barrier_wait -1
                                        ; implicit-def: $vgpr0
	s_and_saveexec_b32 s7, s0
	s_cbranch_execz .LBB551_68
; %bb.47:                               ;   in Loop: Header=BB551_5 Depth=1
	ds_load_2addr_stride64_b32 v[24:25], v54 offset1:4
	ds_load_2addr_stride64_b32 v[26:27], v54 offset0:8 offset1:12
	ds_load_2addr_stride64_b32 v[28:29], v54 offset0:16 offset1:20
	s_mov_b32 s9, s54
	s_wait_dscnt 0x2
	v_add_f32_e32 v0, v24, v25
	ds_load_2addr_stride64_b32 v[24:25], v54 offset0:24 offset1:28
	s_wait_dscnt 0x2
	v_add_f32_e32 v0, v26, v0
	s_delay_alu instid0(VALU_DEP_1) | instskip(SKIP_3) | instid1(VALU_DEP_1)
	v_add_f32_e32 v0, v27, v0
	ds_load_2addr_stride64_b32 v[26:27], v54 offset0:32 offset1:36
	s_wait_dscnt 0x2
	v_add_f32_e32 v0, v28, v0
	v_add_f32_e32 v0, v29, v0
	ds_load_2addr_stride64_b32 v[28:29], v54 offset0:40 offset1:44
	s_wait_dscnt 0x2
	v_add_f32_e32 v0, v24, v0
	s_delay_alu instid0(VALU_DEP_1) | instskip(SKIP_3) | instid1(VALU_DEP_1)
	v_add_f32_e32 v0, v25, v0
	ds_load_2addr_stride64_b32 v[24:25], v54 offset0:48 offset1:52
	s_wait_dscnt 0x2
	v_add_f32_e32 v0, v26, v0
	v_add_f32_e32 v0, v27, v0
	ds_load_2addr_stride64_b32 v[26:27], v54 offset0:56 offset1:60
	s_wait_dscnt 0x2
	v_add_f32_e32 v0, v28, v0
	s_delay_alu instid0(VALU_DEP_1) | instskip(SKIP_1) | instid1(VALU_DEP_1)
	v_add_f32_e32 v0, v29, v0
	s_wait_dscnt 0x1
	v_add_f32_e32 v0, v24, v0
	s_delay_alu instid0(VALU_DEP_1) | instskip(SKIP_1) | instid1(VALU_DEP_1)
	v_add_f32_e32 v0, v25, v0
	s_wait_dscnt 0x0
	v_add_f32_e32 v0, v26, v0
	s_delay_alu instid0(VALU_DEP_1)
	v_add_f32_e32 v24, v27, v0
                                        ; implicit-def: $vgpr0
	ds_store_b32 v54, v24
	s_and_saveexec_b32 s8, s3
	s_cbranch_execz .LBB551_67
; %bb.48:                               ;   in Loop: Header=BB551_5 Depth=1
	v_mul_f32_e32 v0, v55, v24
	s_cmp_eq_f32 s55, 0
	s_cbranch_scc0 .LBB551_56
; %bb.49:                               ;   in Loop: Header=BB551_5 Depth=1
	s_delay_alu instid0(VALU_DEP_1) | instskip(NEXT) | instid1(VALU_DEP_1)
	v_and_b32_e32 v24, 0x7f800000, v0
	v_cmp_ne_u32_e32 vcc_lo, 0x7f800000, v24
                                        ; implicit-def: $vgpr24
	s_and_saveexec_b32 s9, vcc_lo
	s_delay_alu instid0(SALU_CYCLE_1)
	s_xor_b32 s9, exec_lo, s9
; %bb.50:                               ;   in Loop: Header=BB551_5 Depth=1
	v_bfe_u32 v24, v0, 16, 1
	s_delay_alu instid0(VALU_DEP_1)
	v_add3_u32 v24, v0, v24, 0x7fff
; %bb.51:                               ;   in Loop: Header=BB551_5 Depth=1
	s_and_not1_saveexec_b32 s9, s9
; %bb.52:                               ;   in Loop: Header=BB551_5 Depth=1
	v_and_b32_e32 v24, 0xffff, v0
	v_or_b32_e32 v25, 0x10000, v0
	s_delay_alu instid0(VALU_DEP_2) | instskip(NEXT) | instid1(VALU_DEP_2)
	v_cmp_eq_u32_e32 vcc_lo, 0, v24
	v_cndmask_b32_e32 v24, v25, v0, vcc_lo
; %bb.53:                               ;   in Loop: Header=BB551_5 Depth=1
	s_or_b32 exec_lo, exec_lo, s9
	s_cbranch_execz .LBB551_57
	s_branch .LBB551_66
.LBB551_54:                             ;   in Loop: Header=BB551_5 Depth=1
	v_mov_b32_e32 v0, 0
	s_mov_b32 s54, exec_lo
	s_or_b32 exec_lo, exec_lo, s8
	s_delay_alu instid0(SALU_CYCLE_1)
	s_and_b32 vcc_lo, exec_lo, s7
	s_cbranch_vccnz .LBB551_16
.LBB551_55:                             ;   in Loop: Header=BB551_5 Depth=1
	v_mov_b64_e32 v[24:25], v[2:3]
	s_and_saveexec_b32 s7, s54
	s_cbranch_execz .LBB551_3
	s_branch .LBB551_69
.LBB551_56:                             ;   in Loop: Header=BB551_5 Depth=1
                                        ; implicit-def: $vgpr24
.LBB551_57:                             ;   in Loop: Header=BB551_5 Depth=1
	v_lshl_add_u64 v[24:25], v[4:5], 1, s[48:49]
	global_load_u16 v24, v[24:25], off
	s_wait_loadcnt 0x0
	s_wait_xcnt 0x0
	v_lshlrev_b32_e32 v24, 16, v24
	s_delay_alu instid0(VALU_DEP_1) | instskip(NEXT) | instid1(VALU_DEP_1)
	v_mul_f32_e32 v24, s55, v24
	v_and_b32_e32 v25, 0x7f800000, v24
	s_delay_alu instid0(VALU_DEP_1) | instskip(SKIP_1) | instid1(SALU_CYCLE_1)
	v_cmp_ne_u32_e32 vcc_lo, 0x7f800000, v25
                                        ; implicit-def: $vgpr25
	s_and_saveexec_b32 s9, vcc_lo
	s_xor_b32 s9, exec_lo, s9
; %bb.58:                               ;   in Loop: Header=BB551_5 Depth=1
	v_bfe_u32 v25, v24, 16, 1
	s_delay_alu instid0(VALU_DEP_1)
	v_add3_u32 v25, v24, v25, 0x7fff
                                        ; implicit-def: $vgpr24
; %bb.59:                               ;   in Loop: Header=BB551_5 Depth=1
	s_and_not1_saveexec_b32 s9, s9
; %bb.60:                               ;   in Loop: Header=BB551_5 Depth=1
	v_and_b32_e32 v25, 0xffff, v24
	v_or_b32_e32 v26, 0x10000, v24
	s_delay_alu instid0(VALU_DEP_2) | instskip(NEXT) | instid1(VALU_DEP_2)
	v_cmp_eq_u32_e32 vcc_lo, 0, v25
	v_cndmask_b32_e32 v25, v26, v24, vcc_lo
; %bb.61:                               ;   in Loop: Header=BB551_5 Depth=1
	s_or_b32 exec_lo, exec_lo, s9
	s_delay_alu instid0(VALU_DEP_1) | instskip(NEXT) | instid1(VALU_DEP_1)
	v_and_b32_e32 v24, 0xffff0000, v25
	v_add_f32_e32 v0, v0, v24
	s_delay_alu instid0(VALU_DEP_1) | instskip(NEXT) | instid1(VALU_DEP_1)
	v_and_b32_e32 v24, 0x7f800000, v0
	v_cmp_ne_u32_e32 vcc_lo, 0x7f800000, v24
                                        ; implicit-def: $vgpr24
	s_and_saveexec_b32 s9, vcc_lo
	s_delay_alu instid0(SALU_CYCLE_1)
	s_xor_b32 s9, exec_lo, s9
; %bb.62:                               ;   in Loop: Header=BB551_5 Depth=1
	v_bfe_u32 v24, v0, 16, 1
	s_delay_alu instid0(VALU_DEP_1)
	v_add3_u32 v24, v0, v24, 0x7fff
                                        ; implicit-def: $vgpr0
; %bb.63:                               ;   in Loop: Header=BB551_5 Depth=1
	s_and_not1_saveexec_b32 s9, s9
; %bb.64:                               ;   in Loop: Header=BB551_5 Depth=1
	v_and_b32_e32 v24, 0xffff, v0
	v_or_b32_e32 v25, 0x10000, v0
	s_delay_alu instid0(VALU_DEP_2) | instskip(NEXT) | instid1(VALU_DEP_2)
	v_cmp_eq_u32_e32 vcc_lo, 0, v24
	v_cndmask_b32_e32 v24, v25, v0, vcc_lo
; %bb.65:                               ;   in Loop: Header=BB551_5 Depth=1
	s_or_b32 exec_lo, exec_lo, s9
.LBB551_66:                             ;   in Loop: Header=BB551_5 Depth=1
	s_delay_alu instid0(VALU_DEP_1)
	v_lshrrev_b32_e32 v0, 16, v24
	s_or_b32 s9, s54, exec_lo
.LBB551_67:                             ;   in Loop: Header=BB551_5 Depth=1
	s_or_b32 exec_lo, exec_lo, s8
	s_delay_alu instid0(SALU_CYCLE_1) | instskip(SKIP_1) | instid1(SALU_CYCLE_1)
	s_and_not1_b32 s8, s54, exec_lo
	s_and_b32 s9, s9, exec_lo
	s_or_b32 s54, s8, s9
.LBB551_68:                             ;   in Loop: Header=BB551_5 Depth=1
	s_or_b32 exec_lo, exec_lo, s7
	v_mov_b64_e32 v[24:25], v[4:5]
	s_and_saveexec_b32 s7, s54
	s_cbranch_execz .LBB551_3
.LBB551_69:                             ;   in Loop: Header=BB551_5 Depth=1
	s_delay_alu instid0(VALU_DEP_1)
	v_lshl_add_u64 v[24:25], v[24:25], 1, s[48:49]
	global_store_b16 v[24:25], v0, off
	s_branch .LBB551_3
.LBB551_70:
	s_sendmsg sendmsg(MSG_DEALLOC_VGPRS)
	s_endpgm
	.section	.rodata,"a",@progbits
	.p2align	6, 0x0
	.amdhsa_kernel _ZL20rocblas_gemvn_kernelILi64ELi16El16rocblas_bfloat16PKfS0_EviiT3_lPKT2_lT1_lS6_lS7_lS3_lPT4_lS7_li
		.amdhsa_group_segment_fixed_size 16384
		.amdhsa_private_segment_fixed_size 0
		.amdhsa_kernarg_size 400
		.amdhsa_user_sgpr_count 2
		.amdhsa_user_sgpr_dispatch_ptr 0
		.amdhsa_user_sgpr_queue_ptr 0
		.amdhsa_user_sgpr_kernarg_segment_ptr 1
		.amdhsa_user_sgpr_dispatch_id 0
		.amdhsa_user_sgpr_kernarg_preload_length 0
		.amdhsa_user_sgpr_kernarg_preload_offset 0
		.amdhsa_user_sgpr_private_segment_size 0
		.amdhsa_wavefront_size32 1
		.amdhsa_uses_dynamic_stack 0
		.amdhsa_enable_private_segment 0
		.amdhsa_system_sgpr_workgroup_id_x 1
		.amdhsa_system_sgpr_workgroup_id_y 0
		.amdhsa_system_sgpr_workgroup_id_z 1
		.amdhsa_system_sgpr_workgroup_info 0
		.amdhsa_system_vgpr_workitem_id 1
		.amdhsa_next_free_vgpr 72
		.amdhsa_next_free_sgpr 60
		.amdhsa_named_barrier_count 0
		.amdhsa_reserve_vcc 1
		.amdhsa_float_round_mode_32 0
		.amdhsa_float_round_mode_16_64 0
		.amdhsa_float_denorm_mode_32 3
		.amdhsa_float_denorm_mode_16_64 3
		.amdhsa_fp16_overflow 0
		.amdhsa_memory_ordered 1
		.amdhsa_forward_progress 1
		.amdhsa_inst_pref_size 29
		.amdhsa_round_robin_scheduling 0
		.amdhsa_exception_fp_ieee_invalid_op 0
		.amdhsa_exception_fp_denorm_src 0
		.amdhsa_exception_fp_ieee_div_zero 0
		.amdhsa_exception_fp_ieee_overflow 0
		.amdhsa_exception_fp_ieee_underflow 0
		.amdhsa_exception_fp_ieee_inexact 0
		.amdhsa_exception_int_div_zero 0
	.end_amdhsa_kernel
	.section	.text._ZL20rocblas_gemvn_kernelILi64ELi16El16rocblas_bfloat16PKfS0_EviiT3_lPKT2_lT1_lS6_lS7_lS3_lPT4_lS7_li,"axG",@progbits,_ZL20rocblas_gemvn_kernelILi64ELi16El16rocblas_bfloat16PKfS0_EviiT3_lPKT2_lT1_lS6_lS7_lS3_lPT4_lS7_li,comdat
.Lfunc_end551:
	.size	_ZL20rocblas_gemvn_kernelILi64ELi16El16rocblas_bfloat16PKfS0_EviiT3_lPKT2_lT1_lS6_lS7_lS3_lPT4_lS7_li, .Lfunc_end551-_ZL20rocblas_gemvn_kernelILi64ELi16El16rocblas_bfloat16PKfS0_EviiT3_lPKT2_lT1_lS6_lS7_lS3_lPT4_lS7_li
                                        ; -- End function
	.set _ZL20rocblas_gemvn_kernelILi64ELi16El16rocblas_bfloat16PKfS0_EviiT3_lPKT2_lT1_lS6_lS7_lS3_lPT4_lS7_li.num_vgpr, 72
	.set _ZL20rocblas_gemvn_kernelILi64ELi16El16rocblas_bfloat16PKfS0_EviiT3_lPKT2_lT1_lS6_lS7_lS3_lPT4_lS7_li.num_agpr, 0
	.set _ZL20rocblas_gemvn_kernelILi64ELi16El16rocblas_bfloat16PKfS0_EviiT3_lPKT2_lT1_lS6_lS7_lS3_lPT4_lS7_li.numbered_sgpr, 60
	.set _ZL20rocblas_gemvn_kernelILi64ELi16El16rocblas_bfloat16PKfS0_EviiT3_lPKT2_lT1_lS6_lS7_lS3_lPT4_lS7_li.num_named_barrier, 0
	.set _ZL20rocblas_gemvn_kernelILi64ELi16El16rocblas_bfloat16PKfS0_EviiT3_lPKT2_lT1_lS6_lS7_lS3_lPT4_lS7_li.private_seg_size, 0
	.set _ZL20rocblas_gemvn_kernelILi64ELi16El16rocblas_bfloat16PKfS0_EviiT3_lPKT2_lT1_lS6_lS7_lS3_lPT4_lS7_li.uses_vcc, 1
	.set _ZL20rocblas_gemvn_kernelILi64ELi16El16rocblas_bfloat16PKfS0_EviiT3_lPKT2_lT1_lS6_lS7_lS3_lPT4_lS7_li.uses_flat_scratch, 0
	.set _ZL20rocblas_gemvn_kernelILi64ELi16El16rocblas_bfloat16PKfS0_EviiT3_lPKT2_lT1_lS6_lS7_lS3_lPT4_lS7_li.has_dyn_sized_stack, 0
	.set _ZL20rocblas_gemvn_kernelILi64ELi16El16rocblas_bfloat16PKfS0_EviiT3_lPKT2_lT1_lS6_lS7_lS3_lPT4_lS7_li.has_recursion, 0
	.set _ZL20rocblas_gemvn_kernelILi64ELi16El16rocblas_bfloat16PKfS0_EviiT3_lPKT2_lT1_lS6_lS7_lS3_lPT4_lS7_li.has_indirect_call, 0
	.section	.AMDGPU.csdata,"",@progbits
; Kernel info:
; codeLenInByte = 3624
; TotalNumSgprs: 62
; NumVgprs: 72
; ScratchSize: 0
; MemoryBound: 0
; FloatMode: 240
; IeeeMode: 1
; LDSByteSize: 16384 bytes/workgroup (compile time only)
; SGPRBlocks: 0
; VGPRBlocks: 4
; NumSGPRsForWavesPerEU: 62
; NumVGPRsForWavesPerEU: 72
; NamedBarCnt: 0
; Occupancy: 12
; WaveLimiterHint : 1
; COMPUTE_PGM_RSRC2:SCRATCH_EN: 0
; COMPUTE_PGM_RSRC2:USER_SGPR: 2
; COMPUTE_PGM_RSRC2:TRAP_HANDLER: 0
; COMPUTE_PGM_RSRC2:TGID_X_EN: 1
; COMPUTE_PGM_RSRC2:TGID_Y_EN: 0
; COMPUTE_PGM_RSRC2:TGID_Z_EN: 1
; COMPUTE_PGM_RSRC2:TIDIG_COMP_CNT: 1
	.section	.text._ZL20rocblas_gemvn_kernelILi64ELi16Ei16rocblas_bfloat16fS0_EviiT3_lPKT2_lT1_lS4_lS5_lS1_lPT4_lS5_li,"axG",@progbits,_ZL20rocblas_gemvn_kernelILi64ELi16Ei16rocblas_bfloat16fS0_EviiT3_lPKT2_lT1_lS4_lS5_lS1_lPT4_lS5_li,comdat
	.globl	_ZL20rocblas_gemvn_kernelILi64ELi16Ei16rocblas_bfloat16fS0_EviiT3_lPKT2_lT1_lS4_lS5_lS1_lPT4_lS5_li ; -- Begin function _ZL20rocblas_gemvn_kernelILi64ELi16Ei16rocblas_bfloat16fS0_EviiT3_lPKT2_lT1_lS4_lS5_lS1_lPT4_lS5_li
	.p2align	8
	.type	_ZL20rocblas_gemvn_kernelILi64ELi16Ei16rocblas_bfloat16fS0_EviiT3_lPKT2_lT1_lS4_lS5_lS1_lPT4_lS5_li,@function
_ZL20rocblas_gemvn_kernelILi64ELi16Ei16rocblas_bfloat16fS0_EviiT3_lPKT2_lT1_lS4_lS5_lS1_lPT4_lS5_li: ; @_ZL20rocblas_gemvn_kernelILi64ELi16Ei16rocblas_bfloat16fS0_EviiT3_lPKT2_lT1_lS4_lS5_lS1_lPT4_lS5_li
; %bb.0:
	s_load_b64 s[2:3], s[0:1], 0x9c
	s_wait_kmcnt 0x0
	s_lshr_b32 s4, s2, 16
	s_and_b32 s2, s2, 0xffff
	s_and_b32 s3, s3, 0xffff
	s_mul_i32 s2, s4, s2
	s_delay_alu instid0(SALU_CYCLE_1) | instskip(NEXT) | instid1(SALU_CYCLE_1)
	s_mul_i32 s2, s2, s3
	s_cmp_lg_u32 s2, 0x400
	s_cbranch_scc1 .LBB552_70
; %bb.1:
	s_load_b32 s19, s[0:1], 0x88
	s_bfe_u32 s2, ttmp6, 0x40014
	s_lshr_b32 s3, ttmp7, 16
	s_add_co_i32 s2, s2, 1
	s_bfe_u32 s4, ttmp6, 0x40008
	s_mul_i32 s2, s3, s2
	s_getreg_b32 s30, hwreg(HW_REG_IB_STS2, 6, 4)
	s_add_co_i32 s4, s4, s2
	s_cmp_eq_u32 s30, 0
	s_mov_b32 s29, 0
	s_cselect_b32 s28, s3, s4
	s_wait_kmcnt 0x0
	s_cmp_ge_u32 s28, s19
	s_cbranch_scc1 .LBB552_70
; %bb.2:
	s_clause 0x7
	s_load_b128 s[4:7], s[0:1], 0x18
	s_load_b96 s[16:18], s[0:1], 0x40
	s_load_b128 s[12:15], s[0:1], 0x68
	s_load_b32 s2, s[0:1], 0x78
	s_load_b96 s[20:22], s[0:1], 0x0
	s_load_b96 s[24:26], s[0:1], 0x50
	s_load_b32 s23, s[0:1], 0x28
	s_load_b128 s[8:11], s[0:1], 0x30
	v_and_b32_e32 v4, 0x3ff, v0
	v_bfe_u32 v3, v0, 10, 10
	s_delay_alu instid0(VALU_DEP_1) | instskip(NEXT) | instid1(VALU_DEP_3)
	v_dual_mov_b32 v1, 0 :: v_dual_lshlrev_b32 v16, 2, v3
	v_lshl_add_u32 v5, v3, 6, v4
	s_wait_kmcnt 0x0
	s_lshl_b64 s[6:7], s[6:7], 1
	s_lshl_b64 s[34:35], s[16:17], 1
	;; [unrolled: 1-line block ×3, first 2 shown]
	s_ashr_i32 s3, s2, 31
	s_cmp_eq_f32 s22, 0
	s_load_b64 s[14:15], s[0:1], 0x80
	s_add_nc_u64 s[16:17], s[4:5], s[6:7]
	s_wait_xcnt 0x0
	s_mov_b32 s0, s20
	s_cselect_b32 s27, -1, 0
	s_cmp_neq_f32 s22, 0
	v_mul_lo_u32 v7, s23, v16
	v_mad_u32 v24, s18, v16, s18
	s_add_nc_u64 s[10:11], s[10:11], s[34:35]
	s_cselect_b32 s1, -1, 0
	s_cmp_neq_f32 s26, 1.0
	s_add_nc_u64 s[12:13], s[12:13], s[36:37]
	s_cselect_b32 s4, -1, 0
	s_bfe_u32 s5, ttmp6, 0x4000c
	s_and_b32 s6, ttmp6, 15
	s_add_co_i32 s5, s5, 1
	s_or_b32 s33, s1, s4
	s_mul_i32 s5, ttmp9, s5
	v_add3_u32 v20, v7, s23, v4
	s_add_co_i32 s6, s6, s5
	s_cmp_eq_u32 s30, 0
	s_cselect_b32 s4, ttmp9, s6
	s_ashr_i32 s1, s20, 31
	s_lshl_b32 s38, s4, 8
	s_delay_alu instid0(SALU_CYCLE_1) | instskip(SKIP_2) | instid1(VALU_DEP_2)
	v_dual_lshlrev_b32 v6, 2, v4 :: v_dual_add_nc_u32 v0, s38, v5
	s_cmp_neq_f32 s26, 0
	v_dual_add_nc_u32 v17, s38, v4 :: v_dual_bitop2_b32 v8, s38, v5 bitop3:0x54
	v_lshl_add_u32 v18, v3, 10, v6
	s_delay_alu instid0(VALU_DEP_3)
	v_cmp_gt_i64_e32 vcc_lo, s[0:1], v[0:1]
	v_mul_u64_e32 v[0:1], s[2:3], v[0:1]
	s_cselect_b32 s39, -1, 0
	s_cmp_eq_f32 s26, 0
	v_mul_lo_u32 v2, s2, v8
	v_add_nc_u32_e32 v9, 64, v17
	v_add_nc_u32_e32 v10, 0x80, v17
	s_cselect_b32 s40, -1, 0
	s_ashr_i32 s1, s21, 31
	v_lshl_add_u32 v19, v3, 8, v6
	s_lshr_b32 s2, s1, 26
	v_mul_lo_u32 v6, v3, s18
	s_add_co_i32 s41, s21, s2
	v_cmp_gt_i32_e64 s2, s20, v10
	s_and_not1_b32 s41, s41, 63
	v_or_b32_e32 v10, 3, v16
	s_sub_co_i32 s5, s21, s41
	v_add_nc_u32_e32 v11, 0xc0, v17
	s_cmp_gt_i32 s5, 0
	v_cmp_gt_u32_e64 s5, 0x100, v5
	v_or_b32_e32 v5, 2, v16
	v_cmp_gt_i32_e64 s1, s20, v9
	v_mul_lo_u32 v9, v3, s23
	v_ashrrev_i32_e32 v3, 31, v2
	v_mad_u32 v22, s23, v10, v4
	v_mad_u32 v21, s23, v5, v4
	v_mul_lo_u32 v25, s18, v5
	v_mul_lo_u32 v26, s18, v10
	v_cmp_gt_i32_e64 s0, s20, v17
	v_cmp_gt_i32_e64 s3, s20, v11
	;; [unrolled: 1-line block ×4, first 2 shown]
	v_lshlrev_b32_e32 v27, 2, v6
	v_lshl_add_u32 v23, v9, 2, v4
	s_cselect_b32 s20, -1, 0
	s_and_b32 s42, s5, vcc_lo
	s_lshl_b32 s43, s23, 6
	s_lshl_b32 s44, s18, 6
	s_branch .LBB552_5
.LBB552_3:                              ;   in Loop: Header=BB552_5 Depth=1
	s_wait_xcnt 0x0
	s_or_b32 exec_lo, exec_lo, s7
.LBB552_4:                              ;   in Loop: Header=BB552_5 Depth=1
	s_add_co_i32 s28, s28, 0x10000
	s_delay_alu instid0(SALU_CYCLE_1)
	s_cmp_lt_u32 s28, s19
	s_cbranch_scc0 .LBB552_70
.LBB552_5:                              ; =>This Loop Header: Depth=1
                                        ;     Child Loop BB552_22 Depth 2
	s_and_not1_b32 vcc_lo, exec_lo, s33
	s_cbranch_vccnz .LBB552_4
; %bb.6:                                ;   in Loop: Header=BB552_5 Depth=1
	s_wait_kmcnt 0x0
	s_mul_u64 s[30:31], s[14:15], s[28:29]
	s_and_not1_b32 vcc_lo, exec_lo, s27
	s_lshl_b64 s[30:31], s[30:31], 1
	s_delay_alu instid0(SALU_CYCLE_1)
	s_add_nc_u64 s[30:31], s[12:13], s[30:31]
	s_cbranch_vccnz .LBB552_14
; %bb.7:                                ;   in Loop: Header=BB552_5 Depth=1
	s_mov_b32 s7, 0
	s_mov_b32 s45, 0
                                        ; implicit-def: $vgpr6
	s_and_saveexec_b32 s34, s42
	s_cbranch_execz .LBB552_15
; %bb.8:                                ;   in Loop: Header=BB552_5 Depth=1
	s_and_not1_b32 vcc_lo, exec_lo, s39
	s_cbranch_vccnz .LBB552_67
; %bb.9:                                ;   in Loop: Header=BB552_5 Depth=1
	v_lshl_add_u64 v[4:5], v[0:1], 1, s[30:31]
	global_load_u16 v4, v[4:5], off
	s_wait_loadcnt 0x0
	s_wait_xcnt 0x0
	v_lshlrev_b32_e32 v4, 16, v4
	s_delay_alu instid0(VALU_DEP_1) | instskip(NEXT) | instid1(VALU_DEP_1)
	v_mul_f32_e32 v4, s26, v4
	v_and_b32_e32 v5, 0x7f800000, v4
	s_delay_alu instid0(VALU_DEP_1) | instskip(SKIP_1) | instid1(SALU_CYCLE_1)
	v_cmp_ne_u32_e32 vcc_lo, 0x7f800000, v5
                                        ; implicit-def: $vgpr5
	s_and_saveexec_b32 s35, vcc_lo
	s_xor_b32 s35, exec_lo, s35
; %bb.10:                               ;   in Loop: Header=BB552_5 Depth=1
	v_bfe_u32 v5, v4, 16, 1
	s_delay_alu instid0(VALU_DEP_1)
	v_add3_u32 v5, v4, v5, 0x7fff
                                        ; implicit-def: $vgpr4
; %bb.11:                               ;   in Loop: Header=BB552_5 Depth=1
	s_and_not1_saveexec_b32 s35, s35
; %bb.12:                               ;   in Loop: Header=BB552_5 Depth=1
	v_and_b32_e32 v5, 0xffff, v4
	v_or_b32_e32 v6, 0x10000, v4
	s_delay_alu instid0(VALU_DEP_2) | instskip(NEXT) | instid1(VALU_DEP_2)
	v_cmp_eq_u32_e32 vcc_lo, 0, v5
	v_cndmask_b32_e32 v5, v6, v4, vcc_lo
; %bb.13:                               ;   in Loop: Header=BB552_5 Depth=1
	s_or_b32 exec_lo, exec_lo, s35
	s_delay_alu instid0(VALU_DEP_1) | instskip(SKIP_2) | instid1(SALU_CYCLE_1)
	v_lshrrev_b32_e32 v6, 16, v5
	s_mov_b32 s45, exec_lo
	s_or_b32 exec_lo, exec_lo, s34
	s_and_b32 vcc_lo, exec_lo, s7
	s_cbranch_vccnz .LBB552_16
	s_branch .LBB552_68
.LBB552_14:                             ;   in Loop: Header=BB552_5 Depth=1
	s_mov_b32 s45, 0
                                        ; implicit-def: $vgpr6
	s_cbranch_execnz .LBB552_16
	s_branch .LBB552_68
.LBB552_15:                             ;   in Loop: Header=BB552_5 Depth=1
	s_or_b32 exec_lo, exec_lo, s34
	s_delay_alu instid0(SALU_CYCLE_1)
	s_and_b32 vcc_lo, exec_lo, s7
	s_cbranch_vccz .LBB552_68
.LBB552_16:                             ;   in Loop: Header=BB552_5 Depth=1
	s_mul_u64 s[34:35], s[8:9], s[28:29]
	s_mul_u64 s[36:37], s[24:25], s[28:29]
	v_dual_mov_b32 v28, 0 :: v_dual_mov_b32 v32, v16
	v_dual_mov_b32 v29, 0 :: v_dual_mov_b32 v30, 0
	v_mov_b32_e32 v31, 0
	s_lshl_b64 s[34:35], s[34:35], 1
	s_lshl_b64 s[36:37], s[36:37], 1
	s_add_nc_u64 s[34:35], s[16:17], s[34:35]
	s_add_nc_u64 s[36:37], s[10:11], s[36:37]
	s_and_saveexec_b32 s7, s4
	s_cbranch_execz .LBB552_28
; %bb.17:                               ;   in Loop: Header=BB552_5 Depth=1
	v_dual_mov_b32 v28, 0 :: v_dual_mov_b32 v33, v23
	v_dual_mov_b32 v34, v22 :: v_dual_mov_b32 v35, v21
	;; [unrolled: 1-line block ×4, first 2 shown]
	v_mov_b32_e32 v31, 0
	s_mov_b32 s46, 0
	s_mov_b32 s47, 0
	s_branch .LBB552_22
.LBB552_18:                             ;   in Loop: Header=BB552_22 Depth=2
	s_or_b32 exec_lo, exec_lo, s51
	s_wait_loadcnt 0x2
	v_dual_lshlrev_b32 v9, 16, v48 :: v_dual_lshlrev_b32 v8, 16, v47
	s_delay_alu instid0(VALU_DEP_1) | instskip(SKIP_1) | instid1(VALU_DEP_1)
	v_pk_mul_f32 v[8:9], v[6:7], v[8:9]
	s_wait_loadcnt 0x0
	v_dual_add_f32 v8, v30, v8 :: v_dual_lshlrev_b32 v11, 16, v46
	s_delay_alu instid0(VALU_DEP_1) | instskip(SKIP_1) | instid1(VALU_DEP_1)
	v_add_f32_e32 v12, v8, v9
	v_lshlrev_b32_e32 v10, 16, v45
	v_pk_mul_f32 v[8:9], v[4:5], v[10:11]
	s_delay_alu instid0(VALU_DEP_1) | instskip(NEXT) | instid1(VALU_DEP_1)
	v_add_f32_e32 v8, v12, v8
	v_add_f32_e32 v30, v8, v9
.LBB552_19:                             ;   in Loop: Header=BB552_22 Depth=2
	s_or_b32 exec_lo, exec_lo, s50
	s_wait_loadcnt 0x2
	v_dual_lshlrev_b32 v9, 16, v44 :: v_dual_lshlrev_b32 v8, 16, v43
	s_delay_alu instid0(VALU_DEP_1) | instskip(SKIP_1) | instid1(VALU_DEP_1)
	v_pk_mul_f32 v[8:9], v[6:7], v[8:9]
	s_wait_loadcnt 0x0
	v_dual_add_f32 v8, v29, v8 :: v_dual_lshlrev_b32 v11, 16, v42
	s_delay_alu instid0(VALU_DEP_1) | instskip(SKIP_1) | instid1(VALU_DEP_1)
	v_add_f32_e32 v12, v8, v9
	v_lshlrev_b32_e32 v10, 16, v41
	v_pk_mul_f32 v[8:9], v[4:5], v[10:11]
	s_delay_alu instid0(VALU_DEP_1) | instskip(NEXT) | instid1(VALU_DEP_1)
	v_add_f32_e32 v8, v12, v8
	v_add_f32_e32 v29, v8, v9
.LBB552_20:                             ;   in Loop: Header=BB552_22 Depth=2
	s_or_b32 exec_lo, exec_lo, s49
	s_wait_loadcnt 0x2
	v_dual_lshlrev_b32 v9, 16, v40 :: v_dual_lshlrev_b32 v8, 16, v39
	s_delay_alu instid0(VALU_DEP_1) | instskip(SKIP_2) | instid1(VALU_DEP_2)
	v_pk_mul_f32 v[6:7], v[6:7], v[8:9]
	s_wait_loadcnt 0x0
	v_dual_lshlrev_b32 v9, 16, v38 :: v_dual_lshlrev_b32 v8, 16, v37
	v_add_f32_e32 v6, v28, v6
	s_delay_alu instid0(VALU_DEP_2) | instskip(NEXT) | instid1(VALU_DEP_2)
	v_pk_mul_f32 v[4:5], v[4:5], v[8:9]
	v_add_f32_e32 v6, v6, v7
	s_delay_alu instid0(VALU_DEP_1) | instskip(NEXT) | instid1(VALU_DEP_1)
	v_add_f32_e32 v4, v6, v4
	v_add_f32_e32 v28, v4, v5
.LBB552_21:                             ;   in Loop: Header=BB552_22 Depth=2
	s_or_b32 exec_lo, exec_lo, s48
	v_dual_add_nc_u32 v32, 64, v32 :: v_dual_add_nc_u32 v35, s43, v35
	v_dual_add_nc_u32 v36, s43, v36 :: v_dual_add_nc_u32 v34, s43, v34
	v_add_nc_u32_e32 v33, s43, v33
	s_delay_alu instid0(VALU_DEP_3) | instskip(SKIP_2) | instid1(SALU_CYCLE_1)
	v_cmp_le_i32_e32 vcc_lo, s41, v32
	s_add_co_i32 s47, s47, s44
	s_or_b32 s46, vcc_lo, s46
	s_and_not1_b32 exec_lo, exec_lo, s46
	s_cbranch_execz .LBB552_27
.LBB552_22:                             ;   Parent Loop BB552_5 Depth=1
                                        ; =>  This Inner Loop Header: Depth=2
	s_and_saveexec_b32 s48, s0
	s_cbranch_execz .LBB552_21
; %bb.23:                               ;   in Loop: Header=BB552_22 Depth=2
	v_dual_add_nc_u32 v4, s47, v27 :: v_dual_add_nc_u32 v5, s47, v24
	v_dual_add_nc_u32 v6, s47, v25 :: v_dual_add_nc_u32 v7, s47, v26
	;; [unrolled: 1-line block ×3, first 2 shown]
	s_clause 0x3
	global_load_u16 v9, v4, s[36:37] scale_offset
	global_load_u16 v11, v5, s[36:37] scale_offset
	;; [unrolled: 1-line block ×4, first 2 shown]
	v_dual_add_nc_u32 v12, s38, v35 :: v_dual_add_nc_u32 v14, s38, v34
	s_clause 0x3
	global_load_u16 v39, v8, s[34:35] scale_offset
	global_load_u16 v40, v10, s[34:35] scale_offset
	;; [unrolled: 1-line block ×4, first 2 shown]
	s_wait_loadcnt 0x6
	s_wait_xcnt 0x4
	v_dual_lshlrev_b32 v6, 16, v9 :: v_dual_lshlrev_b32 v7, 16, v11
	s_wait_loadcnt 0x4
	v_dual_lshlrev_b32 v4, 16, v13 :: v_dual_lshlrev_b32 v5, 16, v15
	s_wait_xcnt 0x0
	s_and_saveexec_b32 s49, s1
	s_cbranch_execz .LBB552_20
; %bb.24:                               ;   in Loop: Header=BB552_22 Depth=2
	v_dual_ashrrev_i32 v9, 31, v8 :: v_dual_ashrrev_i32 v11, 31, v10
	v_dual_ashrrev_i32 v13, 31, v12 :: v_dual_ashrrev_i32 v15, 31, v14
	s_delay_alu instid0(VALU_DEP_2) | instskip(NEXT) | instid1(VALU_DEP_3)
	v_lshl_add_u64 v[8:9], v[8:9], 1, s[34:35]
	v_lshl_add_u64 v[10:11], v[10:11], 1, s[34:35]
	s_delay_alu instid0(VALU_DEP_3) | instskip(NEXT) | instid1(VALU_DEP_4)
	v_lshl_add_u64 v[12:13], v[12:13], 1, s[34:35]
	v_lshl_add_u64 v[14:15], v[14:15], 1, s[34:35]
	s_clause 0x3
	global_load_u16 v43, v[8:9], off offset:128
	global_load_u16 v44, v[10:11], off offset:128
	;; [unrolled: 1-line block ×4, first 2 shown]
	s_wait_xcnt 0x0
	s_and_saveexec_b32 s50, s2
	s_cbranch_execz .LBB552_19
; %bb.25:                               ;   in Loop: Header=BB552_22 Depth=2
	s_clause 0x3
	global_load_u16 v47, v[8:9], off offset:256
	global_load_u16 v48, v[10:11], off offset:256
	;; [unrolled: 1-line block ×4, first 2 shown]
	s_wait_xcnt 0x0
	s_and_saveexec_b32 s51, s3
	s_cbranch_execz .LBB552_18
; %bb.26:                               ;   in Loop: Header=BB552_22 Depth=2
	s_clause 0x3
	global_load_u16 v49, v[10:11], off offset:384
	global_load_u16 v50, v[8:9], off offset:384
	;; [unrolled: 1-line block ×4, first 2 shown]
	s_wait_loadcnt 0x2
	s_wait_xcnt 0x2
	v_dual_lshlrev_b32 v9, 16, v49 :: v_dual_lshlrev_b32 v8, 16, v50
	s_delay_alu instid0(VALU_DEP_1) | instskip(SKIP_1) | instid1(VALU_DEP_1)
	v_pk_mul_f32 v[8:9], v[6:7], v[8:9]
	s_wait_loadcnt 0x1
	v_dual_add_f32 v8, v31, v8 :: v_dual_lshlrev_b32 v11, 16, v51
	s_wait_loadcnt 0x0
	s_wait_xcnt 0x0
	s_delay_alu instid0(VALU_DEP_1) | instskip(NEXT) | instid1(VALU_DEP_1)
	v_dual_lshlrev_b32 v10, 16, v52 :: v_dual_add_f32 v12, v8, v9
	v_pk_mul_f32 v[8:9], v[4:5], v[10:11]
	s_delay_alu instid0(VALU_DEP_1) | instskip(NEXT) | instid1(VALU_DEP_1)
	v_add_f32_e32 v8, v12, v8
	v_add_f32_e32 v31, v8, v9
	s_branch .LBB552_18
.LBB552_27:                             ;   in Loop: Header=BB552_5 Depth=1
	s_or_b32 exec_lo, exec_lo, s46
.LBB552_28:                             ;   in Loop: Header=BB552_5 Depth=1
	s_delay_alu instid0(SALU_CYCLE_1) | instskip(NEXT) | instid1(SALU_CYCLE_1)
	s_or_b32 exec_lo, exec_lo, s7
	s_and_not1_b32 vcc_lo, exec_lo, s20
	s_cbranch_vccnz .LBB552_46
; %bb.29:                               ;   in Loop: Header=BB552_5 Depth=1
	v_dual_mov_b32 v4, 0 :: v_dual_bitop2_b32 v8, 1, v32 bitop3:0x54
	v_cmp_gt_i32_e32 vcc_lo, s21, v32
	s_delay_alu instid0(VALU_DEP_2)
	v_dual_mov_b32 v5, v4 :: v_dual_mov_b32 v6, v4
	v_mov_b32_e32 v7, v4
	s_and_saveexec_b32 s46, vcc_lo
	s_cbranch_execz .LBB552_37
; %bb.30:                               ;   in Loop: Header=BB552_5 Depth=1
	v_mul_lo_u32 v4, v32, s18
	v_dual_mov_b32 v7, 0 :: v_dual_mov_b32 v5, 0
	s_mov_b32 s47, exec_lo
	global_load_u16 v6, v4, s[36:37] scale_offset
	s_wait_xcnt 0x0
	v_mov_b32_e32 v4, 0
	v_cmpx_gt_i32_e64 s21, v8
	s_cbranch_execz .LBB552_36
; %bb.31:                               ;   in Loop: Header=BB552_5 Depth=1
	v_mul_lo_u32 v4, v8, s18
	v_dual_mov_b32 v5, 0 :: v_dual_bitop2_b32 v9, 2, v32 bitop3:0x54
	s_mov_b32 s48, exec_lo
	global_load_u16 v7, v4, s[36:37] scale_offset
	s_wait_xcnt 0x0
	v_mov_b32_e32 v4, 0
	v_cmpx_gt_i32_e64 s21, v9
	s_cbranch_execz .LBB552_35
; %bb.32:                               ;   in Loop: Header=BB552_5 Depth=1
	v_mul_lo_u32 v4, v9, s18
	v_dual_mov_b32 v5, 0 :: v_dual_bitop2_b32 v9, 3, v32 bitop3:0x54
	s_mov_b32 s49, exec_lo
	global_load_u16 v4, v4, s[36:37] scale_offset
	s_wait_xcnt 0x0
	v_cmpx_gt_i32_e64 s21, v9
	s_cbranch_execz .LBB552_34
; %bb.33:                               ;   in Loop: Header=BB552_5 Depth=1
	v_mul_lo_u32 v5, v9, s18
	global_load_u16 v5, v5, s[36:37] scale_offset
	s_wait_loadcnt 0x0
	s_wait_xcnt 0x0
	v_lshlrev_b32_e32 v5, 16, v5
.LBB552_34:                             ;   in Loop: Header=BB552_5 Depth=1
	s_or_b32 exec_lo, exec_lo, s49
	s_wait_loadcnt 0x0
	v_lshlrev_b32_e32 v4, 16, v4
.LBB552_35:                             ;   in Loop: Header=BB552_5 Depth=1
	s_or_b32 exec_lo, exec_lo, s48
	s_wait_loadcnt 0x0
	v_lshlrev_b32_e32 v7, 16, v7
.LBB552_36:                             ;   in Loop: Header=BB552_5 Depth=1
	s_or_b32 exec_lo, exec_lo, s47
	s_wait_loadcnt 0x0
	v_lshlrev_b32_e32 v6, 16, v6
.LBB552_37:                             ;   in Loop: Header=BB552_5 Depth=1
	s_or_b32 exec_lo, exec_lo, s46
	s_and_saveexec_b32 s36, s0
	s_cbranch_execz .LBB552_45
; %bb.38:                               ;   in Loop: Header=BB552_5 Depth=1
	v_mul_lo_u32 v11, v8, s23
	v_cmp_gt_i32_e64 s7, s21, v8
	v_or_b32_e32 v9, 2, v32
	v_or_b32_e32 v10, 3, v32
	v_mul_lo_u32 v14, v32, s23
	s_delay_alu instid0(VALU_DEP_2) | instskip(SKIP_3) | instid1(VALU_DEP_1)
	v_mul_lo_u32 v13, v10, s23
	v_cndmask_b32_e64 v8, 0, v11, s7
	v_mul_lo_u32 v12, v9, s23
	v_cmp_gt_i32_e64 s7, s21, v9
	v_dual_cndmask_b32 v9, 0, v12, s7 :: v_dual_cndmask_b32 v12, 0, v14, vcc_lo
	v_cmp_gt_i32_e64 s7, s21, v10
	s_delay_alu instid0(VALU_DEP_2) | instskip(NEXT) | instid1(VALU_DEP_3)
	v_dual_add_nc_u32 v8, v8, v17 :: v_dual_add_nc_u32 v10, v9, v17
	v_add_nc_u32_e32 v12, v12, v17
	s_delay_alu instid0(VALU_DEP_3) | instskip(NEXT) | instid1(VALU_DEP_1)
	v_cndmask_b32_e64 v11, 0, v13, s7
	v_add_nc_u32_e32 v14, v11, v17
	s_clause 0x3
	global_load_u16 v34, v8, s[34:35] scale_offset
	global_load_u16 v32, v10, s[34:35] scale_offset
	;; [unrolled: 1-line block ×4, first 2 shown]
	s_wait_xcnt 0x0
	s_and_saveexec_b32 s7, s1
	s_cbranch_execz .LBB552_44
; %bb.39:                               ;   in Loop: Header=BB552_5 Depth=1
	v_dual_ashrrev_i32 v13, 31, v12 :: v_dual_ashrrev_i32 v11, 31, v10
	v_dual_ashrrev_i32 v9, 31, v8 :: v_dual_ashrrev_i32 v15, 31, v14
	s_delay_alu instid0(VALU_DEP_2) | instskip(NEXT) | instid1(VALU_DEP_3)
	v_lshl_add_u64 v[12:13], v[12:13], 1, s[34:35]
	v_lshl_add_u64 v[10:11], v[10:11], 1, s[34:35]
	s_delay_alu instid0(VALU_DEP_3) | instskip(NEXT) | instid1(VALU_DEP_4)
	v_lshl_add_u64 v[8:9], v[8:9], 1, s[34:35]
	v_lshl_add_u64 v[14:15], v[14:15], 1, s[34:35]
	s_clause 0x3
	global_load_u16 v38, v[12:13], off offset:128
	global_load_u16 v39, v[8:9], off offset:128
	;; [unrolled: 1-line block ×4, first 2 shown]
	s_wait_xcnt 0x0
	s_and_saveexec_b32 s34, s2
	s_cbranch_execz .LBB552_43
; %bb.40:                               ;   in Loop: Header=BB552_5 Depth=1
	s_clause 0x3
	global_load_u16 v42, v[12:13], off offset:256
	global_load_u16 v43, v[8:9], off offset:256
	;; [unrolled: 1-line block ×4, first 2 shown]
	s_wait_xcnt 0x0
	s_and_saveexec_b32 s35, s3
	s_cbranch_execz .LBB552_42
; %bb.41:                               ;   in Loop: Header=BB552_5 Depth=1
	s_clause 0x3
	global_load_u16 v44, v[8:9], off offset:384
	global_load_u16 v45, v[12:13], off offset:384
	;; [unrolled: 1-line block ×4, first 2 shown]
	s_wait_loadcnt 0x2
	s_wait_xcnt 0x3
	v_dual_lshlrev_b32 v9, 16, v44 :: v_dual_lshlrev_b32 v8, 16, v45
	s_delay_alu instid0(VALU_DEP_1) | instskip(SKIP_2) | instid1(VALU_DEP_1)
	v_pk_mul_f32 v[8:9], v[6:7], v[8:9]
	s_wait_loadcnt 0x1
	s_wait_xcnt 0x0
	v_dual_add_f32 v8, v31, v8 :: v_dual_lshlrev_b32 v11, 16, v46
	s_wait_loadcnt 0x0
	s_delay_alu instid0(VALU_DEP_1) | instskip(NEXT) | instid1(VALU_DEP_1)
	v_dual_lshlrev_b32 v10, 16, v47 :: v_dual_add_f32 v12, v8, v9
	v_pk_mul_f32 v[8:9], v[4:5], v[10:11]
	s_delay_alu instid0(VALU_DEP_1) | instskip(NEXT) | instid1(VALU_DEP_1)
	v_add_f32_e32 v8, v12, v8
	v_add_f32_e32 v31, v8, v9
.LBB552_42:                             ;   in Loop: Header=BB552_5 Depth=1
	s_or_b32 exec_lo, exec_lo, s35
	s_wait_loadcnt 0x2
	v_dual_lshlrev_b32 v9, 16, v43 :: v_dual_lshlrev_b32 v8, 16, v42
	s_delay_alu instid0(VALU_DEP_1) | instskip(SKIP_1) | instid1(VALU_DEP_1)
	v_pk_mul_f32 v[8:9], v[6:7], v[8:9]
	s_wait_loadcnt 0x0
	v_dual_add_f32 v8, v30, v8 :: v_dual_lshlrev_b32 v11, 16, v41
	s_delay_alu instid0(VALU_DEP_1) | instskip(NEXT) | instid1(VALU_DEP_1)
	v_dual_lshlrev_b32 v10, 16, v40 :: v_dual_add_f32 v12, v8, v9
	v_pk_mul_f32 v[8:9], v[4:5], v[10:11]
	s_delay_alu instid0(VALU_DEP_1) | instskip(NEXT) | instid1(VALU_DEP_1)
	v_add_f32_e32 v8, v12, v8
	v_add_f32_e32 v30, v8, v9
.LBB552_43:                             ;   in Loop: Header=BB552_5 Depth=1
	s_or_b32 exec_lo, exec_lo, s34
	s_wait_loadcnt 0x2
	v_dual_lshlrev_b32 v9, 16, v39 :: v_dual_lshlrev_b32 v8, 16, v38
	s_delay_alu instid0(VALU_DEP_1) | instskip(SKIP_1) | instid1(VALU_DEP_1)
	v_pk_mul_f32 v[8:9], v[6:7], v[8:9]
	s_wait_loadcnt 0x0
	v_dual_add_f32 v8, v29, v8 :: v_dual_lshlrev_b32 v11, 16, v37
	s_delay_alu instid0(VALU_DEP_1) | instskip(NEXT) | instid1(VALU_DEP_1)
	v_dual_lshlrev_b32 v10, 16, v36 :: v_dual_add_f32 v12, v8, v9
	v_pk_mul_f32 v[8:9], v[4:5], v[10:11]
	s_delay_alu instid0(VALU_DEP_1) | instskip(NEXT) | instid1(VALU_DEP_1)
	v_add_f32_e32 v8, v12, v8
	v_add_f32_e32 v29, v8, v9
.LBB552_44:                             ;   in Loop: Header=BB552_5 Depth=1
	s_or_b32 exec_lo, exec_lo, s7
	s_wait_loadcnt 0x0
	v_dual_lshlrev_b32 v9, 16, v34 :: v_dual_lshlrev_b32 v8, 16, v35
	s_delay_alu instid0(VALU_DEP_1) | instskip(NEXT) | instid1(VALU_DEP_1)
	v_pk_mul_f32 v[6:7], v[6:7], v[8:9]
	v_dual_add_f32 v6, v28, v6 :: v_dual_lshlrev_b32 v9, 16, v33
	s_delay_alu instid0(VALU_DEP_1) | instskip(NEXT) | instid1(VALU_DEP_1)
	v_dual_lshlrev_b32 v8, 16, v32 :: v_dual_add_f32 v6, v6, v7
	v_pk_mul_f32 v[4:5], v[4:5], v[8:9]
	s_delay_alu instid0(VALU_DEP_1) | instskip(NEXT) | instid1(VALU_DEP_1)
	v_add_f32_e32 v4, v6, v4
	v_add_f32_e32 v28, v4, v5
.LBB552_45:                             ;   in Loop: Header=BB552_5 Depth=1
	s_or_b32 exec_lo, exec_lo, s36
.LBB552_46:                             ;   in Loop: Header=BB552_5 Depth=1
	ds_store_2addr_stride64_b32 v18, v28, v29 offset1:1
	ds_store_2addr_stride64_b32 v18, v30, v31 offset0:2 offset1:3
	s_wait_dscnt 0x0
	s_barrier_signal -1
	s_barrier_wait -1
                                        ; implicit-def: $vgpr6
	s_and_saveexec_b32 s7, s5
	s_cbranch_execz .LBB552_66
; %bb.47:                               ;   in Loop: Header=BB552_5 Depth=1
	ds_load_2addr_stride64_b32 v[4:5], v19 offset1:4
	ds_load_2addr_stride64_b32 v[6:7], v19 offset0:8 offset1:12
	ds_load_2addr_stride64_b32 v[8:9], v19 offset0:16 offset1:20
	s_mov_b32 s35, s45
	s_wait_dscnt 0x2
	v_add_f32_e32 v10, v4, v5
	ds_load_2addr_stride64_b32 v[4:5], v19 offset0:24 offset1:28
	s_wait_dscnt 0x2
	v_add_f32_e32 v6, v6, v10
	s_delay_alu instid0(VALU_DEP_1) | instskip(SKIP_3) | instid1(VALU_DEP_1)
	v_add_f32_e32 v10, v7, v6
	ds_load_2addr_stride64_b32 v[6:7], v19 offset0:32 offset1:36
	s_wait_dscnt 0x2
	v_add_f32_e32 v8, v8, v10
	v_add_f32_e32 v10, v9, v8
	ds_load_2addr_stride64_b32 v[8:9], v19 offset0:40 offset1:44
	s_wait_dscnt 0x2
	v_add_f32_e32 v4, v4, v10
	s_delay_alu instid0(VALU_DEP_1) | instskip(SKIP_1) | instid1(VALU_DEP_1)
	v_add_f32_e32 v4, v5, v4
	s_wait_dscnt 0x1
	v_add_f32_e32 v6, v6, v4
	ds_load_2addr_stride64_b32 v[4:5], v19 offset0:48 offset1:52
	v_add_f32_e32 v6, v7, v6
	s_wait_dscnt 0x1
	s_delay_alu instid0(VALU_DEP_1) | instskip(SKIP_3) | instid1(VALU_DEP_1)
	v_add_f32_e32 v8, v8, v6
	ds_load_2addr_stride64_b32 v[6:7], v19 offset0:56 offset1:60
	v_add_f32_e32 v8, v9, v8
	s_wait_dscnt 0x1
	v_add_f32_e32 v4, v4, v8
	s_delay_alu instid0(VALU_DEP_1) | instskip(SKIP_1) | instid1(VALU_DEP_1)
	v_add_f32_e32 v4, v5, v4
	s_wait_dscnt 0x0
	v_add_f32_e32 v4, v6, v4
                                        ; implicit-def: $vgpr6
	s_delay_alu instid0(VALU_DEP_1)
	v_add_f32_e32 v4, v7, v4
	ds_store_b32 v19, v4
	s_and_saveexec_b32 s34, s6
	s_cbranch_execz .LBB552_65
; %bb.48:                               ;   in Loop: Header=BB552_5 Depth=1
	v_mul_f32_e32 v4, s22, v4
	s_and_b32 vcc_lo, exec_lo, s40
	s_mov_b32 s35, -1
                                        ; implicit-def: $vgpr5
	s_cbranch_vccz .LBB552_54
; %bb.49:                               ;   in Loop: Header=BB552_5 Depth=1
	s_delay_alu instid0(VALU_DEP_1) | instskip(NEXT) | instid1(VALU_DEP_1)
	v_and_b32_e32 v5, 0x7f800000, v4
	v_cmp_ne_u32_e32 vcc_lo, 0x7f800000, v5
                                        ; implicit-def: $vgpr5
	s_and_saveexec_b32 s35, vcc_lo
	s_delay_alu instid0(SALU_CYCLE_1)
	s_xor_b32 s35, exec_lo, s35
; %bb.50:                               ;   in Loop: Header=BB552_5 Depth=1
	v_bfe_u32 v5, v4, 16, 1
	s_delay_alu instid0(VALU_DEP_1)
	v_add3_u32 v5, v4, v5, 0x7fff
; %bb.51:                               ;   in Loop: Header=BB552_5 Depth=1
	s_and_not1_saveexec_b32 s35, s35
; %bb.52:                               ;   in Loop: Header=BB552_5 Depth=1
	v_and_b32_e32 v5, 0xffff, v4
	v_or_b32_e32 v6, 0x10000, v4
	s_delay_alu instid0(VALU_DEP_2) | instskip(NEXT) | instid1(VALU_DEP_2)
	v_cmp_eq_u32_e32 vcc_lo, 0, v5
	v_cndmask_b32_e32 v5, v6, v4, vcc_lo
; %bb.53:                               ;   in Loop: Header=BB552_5 Depth=1
	s_or_b32 exec_lo, exec_lo, s35
	s_mov_b32 s35, 0
.LBB552_54:                             ;   in Loop: Header=BB552_5 Depth=1
	s_delay_alu instid0(SALU_CYCLE_1)
	s_and_not1_b32 vcc_lo, exec_lo, s35
	s_cbranch_vccnz .LBB552_64
; %bb.55:                               ;   in Loop: Header=BB552_5 Depth=1
	v_lshl_add_u64 v[6:7], v[2:3], 1, s[30:31]
	global_load_u16 v5, v[6:7], off
	s_wait_loadcnt 0x0
	v_lshlrev_b32_e32 v5, 16, v5
	s_delay_alu instid0(VALU_DEP_1) | instskip(SKIP_1) | instid1(VALU_DEP_1)
	v_mul_f32_e32 v5, s26, v5
	s_wait_xcnt 0x0
	v_and_b32_e32 v6, 0x7f800000, v5
	s_delay_alu instid0(VALU_DEP_1) | instskip(SKIP_1) | instid1(SALU_CYCLE_1)
	v_cmp_ne_u32_e32 vcc_lo, 0x7f800000, v6
                                        ; implicit-def: $vgpr6
	s_and_saveexec_b32 s35, vcc_lo
	s_xor_b32 s35, exec_lo, s35
; %bb.56:                               ;   in Loop: Header=BB552_5 Depth=1
	v_bfe_u32 v6, v5, 16, 1
	s_delay_alu instid0(VALU_DEP_1)
	v_add3_u32 v6, v5, v6, 0x7fff
                                        ; implicit-def: $vgpr5
; %bb.57:                               ;   in Loop: Header=BB552_5 Depth=1
	s_and_not1_saveexec_b32 s35, s35
; %bb.58:                               ;   in Loop: Header=BB552_5 Depth=1
	v_and_b32_e32 v6, 0xffff, v5
	v_or_b32_e32 v7, 0x10000, v5
	s_delay_alu instid0(VALU_DEP_2) | instskip(NEXT) | instid1(VALU_DEP_2)
	v_cmp_eq_u32_e32 vcc_lo, 0, v6
	v_cndmask_b32_e32 v6, v7, v5, vcc_lo
; %bb.59:                               ;   in Loop: Header=BB552_5 Depth=1
	s_or_b32 exec_lo, exec_lo, s35
	s_delay_alu instid0(VALU_DEP_1) | instskip(NEXT) | instid1(VALU_DEP_1)
	v_and_b32_e32 v5, 0xffff0000, v6
	v_add_f32_e32 v4, v4, v5
	s_delay_alu instid0(VALU_DEP_1) | instskip(NEXT) | instid1(VALU_DEP_1)
	v_and_b32_e32 v5, 0x7f800000, v4
	v_cmp_ne_u32_e32 vcc_lo, 0x7f800000, v5
                                        ; implicit-def: $vgpr5
	s_and_saveexec_b32 s35, vcc_lo
	s_delay_alu instid0(SALU_CYCLE_1)
	s_xor_b32 s35, exec_lo, s35
; %bb.60:                               ;   in Loop: Header=BB552_5 Depth=1
	v_bfe_u32 v5, v4, 16, 1
	s_delay_alu instid0(VALU_DEP_1)
	v_add3_u32 v5, v4, v5, 0x7fff
                                        ; implicit-def: $vgpr4
; %bb.61:                               ;   in Loop: Header=BB552_5 Depth=1
	s_and_not1_saveexec_b32 s35, s35
; %bb.62:                               ;   in Loop: Header=BB552_5 Depth=1
	v_and_b32_e32 v5, 0xffff, v4
	v_or_b32_e32 v6, 0x10000, v4
	s_delay_alu instid0(VALU_DEP_2) | instskip(NEXT) | instid1(VALU_DEP_2)
	v_cmp_eq_u32_e32 vcc_lo, 0, v5
	v_cndmask_b32_e32 v5, v6, v4, vcc_lo
; %bb.63:                               ;   in Loop: Header=BB552_5 Depth=1
	s_or_b32 exec_lo, exec_lo, s35
.LBB552_64:                             ;   in Loop: Header=BB552_5 Depth=1
	s_delay_alu instid0(VALU_DEP_1)
	v_lshrrev_b32_e32 v6, 16, v5
	s_or_b32 s35, s45, exec_lo
.LBB552_65:                             ;   in Loop: Header=BB552_5 Depth=1
	s_or_b32 exec_lo, exec_lo, s34
	s_delay_alu instid0(SALU_CYCLE_1) | instskip(SKIP_1) | instid1(SALU_CYCLE_1)
	s_and_not1_b32 s34, s45, exec_lo
	s_and_b32 s35, s35, exec_lo
	s_or_b32 s45, s34, s35
.LBB552_66:                             ;   in Loop: Header=BB552_5 Depth=1
	s_or_b32 exec_lo, exec_lo, s7
	v_mov_b64_e32 v[4:5], v[2:3]
	s_and_saveexec_b32 s7, s45
	s_cbranch_execz .LBB552_3
	s_branch .LBB552_69
.LBB552_67:                             ;   in Loop: Header=BB552_5 Depth=1
	v_mov_b32_e32 v6, 0
	s_mov_b32 s45, exec_lo
	s_or_b32 exec_lo, exec_lo, s34
	s_delay_alu instid0(SALU_CYCLE_1)
	s_and_b32 vcc_lo, exec_lo, s7
	s_cbranch_vccnz .LBB552_16
.LBB552_68:                             ;   in Loop: Header=BB552_5 Depth=1
	v_mov_b64_e32 v[4:5], v[0:1]
	s_and_saveexec_b32 s7, s45
	s_cbranch_execz .LBB552_3
.LBB552_69:                             ;   in Loop: Header=BB552_5 Depth=1
	s_delay_alu instid0(VALU_DEP_1)
	v_lshl_add_u64 v[4:5], v[4:5], 1, s[30:31]
	global_store_b16 v[4:5], v6, off
	s_branch .LBB552_3
.LBB552_70:
	s_endpgm
	.section	.rodata,"a",@progbits
	.p2align	6, 0x0
	.amdhsa_kernel _ZL20rocblas_gemvn_kernelILi64ELi16Ei16rocblas_bfloat16fS0_EviiT3_lPKT2_lT1_lS4_lS5_lS1_lPT4_lS5_li
		.amdhsa_group_segment_fixed_size 16384
		.amdhsa_private_segment_fixed_size 0
		.amdhsa_kernarg_size 400
		.amdhsa_user_sgpr_count 2
		.amdhsa_user_sgpr_dispatch_ptr 0
		.amdhsa_user_sgpr_queue_ptr 0
		.amdhsa_user_sgpr_kernarg_segment_ptr 1
		.amdhsa_user_sgpr_dispatch_id 0
		.amdhsa_user_sgpr_kernarg_preload_length 0
		.amdhsa_user_sgpr_kernarg_preload_offset 0
		.amdhsa_user_sgpr_private_segment_size 0
		.amdhsa_wavefront_size32 1
		.amdhsa_uses_dynamic_stack 0
		.amdhsa_enable_private_segment 0
		.amdhsa_system_sgpr_workgroup_id_x 1
		.amdhsa_system_sgpr_workgroup_id_y 0
		.amdhsa_system_sgpr_workgroup_id_z 1
		.amdhsa_system_sgpr_workgroup_info 0
		.amdhsa_system_vgpr_workitem_id 1
		.amdhsa_next_free_vgpr 53
		.amdhsa_next_free_sgpr 52
		.amdhsa_named_barrier_count 0
		.amdhsa_reserve_vcc 1
		.amdhsa_float_round_mode_32 0
		.amdhsa_float_round_mode_16_64 0
		.amdhsa_float_denorm_mode_32 3
		.amdhsa_float_denorm_mode_16_64 3
		.amdhsa_fp16_overflow 0
		.amdhsa_memory_ordered 1
		.amdhsa_forward_progress 1
		.amdhsa_inst_pref_size 29
		.amdhsa_round_robin_scheduling 0
		.amdhsa_exception_fp_ieee_invalid_op 0
		.amdhsa_exception_fp_denorm_src 0
		.amdhsa_exception_fp_ieee_div_zero 0
		.amdhsa_exception_fp_ieee_overflow 0
		.amdhsa_exception_fp_ieee_underflow 0
		.amdhsa_exception_fp_ieee_inexact 0
		.amdhsa_exception_int_div_zero 0
	.end_amdhsa_kernel
	.section	.text._ZL20rocblas_gemvn_kernelILi64ELi16Ei16rocblas_bfloat16fS0_EviiT3_lPKT2_lT1_lS4_lS5_lS1_lPT4_lS5_li,"axG",@progbits,_ZL20rocblas_gemvn_kernelILi64ELi16Ei16rocblas_bfloat16fS0_EviiT3_lPKT2_lT1_lS4_lS5_lS1_lPT4_lS5_li,comdat
.Lfunc_end552:
	.size	_ZL20rocblas_gemvn_kernelILi64ELi16Ei16rocblas_bfloat16fS0_EviiT3_lPKT2_lT1_lS4_lS5_lS1_lPT4_lS5_li, .Lfunc_end552-_ZL20rocblas_gemvn_kernelILi64ELi16Ei16rocblas_bfloat16fS0_EviiT3_lPKT2_lT1_lS4_lS5_lS1_lPT4_lS5_li
                                        ; -- End function
	.set _ZL20rocblas_gemvn_kernelILi64ELi16Ei16rocblas_bfloat16fS0_EviiT3_lPKT2_lT1_lS4_lS5_lS1_lPT4_lS5_li.num_vgpr, 53
	.set _ZL20rocblas_gemvn_kernelILi64ELi16Ei16rocblas_bfloat16fS0_EviiT3_lPKT2_lT1_lS4_lS5_lS1_lPT4_lS5_li.num_agpr, 0
	.set _ZL20rocblas_gemvn_kernelILi64ELi16Ei16rocblas_bfloat16fS0_EviiT3_lPKT2_lT1_lS4_lS5_lS1_lPT4_lS5_li.numbered_sgpr, 52
	.set _ZL20rocblas_gemvn_kernelILi64ELi16Ei16rocblas_bfloat16fS0_EviiT3_lPKT2_lT1_lS4_lS5_lS1_lPT4_lS5_li.num_named_barrier, 0
	.set _ZL20rocblas_gemvn_kernelILi64ELi16Ei16rocblas_bfloat16fS0_EviiT3_lPKT2_lT1_lS4_lS5_lS1_lPT4_lS5_li.private_seg_size, 0
	.set _ZL20rocblas_gemvn_kernelILi64ELi16Ei16rocblas_bfloat16fS0_EviiT3_lPKT2_lT1_lS4_lS5_lS1_lPT4_lS5_li.uses_vcc, 1
	.set _ZL20rocblas_gemvn_kernelILi64ELi16Ei16rocblas_bfloat16fS0_EviiT3_lPKT2_lT1_lS4_lS5_lS1_lPT4_lS5_li.uses_flat_scratch, 0
	.set _ZL20rocblas_gemvn_kernelILi64ELi16Ei16rocblas_bfloat16fS0_EviiT3_lPKT2_lT1_lS4_lS5_lS1_lPT4_lS5_li.has_dyn_sized_stack, 0
	.set _ZL20rocblas_gemvn_kernelILi64ELi16Ei16rocblas_bfloat16fS0_EviiT3_lPKT2_lT1_lS4_lS5_lS1_lPT4_lS5_li.has_recursion, 0
	.set _ZL20rocblas_gemvn_kernelILi64ELi16Ei16rocblas_bfloat16fS0_EviiT3_lPKT2_lT1_lS4_lS5_lS1_lPT4_lS5_li.has_indirect_call, 0
	.section	.AMDGPU.csdata,"",@progbits
; Kernel info:
; codeLenInByte = 3632
; TotalNumSgprs: 54
; NumVgprs: 53
; ScratchSize: 0
; MemoryBound: 0
; FloatMode: 240
; IeeeMode: 1
; LDSByteSize: 16384 bytes/workgroup (compile time only)
; SGPRBlocks: 0
; VGPRBlocks: 3
; NumSGPRsForWavesPerEU: 54
; NumVGPRsForWavesPerEU: 53
; NamedBarCnt: 0
; Occupancy: 16
; WaveLimiterHint : 1
; COMPUTE_PGM_RSRC2:SCRATCH_EN: 0
; COMPUTE_PGM_RSRC2:USER_SGPR: 2
; COMPUTE_PGM_RSRC2:TRAP_HANDLER: 0
; COMPUTE_PGM_RSRC2:TGID_X_EN: 1
; COMPUTE_PGM_RSRC2:TGID_Y_EN: 0
; COMPUTE_PGM_RSRC2:TGID_Z_EN: 1
; COMPUTE_PGM_RSRC2:TIDIG_COMP_CNT: 1
	.section	.text._ZL20rocblas_gemvn_kernelILi64ELi16El16rocblas_bfloat16fS0_EviiT3_lPKT2_lT1_lS4_lS5_lS1_lPT4_lS5_li,"axG",@progbits,_ZL20rocblas_gemvn_kernelILi64ELi16El16rocblas_bfloat16fS0_EviiT3_lPKT2_lT1_lS4_lS5_lS1_lPT4_lS5_li,comdat
	.globl	_ZL20rocblas_gemvn_kernelILi64ELi16El16rocblas_bfloat16fS0_EviiT3_lPKT2_lT1_lS4_lS5_lS1_lPT4_lS5_li ; -- Begin function _ZL20rocblas_gemvn_kernelILi64ELi16El16rocblas_bfloat16fS0_EviiT3_lPKT2_lT1_lS4_lS5_lS1_lPT4_lS5_li
	.p2align	8
	.type	_ZL20rocblas_gemvn_kernelILi64ELi16El16rocblas_bfloat16fS0_EviiT3_lPKT2_lT1_lS4_lS5_lS1_lPT4_lS5_li,@function
_ZL20rocblas_gemvn_kernelILi64ELi16El16rocblas_bfloat16fS0_EviiT3_lPKT2_lT1_lS4_lS5_lS1_lPT4_lS5_li: ; @_ZL20rocblas_gemvn_kernelILi64ELi16El16rocblas_bfloat16fS0_EviiT3_lPKT2_lT1_lS4_lS5_lS1_lPT4_lS5_li
; %bb.0:
	s_load_b64 s[2:3], s[0:1], 0x9c
	s_wait_kmcnt 0x0
	s_lshr_b32 s4, s2, 16
	s_and_b32 s2, s2, 0xffff
	s_and_b32 s3, s3, 0xffff
	s_mul_i32 s2, s4, s2
	s_delay_alu instid0(SALU_CYCLE_1) | instskip(NEXT) | instid1(SALU_CYCLE_1)
	s_mul_i32 s2, s2, s3
	s_cmp_lg_u32 s2, 0x400
	s_cbranch_scc1 .LBB553_70
; %bb.1:
	s_load_b32 s33, s[0:1], 0x88
	s_bfe_u32 s2, ttmp6, 0x40014
	s_lshr_b32 s3, ttmp7, 16
	s_add_co_i32 s2, s2, 1
	s_bfe_u32 s4, ttmp6, 0x40008
	s_mul_i32 s2, s3, s2
	s_getreg_b32 s6, hwreg(HW_REG_IB_STS2, 6, 4)
	s_add_co_i32 s4, s4, s2
	s_cmp_eq_u32 s6, 0
	s_mov_b32 s35, 0
	s_cselect_b32 s34, s3, s4
	s_wait_kmcnt 0x0
	s_cmp_ge_u32 s34, s33
	s_cbranch_scc1 .LBB553_70
; %bb.2:
	s_clause 0x3
	s_load_b512 s[8:23], s[0:1], 0x18
	s_load_b256 s[24:31], s[0:1], 0x68
	s_load_b96 s[36:38], s[0:1], 0x0
	s_load_b32 s39, s[0:1], 0x58
	v_and_b32_e32 v8, 0x3ff, v0
	v_bfe_u32 v2, v0, 10, 10
	s_delay_alu instid0(VALU_DEP_2) | instskip(NEXT) | instid1(VALU_DEP_2)
	v_dual_mov_b32 v1, 0 :: v_dual_lshlrev_b32 v0, 2, v8
	v_lshl_add_u32 v9, v2, 6, v8
	s_delay_alu instid0(VALU_DEP_2) | instskip(NEXT) | instid1(VALU_DEP_3)
	v_dual_mov_b32 v3, v1 :: v_dual_lshlrev_b32 v52, 2, v2
	v_lshl_add_u32 v53, v2, 10, v0
	v_lshl_add_u32 v54, v2, 8, v0
	s_wait_xcnt 0x0
	v_cmp_gt_u32_e64 s0, 0x100, v9
	s_wait_kmcnt 0x0
	s_lshl_b64 s[4:5], s[10:11], 1
	s_lshl_b64 s[10:11], s[18:19], 1
	;; [unrolled: 1-line block ×3, first 2 shown]
	s_cmp_eq_f32 s38, 0
	s_mov_b32 s40, s36
	v_mul_u64_e32 v[10:11], s[20:21], v[2:3]
	v_mul_u64_e32 v[12:13], s[12:13], v[2:3]
	s_cselect_b32 s46, -1, 0
	s_cmp_neq_f32 s38, 0
	v_mad_nc_u64_u32 v[4:5], s20, v52, s[20:21]
	v_mad_nc_u64_u32 v[6:7], s12, v52, s[12:13]
	s_add_nc_u64 s[24:25], s[24:25], s[2:3]
	s_cselect_b32 s1, -1, 0
	s_cmp_neq_f32 s39, 1.0
	s_add_nc_u64 s[26:27], s[16:17], s[10:11]
	s_cselect_b32 s7, -1, 0
	s_bfe_u32 s18, ttmp6, 0x4000c
	s_and_b32 s19, ttmp6, 15
	s_add_co_i32 s18, s18, 1
	s_or_b32 s47, s1, s7
	s_mul_i32 s18, ttmp9, s18
	v_mad_u32 v5, s21, v52, v5
	s_add_co_i32 s19, s19, s18
	s_cmp_eq_u32 s6, 0
	v_mad_u32 v7, s13, v52, v7
	s_cselect_b32 s1, ttmp9, s19
	s_ashr_i32 s41, s36, 31
	s_lshl_b32 s1, s1, 8
	s_cmp_neq_f32 s39, 0
	v_dual_add_nc_u32 v0, s1, v9 :: v_dual_bitop2_b32 v14, s1, v9 bitop3:0x54
	v_add_nc_u32_e32 v20, s1, v8
	s_cselect_b32 s48, -1, 0
	s_cmp_eq_f32 s39, 0
	s_delay_alu instid0(VALU_DEP_2)
	v_cmp_gt_i64_e32 vcc_lo, s[40:41], v[0:1]
	v_mul_u64_e32 v[2:3], s[28:29], v[0:1]
	v_dual_ashrrev_i32 v15, 31, v14 :: v_dual_bitop2_b32 v0, 3, v52 bitop3:0x54
	s_cselect_b32 s49, -1, 0
	s_ashr_i32 s3, s37, 31
	s_add_nc_u64 s[18:19], s[8:9], s[4:5]
	s_delay_alu instid0(VALU_DEP_1)
	v_mul_u64_e32 v[16:17], s[12:13], v[0:1]
	v_mul_u64_e32 v[18:19], s[20:21], v[0:1]
	v_or_b32_e32 v0, 2, v52
	v_mul_u64_e32 v[8:9], s[28:29], v[14:15]
	s_lshr_b32 s4, s3, 26
	v_ashrrev_i32_e32 v21, 31, v20
	v_add_nc_u32_e32 v15, 0x80, v20
	v_mul_u64_e32 v[22:23], s[12:13], v[0:1]
	v_mul_u64_e32 v[24:25], s[20:21], v[0:1]
	s_add_co_i32 s50, s37, s4
	v_add_nc_u32_e32 v0, 64, v20
	v_add_nc_u32_e32 v26, 0xc0, v20
	s_and_not1_b32 s50, s50, 63
	v_cmp_gt_i32_e64 s2, s36, v14
	v_cmp_gt_i32_e64 s4, s36, v15
	s_sub_co_i32 s6, s37, s50
	v_lshlrev_b64_e32 v[14:15], 1, v[20:21]
	v_lshl_add_u64 v[4:5], v[4:5], 1, s[16:17]
	v_lshl_add_u64 v[6:7], v[6:7], 1, s[18:19]
	v_cmp_gt_i32_e64 s1, s36, v20
	v_lshl_add_u64 v[10:11], v[10:11], 3, s[16:17]
	v_lshl_add_u64 v[12:13], v[12:13], 3, s[18:19]
	v_cmp_gt_i32_e64 s3, s36, v0
	v_cmp_gt_i32_e64 s5, s36, v26
	s_cmp_gt_i32 s6, 0
	v_cmp_gt_i32_e64 s6, s50, v52
	s_cselect_b32 s36, -1, 0
	s_and_b32 s51, s0, vcc_lo
	s_lshl_b64 s[28:29], s[22:23], 1
	s_lshl_b64 s[40:41], s[14:15], 1
	;; [unrolled: 1-line block ×3, first 2 shown]
	v_lshl_add_u64 v[16:17], v[16:17], 1, s[18:19]
	v_lshl_add_u64 v[18:19], v[18:19], 1, s[16:17]
	;; [unrolled: 1-line block ×4, first 2 shown]
	s_lshl_b64 s[16:17], s[20:21], 7
	s_branch .LBB553_5
.LBB553_3:                              ;   in Loop: Header=BB553_5 Depth=1
	s_wait_xcnt 0x0
	s_or_b32 exec_lo, exec_lo, s7
.LBB553_4:                              ;   in Loop: Header=BB553_5 Depth=1
	s_add_co_i32 s34, s34, 0x10000
	s_delay_alu instid0(SALU_CYCLE_1)
	s_cmp_lt_u32 s34, s33
	s_cbranch_scc0 .LBB553_70
.LBB553_5:                              ; =>This Loop Header: Depth=1
                                        ;     Child Loop BB553_22 Depth 2
	s_and_not1_b32 vcc_lo, exec_lo, s47
	s_cbranch_vccnz .LBB553_4
; %bb.6:                                ;   in Loop: Header=BB553_5 Depth=1
	s_mul_u64 s[8:9], s[30:31], s[34:35]
	s_and_not1_b32 vcc_lo, exec_lo, s46
	s_lshl_b64 s[8:9], s[8:9], 1
	s_delay_alu instid0(SALU_CYCLE_1)
	s_add_nc_u64 s[44:45], s[24:25], s[8:9]
	s_cbranch_vccnz .LBB553_14
; %bb.7:                                ;   in Loop: Header=BB553_5 Depth=1
	s_mov_b32 s7, 0
	s_mov_b32 s52, 0
                                        ; implicit-def: $vgpr0
	s_and_saveexec_b32 s8, s51
	s_cbranch_execz .LBB553_15
; %bb.8:                                ;   in Loop: Header=BB553_5 Depth=1
	s_and_not1_b32 vcc_lo, exec_lo, s48
	s_cbranch_vccnz .LBB553_67
; %bb.9:                                ;   in Loop: Header=BB553_5 Depth=1
	v_lshl_add_u64 v[24:25], v[2:3], 1, s[44:45]
	global_load_u16 v0, v[24:25], off
	s_wait_loadcnt 0x0
	v_lshlrev_b32_e32 v0, 16, v0
	s_delay_alu instid0(VALU_DEP_1) | instskip(SKIP_1) | instid1(VALU_DEP_1)
	v_mul_f32_e32 v0, s39, v0
	s_wait_xcnt 0x0
	v_and_b32_e32 v24, 0x7f800000, v0
	s_delay_alu instid0(VALU_DEP_1) | instskip(SKIP_1) | instid1(SALU_CYCLE_1)
	v_cmp_ne_u32_e32 vcc_lo, 0x7f800000, v24
                                        ; implicit-def: $vgpr24
	s_and_saveexec_b32 s9, vcc_lo
	s_xor_b32 s9, exec_lo, s9
; %bb.10:                               ;   in Loop: Header=BB553_5 Depth=1
	v_bfe_u32 v24, v0, 16, 1
	s_delay_alu instid0(VALU_DEP_1)
	v_add3_u32 v24, v0, v24, 0x7fff
                                        ; implicit-def: $vgpr0
; %bb.11:                               ;   in Loop: Header=BB553_5 Depth=1
	s_and_not1_saveexec_b32 s9, s9
; %bb.12:                               ;   in Loop: Header=BB553_5 Depth=1
	v_and_b32_e32 v24, 0xffff, v0
	v_or_b32_e32 v25, 0x10000, v0
	s_delay_alu instid0(VALU_DEP_2) | instskip(NEXT) | instid1(VALU_DEP_2)
	v_cmp_eq_u32_e32 vcc_lo, 0, v24
	v_cndmask_b32_e32 v24, v25, v0, vcc_lo
; %bb.13:                               ;   in Loop: Header=BB553_5 Depth=1
	s_or_b32 exec_lo, exec_lo, s9
	s_delay_alu instid0(VALU_DEP_1) | instskip(SKIP_2) | instid1(SALU_CYCLE_1)
	v_lshrrev_b32_e32 v0, 16, v24
	s_mov_b32 s52, exec_lo
	s_or_b32 exec_lo, exec_lo, s8
	s_and_b32 vcc_lo, exec_lo, s7
	s_cbranch_vccnz .LBB553_16
	s_branch .LBB553_68
.LBB553_14:                             ;   in Loop: Header=BB553_5 Depth=1
	s_mov_b32 s52, 0
                                        ; implicit-def: $vgpr0
	s_cbranch_execnz .LBB553_16
	s_branch .LBB553_68
.LBB553_15:                             ;   in Loop: Header=BB553_5 Depth=1
	s_or_b32 exec_lo, exec_lo, s8
	s_delay_alu instid0(SALU_CYCLE_1)
	s_and_b32 vcc_lo, exec_lo, s7
	s_cbranch_vccz .LBB553_68
.LBB553_16:                             ;   in Loop: Header=BB553_5 Depth=1
	v_dual_mov_b32 v55, 0 :: v_dual_mov_b32 v0, v52
	v_dual_mov_b32 v56, 0 :: v_dual_mov_b32 v57, 0
	v_mov_b32_e32 v58, 0
	s_and_saveexec_b32 s7, s6
	s_cbranch_execz .LBB553_28
; %bb.17:                               ;   in Loop: Header=BB553_5 Depth=1
	s_mul_u64 s[8:9], s[28:29], s[34:35]
	s_mul_u64 s[54:55], s[40:41], s[34:35]
	v_add_nc_u64_e32 v[24:25], s[8:9], v[10:11]
	v_add_nc_u64_e32 v[26:27], s[54:55], v[16:17]
	;; [unrolled: 1-line block ×8, first 2 shown]
	v_dual_mov_b32 v55, 0 :: v_dual_mov_b32 v0, v52
	v_dual_mov_b32 v56, 0 :: v_dual_mov_b32 v57, 0
	v_mov_b32_e32 v58, 0
	s_mov_b32 s8, 0
	s_branch .LBB553_22
.LBB553_18:                             ;   in Loop: Header=BB553_22 Depth=2
	s_or_b32 exec_lo, exec_lo, s55
	s_wait_loadcnt 0x2
	v_dual_lshlrev_b32 v45, 16, v70 :: v_dual_lshlrev_b32 v44, 16, v69
	s_wait_loadcnt 0x0
	v_dual_lshlrev_b32 v47, 16, v68 :: v_dual_lshlrev_b32 v46, 16, v67
	s_delay_alu instid0(VALU_DEP_2) | instskip(NEXT) | instid1(VALU_DEP_1)
	v_pk_mul_f32 v[44:45], v[42:43], v[44:45]
	v_add_f32_e32 v44, v57, v44
	s_delay_alu instid0(VALU_DEP_1) | instskip(NEXT) | instid1(VALU_DEP_4)
	v_add_f32_e32 v48, v44, v45
	v_pk_mul_f32 v[44:45], v[40:41], v[46:47]
	s_delay_alu instid0(VALU_DEP_1) | instskip(NEXT) | instid1(VALU_DEP_1)
	v_add_f32_e32 v44, v48, v44
	v_add_f32_e32 v57, v44, v45
.LBB553_19:                             ;   in Loop: Header=BB553_22 Depth=2
	s_or_b32 exec_lo, exec_lo, s54
	s_wait_loadcnt 0x2
	v_dual_lshlrev_b32 v45, 16, v66 :: v_dual_lshlrev_b32 v44, 16, v65
	s_wait_loadcnt 0x0
	v_dual_lshlrev_b32 v47, 16, v64 :: v_dual_lshlrev_b32 v46, 16, v63
	s_delay_alu instid0(VALU_DEP_2) | instskip(NEXT) | instid1(VALU_DEP_1)
	v_pk_mul_f32 v[44:45], v[42:43], v[44:45]
	v_add_f32_e32 v44, v56, v44
	s_delay_alu instid0(VALU_DEP_1) | instskip(NEXT) | instid1(VALU_DEP_4)
	v_add_f32_e32 v48, v44, v45
	v_pk_mul_f32 v[44:45], v[40:41], v[46:47]
	s_delay_alu instid0(VALU_DEP_1) | instskip(NEXT) | instid1(VALU_DEP_1)
	v_add_f32_e32 v44, v48, v44
	v_add_f32_e32 v56, v44, v45
.LBB553_20:                             ;   in Loop: Header=BB553_22 Depth=2
	s_or_b32 exec_lo, exec_lo, s53
	s_wait_loadcnt 0x2
	v_dual_lshlrev_b32 v45, 16, v62 :: v_dual_lshlrev_b32 v44, 16, v61
	s_delay_alu instid0(VALU_DEP_1) | instskip(SKIP_1) | instid1(VALU_DEP_1)
	v_pk_mul_f32 v[42:43], v[42:43], v[44:45]
	s_wait_loadcnt 0x0
	v_dual_add_f32 v42, v55, v42 :: v_dual_lshlrev_b32 v45, 16, v60
	s_delay_alu instid0(VALU_DEP_1) | instskip(SKIP_1) | instid1(VALU_DEP_1)
	v_add_f32_e32 v42, v42, v43
	v_lshlrev_b32_e32 v44, 16, v59
	v_pk_mul_f32 v[40:41], v[40:41], v[44:45]
	s_delay_alu instid0(VALU_DEP_1) | instskip(NEXT) | instid1(VALU_DEP_1)
	v_add_f32_e32 v40, v42, v40
	v_add_f32_e32 v55, v40, v41
.LBB553_21:                             ;   in Loop: Header=BB553_22 Depth=2
	s_or_b32 exec_lo, exec_lo, s9
	v_add_nc_u32_e32 v0, 64, v0
	v_add_nc_u64_e32 v[24:25], s[16:17], v[24:25]
	v_add_nc_u64_e32 v[26:27], s[42:43], v[26:27]
	;; [unrolled: 1-line block ×7, first 2 shown]
	v_cmp_le_i32_e32 vcc_lo, s50, v0
	v_add_nc_u64_e32 v[38:39], s[42:43], v[38:39]
	s_or_b32 s8, vcc_lo, s8
	s_delay_alu instid0(SALU_CYCLE_1)
	s_and_not1_b32 exec_lo, exec_lo, s8
	s_cbranch_execz .LBB553_27
.LBB553_22:                             ;   Parent Loop BB553_5 Depth=1
                                        ; =>  This Inner Loop Header: Depth=2
	s_and_saveexec_b32 s9, s1
	s_cbranch_execz .LBB553_21
; %bb.23:                               ;   in Loop: Header=BB553_22 Depth=2
	v_add_nc_u64_e32 v[40:41], s[10:11], v[24:25]
	v_add_nc_u64_e32 v[42:43], s[10:11], v[36:37]
	;; [unrolled: 1-line block ×7, first 2 shown]
	global_load_u16 v66, v[40:41], off
	global_load_u16 v67, v[42:43], off
	v_add_nc_u64_e32 v[48:49], v[26:27], v[14:15]
	global_load_u16 v40, v[64:65], off
	global_load_u16 v68, v[62:63], off
	;; [unrolled: 1-line block ×3, first 2 shown]
                                        ; kill: killed $vgpr62_vgpr63
                                        ; kill: killed $vgpr64_vgpr65
	global_load_u16 v62, v[50:51], off
	global_load_u16 v59, v[44:45], off
	;; [unrolled: 1-line block ×3, first 2 shown]
	s_wait_loadcnt 0x5
	v_lshlrev_b32_e32 v41, 16, v40
	s_wait_loadcnt 0x4
	v_dual_lshlrev_b32 v40, 16, v68 :: v_dual_lshlrev_b32 v42, 16, v66
	v_lshlrev_b32_e32 v43, 16, v67
	s_wait_xcnt 0x0
	s_and_saveexec_b32 s53, s3
	s_cbranch_execz .LBB553_20
; %bb.24:                               ;   in Loop: Header=BB553_22 Depth=2
	global_load_u16 v65, v[46:47], off offset:128
	global_load_u16 v66, v[50:51], off offset:128
	global_load_u16 v63, v[44:45], off offset:128
	global_load_u16 v64, v[48:49], off offset:128
	s_wait_xcnt 0x0
	s_and_saveexec_b32 s54, s4
	s_cbranch_execz .LBB553_19
; %bb.25:                               ;   in Loop: Header=BB553_22 Depth=2
	global_load_u16 v69, v[46:47], off offset:256
	global_load_u16 v70, v[50:51], off offset:256
	global_load_u16 v67, v[44:45], off offset:256
	global_load_u16 v68, v[48:49], off offset:256
	;; [unrolled: 8-line block ×3, first 2 shown]
	s_wait_loadcnt 0x3
	s_wait_xcnt 0x0
	v_lshlrev_b32_e32 v45, 16, v50
	s_wait_loadcnt 0x1
	v_dual_lshlrev_b32 v44, 16, v46 :: v_dual_lshlrev_b32 v47, 16, v47
	s_wait_loadcnt 0x0
	v_lshlrev_b32_e32 v46, 16, v48
	s_delay_alu instid0(VALU_DEP_2) | instskip(NEXT) | instid1(VALU_DEP_1)
	v_pk_mul_f32 v[44:45], v[42:43], v[44:45]
	v_add_f32_e32 v44, v58, v44
	s_delay_alu instid0(VALU_DEP_1) | instskip(NEXT) | instid1(VALU_DEP_4)
	v_add_f32_e32 v48, v44, v45
	v_pk_mul_f32 v[44:45], v[40:41], v[46:47]
	s_delay_alu instid0(VALU_DEP_1) | instskip(NEXT) | instid1(VALU_DEP_1)
	v_add_f32_e32 v44, v48, v44
	v_add_f32_e32 v58, v44, v45
	s_branch .LBB553_18
.LBB553_27:                             ;   in Loop: Header=BB553_5 Depth=1
	s_or_b32 exec_lo, exec_lo, s8
.LBB553_28:                             ;   in Loop: Header=BB553_5 Depth=1
	s_delay_alu instid0(SALU_CYCLE_1) | instskip(NEXT) | instid1(SALU_CYCLE_1)
	s_or_b32 exec_lo, exec_lo, s7
	s_and_not1_b32 vcc_lo, exec_lo, s36
	s_cbranch_vccnz .LBB553_46
; %bb.29:                               ;   in Loop: Header=BB553_5 Depth=1
	v_dual_mov_b32 v24, 0 :: v_dual_bitop2_b32 v28, 1, v0 bitop3:0x54
	v_cmp_gt_i32_e32 vcc_lo, s37, v0
	s_delay_alu instid0(VALU_DEP_2)
	v_dual_mov_b32 v25, v24 :: v_dual_mov_b32 v26, v24
	v_mov_b32_e32 v27, v24
	s_and_saveexec_b32 s53, vcc_lo
	s_cbranch_execz .LBB553_37
; %bb.30:                               ;   in Loop: Header=BB553_5 Depth=1
	v_mul_u64_e32 v[24:25], s[20:21], v[0:1]
	s_mul_u64 s[8:9], s[22:23], s[34:35]
	v_mov_b32_e32 v27, 0
	s_lshl_b64 s[8:9], s[8:9], 1
	s_mov_b32 s54, exec_lo
	s_add_nc_u64 s[8:9], s[26:27], s[8:9]
	s_delay_alu instid0(VALU_DEP_2) | instid1(SALU_CYCLE_1)
	v_lshl_add_u64 v[24:25], v[24:25], 1, s[8:9]
	global_load_u16 v30, v[24:25], off
	s_wait_xcnt 0x0
	v_dual_mov_b32 v25, 0 :: v_dual_mov_b32 v24, 0
	v_cmpx_gt_i32_e64 s37, v28
	s_cbranch_execz .LBB553_36
; %bb.31:                               ;   in Loop: Header=BB553_5 Depth=1
	v_dual_mov_b32 v29, v1 :: v_dual_bitop2_b32 v26, 2, v0 bitop3:0x54
	s_mov_b32 s55, exec_lo
	s_delay_alu instid0(VALU_DEP_1) | instskip(NEXT) | instid1(VALU_DEP_1)
	v_mul_u64_e32 v[24:25], s[20:21], v[28:29]
	v_lshl_add_u64 v[24:25], v[24:25], 1, s[8:9]
	global_load_u16 v29, v[24:25], off
	s_wait_xcnt 0x0
	v_dual_mov_b32 v25, 0 :: v_dual_mov_b32 v24, 0
	v_cmpx_gt_i32_e64 s37, v26
	s_cbranch_execz .LBB553_35
; %bb.32:                               ;   in Loop: Header=BB553_5 Depth=1
	v_mov_b32_e32 v27, v1
	s_mov_b32 s56, exec_lo
	s_delay_alu instid0(VALU_DEP_1) | instskip(NEXT) | instid1(VALU_DEP_1)
	v_mul_u64_e32 v[24:25], s[20:21], v[26:27]
	v_lshl_add_u64 v[24:25], v[24:25], 1, s[8:9]
	global_load_u16 v26, v[24:25], off
	s_wait_xcnt 0x0
	v_dual_mov_b32 v25, 0 :: v_dual_bitop2_b32 v24, 3, v0 bitop3:0x54
	s_delay_alu instid0(VALU_DEP_1)
	v_cmpx_gt_i32_e64 s37, v24
	s_cbranch_execz .LBB553_34
; %bb.33:                               ;   in Loop: Header=BB553_5 Depth=1
	v_mov_b32_e32 v25, v1
	s_delay_alu instid0(VALU_DEP_1) | instskip(NEXT) | instid1(VALU_DEP_1)
	v_mul_u64_e32 v[24:25], s[20:21], v[24:25]
	v_lshl_add_u64 v[24:25], v[24:25], 1, s[8:9]
	global_load_u16 v24, v[24:25], off
	s_wait_loadcnt 0x0
	s_wait_xcnt 0x0
	v_lshlrev_b32_e32 v25, 16, v24
.LBB553_34:                             ;   in Loop: Header=BB553_5 Depth=1
	s_or_b32 exec_lo, exec_lo, s56
	s_wait_loadcnt 0x0
	v_lshlrev_b32_e32 v24, 16, v26
.LBB553_35:                             ;   in Loop: Header=BB553_5 Depth=1
	s_or_b32 exec_lo, exec_lo, s55
	s_wait_loadcnt 0x0
	v_lshlrev_b32_e32 v27, 16, v29
.LBB553_36:                             ;   in Loop: Header=BB553_5 Depth=1
	s_or_b32 exec_lo, exec_lo, s54
	s_wait_loadcnt 0x0
	v_lshlrev_b32_e32 v26, 16, v30
.LBB553_37:                             ;   in Loop: Header=BB553_5 Depth=1
	s_or_b32 exec_lo, exec_lo, s53
	s_and_saveexec_b32 s53, s1
	s_cbranch_execz .LBB553_45
; %bb.38:                               ;   in Loop: Header=BB553_5 Depth=1
	v_dual_mov_b32 v29, v1 :: v_dual_bitop2_b32 v30, 2, v0 bitop3:0x54
	v_mov_b32_e32 v31, v1
	v_mul_u64_e32 v[32:33], s[12:13], v[0:1]
	v_or_b32_e32 v0, 3, v0
	s_delay_alu instid0(VALU_DEP_4)
	v_mul_u64_e32 v[34:35], s[12:13], v[28:29]
	s_mul_u64 s[8:9], s[14:15], s[34:35]
	v_mul_u64_e32 v[36:37], s[12:13], v[30:31]
	v_cmp_gt_i32_e64 s7, s37, v28
	v_mul_u64_e32 v[38:39], s[12:13], v[0:1]
	s_lshl_b64 s[54:55], s[8:9], 1
	v_cmp_gt_i32_e64 s8, s37, v30
	v_cmp_gt_i32_e64 s9, s37, v0
	v_dual_cndmask_b32 v29, 0, v33 :: v_dual_cndmask_b32 v28, 0, v32
	v_dual_cndmask_b32 v31, 0, v35, s7 :: v_dual_cndmask_b32 v30, 0, v34, s7
	s_delay_alu instid0(VALU_DEP_4) | instskip(NEXT) | instid1(VALU_DEP_4)
	v_dual_cndmask_b32 v33, 0, v37, s8 :: v_dual_cndmask_b32 v32, 0, v36, s8
	v_dual_cndmask_b32 v35, 0, v39, s9 :: v_dual_cndmask_b32 v34, 0, v38, s9
	s_add_nc_u64 s[8:9], s[18:19], s[54:55]
	s_delay_alu instid0(VALU_DEP_3) | instid1(SALU_CYCLE_1)
	v_lshl_add_u64 v[30:31], v[30:31], 1, s[8:9]
	s_delay_alu instid0(VALU_DEP_3) | instskip(NEXT) | instid1(VALU_DEP_3)
	v_lshl_add_u64 v[36:37], v[32:33], 1, s[8:9]
	v_lshl_add_u64 v[34:35], v[34:35], 1, s[8:9]
	;; [unrolled: 1-line block ×3, first 2 shown]
	s_delay_alu instid0(VALU_DEP_4) | instskip(NEXT) | instid1(VALU_DEP_4)
	v_add_nc_u64_e32 v[32:33], v[30:31], v[14:15]
	v_add_nc_u64_e32 v[28:29], v[36:37], v[14:15]
	s_delay_alu instid0(VALU_DEP_4) | instskip(NEXT) | instid1(VALU_DEP_4)
	v_add_nc_u64_e32 v[30:31], v[34:35], v[14:15]
	v_add_nc_u64_e32 v[34:35], v[38:39], v[14:15]
	s_clause 0x3
	global_load_u16 v37, v[32:33], off
	global_load_u16 v0, v[28:29], off
	;; [unrolled: 1-line block ×4, first 2 shown]
	s_wait_xcnt 0x0
	s_and_saveexec_b32 s7, s3
	s_cbranch_execz .LBB553_44
; %bb.39:                               ;   in Loop: Header=BB553_5 Depth=1
	s_clause 0x3
	global_load_u16 v41, v[34:35], off offset:128
	global_load_u16 v42, v[32:33], off offset:128
	global_load_u16 v39, v[28:29], off offset:128
	global_load_u16 v40, v[30:31], off offset:128
	s_wait_xcnt 0x0
	s_and_saveexec_b32 s8, s4
	s_cbranch_execz .LBB553_43
; %bb.40:                               ;   in Loop: Header=BB553_5 Depth=1
	s_clause 0x3
	global_load_u16 v45, v[34:35], off offset:256
	global_load_u16 v46, v[32:33], off offset:256
	global_load_u16 v43, v[28:29], off offset:256
	global_load_u16 v44, v[30:31], off offset:256
	;; [unrolled: 9-line block ×3, first 2 shown]
	s_wait_loadcnt 0x2
	s_wait_xcnt 0x0
	v_dual_lshlrev_b32 v29, 16, v32 :: v_dual_lshlrev_b32 v28, 16, v33
	s_delay_alu instid0(VALU_DEP_1) | instskip(SKIP_1) | instid1(VALU_DEP_1)
	v_pk_mul_f32 v[28:29], v[26:27], v[28:29]
	s_wait_loadcnt 0x1
	v_dual_add_f32 v28, v58, v28 :: v_dual_lshlrev_b32 v31, 16, v30
	s_wait_loadcnt 0x0
	s_delay_alu instid0(VALU_DEP_1) | instskip(NEXT) | instid1(VALU_DEP_1)
	v_dual_lshlrev_b32 v30, 16, v34 :: v_dual_add_f32 v32, v28, v29
	v_pk_mul_f32 v[28:29], v[24:25], v[30:31]
	s_delay_alu instid0(VALU_DEP_1) | instskip(NEXT) | instid1(VALU_DEP_1)
	v_add_f32_e32 v28, v32, v28
	v_add_f32_e32 v58, v28, v29
.LBB553_42:                             ;   in Loop: Header=BB553_5 Depth=1
	s_or_b32 exec_lo, exec_lo, s9
	s_wait_loadcnt 0x2
	v_dual_lshlrev_b32 v29, 16, v46 :: v_dual_lshlrev_b32 v28, 16, v45
	s_wait_loadcnt 0x0
	v_dual_lshlrev_b32 v31, 16, v44 :: v_dual_lshlrev_b32 v30, 16, v43
	s_delay_alu instid0(VALU_DEP_2) | instskip(NEXT) | instid1(VALU_DEP_1)
	v_pk_mul_f32 v[28:29], v[26:27], v[28:29]
	v_add_f32_e32 v28, v57, v28
	s_delay_alu instid0(VALU_DEP_1) | instskip(NEXT) | instid1(VALU_DEP_4)
	v_add_f32_e32 v32, v28, v29
	v_pk_mul_f32 v[28:29], v[24:25], v[30:31]
	s_delay_alu instid0(VALU_DEP_1) | instskip(NEXT) | instid1(VALU_DEP_1)
	v_add_f32_e32 v28, v32, v28
	v_add_f32_e32 v57, v28, v29
.LBB553_43:                             ;   in Loop: Header=BB553_5 Depth=1
	s_or_b32 exec_lo, exec_lo, s8
	s_wait_loadcnt 0x2
	v_dual_lshlrev_b32 v29, 16, v42 :: v_dual_lshlrev_b32 v28, 16, v41
	s_wait_loadcnt 0x0
	v_dual_lshlrev_b32 v31, 16, v40 :: v_dual_lshlrev_b32 v30, 16, v39
	s_delay_alu instid0(VALU_DEP_2) | instskip(NEXT) | instid1(VALU_DEP_1)
	v_pk_mul_f32 v[28:29], v[26:27], v[28:29]
	v_add_f32_e32 v28, v56, v28
	s_delay_alu instid0(VALU_DEP_1) | instskip(NEXT) | instid1(VALU_DEP_4)
	v_add_f32_e32 v32, v28, v29
	v_pk_mul_f32 v[28:29], v[24:25], v[30:31]
	s_delay_alu instid0(VALU_DEP_1) | instskip(NEXT) | instid1(VALU_DEP_1)
	v_add_f32_e32 v28, v32, v28
	v_add_f32_e32 v56, v28, v29
.LBB553_44:                             ;   in Loop: Header=BB553_5 Depth=1
	s_or_b32 exec_lo, exec_lo, s7
	s_wait_loadcnt 0x0
	v_dual_lshlrev_b32 v29, 16, v37 :: v_dual_lshlrev_b32 v28, 16, v38
	s_delay_alu instid0(VALU_DEP_1) | instskip(NEXT) | instid1(VALU_DEP_1)
	v_pk_mul_f32 v[26:27], v[26:27], v[28:29]
	v_dual_add_f32 v26, v55, v26 :: v_dual_lshlrev_b32 v29, 16, v36
	s_delay_alu instid0(VALU_DEP_1) | instskip(NEXT) | instid1(VALU_DEP_1)
	v_dual_lshlrev_b32 v28, 16, v0 :: v_dual_add_f32 v0, v26, v27
	v_pk_mul_f32 v[24:25], v[24:25], v[28:29]
	s_delay_alu instid0(VALU_DEP_1) | instskip(NEXT) | instid1(VALU_DEP_1)
	v_add_f32_e32 v0, v0, v24
	v_add_f32_e32 v55, v0, v25
.LBB553_45:                             ;   in Loop: Header=BB553_5 Depth=1
	s_or_b32 exec_lo, exec_lo, s53
.LBB553_46:                             ;   in Loop: Header=BB553_5 Depth=1
	ds_store_2addr_stride64_b32 v53, v55, v56 offset1:1
	ds_store_2addr_stride64_b32 v53, v57, v58 offset0:2 offset1:3
	s_wait_dscnt 0x0
	s_barrier_signal -1
	s_barrier_wait -1
                                        ; implicit-def: $vgpr0
	s_and_saveexec_b32 s7, s0
	s_cbranch_execz .LBB553_66
; %bb.47:                               ;   in Loop: Header=BB553_5 Depth=1
	ds_load_2addr_stride64_b32 v[24:25], v54 offset1:4
	ds_load_2addr_stride64_b32 v[26:27], v54 offset0:8 offset1:12
	ds_load_2addr_stride64_b32 v[28:29], v54 offset0:16 offset1:20
	s_mov_b32 s9, s52
	s_wait_dscnt 0x2
	v_add_f32_e32 v0, v24, v25
	ds_load_2addr_stride64_b32 v[24:25], v54 offset0:24 offset1:28
	s_wait_dscnt 0x2
	v_add_f32_e32 v0, v26, v0
	s_delay_alu instid0(VALU_DEP_1) | instskip(SKIP_3) | instid1(VALU_DEP_1)
	v_add_f32_e32 v0, v27, v0
	ds_load_2addr_stride64_b32 v[26:27], v54 offset0:32 offset1:36
	s_wait_dscnt 0x2
	v_add_f32_e32 v0, v28, v0
	v_add_f32_e32 v0, v29, v0
	ds_load_2addr_stride64_b32 v[28:29], v54 offset0:40 offset1:44
	s_wait_dscnt 0x2
	v_add_f32_e32 v0, v24, v0
	s_delay_alu instid0(VALU_DEP_1) | instskip(SKIP_3) | instid1(VALU_DEP_1)
	v_add_f32_e32 v0, v25, v0
	ds_load_2addr_stride64_b32 v[24:25], v54 offset0:48 offset1:52
	s_wait_dscnt 0x2
	v_add_f32_e32 v0, v26, v0
	v_add_f32_e32 v0, v27, v0
	ds_load_2addr_stride64_b32 v[26:27], v54 offset0:56 offset1:60
	s_wait_dscnt 0x2
	v_add_f32_e32 v0, v28, v0
	s_delay_alu instid0(VALU_DEP_1) | instskip(SKIP_1) | instid1(VALU_DEP_1)
	v_add_f32_e32 v0, v29, v0
	s_wait_dscnt 0x1
	v_add_f32_e32 v0, v24, v0
	s_delay_alu instid0(VALU_DEP_1) | instskip(SKIP_1) | instid1(VALU_DEP_1)
	v_add_f32_e32 v0, v25, v0
	s_wait_dscnt 0x0
	v_add_f32_e32 v0, v26, v0
	s_delay_alu instid0(VALU_DEP_1)
	v_add_f32_e32 v24, v27, v0
                                        ; implicit-def: $vgpr0
	ds_store_b32 v54, v24
	s_and_saveexec_b32 s8, s2
	s_cbranch_execz .LBB553_65
; %bb.48:                               ;   in Loop: Header=BB553_5 Depth=1
	v_mul_f32_e32 v0, s38, v24
	s_and_b32 vcc_lo, exec_lo, s49
	s_mov_b32 s9, -1
                                        ; implicit-def: $vgpr24
	s_cbranch_vccz .LBB553_54
; %bb.49:                               ;   in Loop: Header=BB553_5 Depth=1
	s_delay_alu instid0(VALU_DEP_1) | instskip(NEXT) | instid1(VALU_DEP_1)
	v_and_b32_e32 v24, 0x7f800000, v0
	v_cmp_ne_u32_e32 vcc_lo, 0x7f800000, v24
                                        ; implicit-def: $vgpr24
	s_and_saveexec_b32 s9, vcc_lo
	s_delay_alu instid0(SALU_CYCLE_1)
	s_xor_b32 s9, exec_lo, s9
; %bb.50:                               ;   in Loop: Header=BB553_5 Depth=1
	v_bfe_u32 v24, v0, 16, 1
	s_delay_alu instid0(VALU_DEP_1)
	v_add3_u32 v24, v0, v24, 0x7fff
; %bb.51:                               ;   in Loop: Header=BB553_5 Depth=1
	s_and_not1_saveexec_b32 s9, s9
; %bb.52:                               ;   in Loop: Header=BB553_5 Depth=1
	v_and_b32_e32 v24, 0xffff, v0
	v_or_b32_e32 v25, 0x10000, v0
	s_delay_alu instid0(VALU_DEP_2) | instskip(NEXT) | instid1(VALU_DEP_2)
	v_cmp_eq_u32_e32 vcc_lo, 0, v24
	v_cndmask_b32_e32 v24, v25, v0, vcc_lo
; %bb.53:                               ;   in Loop: Header=BB553_5 Depth=1
	s_or_b32 exec_lo, exec_lo, s9
	s_mov_b32 s9, 0
.LBB553_54:                             ;   in Loop: Header=BB553_5 Depth=1
	s_delay_alu instid0(SALU_CYCLE_1)
	s_and_not1_b32 vcc_lo, exec_lo, s9
	s_cbranch_vccnz .LBB553_64
; %bb.55:                               ;   in Loop: Header=BB553_5 Depth=1
	v_lshl_add_u64 v[24:25], v[8:9], 1, s[44:45]
	global_load_u16 v24, v[24:25], off
	s_wait_loadcnt 0x0
	s_wait_xcnt 0x0
	v_lshlrev_b32_e32 v24, 16, v24
	s_delay_alu instid0(VALU_DEP_1) | instskip(NEXT) | instid1(VALU_DEP_1)
	v_mul_f32_e32 v24, s39, v24
	v_and_b32_e32 v25, 0x7f800000, v24
	s_delay_alu instid0(VALU_DEP_1) | instskip(SKIP_1) | instid1(SALU_CYCLE_1)
	v_cmp_ne_u32_e32 vcc_lo, 0x7f800000, v25
                                        ; implicit-def: $vgpr25
	s_and_saveexec_b32 s9, vcc_lo
	s_xor_b32 s9, exec_lo, s9
; %bb.56:                               ;   in Loop: Header=BB553_5 Depth=1
	v_bfe_u32 v25, v24, 16, 1
	s_delay_alu instid0(VALU_DEP_1)
	v_add3_u32 v25, v24, v25, 0x7fff
                                        ; implicit-def: $vgpr24
; %bb.57:                               ;   in Loop: Header=BB553_5 Depth=1
	s_and_not1_saveexec_b32 s9, s9
; %bb.58:                               ;   in Loop: Header=BB553_5 Depth=1
	v_and_b32_e32 v25, 0xffff, v24
	v_or_b32_e32 v26, 0x10000, v24
	s_delay_alu instid0(VALU_DEP_2) | instskip(NEXT) | instid1(VALU_DEP_2)
	v_cmp_eq_u32_e32 vcc_lo, 0, v25
	v_cndmask_b32_e32 v25, v26, v24, vcc_lo
; %bb.59:                               ;   in Loop: Header=BB553_5 Depth=1
	s_or_b32 exec_lo, exec_lo, s9
	s_delay_alu instid0(VALU_DEP_1) | instskip(NEXT) | instid1(VALU_DEP_1)
	v_and_b32_e32 v24, 0xffff0000, v25
	v_add_f32_e32 v0, v0, v24
	s_delay_alu instid0(VALU_DEP_1) | instskip(NEXT) | instid1(VALU_DEP_1)
	v_and_b32_e32 v24, 0x7f800000, v0
	v_cmp_ne_u32_e32 vcc_lo, 0x7f800000, v24
                                        ; implicit-def: $vgpr24
	s_and_saveexec_b32 s9, vcc_lo
	s_delay_alu instid0(SALU_CYCLE_1)
	s_xor_b32 s9, exec_lo, s9
; %bb.60:                               ;   in Loop: Header=BB553_5 Depth=1
	v_bfe_u32 v24, v0, 16, 1
	s_delay_alu instid0(VALU_DEP_1)
	v_add3_u32 v24, v0, v24, 0x7fff
                                        ; implicit-def: $vgpr0
; %bb.61:                               ;   in Loop: Header=BB553_5 Depth=1
	s_and_not1_saveexec_b32 s9, s9
; %bb.62:                               ;   in Loop: Header=BB553_5 Depth=1
	v_and_b32_e32 v24, 0xffff, v0
	v_or_b32_e32 v25, 0x10000, v0
	s_delay_alu instid0(VALU_DEP_2) | instskip(NEXT) | instid1(VALU_DEP_2)
	v_cmp_eq_u32_e32 vcc_lo, 0, v24
	v_cndmask_b32_e32 v24, v25, v0, vcc_lo
; %bb.63:                               ;   in Loop: Header=BB553_5 Depth=1
	s_or_b32 exec_lo, exec_lo, s9
.LBB553_64:                             ;   in Loop: Header=BB553_5 Depth=1
	s_delay_alu instid0(VALU_DEP_1)
	v_lshrrev_b32_e32 v0, 16, v24
	s_or_b32 s9, s52, exec_lo
.LBB553_65:                             ;   in Loop: Header=BB553_5 Depth=1
	s_or_b32 exec_lo, exec_lo, s8
	s_delay_alu instid0(SALU_CYCLE_1) | instskip(SKIP_1) | instid1(SALU_CYCLE_1)
	s_and_not1_b32 s8, s52, exec_lo
	s_and_b32 s9, s9, exec_lo
	s_or_b32 s52, s8, s9
.LBB553_66:                             ;   in Loop: Header=BB553_5 Depth=1
	s_or_b32 exec_lo, exec_lo, s7
	v_mov_b64_e32 v[24:25], v[8:9]
	s_and_saveexec_b32 s7, s52
	s_cbranch_execz .LBB553_3
	s_branch .LBB553_69
.LBB553_67:                             ;   in Loop: Header=BB553_5 Depth=1
	v_mov_b32_e32 v0, 0
	s_mov_b32 s52, exec_lo
	s_or_b32 exec_lo, exec_lo, s8
	s_delay_alu instid0(SALU_CYCLE_1)
	s_and_b32 vcc_lo, exec_lo, s7
	s_cbranch_vccnz .LBB553_16
.LBB553_68:                             ;   in Loop: Header=BB553_5 Depth=1
	v_mov_b64_e32 v[24:25], v[2:3]
	s_and_saveexec_b32 s7, s52
	s_cbranch_execz .LBB553_3
.LBB553_69:                             ;   in Loop: Header=BB553_5 Depth=1
	s_delay_alu instid0(VALU_DEP_1)
	v_lshl_add_u64 v[24:25], v[24:25], 1, s[44:45]
	global_store_b16 v[24:25], v0, off
	s_branch .LBB553_3
.LBB553_70:
	s_sendmsg sendmsg(MSG_DEALLOC_VGPRS)
	s_endpgm
	.section	.rodata,"a",@progbits
	.p2align	6, 0x0
	.amdhsa_kernel _ZL20rocblas_gemvn_kernelILi64ELi16El16rocblas_bfloat16fS0_EviiT3_lPKT2_lT1_lS4_lS5_lS1_lPT4_lS5_li
		.amdhsa_group_segment_fixed_size 16384
		.amdhsa_private_segment_fixed_size 0
		.amdhsa_kernarg_size 400
		.amdhsa_user_sgpr_count 2
		.amdhsa_user_sgpr_dispatch_ptr 0
		.amdhsa_user_sgpr_queue_ptr 0
		.amdhsa_user_sgpr_kernarg_segment_ptr 1
		.amdhsa_user_sgpr_dispatch_id 0
		.amdhsa_user_sgpr_kernarg_preload_length 0
		.amdhsa_user_sgpr_kernarg_preload_offset 0
		.amdhsa_user_sgpr_private_segment_size 0
		.amdhsa_wavefront_size32 1
		.amdhsa_uses_dynamic_stack 0
		.amdhsa_enable_private_segment 0
		.amdhsa_system_sgpr_workgroup_id_x 1
		.amdhsa_system_sgpr_workgroup_id_y 0
		.amdhsa_system_sgpr_workgroup_id_z 1
		.amdhsa_system_sgpr_workgroup_info 0
		.amdhsa_system_vgpr_workitem_id 1
		.amdhsa_next_free_vgpr 71
		.amdhsa_next_free_sgpr 57
		.amdhsa_named_barrier_count 0
		.amdhsa_reserve_vcc 1
		.amdhsa_float_round_mode_32 0
		.amdhsa_float_round_mode_16_64 0
		.amdhsa_float_denorm_mode_32 3
		.amdhsa_float_denorm_mode_16_64 3
		.amdhsa_fp16_overflow 0
		.amdhsa_memory_ordered 1
		.amdhsa_forward_progress 1
		.amdhsa_inst_pref_size 28
		.amdhsa_round_robin_scheduling 0
		.amdhsa_exception_fp_ieee_invalid_op 0
		.amdhsa_exception_fp_denorm_src 0
		.amdhsa_exception_fp_ieee_div_zero 0
		.amdhsa_exception_fp_ieee_overflow 0
		.amdhsa_exception_fp_ieee_underflow 0
		.amdhsa_exception_fp_ieee_inexact 0
		.amdhsa_exception_int_div_zero 0
	.end_amdhsa_kernel
	.section	.text._ZL20rocblas_gemvn_kernelILi64ELi16El16rocblas_bfloat16fS0_EviiT3_lPKT2_lT1_lS4_lS5_lS1_lPT4_lS5_li,"axG",@progbits,_ZL20rocblas_gemvn_kernelILi64ELi16El16rocblas_bfloat16fS0_EviiT3_lPKT2_lT1_lS4_lS5_lS1_lPT4_lS5_li,comdat
.Lfunc_end553:
	.size	_ZL20rocblas_gemvn_kernelILi64ELi16El16rocblas_bfloat16fS0_EviiT3_lPKT2_lT1_lS4_lS5_lS1_lPT4_lS5_li, .Lfunc_end553-_ZL20rocblas_gemvn_kernelILi64ELi16El16rocblas_bfloat16fS0_EviiT3_lPKT2_lT1_lS4_lS5_lS1_lPT4_lS5_li
                                        ; -- End function
	.set _ZL20rocblas_gemvn_kernelILi64ELi16El16rocblas_bfloat16fS0_EviiT3_lPKT2_lT1_lS4_lS5_lS1_lPT4_lS5_li.num_vgpr, 71
	.set _ZL20rocblas_gemvn_kernelILi64ELi16El16rocblas_bfloat16fS0_EviiT3_lPKT2_lT1_lS4_lS5_lS1_lPT4_lS5_li.num_agpr, 0
	.set _ZL20rocblas_gemvn_kernelILi64ELi16El16rocblas_bfloat16fS0_EviiT3_lPKT2_lT1_lS4_lS5_lS1_lPT4_lS5_li.numbered_sgpr, 57
	.set _ZL20rocblas_gemvn_kernelILi64ELi16El16rocblas_bfloat16fS0_EviiT3_lPKT2_lT1_lS4_lS5_lS1_lPT4_lS5_li.num_named_barrier, 0
	.set _ZL20rocblas_gemvn_kernelILi64ELi16El16rocblas_bfloat16fS0_EviiT3_lPKT2_lT1_lS4_lS5_lS1_lPT4_lS5_li.private_seg_size, 0
	.set _ZL20rocblas_gemvn_kernelILi64ELi16El16rocblas_bfloat16fS0_EviiT3_lPKT2_lT1_lS4_lS5_lS1_lPT4_lS5_li.uses_vcc, 1
	.set _ZL20rocblas_gemvn_kernelILi64ELi16El16rocblas_bfloat16fS0_EviiT3_lPKT2_lT1_lS4_lS5_lS1_lPT4_lS5_li.uses_flat_scratch, 0
	.set _ZL20rocblas_gemvn_kernelILi64ELi16El16rocblas_bfloat16fS0_EviiT3_lPKT2_lT1_lS4_lS5_lS1_lPT4_lS5_li.has_dyn_sized_stack, 0
	.set _ZL20rocblas_gemvn_kernelILi64ELi16El16rocblas_bfloat16fS0_EviiT3_lPKT2_lT1_lS4_lS5_lS1_lPT4_lS5_li.has_recursion, 0
	.set _ZL20rocblas_gemvn_kernelILi64ELi16El16rocblas_bfloat16fS0_EviiT3_lPKT2_lT1_lS4_lS5_lS1_lPT4_lS5_li.has_indirect_call, 0
	.section	.AMDGPU.csdata,"",@progbits
; Kernel info:
; codeLenInByte = 3576
; TotalNumSgprs: 59
; NumVgprs: 71
; ScratchSize: 0
; MemoryBound: 0
; FloatMode: 240
; IeeeMode: 1
; LDSByteSize: 16384 bytes/workgroup (compile time only)
; SGPRBlocks: 0
; VGPRBlocks: 4
; NumSGPRsForWavesPerEU: 59
; NumVGPRsForWavesPerEU: 71
; NamedBarCnt: 0
; Occupancy: 12
; WaveLimiterHint : 1
; COMPUTE_PGM_RSRC2:SCRATCH_EN: 0
; COMPUTE_PGM_RSRC2:USER_SGPR: 2
; COMPUTE_PGM_RSRC2:TRAP_HANDLER: 0
; COMPUTE_PGM_RSRC2:TGID_X_EN: 1
; COMPUTE_PGM_RSRC2:TGID_Y_EN: 0
; COMPUTE_PGM_RSRC2:TGID_Z_EN: 1
; COMPUTE_PGM_RSRC2:TIDIG_COMP_CNT: 1
	.section	.text._ZL22rocblas_gemvtsm_kernelILb0ELi256E16rocblas_bfloat16PKfS0_EviiT2_lPKT1_lilS6_lilS3_lPT3_lil,"axG",@progbits,_ZL22rocblas_gemvtsm_kernelILb0ELi256E16rocblas_bfloat16PKfS0_EviiT2_lPKT1_lilS6_lilS3_lPT3_lil,comdat
	.globl	_ZL22rocblas_gemvtsm_kernelILb0ELi256E16rocblas_bfloat16PKfS0_EviiT2_lPKT1_lilS6_lilS3_lPT3_lil ; -- Begin function _ZL22rocblas_gemvtsm_kernelILb0ELi256E16rocblas_bfloat16PKfS0_EviiT2_lPKT1_lilS6_lilS3_lPT3_lil
	.p2align	8
	.type	_ZL22rocblas_gemvtsm_kernelILb0ELi256E16rocblas_bfloat16PKfS0_EviiT2_lPKT1_lilS6_lilS3_lPT3_lil,@function
_ZL22rocblas_gemvtsm_kernelILb0ELi256E16rocblas_bfloat16PKfS0_EviiT2_lPKT1_lilS6_lilS3_lPT3_lil: ; @_ZL22rocblas_gemvtsm_kernelILb0ELi256E16rocblas_bfloat16PKfS0_EviiT2_lPKT1_lilS6_lilS3_lPT3_lil
; %bb.0:
	s_clause 0x1
	s_load_b256 s[4:11], s[0:1], 0x8
	s_load_b256 s[12:19], s[0:1], 0x50
	s_bfe_u32 s2, ttmp6, 0x4000c
	s_and_b32 s3, ttmp6, 15
	s_add_co_i32 s2, s2, 1
	s_getreg_b32 s20, hwreg(HW_REG_IB_STS2, 6, 4)
	s_mul_i32 s2, ttmp9, s2
	s_mov_b32 s25, 0
	s_add_co_i32 s3, s3, s2
	s_cmp_eq_u32 s20, 0
	s_cselect_b32 s24, ttmp9, s3
	s_wait_kmcnt 0x0
	s_mul_u64 s[2:3], s[6:7], s[24:25]
	s_delay_alu instid0(SALU_CYCLE_1) | instskip(NEXT) | instid1(SALU_CYCLE_1)
	s_lshl_b64 s[2:3], s[2:3], 2
	s_add_nc_u64 s[2:3], s[4:5], s[2:3]
	s_mul_u64 s[4:5], s[16:17], s[24:25]
	s_load_b32 s26, s[2:3], 0x0
	s_wait_xcnt 0x0
	s_lshl_b64 s[2:3], s[4:5], 2
	s_delay_alu instid0(SALU_CYCLE_1)
	s_add_nc_u64 s[2:3], s[14:15], s[2:3]
	s_load_b32 s23, s[2:3], 0x0
	s_wait_kmcnt 0x0
	s_cmp_eq_f32 s26, 0
	s_cselect_b32 s2, -1, 0
	s_cmp_eq_f32 s23, 1.0
	s_cselect_b32 s3, -1, 0
	s_delay_alu instid0(SALU_CYCLE_1) | instskip(NEXT) | instid1(SALU_CYCLE_1)
	s_and_b32 s2, s2, s3
	s_and_b32 vcc_lo, exec_lo, s2
	s_cbranch_vccnz .LBB554_70
; %bb.1:
	s_clause 0x2
	s_load_b64 s[4:5], s[0:1], 0x80
	s_load_b96 s[20:22], s[0:1], 0x70
	s_load_b64 s[2:3], s[0:1], 0x0
	s_cmp_neq_f32 s26, 0
	s_wait_kmcnt 0x0
	s_mul_u64 s[14:15], s[4:5], s[24:25]
	s_cbranch_scc1 .LBB554_9
; %bb.2:
	s_cmp_gt_i32 s3, 0
	s_cselect_b32 s6, -1, 0
	s_cmp_neq_f32 s23, 0
	v_cndmask_b32_e64 v1, 0, 1, s6
	s_delay_alu instid0(VALU_DEP_1)
	v_cmp_ne_u32_e32 vcc_lo, 1, v1
	s_cbranch_scc1 .LBB554_10
; %bb.3:
	s_and_b32 vcc_lo, exec_lo, vcc_lo
	s_cbranch_vccnz .LBB554_8
; %bb.4:
	v_mov_b32_e32 v1, 0
	s_ashr_i32 s5, s22, 31
	s_mov_b32 s4, s22
	s_lshl_b64 s[16:17], s[20:21], 1
	s_lshl_b64 s[28:29], s[14:15], 1
	v_mul_u64_e32 v[2:3], s[4:5], v[0:1]
	s_add_nc_u64 s[16:17], s[18:19], s[16:17]
	s_lshl_b64 s[4:5], s[4:5], 9
	s_add_nc_u64 s[16:17], s[16:17], s[28:29]
	s_mov_b32 s7, 0
	s_delay_alu instid0(VALU_DEP_1)
	v_lshl_add_u64 v[2:3], v[2:3], 1, s[16:17]
	s_branch .LBB554_6
.LBB554_5:                              ;   in Loop: Header=BB554_6 Depth=1
	s_wait_xcnt 0x0
	s_or_b32 exec_lo, exec_lo, s16
	v_add_nc_u64_e32 v[2:3], s[4:5], v[2:3]
	s_addk_co_i32 s7, 0x100
	s_delay_alu instid0(SALU_CYCLE_1)
	s_cmp_ge_i32 s7, s3
	s_cbranch_scc1 .LBB554_8
.LBB554_6:                              ; =>This Inner Loop Header: Depth=1
	v_add_nc_u32_e32 v4, s7, v0
	s_mov_b32 s16, exec_lo
	s_delay_alu instid0(VALU_DEP_1)
	v_cmpx_gt_i32_e64 s3, v4
	s_cbranch_execz .LBB554_5
; %bb.7:                                ;   in Loop: Header=BB554_6 Depth=1
	global_store_b16 v[2:3], v1, off
	s_branch .LBB554_5
.LBB554_8:
	s_cbranch_execz .LBB554_11
	s_branch .LBB554_20
.LBB554_9:
	s_branch .LBB554_21
.LBB554_10:
.LBB554_11:
	s_and_not1_b32 vcc_lo, exec_lo, s6
	s_cbranch_vccnz .LBB554_20
; %bb.12:
	v_mov_b32_e32 v1, 0
	s_ashr_i32 s5, s22, 31
	s_mov_b32 s4, s22
	s_lshl_b64 s[6:7], s[20:21], 1
	s_lshl_b64 s[16:17], s[14:15], 1
	v_mul_u64_e32 v[2:3], s[4:5], v[0:1]
	s_add_nc_u64 s[6:7], s[18:19], s[6:7]
	s_lshl_b64 s[4:5], s[4:5], 9
	s_add_nc_u64 s[6:7], s[6:7], s[16:17]
	s_delay_alu instid0(VALU_DEP_1) | instid1(SALU_CYCLE_1)
	v_lshl_add_u64 v[2:3], v[2:3], 1, s[6:7]
	s_mov_b32 s6, 0
	s_branch .LBB554_15
.LBB554_13:                             ;   in Loop: Header=BB554_15 Depth=1
	s_or_b32 exec_lo, exec_lo, s16
	global_store_d16_hi_b16 v[2:3], v4, off
.LBB554_14:                             ;   in Loop: Header=BB554_15 Depth=1
	s_wait_xcnt 0x0
	s_or_b32 exec_lo, exec_lo, s7
	v_add_nc_u64_e32 v[2:3], s[4:5], v[2:3]
	s_addk_co_i32 s6, 0x100
	s_delay_alu instid0(SALU_CYCLE_1)
	s_cmp_ge_i32 s6, s3
	s_cbranch_scc1 .LBB554_20
.LBB554_15:                             ; =>This Inner Loop Header: Depth=1
	v_add_nc_u32_e32 v1, s6, v0
	s_mov_b32 s7, exec_lo
	s_delay_alu instid0(VALU_DEP_1)
	v_cmpx_gt_i32_e64 s3, v1
	s_cbranch_execz .LBB554_14
; %bb.16:                               ;   in Loop: Header=BB554_15 Depth=1
	global_load_u16 v1, v[2:3], off
	s_wait_loadcnt 0x0
	v_lshlrev_b32_e32 v1, 16, v1
	s_delay_alu instid0(VALU_DEP_1) | instskip(NEXT) | instid1(VALU_DEP_1)
	v_mul_f32_e32 v1, s23, v1
	v_and_b32_e32 v4, 0x7f800000, v1
	s_delay_alu instid0(VALU_DEP_1) | instskip(SKIP_2) | instid1(SALU_CYCLE_1)
	v_cmp_ne_u32_e32 vcc_lo, 0x7f800000, v4
                                        ; implicit-def: $vgpr4
	s_wait_xcnt 0x0
	s_and_saveexec_b32 s16, vcc_lo
	s_xor_b32 s16, exec_lo, s16
; %bb.17:                               ;   in Loop: Header=BB554_15 Depth=1
	v_bfe_u32 v4, v1, 16, 1
	s_delay_alu instid0(VALU_DEP_1)
	v_add3_u32 v4, v1, v4, 0x7fff
                                        ; implicit-def: $vgpr1
; %bb.18:                               ;   in Loop: Header=BB554_15 Depth=1
	s_and_not1_saveexec_b32 s16, s16
	s_cbranch_execz .LBB554_13
; %bb.19:                               ;   in Loop: Header=BB554_15 Depth=1
	v_and_b32_e32 v4, 0xffff, v1
	v_or_b32_e32 v5, 0x10000, v1
	s_delay_alu instid0(VALU_DEP_2) | instskip(NEXT) | instid1(VALU_DEP_2)
	v_cmp_eq_u32_e32 vcc_lo, 0, v4
	v_cndmask_b32_e32 v4, v5, v1, vcc_lo
	s_branch .LBB554_13
.LBB554_20:
	s_cbranch_execnz .LBB554_70
.LBB554_21:
	s_clause 0x1
	s_load_b128 s[4:7], s[0:1], 0x30
	s_load_b64 s[16:17], s[0:1], 0x40
	s_mov_b32 s27, exec_lo
	v_cmpx_gt_i32_e64 s2, v0
	s_cbranch_execz .LBB554_27
; %bb.22:
	s_load_b32 s28, s[0:1], 0x48
	v_mov_b32_e32 v1, 0
	s_mul_u64 s[12:13], s[12:13], s[24:25]
	s_delay_alu instid0(SALU_CYCLE_1) | instskip(SKIP_3) | instid1(SALU_CYCLE_1)
	s_lshl_b64 s[12:13], s[12:13], 1
	s_wait_kmcnt 0x0
	s_add_nc_u64 s[6:7], s[6:7], s[12:13]
	s_lshl_b64 s[12:13], s[16:17], 1
	s_add_nc_u64 s[6:7], s[6:7], s[12:13]
	s_ashr_i32 s29, s28, 31
	s_delay_alu instid0(SALU_CYCLE_1) | instskip(NEXT) | instid1(VALU_DEP_1)
	v_mul_u64_e32 v[2:3], s[28:29], v[0:1]
	v_lshl_add_u64 v[2:3], v[2:3], 1, s[6:7]
	global_load_u16 v1, v[2:3], off
	s_wait_loadcnt 0x0
	v_lshlrev_b32_e32 v1, 16, v1
	s_delay_alu instid0(VALU_DEP_1) | instskip(SKIP_1) | instid1(VALU_DEP_1)
	v_mul_f32_e32 v1, s26, v1
	s_wait_xcnt 0x0
	v_and_b32_e32 v2, 0x7f800000, v1
	s_delay_alu instid0(VALU_DEP_1) | instskip(SKIP_1) | instid1(SALU_CYCLE_1)
	v_cmp_ne_u32_e32 vcc_lo, 0x7f800000, v2
                                        ; implicit-def: $vgpr2
	s_and_saveexec_b32 s6, vcc_lo
	s_xor_b32 s6, exec_lo, s6
; %bb.23:
	v_bfe_u32 v2, v1, 16, 1
	s_delay_alu instid0(VALU_DEP_1)
	v_add3_u32 v2, v1, v2, 0x7fff
                                        ; implicit-def: $vgpr1
; %bb.24:
	s_and_not1_saveexec_b32 s6, s6
; %bb.25:
	v_and_b32_e32 v2, 0xffff, v1
	v_or_b32_e32 v3, 0x10000, v1
	s_delay_alu instid0(VALU_DEP_2) | instskip(NEXT) | instid1(VALU_DEP_2)
	v_cmp_eq_u32_e32 vcc_lo, 0, v2
	v_cndmask_b32_e32 v2, v3, v1, vcc_lo
; %bb.26:
	s_or_b32 exec_lo, exec_lo, s6
	s_delay_alu instid0(VALU_DEP_1)
	v_and_b32_e32 v1, 0xffff0000, v2
	v_lshlrev_b32_e32 v2, 2, v0
	ds_store_b32 v2, v1
.LBB554_27:
	s_or_b32 exec_lo, exec_lo, s27
	s_cmp_lt_i32 s3, 1
	s_wait_storecnt_dscnt 0x0
	s_barrier_signal -1
	s_barrier_wait -1
	s_cbranch_scc1 .LBB554_70
; %bb.28:
	s_load_b32 s26, s[0:1], 0x28
	v_mov_b32_e32 v3, 0
	s_wait_kmcnt 0x0
	s_lshl_b64 s[6:7], s[14:15], 1
	s_lshl_b64 s[20:21], s[20:21], 1
	s_ashr_i32 s1, s22, 31
	s_mul_u64 s[4:5], s[4:5], s[24:25]
	v_mov_b32_e32 v1, v3
	s_mov_b32 s0, s22
	s_ashr_i32 s27, s26, 31
	s_cmp_neq_f32 s23, 0
	s_delay_alu instid0(VALU_DEP_1)
	v_mul_u64_e32 v[4:5], s[26:27], v[0:1]
	s_cselect_b32 s12, -1, 0
	s_cmp_gt_i32 s2, 0
	s_cselect_b32 s13, -1, 0
	s_and_b32 s14, s2, 3
	s_cmp_gt_u32 s2, 3
	s_cselect_b32 s15, -1, 0
	s_and_b32 s2, s2, 0x7ffffffc
	s_cmp_lg_u32 s14, 0
	s_cselect_b32 s16, -1, 0
	s_lshl_b64 s[10:11], s[10:11], 1
	s_lshl_b64 s[4:5], s[4:5], 1
	s_add_nc_u64 s[8:9], s[8:9], s[10:11]
	s_mov_b32 s10, 0
	s_add_nc_u64 s[4:5], s[8:9], s[4:5]
	s_lshl_b64 s[8:9], s[26:27], 9
	s_delay_alu instid0(VALU_DEP_1) | instskip(SKIP_3) | instid1(VALU_DEP_1)
	v_lshl_add_u64 v[4:5], v[4:5], 1, s[4:5]
	s_add_nc_u64 s[4:5], s[18:19], s[6:7]
	s_mov_b32 s7, 0
	s_add_nc_u64 s[4:5], s[4:5], s[20:21]
	v_add_nc_u64_e32 v[6:7], 4, v[4:5]
	s_branch .LBB554_31
.LBB554_29:                             ;   in Loop: Header=BB554_31 Depth=1
	s_or_b32 exec_lo, exec_lo, s6
	global_store_d16_hi_b16 v[8:9], v2, off
.LBB554_30:                             ;   in Loop: Header=BB554_31 Depth=1
	s_wait_xcnt 0x0
	s_or_b32 exec_lo, exec_lo, s11
	v_add_nc_u64_e32 v[6:7], s[8:9], v[6:7]
	v_add_nc_u64_e32 v[4:5], s[8:9], v[4:5]
	s_addk_co_i32 s10, 0x100
	s_delay_alu instid0(SALU_CYCLE_1)
	s_cmp_ge_i32 s10, s3
	s_cbranch_scc1 .LBB554_70
.LBB554_31:                             ; =>This Loop Header: Depth=1
                                        ;     Child Loop BB554_42 Depth 2
                                        ;     Child Loop BB554_62 Depth 2
	v_add_nc_u32_e32 v2, s10, v0
	s_mov_b32 s11, exec_lo
	s_delay_alu instid0(VALU_DEP_1)
	v_cmpx_gt_i32_e64 s3, v2
	s_cbranch_execz .LBB554_30
; %bb.32:                               ;   in Loop: Header=BB554_31 Depth=1
	v_mul_u64_e32 v[8:9], s[0:1], v[2:3]
	s_and_not1_b32 vcc_lo, exec_lo, s12
	s_delay_alu instid0(VALU_DEP_1)
	v_lshl_add_u64 v[8:9], v[8:9], 1, s[4:5]
	s_cbranch_vccnz .LBB554_38
; %bb.33:                               ;   in Loop: Header=BB554_31 Depth=1
	global_load_u16 v1, v[8:9], off
	s_wait_loadcnt 0x0
	v_lshlrev_b32_e32 v1, 16, v1
	s_delay_alu instid0(VALU_DEP_1) | instskip(NEXT) | instid1(VALU_DEP_1)
	v_mul_f32_e32 v1, s23, v1
	v_and_b32_e32 v2, 0x7f800000, v1
	s_delay_alu instid0(VALU_DEP_1) | instskip(SKIP_2) | instid1(SALU_CYCLE_1)
	v_cmp_ne_u32_e32 vcc_lo, 0x7f800000, v2
                                        ; implicit-def: $vgpr2
	s_wait_xcnt 0x0
	s_and_saveexec_b32 s6, vcc_lo
	s_xor_b32 s6, exec_lo, s6
; %bb.34:                               ;   in Loop: Header=BB554_31 Depth=1
	v_bfe_u32 v2, v1, 16, 1
	s_delay_alu instid0(VALU_DEP_1)
	v_add3_u32 v2, v1, v2, 0x7fff
                                        ; implicit-def: $vgpr1
; %bb.35:                               ;   in Loop: Header=BB554_31 Depth=1
	s_and_not1_saveexec_b32 s6, s6
; %bb.36:                               ;   in Loop: Header=BB554_31 Depth=1
	v_and_b32_e32 v2, 0xffff, v1
	v_or_b32_e32 v10, 0x10000, v1
	s_delay_alu instid0(VALU_DEP_2) | instskip(NEXT) | instid1(VALU_DEP_2)
	v_cmp_eq_u32_e32 vcc_lo, 0, v2
	v_cndmask_b32_e32 v2, v10, v1, vcc_lo
; %bb.37:                               ;   in Loop: Header=BB554_31 Depth=1
	s_or_b32 exec_lo, exec_lo, s6
	s_delay_alu instid0(VALU_DEP_1) | instskip(NEXT) | instid1(VALU_DEP_1)
	v_and_b32_e32 v1, 0xffff0000, v2
	v_cvt_i32_f32_e32 v1, v1
	s_delay_alu instid0(VALU_DEP_1)
	v_cvt_f32_i32_e32 v1, v1
	s_and_not1_b32 vcc_lo, exec_lo, s13
	s_cbranch_vccz .LBB554_39
	s_branch .LBB554_66
.LBB554_38:                             ;   in Loop: Header=BB554_31 Depth=1
	v_mov_b32_e32 v1, 0
	s_and_not1_b32 vcc_lo, exec_lo, s13
	s_cbranch_vccnz .LBB554_66
.LBB554_39:                             ;   in Loop: Header=BB554_31 Depth=1
	s_and_not1_b32 vcc_lo, exec_lo, s15
	s_mov_b32 s17, 0
	s_cbranch_vccnz .LBB554_59
; %bb.40:                               ;   in Loop: Header=BB554_31 Depth=1
	v_mov_b64_e32 v[10:11], v[6:7]
	s_mov_b32 s6, 0
	s_branch .LBB554_42
.LBB554_41:                             ;   in Loop: Header=BB554_42 Depth=2
	s_or_b32 exec_lo, exec_lo, s18
	v_and_b32_e32 v2, 0xffff0000, v2
	v_and_b32_e32 v12, 0xffff0000, v12
	v_add_nc_u64_e32 v[10:11], 8, v[10:11]
	s_add_co_i32 s17, s17, 4
	s_add_co_i32 s6, s6, 16
	v_add_f32_e32 v1, v1, v2
	v_and_b32_e32 v2, 0xffff0000, v13
	s_cmp_eq_u32 s2, s17
	s_delay_alu instid0(VALU_DEP_2) | instskip(SKIP_1) | instid1(VALU_DEP_2)
	v_add_f32_e32 v1, v1, v12
	v_and_b32_e32 v12, 0xffff0000, v14
	v_add_f32_e32 v1, v1, v2
	s_delay_alu instid0(VALU_DEP_1)
	v_add_f32_e32 v1, v1, v12
	s_cbranch_scc1 .LBB554_58
.LBB554_42:                             ;   Parent Loop BB554_31 Depth=1
                                        ; =>  This Inner Loop Header: Depth=2
	global_load_u16 v2, v[10:11], off offset:-4
	s_wait_loadcnt 0x0
	v_dual_mov_b32 v12, s6 :: v_dual_lshlrev_b32 v2, 16, v2
	ds_load_b32 v12, v12
	s_wait_dscnt 0x0
	v_mul_f32_e32 v12, v12, v2
	s_delay_alu instid0(VALU_DEP_1) | instskip(NEXT) | instid1(VALU_DEP_1)
	v_and_b32_e32 v2, 0x7f800000, v12
	v_cmp_ne_u32_e32 vcc_lo, 0x7f800000, v2
                                        ; implicit-def: $vgpr2
	s_wait_xcnt 0x0
	s_and_saveexec_b32 s18, vcc_lo
	s_delay_alu instid0(SALU_CYCLE_1)
	s_xor_b32 s18, exec_lo, s18
; %bb.43:                               ;   in Loop: Header=BB554_42 Depth=2
	v_bfe_u32 v2, v12, 16, 1
	s_delay_alu instid0(VALU_DEP_1)
	v_add3_u32 v2, v12, v2, 0x7fff
                                        ; implicit-def: $vgpr12
; %bb.44:                               ;   in Loop: Header=BB554_42 Depth=2
	s_and_not1_saveexec_b32 s18, s18
; %bb.45:                               ;   in Loop: Header=BB554_42 Depth=2
	v_and_b32_e32 v2, 0xffff, v12
	v_or_b32_e32 v13, 0x10000, v12
	s_delay_alu instid0(VALU_DEP_2) | instskip(NEXT) | instid1(VALU_DEP_2)
	v_cmp_eq_u32_e32 vcc_lo, 0, v2
	v_cndmask_b32_e32 v2, v13, v12, vcc_lo
; %bb.46:                               ;   in Loop: Header=BB554_42 Depth=2
	s_or_b32 exec_lo, exec_lo, s18
	global_load_u16 v12, v[10:11], off offset:-2
	s_wait_loadcnt 0x0
	v_dual_mov_b32 v13, s6 :: v_dual_lshlrev_b32 v12, 16, v12
	ds_load_b32 v13, v13 offset:4
	s_wait_dscnt 0x0
	v_mul_f32_e32 v13, v13, v12
	s_delay_alu instid0(VALU_DEP_1) | instskip(NEXT) | instid1(VALU_DEP_1)
	v_and_b32_e32 v12, 0x7f800000, v13
	v_cmp_ne_u32_e32 vcc_lo, 0x7f800000, v12
                                        ; implicit-def: $vgpr12
	s_wait_xcnt 0x0
	s_and_saveexec_b32 s18, vcc_lo
	s_delay_alu instid0(SALU_CYCLE_1)
	s_xor_b32 s18, exec_lo, s18
; %bb.47:                               ;   in Loop: Header=BB554_42 Depth=2
	v_bfe_u32 v12, v13, 16, 1
	s_delay_alu instid0(VALU_DEP_1)
	v_add3_u32 v12, v13, v12, 0x7fff
                                        ; implicit-def: $vgpr13
; %bb.48:                               ;   in Loop: Header=BB554_42 Depth=2
	s_and_not1_saveexec_b32 s18, s18
; %bb.49:                               ;   in Loop: Header=BB554_42 Depth=2
	v_and_b32_e32 v12, 0xffff, v13
	v_or_b32_e32 v14, 0x10000, v13
	s_delay_alu instid0(VALU_DEP_2) | instskip(NEXT) | instid1(VALU_DEP_2)
	v_cmp_eq_u32_e32 vcc_lo, 0, v12
	v_cndmask_b32_e32 v12, v14, v13, vcc_lo
; %bb.50:                               ;   in Loop: Header=BB554_42 Depth=2
	s_or_b32 exec_lo, exec_lo, s18
	global_load_u16 v13, v[10:11], off
	s_wait_loadcnt 0x0
	v_dual_mov_b32 v14, s6 :: v_dual_lshlrev_b32 v13, 16, v13
	ds_load_b32 v14, v14 offset:8
	s_wait_dscnt 0x0
	v_mul_f32_e32 v14, v14, v13
	s_delay_alu instid0(VALU_DEP_1) | instskip(NEXT) | instid1(VALU_DEP_1)
	v_and_b32_e32 v13, 0x7f800000, v14
	v_cmp_ne_u32_e32 vcc_lo, 0x7f800000, v13
                                        ; implicit-def: $vgpr13
	s_wait_xcnt 0x0
	s_and_saveexec_b32 s18, vcc_lo
	s_delay_alu instid0(SALU_CYCLE_1)
	s_xor_b32 s18, exec_lo, s18
; %bb.51:                               ;   in Loop: Header=BB554_42 Depth=2
	v_bfe_u32 v13, v14, 16, 1
	s_delay_alu instid0(VALU_DEP_1)
	v_add3_u32 v13, v14, v13, 0x7fff
                                        ; implicit-def: $vgpr14
; %bb.52:                               ;   in Loop: Header=BB554_42 Depth=2
	s_and_not1_saveexec_b32 s18, s18
; %bb.53:                               ;   in Loop: Header=BB554_42 Depth=2
	v_and_b32_e32 v13, 0xffff, v14
	v_or_b32_e32 v15, 0x10000, v14
	s_delay_alu instid0(VALU_DEP_2) | instskip(NEXT) | instid1(VALU_DEP_2)
	v_cmp_eq_u32_e32 vcc_lo, 0, v13
	v_cndmask_b32_e32 v13, v15, v14, vcc_lo
; %bb.54:                               ;   in Loop: Header=BB554_42 Depth=2
	s_or_b32 exec_lo, exec_lo, s18
	global_load_u16 v14, v[10:11], off offset:2
	s_wait_loadcnt 0x0
	v_dual_mov_b32 v15, s6 :: v_dual_lshlrev_b32 v14, 16, v14
	ds_load_b32 v15, v15 offset:12
	s_wait_dscnt 0x0
	v_mul_f32_e32 v15, v15, v14
	s_delay_alu instid0(VALU_DEP_1) | instskip(NEXT) | instid1(VALU_DEP_1)
	v_and_b32_e32 v14, 0x7f800000, v15
	v_cmp_ne_u32_e32 vcc_lo, 0x7f800000, v14
                                        ; implicit-def: $vgpr14
	s_wait_xcnt 0x0
	s_and_saveexec_b32 s18, vcc_lo
	s_delay_alu instid0(SALU_CYCLE_1)
	s_xor_b32 s18, exec_lo, s18
; %bb.55:                               ;   in Loop: Header=BB554_42 Depth=2
	v_bfe_u32 v14, v15, 16, 1
	s_delay_alu instid0(VALU_DEP_1)
	v_add3_u32 v14, v15, v14, 0x7fff
                                        ; implicit-def: $vgpr15
; %bb.56:                               ;   in Loop: Header=BB554_42 Depth=2
	s_and_not1_saveexec_b32 s18, s18
	s_cbranch_execz .LBB554_41
; %bb.57:                               ;   in Loop: Header=BB554_42 Depth=2
	v_and_b32_e32 v14, 0xffff, v15
	v_or_b32_e32 v16, 0x10000, v15
	s_delay_alu instid0(VALU_DEP_2) | instskip(NEXT) | instid1(VALU_DEP_2)
	v_cmp_eq_u32_e32 vcc_lo, 0, v14
	v_cndmask_b32_e32 v14, v16, v15, vcc_lo
	s_branch .LBB554_41
.LBB554_58:                             ;   in Loop: Header=BB554_31 Depth=1
	s_mov_b32 s17, s2
.LBB554_59:                             ;   in Loop: Header=BB554_31 Depth=1
	s_and_not1_b32 vcc_lo, exec_lo, s16
	s_cbranch_vccnz .LBB554_66
; %bb.60:                               ;   in Loop: Header=BB554_31 Depth=1
	s_lshl_b32 s6, s17, 1
	s_delay_alu instid0(SALU_CYCLE_1)
	v_add_nc_u64_e32 v[10:11], s[6:7], v[4:5]
	s_lshl_b32 s6, s17, 2
	s_mov_b32 s17, s14
	s_branch .LBB554_62
.LBB554_61:                             ;   in Loop: Header=BB554_62 Depth=2
	s_or_b32 exec_lo, exec_lo, s18
	s_delay_alu instid0(VALU_DEP_1)
	v_and_b32_e32 v2, 0xffff0000, v12
	v_add_nc_u64_e32 v[10:11], 2, v[10:11]
	s_add_co_i32 s17, s17, -1
	s_add_co_i32 s6, s6, 4
	s_cmp_lg_u32 s17, 0
	v_add_f32_e32 v1, v1, v2
	s_cbranch_scc0 .LBB554_66
.LBB554_62:                             ;   Parent Loop BB554_31 Depth=1
                                        ; =>  This Inner Loop Header: Depth=2
	global_load_u16 v2, v[10:11], off
	s_wait_loadcnt 0x0
	v_dual_mov_b32 v12, s6 :: v_dual_lshlrev_b32 v2, 16, v2
	ds_load_b32 v12, v12
	s_wait_dscnt 0x0
	v_mul_f32_e32 v2, v12, v2
	s_delay_alu instid0(VALU_DEP_1) | instskip(NEXT) | instid1(VALU_DEP_1)
	v_and_b32_e32 v12, 0x7f800000, v2
	v_cmp_ne_u32_e32 vcc_lo, 0x7f800000, v12
                                        ; implicit-def: $vgpr12
	s_wait_xcnt 0x0
	s_and_saveexec_b32 s18, vcc_lo
	s_delay_alu instid0(SALU_CYCLE_1)
	s_xor_b32 s18, exec_lo, s18
; %bb.63:                               ;   in Loop: Header=BB554_62 Depth=2
	v_bfe_u32 v12, v2, 16, 1
	s_delay_alu instid0(VALU_DEP_1)
	v_add3_u32 v12, v2, v12, 0x7fff
                                        ; implicit-def: $vgpr2
; %bb.64:                               ;   in Loop: Header=BB554_62 Depth=2
	s_and_not1_saveexec_b32 s18, s18
	s_cbranch_execz .LBB554_61
; %bb.65:                               ;   in Loop: Header=BB554_62 Depth=2
	v_and_b32_e32 v12, 0xffff, v2
	v_or_b32_e32 v13, 0x10000, v2
	s_delay_alu instid0(VALU_DEP_2) | instskip(NEXT) | instid1(VALU_DEP_2)
	v_cmp_eq_u32_e32 vcc_lo, 0, v12
	v_cndmask_b32_e32 v12, v13, v2, vcc_lo
	s_branch .LBB554_61
.LBB554_66:                             ;   in Loop: Header=BB554_31 Depth=1
	s_delay_alu instid0(VALU_DEP_1) | instskip(NEXT) | instid1(VALU_DEP_1)
	v_and_b32_e32 v2, 0x7f800000, v1
	v_cmp_ne_u32_e32 vcc_lo, 0x7f800000, v2
                                        ; implicit-def: $vgpr2
	s_and_saveexec_b32 s6, vcc_lo
	s_delay_alu instid0(SALU_CYCLE_1)
	s_xor_b32 s6, exec_lo, s6
; %bb.67:                               ;   in Loop: Header=BB554_31 Depth=1
	v_bfe_u32 v2, v1, 16, 1
	s_delay_alu instid0(VALU_DEP_1)
	v_add3_u32 v2, v1, v2, 0x7fff
                                        ; implicit-def: $vgpr1
; %bb.68:                               ;   in Loop: Header=BB554_31 Depth=1
	s_and_not1_saveexec_b32 s6, s6
	s_cbranch_execz .LBB554_29
; %bb.69:                               ;   in Loop: Header=BB554_31 Depth=1
	v_and_b32_e32 v2, 0xffff, v1
	v_or_b32_e32 v10, 0x10000, v1
	s_delay_alu instid0(VALU_DEP_2) | instskip(NEXT) | instid1(VALU_DEP_2)
	v_cmp_eq_u32_e32 vcc_lo, 0, v2
	v_cndmask_b32_e32 v2, v10, v1, vcc_lo
	s_branch .LBB554_29
.LBB554_70:
	s_endpgm
	.section	.rodata,"a",@progbits
	.p2align	6, 0x0
	.amdhsa_kernel _ZL22rocblas_gemvtsm_kernelILb0ELi256E16rocblas_bfloat16PKfS0_EviiT2_lPKT1_lilS6_lilS3_lPT3_lil
		.amdhsa_group_segment_fixed_size 256
		.amdhsa_private_segment_fixed_size 0
		.amdhsa_kernarg_size 136
		.amdhsa_user_sgpr_count 2
		.amdhsa_user_sgpr_dispatch_ptr 0
		.amdhsa_user_sgpr_queue_ptr 0
		.amdhsa_user_sgpr_kernarg_segment_ptr 1
		.amdhsa_user_sgpr_dispatch_id 0
		.amdhsa_user_sgpr_kernarg_preload_length 0
		.amdhsa_user_sgpr_kernarg_preload_offset 0
		.amdhsa_user_sgpr_private_segment_size 0
		.amdhsa_wavefront_size32 1
		.amdhsa_uses_dynamic_stack 0
		.amdhsa_enable_private_segment 0
		.amdhsa_system_sgpr_workgroup_id_x 1
		.amdhsa_system_sgpr_workgroup_id_y 0
		.amdhsa_system_sgpr_workgroup_id_z 0
		.amdhsa_system_sgpr_workgroup_info 0
		.amdhsa_system_vgpr_workitem_id 0
		.amdhsa_next_free_vgpr 17
		.amdhsa_next_free_sgpr 30
		.amdhsa_named_barrier_count 0
		.amdhsa_reserve_vcc 1
		.amdhsa_float_round_mode_32 0
		.amdhsa_float_round_mode_16_64 0
		.amdhsa_float_denorm_mode_32 3
		.amdhsa_float_denorm_mode_16_64 3
		.amdhsa_fp16_overflow 0
		.amdhsa_memory_ordered 1
		.amdhsa_forward_progress 1
		.amdhsa_inst_pref_size 18
		.amdhsa_round_robin_scheduling 0
		.amdhsa_exception_fp_ieee_invalid_op 0
		.amdhsa_exception_fp_denorm_src 0
		.amdhsa_exception_fp_ieee_div_zero 0
		.amdhsa_exception_fp_ieee_overflow 0
		.amdhsa_exception_fp_ieee_underflow 0
		.amdhsa_exception_fp_ieee_inexact 0
		.amdhsa_exception_int_div_zero 0
	.end_amdhsa_kernel
	.section	.text._ZL22rocblas_gemvtsm_kernelILb0ELi256E16rocblas_bfloat16PKfS0_EviiT2_lPKT1_lilS6_lilS3_lPT3_lil,"axG",@progbits,_ZL22rocblas_gemvtsm_kernelILb0ELi256E16rocblas_bfloat16PKfS0_EviiT2_lPKT1_lilS6_lilS3_lPT3_lil,comdat
.Lfunc_end554:
	.size	_ZL22rocblas_gemvtsm_kernelILb0ELi256E16rocblas_bfloat16PKfS0_EviiT2_lPKT1_lilS6_lilS3_lPT3_lil, .Lfunc_end554-_ZL22rocblas_gemvtsm_kernelILb0ELi256E16rocblas_bfloat16PKfS0_EviiT2_lPKT1_lilS6_lilS3_lPT3_lil
                                        ; -- End function
	.set _ZL22rocblas_gemvtsm_kernelILb0ELi256E16rocblas_bfloat16PKfS0_EviiT2_lPKT1_lilS6_lilS3_lPT3_lil.num_vgpr, 17
	.set _ZL22rocblas_gemvtsm_kernelILb0ELi256E16rocblas_bfloat16PKfS0_EviiT2_lPKT1_lilS6_lilS3_lPT3_lil.num_agpr, 0
	.set _ZL22rocblas_gemvtsm_kernelILb0ELi256E16rocblas_bfloat16PKfS0_EviiT2_lPKT1_lilS6_lilS3_lPT3_lil.numbered_sgpr, 30
	.set _ZL22rocblas_gemvtsm_kernelILb0ELi256E16rocblas_bfloat16PKfS0_EviiT2_lPKT1_lilS6_lilS3_lPT3_lil.num_named_barrier, 0
	.set _ZL22rocblas_gemvtsm_kernelILb0ELi256E16rocblas_bfloat16PKfS0_EviiT2_lPKT1_lilS6_lilS3_lPT3_lil.private_seg_size, 0
	.set _ZL22rocblas_gemvtsm_kernelILb0ELi256E16rocblas_bfloat16PKfS0_EviiT2_lPKT1_lilS6_lilS3_lPT3_lil.uses_vcc, 1
	.set _ZL22rocblas_gemvtsm_kernelILb0ELi256E16rocblas_bfloat16PKfS0_EviiT2_lPKT1_lilS6_lilS3_lPT3_lil.uses_flat_scratch, 0
	.set _ZL22rocblas_gemvtsm_kernelILb0ELi256E16rocblas_bfloat16PKfS0_EviiT2_lPKT1_lilS6_lilS3_lPT3_lil.has_dyn_sized_stack, 0
	.set _ZL22rocblas_gemvtsm_kernelILb0ELi256E16rocblas_bfloat16PKfS0_EviiT2_lPKT1_lilS6_lilS3_lPT3_lil.has_recursion, 0
	.set _ZL22rocblas_gemvtsm_kernelILb0ELi256E16rocblas_bfloat16PKfS0_EviiT2_lPKT1_lilS6_lilS3_lPT3_lil.has_indirect_call, 0
	.section	.AMDGPU.csdata,"",@progbits
; Kernel info:
; codeLenInByte = 2288
; TotalNumSgprs: 32
; NumVgprs: 17
; ScratchSize: 0
; MemoryBound: 0
; FloatMode: 240
; IeeeMode: 1
; LDSByteSize: 256 bytes/workgroup (compile time only)
; SGPRBlocks: 0
; VGPRBlocks: 1
; NumSGPRsForWavesPerEU: 32
; NumVGPRsForWavesPerEU: 17
; NamedBarCnt: 0
; Occupancy: 16
; WaveLimiterHint : 1
; COMPUTE_PGM_RSRC2:SCRATCH_EN: 0
; COMPUTE_PGM_RSRC2:USER_SGPR: 2
; COMPUTE_PGM_RSRC2:TRAP_HANDLER: 0
; COMPUTE_PGM_RSRC2:TGID_X_EN: 1
; COMPUTE_PGM_RSRC2:TGID_Y_EN: 0
; COMPUTE_PGM_RSRC2:TGID_Z_EN: 0
; COMPUTE_PGM_RSRC2:TIDIG_COMP_CNT: 0
	.section	.text._ZL22rocblas_gemvtsm_kernelILb0ELi256E16rocblas_bfloat16fS0_EviiT2_lPKT1_lilS4_lilS1_lPT3_lil,"axG",@progbits,_ZL22rocblas_gemvtsm_kernelILb0ELi256E16rocblas_bfloat16fS0_EviiT2_lPKT1_lilS4_lilS1_lPT3_lil,comdat
	.globl	_ZL22rocblas_gemvtsm_kernelILb0ELi256E16rocblas_bfloat16fS0_EviiT2_lPKT1_lilS4_lilS1_lPT3_lil ; -- Begin function _ZL22rocblas_gemvtsm_kernelILb0ELi256E16rocblas_bfloat16fS0_EviiT2_lPKT1_lilS4_lilS1_lPT3_lil
	.p2align	8
	.type	_ZL22rocblas_gemvtsm_kernelILb0ELi256E16rocblas_bfloat16fS0_EviiT2_lPKT1_lilS4_lilS1_lPT3_lil,@function
_ZL22rocblas_gemvtsm_kernelILb0ELi256E16rocblas_bfloat16fS0_EviiT2_lPKT1_lilS4_lilS1_lPT3_lil: ; @_ZL22rocblas_gemvtsm_kernelILb0ELi256E16rocblas_bfloat16fS0_EviiT2_lPKT1_lilS4_lilS1_lPT3_lil
; %bb.0:
	s_clause 0x1
	s_load_b96 s[12:14], s[0:1], 0x0
	s_load_b32 s15, s[0:1], 0x58
	s_mov_b32 s17, 0
	s_wait_kmcnt 0x0
	s_cmp_eq_f32 s14, 0
	s_cselect_b32 s2, -1, 0
	s_cmp_eq_f32 s15, 1.0
	s_cselect_b32 s3, -1, 0
	s_delay_alu instid0(SALU_CYCLE_1) | instskip(NEXT) | instid1(SALU_CYCLE_1)
	s_and_b32 s2, s2, s3
	s_and_b32 vcc_lo, exec_lo, s2
	s_cbranch_vccnz .LBB555_70
; %bb.1:
	s_clause 0x2
	s_load_b64 s[8:9], s[0:1], 0x80
	s_load_b128 s[4:7], s[0:1], 0x68
	s_load_b32 s2, s[0:1], 0x78
	s_bfe_u32 s3, ttmp6, 0x4000c
	s_and_b32 s10, ttmp6, 15
	s_add_co_i32 s3, s3, 1
	s_getreg_b32 s11, hwreg(HW_REG_IB_STS2, 6, 4)
	s_mul_i32 s3, ttmp9, s3
	s_delay_alu instid0(SALU_CYCLE_1)
	s_add_co_i32 s10, s10, s3
	s_cmp_eq_u32 s11, 0
	s_cselect_b32 s16, ttmp9, s10
	s_cmp_neq_f32 s14, 0
	s_wait_kmcnt 0x0
	s_mul_u64 s[18:19], s[8:9], s[16:17]
	s_cbranch_scc1 .LBB555_9
; %bb.2:
	s_cmp_gt_i32 s13, 0
	s_cselect_b32 s10, -1, 0
	s_cmp_neq_f32 s15, 0
	v_cndmask_b32_e64 v1, 0, 1, s10
	s_delay_alu instid0(VALU_DEP_1)
	v_cmp_ne_u32_e32 vcc_lo, 1, v1
	s_cbranch_scc1 .LBB555_10
; %bb.3:
	s_and_b32 vcc_lo, exec_lo, vcc_lo
	s_cbranch_vccnz .LBB555_8
; %bb.4:
	v_mov_b32_e32 v1, 0
	s_ashr_i32 s3, s2, 31
	s_lshl_b64 s[8:9], s[6:7], 1
	s_lshl_b64 s[20:21], s[18:19], 1
	s_add_nc_u64 s[8:9], s[4:5], s[8:9]
	v_mul_u64_e32 v[2:3], s[2:3], v[0:1]
	s_add_nc_u64 s[8:9], s[8:9], s[20:21]
	s_delay_alu instid0(VALU_DEP_1) | instid1(SALU_CYCLE_1)
	v_lshl_add_u64 v[2:3], v[2:3], 1, s[8:9]
	s_lshl_b64 s[8:9], s[2:3], 9
	s_mov_b32 s3, 0
	s_branch .LBB555_6
.LBB555_5:                              ;   in Loop: Header=BB555_6 Depth=1
	s_wait_xcnt 0x0
	s_or_b32 exec_lo, exec_lo, s11
	v_add_nc_u64_e32 v[2:3], s[8:9], v[2:3]
	s_addk_co_i32 s3, 0x100
	s_delay_alu instid0(SALU_CYCLE_1)
	s_cmp_ge_i32 s3, s13
	s_cbranch_scc1 .LBB555_8
.LBB555_6:                              ; =>This Inner Loop Header: Depth=1
	v_add_nc_u32_e32 v4, s3, v0
	s_mov_b32 s11, exec_lo
	s_delay_alu instid0(VALU_DEP_1)
	v_cmpx_gt_i32_e64 s13, v4
	s_cbranch_execz .LBB555_5
; %bb.7:                                ;   in Loop: Header=BB555_6 Depth=1
	global_store_b16 v[2:3], v1, off
	s_branch .LBB555_5
.LBB555_8:
	s_cbranch_execz .LBB555_11
	s_branch .LBB555_20
.LBB555_9:
	s_branch .LBB555_21
.LBB555_10:
.LBB555_11:
	s_and_not1_b32 vcc_lo, exec_lo, s10
	s_cbranch_vccnz .LBB555_20
; %bb.12:
	v_mov_b32_e32 v1, 0
	s_ashr_i32 s3, s2, 31
	s_lshl_b64 s[8:9], s[6:7], 1
	s_lshl_b64 s[10:11], s[18:19], 1
	s_add_nc_u64 s[8:9], s[4:5], s[8:9]
	v_mul_u64_e32 v[2:3], s[2:3], v[0:1]
	s_add_nc_u64 s[8:9], s[8:9], s[10:11]
	s_delay_alu instid0(VALU_DEP_1) | instid1(SALU_CYCLE_1)
	v_lshl_add_u64 v[2:3], v[2:3], 1, s[8:9]
	s_lshl_b64 s[8:9], s[2:3], 9
	s_mov_b32 s3, 0
	s_branch .LBB555_15
.LBB555_13:                             ;   in Loop: Header=BB555_15 Depth=1
	s_or_b32 exec_lo, exec_lo, s11
	global_store_d16_hi_b16 v[2:3], v4, off
.LBB555_14:                             ;   in Loop: Header=BB555_15 Depth=1
	s_wait_xcnt 0x0
	s_or_b32 exec_lo, exec_lo, s10
	v_add_nc_u64_e32 v[2:3], s[8:9], v[2:3]
	s_addk_co_i32 s3, 0x100
	s_delay_alu instid0(SALU_CYCLE_1)
	s_cmp_ge_i32 s3, s13
	s_cbranch_scc1 .LBB555_20
.LBB555_15:                             ; =>This Inner Loop Header: Depth=1
	v_add_nc_u32_e32 v1, s3, v0
	s_mov_b32 s10, exec_lo
	s_delay_alu instid0(VALU_DEP_1)
	v_cmpx_gt_i32_e64 s13, v1
	s_cbranch_execz .LBB555_14
; %bb.16:                               ;   in Loop: Header=BB555_15 Depth=1
	global_load_u16 v1, v[2:3], off
	s_wait_loadcnt 0x0
	v_lshlrev_b32_e32 v1, 16, v1
	s_delay_alu instid0(VALU_DEP_1) | instskip(NEXT) | instid1(VALU_DEP_1)
	v_mul_f32_e32 v1, s15, v1
	v_and_b32_e32 v4, 0x7f800000, v1
	s_delay_alu instid0(VALU_DEP_1) | instskip(SKIP_2) | instid1(SALU_CYCLE_1)
	v_cmp_ne_u32_e32 vcc_lo, 0x7f800000, v4
                                        ; implicit-def: $vgpr4
	s_wait_xcnt 0x0
	s_and_saveexec_b32 s11, vcc_lo
	s_xor_b32 s11, exec_lo, s11
; %bb.17:                               ;   in Loop: Header=BB555_15 Depth=1
	v_bfe_u32 v4, v1, 16, 1
	s_delay_alu instid0(VALU_DEP_1)
	v_add3_u32 v4, v1, v4, 0x7fff
                                        ; implicit-def: $vgpr1
; %bb.18:                               ;   in Loop: Header=BB555_15 Depth=1
	s_and_not1_saveexec_b32 s11, s11
	s_cbranch_execz .LBB555_13
; %bb.19:                               ;   in Loop: Header=BB555_15 Depth=1
	v_and_b32_e32 v4, 0xffff, v1
	v_or_b32_e32 v5, 0x10000, v1
	s_delay_alu instid0(VALU_DEP_2) | instskip(NEXT) | instid1(VALU_DEP_2)
	v_cmp_eq_u32_e32 vcc_lo, 0, v4
	v_cndmask_b32_e32 v4, v5, v1, vcc_lo
	s_branch .LBB555_13
.LBB555_20:
	s_cbranch_execnz .LBB555_70
.LBB555_21:
	s_clause 0x1
	s_load_b128 s[8:11], s[0:1], 0x30
	s_load_b64 s[20:21], s[0:1], 0x40
	s_mov_b32 s3, exec_lo
	v_cmpx_gt_i32_e64 s12, v0
	s_cbranch_execz .LBB555_27
; %bb.22:
	s_clause 0x1
	s_load_b32 s22, s[0:1], 0x48
	s_load_b64 s[24:25], s[0:1], 0x50
	v_mov_b32_e32 v1, 0
	s_wait_kmcnt 0x0
	s_lshl_b64 s[20:21], s[20:21], 1
	s_ashr_i32 s23, s22, 31
	s_delay_alu instid0(VALU_DEP_1) | instid1(SALU_CYCLE_1)
	v_mul_u64_e32 v[2:3], s[22:23], v[0:1]
	s_mul_u64 s[22:23], s[24:25], s[16:17]
	s_delay_alu instid0(SALU_CYCLE_1) | instskip(NEXT) | instid1(SALU_CYCLE_1)
	s_lshl_b64 s[22:23], s[22:23], 1
	s_add_nc_u64 s[10:11], s[10:11], s[22:23]
	s_delay_alu instid0(SALU_CYCLE_1)
	s_add_nc_u64 s[10:11], s[10:11], s[20:21]
	s_delay_alu instid0(VALU_DEP_1) | instid1(SALU_CYCLE_1)
	v_lshl_add_u64 v[2:3], v[2:3], 1, s[10:11]
	global_load_u16 v1, v[2:3], off
	s_wait_loadcnt 0x0
	v_lshlrev_b32_e32 v1, 16, v1
	s_delay_alu instid0(VALU_DEP_1) | instskip(SKIP_1) | instid1(VALU_DEP_1)
	v_mul_f32_e32 v1, s14, v1
	s_wait_xcnt 0x0
	v_and_b32_e32 v2, 0x7f800000, v1
	s_delay_alu instid0(VALU_DEP_1) | instskip(SKIP_1) | instid1(SALU_CYCLE_1)
	v_cmp_ne_u32_e32 vcc_lo, 0x7f800000, v2
                                        ; implicit-def: $vgpr2
	s_and_saveexec_b32 s10, vcc_lo
	s_xor_b32 s10, exec_lo, s10
; %bb.23:
	v_bfe_u32 v2, v1, 16, 1
	s_delay_alu instid0(VALU_DEP_1)
	v_add3_u32 v2, v1, v2, 0x7fff
                                        ; implicit-def: $vgpr1
; %bb.24:
	s_and_not1_saveexec_b32 s10, s10
; %bb.25:
	v_and_b32_e32 v2, 0xffff, v1
	v_or_b32_e32 v3, 0x10000, v1
	s_delay_alu instid0(VALU_DEP_2) | instskip(NEXT) | instid1(VALU_DEP_2)
	v_cmp_eq_u32_e32 vcc_lo, 0, v2
	v_cndmask_b32_e32 v2, v3, v1, vcc_lo
; %bb.26:
	s_or_b32 exec_lo, exec_lo, s10
	s_delay_alu instid0(VALU_DEP_1)
	v_and_b32_e32 v1, 0xffff0000, v2
	v_lshlrev_b32_e32 v2, 2, v0
	ds_store_b32 v2, v1
.LBB555_27:
	s_or_b32 exec_lo, exec_lo, s3
	s_cmp_lt_i32 s13, 1
	s_wait_storecnt_dscnt 0x0
	s_barrier_signal -1
	s_barrier_wait -1
	s_cbranch_scc1 .LBB555_70
; %bb.28:
	s_load_b32 s24, s[0:1], 0x28
	s_wait_kmcnt 0x0
	s_load_b128 s[20:23], s[0:1], 0x18
	v_mov_b32_e32 v3, 0
	s_wait_xcnt 0x0
	s_lshl_b64 s[0:1], s[18:19], 1
	s_lshl_b64 s[6:7], s[6:7], 1
	s_ashr_i32 s3, s2, 31
	s_mul_u64 s[16:17], s[8:9], s[16:17]
	v_mov_b32_e32 v1, v3
	s_add_nc_u64 s[0:1], s[4:5], s[0:1]
	s_mov_b32 s5, 0
	s_add_nc_u64 s[0:1], s[0:1], s[6:7]
	s_mov_b32 s9, 0
	s_ashr_i32 s25, s24, 31
	s_cmp_neq_f32 s15, 0
	v_mul_u64_e32 v[4:5], s[24:25], v[0:1]
	s_cselect_b32 s10, -1, 0
	s_cmp_gt_i32 s12, 0
	s_cselect_b32 s11, -1, 0
	s_and_b32 s14, s12, 3
	s_cmp_gt_u32 s12, 3
	s_cselect_b32 s18, -1, 0
	s_and_b32 s12, s12, 0x7ffffffc
	s_cmp_lg_u32 s14, 0
	s_cselect_b32 s8, -1, 0
	s_wait_kmcnt 0x0
	s_lshl_b64 s[22:23], s[22:23], 1
	s_lshl_b64 s[16:17], s[16:17], 1
	s_add_nc_u64 s[20:21], s[20:21], s[22:23]
	s_lshl_b64 s[6:7], s[24:25], 9
	s_add_nc_u64 s[16:17], s[20:21], s[16:17]
	s_delay_alu instid0(VALU_DEP_1) | instid1(SALU_CYCLE_1)
	v_lshl_add_u64 v[4:5], v[4:5], 1, s[16:17]
	s_delay_alu instid0(VALU_DEP_1)
	v_add_nc_u64_e32 v[6:7], 4, v[4:5]
	s_branch .LBB555_31
.LBB555_29:                             ;   in Loop: Header=BB555_31 Depth=1
	s_or_b32 exec_lo, exec_lo, s4
	global_store_d16_hi_b16 v[8:9], v2, off
.LBB555_30:                             ;   in Loop: Header=BB555_31 Depth=1
	s_wait_xcnt 0x0
	s_or_b32 exec_lo, exec_lo, s16
	v_add_nc_u64_e32 v[6:7], s[6:7], v[6:7]
	v_add_nc_u64_e32 v[4:5], s[6:7], v[4:5]
	s_addk_co_i32 s9, 0x100
	s_delay_alu instid0(SALU_CYCLE_1)
	s_cmp_ge_i32 s9, s13
	s_cbranch_scc1 .LBB555_70
.LBB555_31:                             ; =>This Loop Header: Depth=1
                                        ;     Child Loop BB555_42 Depth 2
                                        ;     Child Loop BB555_62 Depth 2
	v_add_nc_u32_e32 v2, s9, v0
	s_mov_b32 s16, exec_lo
	s_delay_alu instid0(VALU_DEP_1)
	v_cmpx_gt_i32_e64 s13, v2
	s_cbranch_execz .LBB555_30
; %bb.32:                               ;   in Loop: Header=BB555_31 Depth=1
	v_mul_u64_e32 v[8:9], s[2:3], v[2:3]
	s_and_not1_b32 vcc_lo, exec_lo, s10
	s_delay_alu instid0(VALU_DEP_1)
	v_lshl_add_u64 v[8:9], v[8:9], 1, s[0:1]
	s_cbranch_vccnz .LBB555_38
; %bb.33:                               ;   in Loop: Header=BB555_31 Depth=1
	global_load_u16 v1, v[8:9], off
	s_wait_loadcnt 0x0
	v_lshlrev_b32_e32 v1, 16, v1
	s_delay_alu instid0(VALU_DEP_1) | instskip(NEXT) | instid1(VALU_DEP_1)
	v_mul_f32_e32 v1, s15, v1
	v_and_b32_e32 v2, 0x7f800000, v1
	s_delay_alu instid0(VALU_DEP_1) | instskip(SKIP_2) | instid1(SALU_CYCLE_1)
	v_cmp_ne_u32_e32 vcc_lo, 0x7f800000, v2
                                        ; implicit-def: $vgpr2
	s_wait_xcnt 0x0
	s_and_saveexec_b32 s4, vcc_lo
	s_xor_b32 s4, exec_lo, s4
; %bb.34:                               ;   in Loop: Header=BB555_31 Depth=1
	v_bfe_u32 v2, v1, 16, 1
	s_delay_alu instid0(VALU_DEP_1)
	v_add3_u32 v2, v1, v2, 0x7fff
                                        ; implicit-def: $vgpr1
; %bb.35:                               ;   in Loop: Header=BB555_31 Depth=1
	s_and_not1_saveexec_b32 s4, s4
; %bb.36:                               ;   in Loop: Header=BB555_31 Depth=1
	v_and_b32_e32 v2, 0xffff, v1
	v_or_b32_e32 v10, 0x10000, v1
	s_delay_alu instid0(VALU_DEP_2) | instskip(NEXT) | instid1(VALU_DEP_2)
	v_cmp_eq_u32_e32 vcc_lo, 0, v2
	v_cndmask_b32_e32 v2, v10, v1, vcc_lo
; %bb.37:                               ;   in Loop: Header=BB555_31 Depth=1
	s_or_b32 exec_lo, exec_lo, s4
	s_delay_alu instid0(VALU_DEP_1) | instskip(NEXT) | instid1(VALU_DEP_1)
	v_and_b32_e32 v1, 0xffff0000, v2
	v_cvt_i32_f32_e32 v1, v1
	s_delay_alu instid0(VALU_DEP_1)
	v_cvt_f32_i32_e32 v1, v1
	s_and_not1_b32 vcc_lo, exec_lo, s11
	s_cbranch_vccz .LBB555_39
	s_branch .LBB555_66
.LBB555_38:                             ;   in Loop: Header=BB555_31 Depth=1
	v_mov_b32_e32 v1, 0
	s_and_not1_b32 vcc_lo, exec_lo, s11
	s_cbranch_vccnz .LBB555_66
.LBB555_39:                             ;   in Loop: Header=BB555_31 Depth=1
	s_and_not1_b32 vcc_lo, exec_lo, s18
	s_mov_b32 s17, 0
	s_cbranch_vccnz .LBB555_59
; %bb.40:                               ;   in Loop: Header=BB555_31 Depth=1
	v_mov_b64_e32 v[10:11], v[6:7]
	s_mov_b32 s4, 0
	s_branch .LBB555_42
.LBB555_41:                             ;   in Loop: Header=BB555_42 Depth=2
	s_or_b32 exec_lo, exec_lo, s19
	v_and_b32_e32 v2, 0xffff0000, v2
	v_and_b32_e32 v12, 0xffff0000, v12
	v_add_nc_u64_e32 v[10:11], 8, v[10:11]
	s_add_co_i32 s17, s17, 4
	s_add_co_i32 s4, s4, 16
	v_add_f32_e32 v1, v1, v2
	v_and_b32_e32 v2, 0xffff0000, v13
	s_cmp_eq_u32 s12, s17
	s_delay_alu instid0(VALU_DEP_2) | instskip(SKIP_1) | instid1(VALU_DEP_2)
	v_add_f32_e32 v1, v1, v12
	v_and_b32_e32 v12, 0xffff0000, v14
	v_add_f32_e32 v1, v1, v2
	s_delay_alu instid0(VALU_DEP_1)
	v_add_f32_e32 v1, v1, v12
	s_cbranch_scc1 .LBB555_58
.LBB555_42:                             ;   Parent Loop BB555_31 Depth=1
                                        ; =>  This Inner Loop Header: Depth=2
	global_load_u16 v2, v[10:11], off offset:-4
	s_wait_loadcnt 0x0
	v_dual_mov_b32 v12, s4 :: v_dual_lshlrev_b32 v2, 16, v2
	ds_load_b32 v12, v12
	s_wait_dscnt 0x0
	v_mul_f32_e32 v12, v12, v2
	s_delay_alu instid0(VALU_DEP_1) | instskip(NEXT) | instid1(VALU_DEP_1)
	v_and_b32_e32 v2, 0x7f800000, v12
	v_cmp_ne_u32_e32 vcc_lo, 0x7f800000, v2
                                        ; implicit-def: $vgpr2
	s_wait_xcnt 0x0
	s_and_saveexec_b32 s19, vcc_lo
	s_delay_alu instid0(SALU_CYCLE_1)
	s_xor_b32 s19, exec_lo, s19
; %bb.43:                               ;   in Loop: Header=BB555_42 Depth=2
	v_bfe_u32 v2, v12, 16, 1
	s_delay_alu instid0(VALU_DEP_1)
	v_add3_u32 v2, v12, v2, 0x7fff
                                        ; implicit-def: $vgpr12
; %bb.44:                               ;   in Loop: Header=BB555_42 Depth=2
	s_and_not1_saveexec_b32 s19, s19
; %bb.45:                               ;   in Loop: Header=BB555_42 Depth=2
	v_and_b32_e32 v2, 0xffff, v12
	v_or_b32_e32 v13, 0x10000, v12
	s_delay_alu instid0(VALU_DEP_2) | instskip(NEXT) | instid1(VALU_DEP_2)
	v_cmp_eq_u32_e32 vcc_lo, 0, v2
	v_cndmask_b32_e32 v2, v13, v12, vcc_lo
; %bb.46:                               ;   in Loop: Header=BB555_42 Depth=2
	s_or_b32 exec_lo, exec_lo, s19
	global_load_u16 v12, v[10:11], off offset:-2
	s_wait_loadcnt 0x0
	v_dual_mov_b32 v13, s4 :: v_dual_lshlrev_b32 v12, 16, v12
	ds_load_b32 v13, v13 offset:4
	s_wait_dscnt 0x0
	v_mul_f32_e32 v13, v13, v12
	s_delay_alu instid0(VALU_DEP_1) | instskip(NEXT) | instid1(VALU_DEP_1)
	v_and_b32_e32 v12, 0x7f800000, v13
	v_cmp_ne_u32_e32 vcc_lo, 0x7f800000, v12
                                        ; implicit-def: $vgpr12
	s_wait_xcnt 0x0
	s_and_saveexec_b32 s19, vcc_lo
	s_delay_alu instid0(SALU_CYCLE_1)
	s_xor_b32 s19, exec_lo, s19
; %bb.47:                               ;   in Loop: Header=BB555_42 Depth=2
	v_bfe_u32 v12, v13, 16, 1
	s_delay_alu instid0(VALU_DEP_1)
	v_add3_u32 v12, v13, v12, 0x7fff
                                        ; implicit-def: $vgpr13
; %bb.48:                               ;   in Loop: Header=BB555_42 Depth=2
	s_and_not1_saveexec_b32 s19, s19
; %bb.49:                               ;   in Loop: Header=BB555_42 Depth=2
	v_and_b32_e32 v12, 0xffff, v13
	v_or_b32_e32 v14, 0x10000, v13
	s_delay_alu instid0(VALU_DEP_2) | instskip(NEXT) | instid1(VALU_DEP_2)
	v_cmp_eq_u32_e32 vcc_lo, 0, v12
	v_cndmask_b32_e32 v12, v14, v13, vcc_lo
; %bb.50:                               ;   in Loop: Header=BB555_42 Depth=2
	s_or_b32 exec_lo, exec_lo, s19
	global_load_u16 v13, v[10:11], off
	s_wait_loadcnt 0x0
	v_dual_mov_b32 v14, s4 :: v_dual_lshlrev_b32 v13, 16, v13
	ds_load_b32 v14, v14 offset:8
	s_wait_dscnt 0x0
	v_mul_f32_e32 v14, v14, v13
	s_delay_alu instid0(VALU_DEP_1) | instskip(NEXT) | instid1(VALU_DEP_1)
	v_and_b32_e32 v13, 0x7f800000, v14
	v_cmp_ne_u32_e32 vcc_lo, 0x7f800000, v13
                                        ; implicit-def: $vgpr13
	s_wait_xcnt 0x0
	s_and_saveexec_b32 s19, vcc_lo
	s_delay_alu instid0(SALU_CYCLE_1)
	s_xor_b32 s19, exec_lo, s19
; %bb.51:                               ;   in Loop: Header=BB555_42 Depth=2
	v_bfe_u32 v13, v14, 16, 1
	s_delay_alu instid0(VALU_DEP_1)
	v_add3_u32 v13, v14, v13, 0x7fff
                                        ; implicit-def: $vgpr14
; %bb.52:                               ;   in Loop: Header=BB555_42 Depth=2
	s_and_not1_saveexec_b32 s19, s19
; %bb.53:                               ;   in Loop: Header=BB555_42 Depth=2
	v_and_b32_e32 v13, 0xffff, v14
	v_or_b32_e32 v15, 0x10000, v14
	s_delay_alu instid0(VALU_DEP_2) | instskip(NEXT) | instid1(VALU_DEP_2)
	v_cmp_eq_u32_e32 vcc_lo, 0, v13
	v_cndmask_b32_e32 v13, v15, v14, vcc_lo
; %bb.54:                               ;   in Loop: Header=BB555_42 Depth=2
	s_or_b32 exec_lo, exec_lo, s19
	global_load_u16 v14, v[10:11], off offset:2
	s_wait_loadcnt 0x0
	v_dual_mov_b32 v15, s4 :: v_dual_lshlrev_b32 v14, 16, v14
	ds_load_b32 v15, v15 offset:12
	s_wait_dscnt 0x0
	v_mul_f32_e32 v15, v15, v14
	s_delay_alu instid0(VALU_DEP_1) | instskip(NEXT) | instid1(VALU_DEP_1)
	v_and_b32_e32 v14, 0x7f800000, v15
	v_cmp_ne_u32_e32 vcc_lo, 0x7f800000, v14
                                        ; implicit-def: $vgpr14
	s_wait_xcnt 0x0
	s_and_saveexec_b32 s19, vcc_lo
	s_delay_alu instid0(SALU_CYCLE_1)
	s_xor_b32 s19, exec_lo, s19
; %bb.55:                               ;   in Loop: Header=BB555_42 Depth=2
	v_bfe_u32 v14, v15, 16, 1
	s_delay_alu instid0(VALU_DEP_1)
	v_add3_u32 v14, v15, v14, 0x7fff
                                        ; implicit-def: $vgpr15
; %bb.56:                               ;   in Loop: Header=BB555_42 Depth=2
	s_and_not1_saveexec_b32 s19, s19
	s_cbranch_execz .LBB555_41
; %bb.57:                               ;   in Loop: Header=BB555_42 Depth=2
	v_and_b32_e32 v14, 0xffff, v15
	v_or_b32_e32 v16, 0x10000, v15
	s_delay_alu instid0(VALU_DEP_2) | instskip(NEXT) | instid1(VALU_DEP_2)
	v_cmp_eq_u32_e32 vcc_lo, 0, v14
	v_cndmask_b32_e32 v14, v16, v15, vcc_lo
	s_branch .LBB555_41
.LBB555_58:                             ;   in Loop: Header=BB555_31 Depth=1
	s_mov_b32 s17, s12
.LBB555_59:                             ;   in Loop: Header=BB555_31 Depth=1
	s_and_not1_b32 vcc_lo, exec_lo, s8
	s_cbranch_vccnz .LBB555_66
; %bb.60:                               ;   in Loop: Header=BB555_31 Depth=1
	s_lshl_b32 s4, s17, 1
	s_delay_alu instid0(SALU_CYCLE_1)
	v_add_nc_u64_e32 v[10:11], s[4:5], v[4:5]
	s_lshl_b32 s4, s17, 2
	s_mov_b32 s17, s14
	s_branch .LBB555_62
.LBB555_61:                             ;   in Loop: Header=BB555_62 Depth=2
	s_or_b32 exec_lo, exec_lo, s19
	s_delay_alu instid0(VALU_DEP_1)
	v_and_b32_e32 v2, 0xffff0000, v12
	v_add_nc_u64_e32 v[10:11], 2, v[10:11]
	s_add_co_i32 s17, s17, -1
	s_add_co_i32 s4, s4, 4
	s_cmp_lg_u32 s17, 0
	v_add_f32_e32 v1, v1, v2
	s_cbranch_scc0 .LBB555_66
.LBB555_62:                             ;   Parent Loop BB555_31 Depth=1
                                        ; =>  This Inner Loop Header: Depth=2
	global_load_u16 v2, v[10:11], off
	s_wait_loadcnt 0x0
	v_dual_mov_b32 v12, s4 :: v_dual_lshlrev_b32 v2, 16, v2
	ds_load_b32 v12, v12
	s_wait_dscnt 0x0
	v_mul_f32_e32 v2, v12, v2
	s_delay_alu instid0(VALU_DEP_1) | instskip(NEXT) | instid1(VALU_DEP_1)
	v_and_b32_e32 v12, 0x7f800000, v2
	v_cmp_ne_u32_e32 vcc_lo, 0x7f800000, v12
                                        ; implicit-def: $vgpr12
	s_wait_xcnt 0x0
	s_and_saveexec_b32 s19, vcc_lo
	s_delay_alu instid0(SALU_CYCLE_1)
	s_xor_b32 s19, exec_lo, s19
; %bb.63:                               ;   in Loop: Header=BB555_62 Depth=2
	v_bfe_u32 v12, v2, 16, 1
	s_delay_alu instid0(VALU_DEP_1)
	v_add3_u32 v12, v2, v12, 0x7fff
                                        ; implicit-def: $vgpr2
; %bb.64:                               ;   in Loop: Header=BB555_62 Depth=2
	s_and_not1_saveexec_b32 s19, s19
	s_cbranch_execz .LBB555_61
; %bb.65:                               ;   in Loop: Header=BB555_62 Depth=2
	v_and_b32_e32 v12, 0xffff, v2
	v_or_b32_e32 v13, 0x10000, v2
	s_delay_alu instid0(VALU_DEP_2) | instskip(NEXT) | instid1(VALU_DEP_2)
	v_cmp_eq_u32_e32 vcc_lo, 0, v12
	v_cndmask_b32_e32 v12, v13, v2, vcc_lo
	s_branch .LBB555_61
.LBB555_66:                             ;   in Loop: Header=BB555_31 Depth=1
	s_delay_alu instid0(VALU_DEP_1) | instskip(NEXT) | instid1(VALU_DEP_1)
	v_and_b32_e32 v2, 0x7f800000, v1
	v_cmp_ne_u32_e32 vcc_lo, 0x7f800000, v2
                                        ; implicit-def: $vgpr2
	s_and_saveexec_b32 s4, vcc_lo
	s_delay_alu instid0(SALU_CYCLE_1)
	s_xor_b32 s4, exec_lo, s4
; %bb.67:                               ;   in Loop: Header=BB555_31 Depth=1
	v_bfe_u32 v2, v1, 16, 1
	s_delay_alu instid0(VALU_DEP_1)
	v_add3_u32 v2, v1, v2, 0x7fff
                                        ; implicit-def: $vgpr1
; %bb.68:                               ;   in Loop: Header=BB555_31 Depth=1
	s_and_not1_saveexec_b32 s4, s4
	s_cbranch_execz .LBB555_29
; %bb.69:                               ;   in Loop: Header=BB555_31 Depth=1
	v_and_b32_e32 v2, 0xffff, v1
	v_or_b32_e32 v10, 0x10000, v1
	s_delay_alu instid0(VALU_DEP_2) | instskip(NEXT) | instid1(VALU_DEP_2)
	v_cmp_eq_u32_e32 vcc_lo, 0, v2
	v_cndmask_b32_e32 v2, v10, v1, vcc_lo
	s_branch .LBB555_29
.LBB555_70:
	s_endpgm
	.section	.rodata,"a",@progbits
	.p2align	6, 0x0
	.amdhsa_kernel _ZL22rocblas_gemvtsm_kernelILb0ELi256E16rocblas_bfloat16fS0_EviiT2_lPKT1_lilS4_lilS1_lPT3_lil
		.amdhsa_group_segment_fixed_size 256
		.amdhsa_private_segment_fixed_size 0
		.amdhsa_kernarg_size 136
		.amdhsa_user_sgpr_count 2
		.amdhsa_user_sgpr_dispatch_ptr 0
		.amdhsa_user_sgpr_queue_ptr 0
		.amdhsa_user_sgpr_kernarg_segment_ptr 1
		.amdhsa_user_sgpr_dispatch_id 0
		.amdhsa_user_sgpr_kernarg_preload_length 0
		.amdhsa_user_sgpr_kernarg_preload_offset 0
		.amdhsa_user_sgpr_private_segment_size 0
		.amdhsa_wavefront_size32 1
		.amdhsa_uses_dynamic_stack 0
		.amdhsa_enable_private_segment 0
		.amdhsa_system_sgpr_workgroup_id_x 1
		.amdhsa_system_sgpr_workgroup_id_y 0
		.amdhsa_system_sgpr_workgroup_id_z 0
		.amdhsa_system_sgpr_workgroup_info 0
		.amdhsa_system_vgpr_workitem_id 0
		.amdhsa_next_free_vgpr 17
		.amdhsa_next_free_sgpr 26
		.amdhsa_named_barrier_count 0
		.amdhsa_reserve_vcc 1
		.amdhsa_float_round_mode_32 0
		.amdhsa_float_round_mode_16_64 0
		.amdhsa_float_denorm_mode_32 3
		.amdhsa_float_denorm_mode_16_64 3
		.amdhsa_fp16_overflow 0
		.amdhsa_memory_ordered 1
		.amdhsa_forward_progress 1
		.amdhsa_inst_pref_size 18
		.amdhsa_round_robin_scheduling 0
		.amdhsa_exception_fp_ieee_invalid_op 0
		.amdhsa_exception_fp_denorm_src 0
		.amdhsa_exception_fp_ieee_div_zero 0
		.amdhsa_exception_fp_ieee_overflow 0
		.amdhsa_exception_fp_ieee_underflow 0
		.amdhsa_exception_fp_ieee_inexact 0
		.amdhsa_exception_int_div_zero 0
	.end_amdhsa_kernel
	.section	.text._ZL22rocblas_gemvtsm_kernelILb0ELi256E16rocblas_bfloat16fS0_EviiT2_lPKT1_lilS4_lilS1_lPT3_lil,"axG",@progbits,_ZL22rocblas_gemvtsm_kernelILb0ELi256E16rocblas_bfloat16fS0_EviiT2_lPKT1_lilS4_lilS1_lPT3_lil,comdat
.Lfunc_end555:
	.size	_ZL22rocblas_gemvtsm_kernelILb0ELi256E16rocblas_bfloat16fS0_EviiT2_lPKT1_lilS4_lilS1_lPT3_lil, .Lfunc_end555-_ZL22rocblas_gemvtsm_kernelILb0ELi256E16rocblas_bfloat16fS0_EviiT2_lPKT1_lilS4_lilS1_lPT3_lil
                                        ; -- End function
	.set _ZL22rocblas_gemvtsm_kernelILb0ELi256E16rocblas_bfloat16fS0_EviiT2_lPKT1_lilS4_lilS1_lPT3_lil.num_vgpr, 17
	.set _ZL22rocblas_gemvtsm_kernelILb0ELi256E16rocblas_bfloat16fS0_EviiT2_lPKT1_lilS4_lilS1_lPT3_lil.num_agpr, 0
	.set _ZL22rocblas_gemvtsm_kernelILb0ELi256E16rocblas_bfloat16fS0_EviiT2_lPKT1_lilS4_lilS1_lPT3_lil.numbered_sgpr, 26
	.set _ZL22rocblas_gemvtsm_kernelILb0ELi256E16rocblas_bfloat16fS0_EviiT2_lPKT1_lilS4_lilS1_lPT3_lil.num_named_barrier, 0
	.set _ZL22rocblas_gemvtsm_kernelILb0ELi256E16rocblas_bfloat16fS0_EviiT2_lPKT1_lilS4_lilS1_lPT3_lil.private_seg_size, 0
	.set _ZL22rocblas_gemvtsm_kernelILb0ELi256E16rocblas_bfloat16fS0_EviiT2_lPKT1_lilS4_lilS1_lPT3_lil.uses_vcc, 1
	.set _ZL22rocblas_gemvtsm_kernelILb0ELi256E16rocblas_bfloat16fS0_EviiT2_lPKT1_lilS4_lilS1_lPT3_lil.uses_flat_scratch, 0
	.set _ZL22rocblas_gemvtsm_kernelILb0ELi256E16rocblas_bfloat16fS0_EviiT2_lPKT1_lilS4_lilS1_lPT3_lil.has_dyn_sized_stack, 0
	.set _ZL22rocblas_gemvtsm_kernelILb0ELi256E16rocblas_bfloat16fS0_EviiT2_lPKT1_lilS4_lilS1_lPT3_lil.has_recursion, 0
	.set _ZL22rocblas_gemvtsm_kernelILb0ELi256E16rocblas_bfloat16fS0_EviiT2_lPKT1_lilS4_lilS1_lPT3_lil.has_indirect_call, 0
	.section	.AMDGPU.csdata,"",@progbits
; Kernel info:
; codeLenInByte = 2260
; TotalNumSgprs: 28
; NumVgprs: 17
; ScratchSize: 0
; MemoryBound: 0
; FloatMode: 240
; IeeeMode: 1
; LDSByteSize: 256 bytes/workgroup (compile time only)
; SGPRBlocks: 0
; VGPRBlocks: 1
; NumSGPRsForWavesPerEU: 28
; NumVGPRsForWavesPerEU: 17
; NamedBarCnt: 0
; Occupancy: 16
; WaveLimiterHint : 1
; COMPUTE_PGM_RSRC2:SCRATCH_EN: 0
; COMPUTE_PGM_RSRC2:USER_SGPR: 2
; COMPUTE_PGM_RSRC2:TRAP_HANDLER: 0
; COMPUTE_PGM_RSRC2:TGID_X_EN: 1
; COMPUTE_PGM_RSRC2:TGID_Y_EN: 0
; COMPUTE_PGM_RSRC2:TGID_Z_EN: 0
; COMPUTE_PGM_RSRC2:TIDIG_COMP_CNT: 0
	.section	.text._ZL23rocblas_gemvt_sn_kernelILb0ELi256ELi4Ei16rocblas_bfloat16PKffEviiT4_lPKT3_lilS6_lilPT5_i,"axG",@progbits,_ZL23rocblas_gemvt_sn_kernelILb0ELi256ELi4Ei16rocblas_bfloat16PKffEviiT4_lPKT3_lilS6_lilPT5_i,comdat
	.globl	_ZL23rocblas_gemvt_sn_kernelILb0ELi256ELi4Ei16rocblas_bfloat16PKffEviiT4_lPKT3_lilS6_lilPT5_i ; -- Begin function _ZL23rocblas_gemvt_sn_kernelILb0ELi256ELi4Ei16rocblas_bfloat16PKffEviiT4_lPKT3_lilS6_lilPT5_i
	.p2align	8
	.type	_ZL23rocblas_gemvt_sn_kernelILb0ELi256ELi4Ei16rocblas_bfloat16PKffEviiT4_lPKT3_lilS6_lilPT5_i,@function
_ZL23rocblas_gemvt_sn_kernelILb0ELi256ELi4Ei16rocblas_bfloat16PKffEviiT4_lPKT3_lilS6_lilPT5_i: ; @_ZL23rocblas_gemvt_sn_kernelILb0ELi256ELi4Ei16rocblas_bfloat16PKffEviiT4_lPKT3_lilS6_lilPT5_i
; %bb.0:
	s_load_b32 s11, s[0:1], 0x60
	s_bfe_u32 s2, ttmp6, 0x40014
	s_lshr_b32 s3, ttmp7, 16
	s_add_co_i32 s2, s2, 1
	s_bfe_u32 s5, ttmp6, 0x40008
	s_mul_i32 s2, s3, s2
	s_getreg_b32 s4, hwreg(HW_REG_IB_STS2, 6, 4)
	s_add_co_i32 s5, s5, s2
	s_cmp_eq_u32 s4, 0
	s_mov_b32 s31, 0
	s_cselect_b32 s28, s3, s5
	s_wait_kmcnt 0x0
	s_cmp_ge_u32 s28, s11
	s_cbranch_scc1 .LBB556_88
; %bb.1:
	s_clause 0x6
	s_load_b96 s[8:10], s[0:1], 0x40
	s_load_b256 s[12:19], s[0:1], 0x8
	s_load_b64 s[34:35], s[0:1], 0x0
	s_load_b32 s36, s[0:1], 0x28
	s_load_b128 s[20:23], s[0:1], 0x30
	s_load_b128 s[24:27], s[0:1], 0x50
	s_load_b32 s38, s[0:1], 0x68
	s_wait_xcnt 0x0
	v_cmp_eq_u32_e64 s0, 0, v0
	v_dual_lshrrev_b32 v2, 3, v0 :: v_dual_bitop2_b32 v1, 31, v0 bitop3:0x40
	v_cmp_gt_u32_e64 s1, 32, v0
	v_cmp_gt_u32_e64 s2, 8, v0
	v_mbcnt_lo_u32_b32 v38, -1, 0
	s_delay_alu instid0(VALU_DEP_4)
	v_cmp_eq_u32_e64 s3, 0, v1
	v_dual_lshlrev_b32 v36, 2, v1 :: v_dual_bitop2_b32 v37, 28, v2 bitop3:0x40
	v_mov_b64_e32 v[18:19], 0
	s_mov_b32 s39, s31
	s_mov_b32 s41, s31
	v_lshl_or_b32 v39, v38, 2, 64
	s_wait_kmcnt 0x0
	s_lshl_b64 s[6:7], s[8:9], 1
	s_lshl_b64 s[8:9], s[18:19], 1
	s_ashr_i32 s47, s35, 31
	s_cmp_gt_i32 s35, 0
	s_add_nc_u64 s[18:19], s[22:23], s[6:7]
	s_cselect_b32 s5, -1, 0
	s_bfe_u32 s29, ttmp6, 0x4000c
	s_and_b32 s6, ttmp6, 15
	s_add_co_i32 s29, s29, 1
	s_and_b32 s33, s0, s5
	s_mul_i32 s7, ttmp9, s29
	s_mov_b32 s46, s35
	s_add_co_i32 s6, s6, s7
	s_cmp_eq_u32 s4, 0
	s_add_nc_u64 s[4:5], s[16:17], s[8:9]
	s_cselect_b32 s40, ttmp9, s6
	s_ashr_i32 s7, s34, 31
	s_lshl_b32 s6, s40, 10
	s_lshr_b32 s7, s7, 30
	v_lshl_or_b32 v0, v0, 2, s6
	s_lshr_b32 s6, s47, 30
	s_add_co_i32 s7, s34, s7
	s_add_co_i32 s6, s35, s6
	s_and_b32 s7, s7, -4
	v_mul_lo_u32 v8, s10, v0
	s_and_b32 s70, s6, -4
	s_sub_co_i32 s71, s34, s7
	s_cmp_gt_i32 s70, 0
	v_dual_ashrrev_i32 v1, 31, v0 :: v_dual_add_nc_u32 v2, 4, v0
	s_cselect_b32 s72, -1, 0
	s_cmp_gt_i32 s71, 0
	s_mul_u64 s[16:17], s[46:47], s[38:39]
	s_cselect_b32 s73, -1, 0
	s_cmp_gt_u32 s35, 1
	s_delay_alu instid0(VALU_DEP_2) | instskip(SKIP_3) | instid1(VALU_DEP_2)
	v_dual_add_nc_u32 v10, s10, v8 :: v_dual_ashrrev_i32 v9, 31, v8
	v_add_nc_u32_e32 v3, s71, v0
	s_cselect_b32 s6, -1, 0
	s_cmp_eq_u32 s38, 1
	v_add_nc_u32_e32 v14, s10, v10
	s_cselect_b32 s7, -1, 0
	v_lshl_add_u64 v[12:13], v[0:1], 1, s[4:5]
	v_cmp_ge_i32_e64 s4, s34, v2
	v_cmp_ge_i32_e64 s5, s34, v3
	v_dual_add_nc_u32 v16, s10, v14 :: v_dual_ashrrev_i32 v15, 31, v14
	s_and_b32 s34, s35, 0x7ffffffe
	s_and_b32 s74, s6, s7
	s_cmp_lg_u32 s35, s34
	s_delay_alu instid0(VALU_DEP_1)
	v_dual_ashrrev_i32 v11, 31, v10 :: v_dual_ashrrev_i32 v17, 31, v16
	s_cselect_b32 s75, -1, 0
	s_lshl_b32 s30, s36, 1
	v_mov_b32_e32 v0, 0
	s_lshl_b64 s[22:23], s[40:41], 2
	s_mov_b64 s[52:53], s[30:31]
	s_mul_i32 s30, s36, 3
	s_add_nc_u64 s[42:43], s[26:27], s[22:23]
	s_lshl_b64 s[44:45], s[16:17], 2
	s_lshl_b64 s[46:47], s[46:47], 2
	;; [unrolled: 1-line block ×3, first 2 shown]
	s_mov_b32 s37, s31
	s_lshl_b32 s50, s36, 2
	s_mov_b32 s51, s31
	s_mov_b64 s[54:55], s[30:31]
	s_lshl_b64 s[56:57], s[20:21], 1
	s_branch .LBB556_3
.LBB556_2:                              ;   in Loop: Header=BB556_3 Depth=1
	s_add_co_i32 s28, s28, 0x10000
	s_delay_alu instid0(SALU_CYCLE_1)
	s_cmp_lt_u32 s28, s11
	s_cbranch_scc0 .LBB556_88
.LBB556_3:                              ; =>This Loop Header: Depth=1
                                        ;     Child Loop BB556_7 Depth 2
                                        ;     Child Loop BB556_11 Depth 2
	;; [unrolled: 1-line block ×3, first 2 shown]
                                        ;       Child Loop BB556_48 Depth 3
                                        ;       Child Loop BB556_51 Depth 3
                                        ;     Child Loop BB556_67 Depth 2
                                        ;       Child Loop BB556_80 Depth 3
                                        ;       Child Loop BB556_83 Depth 3
	s_mov_b32 s29, s31
	s_delay_alu instid0(SALU_CYCLE_1) | instskip(NEXT) | instid1(SALU_CYCLE_1)
	s_mul_u64 s[6:7], s[14:15], s[28:29]
	s_lshl_b64 s[6:7], s[6:7], 2
	s_delay_alu instid0(SALU_CYCLE_1)
	s_add_nc_u64 s[6:7], s[12:13], s[6:7]
	global_load_b32 v40, v0, s[6:7]
	s_wait_xcnt 0x0
	s_mov_b32 s6, -1
	s_wait_loadcnt 0x0
	v_cmp_neq_f32_e32 vcc_lo, 0, v40
	s_cbranch_vccnz .LBB556_13
; %bb.4:                                ;   in Loop: Header=BB556_3 Depth=1
	s_and_saveexec_b32 s8, s33
	s_cbranch_execz .LBB556_12
; %bb.5:                                ;   in Loop: Header=BB556_3 Depth=1
	s_and_not1_b32 vcc_lo, exec_lo, s74
	s_cbranch_vccnz .LBB556_9
; %bb.6:                                ;   in Loop: Header=BB556_3 Depth=1
	s_mul_u64 s[6:7], s[44:45], s[28:29]
	s_mov_b32 s9, s34
	s_add_nc_u64 s[6:7], s[42:43], s[6:7]
.LBB556_7:                              ;   Parent Loop BB556_3 Depth=1
                                        ; =>  This Inner Loop Header: Depth=2
	s_add_co_i32 s9, s9, -2
	global_store_b64 v0, v[18:19], s[6:7]
	s_wait_xcnt 0x0
	s_add_nc_u64 s[6:7], s[6:7], 8
	s_mov_b32 s30, s34
	s_cmp_lg_u32 s9, 0
	s_mov_b32 s41, s75
	s_cbranch_scc1 .LBB556_7
; %bb.8:                                ;   in Loop: Header=BB556_3 Depth=1
	s_and_b32 vcc_lo, exec_lo, s41
	s_cbranch_vccnz .LBB556_10
	s_branch .LBB556_12
.LBB556_9:                              ;   in Loop: Header=BB556_3 Depth=1
	s_mov_b32 s30, 0
	s_cbranch_execz .LBB556_12
.LBB556_10:                             ;   in Loop: Header=BB556_3 Depth=1
	s_mul_u64 s[6:7], s[46:47], s[28:29]
	s_lshl_b64 s[58:59], s[30:31], 2
	s_sub_co_i32 s9, s35, s30
	s_add_nc_u64 s[6:7], s[6:7], s[58:59]
	s_delay_alu instid0(SALU_CYCLE_1) | instskip(NEXT) | instid1(SALU_CYCLE_1)
	s_mul_u64 s[6:7], s[38:39], s[6:7]
	s_add_nc_u64 s[6:7], s[42:43], s[6:7]
.LBB556_11:                             ;   Parent Loop BB556_3 Depth=1
                                        ; =>  This Inner Loop Header: Depth=2
	s_add_co_i32 s9, s9, -1
	global_store_b32 v0, v0, s[6:7]
	s_cmp_eq_u32 s9, 0
	s_wait_xcnt 0x0
	s_add_nc_u64 s[6:7], s[6:7], s[48:49]
	s_cbranch_scc0 .LBB556_11
.LBB556_12:                             ;   in Loop: Header=BB556_3 Depth=1
	s_or_b32 exec_lo, exec_lo, s8
	s_mov_b32 s6, 0
.LBB556_13:                             ;   in Loop: Header=BB556_3 Depth=1
	s_delay_alu instid0(SALU_CYCLE_1)
	s_and_not1_b32 vcc_lo, exec_lo, s6
	s_cbranch_vccnz .LBB556_2
; %bb.14:                               ;   in Loop: Header=BB556_3 Depth=1
	s_mul_u64 s[6:7], s[24:25], s[28:29]
	s_mul_u64 s[8:9], s[56:57], s[28:29]
	s_lshl_b64 s[6:7], s[6:7], 1
	s_mul_u64 s[60:61], s[20:21], s[28:29]
	s_add_nc_u64 s[58:59], s[18:19], s[6:7]
	v_add_nc_u64_e32 v[30:31], s[8:9], v[12:13]
	s_mul_u64 s[62:63], s[16:17], s[28:29]
	v_lshl_add_u64 v[20:21], s[60:61], 1, v[12:13]
	v_lshl_add_u64 v[22:23], v[8:9], 1, s[58:59]
	;; [unrolled: 1-line block ×5, first 2 shown]
	v_cmp_gt_u32_e64 s9, 24, v38
	v_cmp_gt_u32_e64 s8, 28, v38
	;; [unrolled: 1-line block ×3, first 2 shown]
	v_cmp_ne_u32_e64 s6, 31, v38
	s_lshl_b64 s[60:61], s[62:63], 2
	s_and_not1_b32 vcc_lo, exec_lo, s72
	s_add_nc_u64 s[60:61], s[26:27], s[60:61]
	s_cbranch_vccnz .LBB556_63
; %bb.15:                               ;   in Loop: Header=BB556_3 Depth=1
	v_cndmask_b32_e64 v1, 0, 8, s9
	v_cndmask_b32_e64 v4, 0, 4, s8
	;; [unrolled: 1-line block ×3, first 2 shown]
	s_wait_dscnt 0x0
	v_add_co_ci_u32_e64 v6, null, 0, v38, s6
	v_add_lshl_u32 v41, v1, v38, 2
	v_dual_mov_b32 v1, v0 :: v_dual_mov_b32 v2, v0
	s_delay_alu instid0(VALU_DEP_3) | instskip(SKIP_3) | instid1(VALU_DEP_3)
	v_dual_mov_b32 v3, v0 :: v_dual_lshlrev_b32 v44, 2, v6
	v_add_lshl_u32 v42, v4, v38, 2
	v_add_lshl_u32 v43, v5, v38, 2
	s_mov_b32 s62, 0
	v_mov_b64_e32 v[4:5], v[2:3]
	v_mov_b64_e32 v[2:3], v[0:1]
	s_mov_b64 s[8:9], s[54:55]
	s_mov_b64 s[64:65], s[52:53]
	;; [unrolled: 1-line block ×3, first 2 shown]
	s_mov_b32 s30, s62
	s_branch .LBB556_17
.LBB556_16:                             ;   in Loop: Header=BB556_17 Depth=2
	s_wait_xcnt 0x0
	s_or_b32 exec_lo, exec_lo, s6
	s_add_co_i32 s30, s30, 4
	s_add_co_i32 s62, s62, s50
	s_add_nc_u64 s[66:67], s[66:67], s[50:51]
	s_add_nc_u64 s[64:65], s[64:65], s[50:51]
	s_cmp_ge_i32 s30, s70
	s_add_nc_u64 s[8:9], s[8:9], s[50:51]
	s_cbranch_scc1 .LBB556_64
.LBB556_17:                             ;   Parent Loop BB556_3 Depth=1
                                        ; =>  This Loop Header: Depth=2
                                        ;       Child Loop BB556_48 Depth 3
                                        ;       Child Loop BB556_51 Depth 3
                                        ; implicit-def: $vgpr7
                                        ; implicit-def: $vgpr33
	s_and_saveexec_b32 s6, s4
	s_delay_alu instid0(SALU_CYCLE_1)
	s_xor_b32 s6, exec_lo, s6
	s_cbranch_execnz .LBB556_44
; %bb.18:                               ;   in Loop: Header=BB556_17 Depth=2
	s_and_not1_saveexec_b32 s29, s6
	s_cbranch_execnz .LBB556_45
.LBB556_19:                             ;   in Loop: Header=BB556_17 Depth=2
	s_or_b32 exec_lo, exec_lo, s29
	s_and_saveexec_b32 s6, s1
.LBB556_20:                             ;   in Loop: Header=BB556_17 Depth=2
	ds_store_b32 v36, v0
.LBB556_21:                             ;   in Loop: Header=BB556_17 Depth=2
	s_or_b32 exec_lo, exec_lo, s6
	ds_bpermute_b32 v1, v39, v32
	s_wait_storecnt_dscnt 0x0
	s_barrier_signal -1
	s_barrier_wait -1
	v_add_f32_e32 v1, v32, v1
	ds_bpermute_b32 v32, v41, v1
	s_wait_dscnt 0x0
	v_add_f32_e32 v1, v1, v32
	ds_bpermute_b32 v32, v42, v1
	s_wait_dscnt 0x0
	;; [unrolled: 3-line block ×3, first 2 shown]
	v_add_f32_e32 v1, v1, v32
	ds_bpermute_b32 v32, v44, v1
	s_and_saveexec_b32 s6, s3
	s_cbranch_execz .LBB556_23
; %bb.22:                               ;   in Loop: Header=BB556_17 Depth=2
	s_wait_dscnt 0x0
	v_add_f32_e32 v1, v1, v32
	ds_store_b32 v37, v1
.LBB556_23:                             ;   in Loop: Header=BB556_17 Depth=2
	s_or_b32 exec_lo, exec_lo, s6
	v_mov_b32_e32 v1, 0
	s_wait_dscnt 0x0
	s_barrier_signal -1
	s_barrier_wait -1
	s_and_saveexec_b32 s6, s2
	s_cbranch_execnz .LBB556_52
; %bb.24:                               ;   in Loop: Header=BB556_17 Depth=2
	s_or_b32 exec_lo, exec_lo, s6
	s_and_saveexec_b32 s6, s1
	s_cbranch_execnz .LBB556_53
.LBB556_25:                             ;   in Loop: Header=BB556_17 Depth=2
	s_or_b32 exec_lo, exec_lo, s6
	s_and_saveexec_b32 s6, s1
.LBB556_26:                             ;   in Loop: Header=BB556_17 Depth=2
	ds_store_b32 v36, v0
.LBB556_27:                             ;   in Loop: Header=BB556_17 Depth=2
	s_or_b32 exec_lo, exec_lo, s6
	ds_bpermute_b32 v32, v39, v33
	s_wait_dscnt 0x0
	s_barrier_signal -1
	s_barrier_wait -1
	v_add_f32_e32 v32, v33, v32
	ds_bpermute_b32 v33, v41, v32
	s_wait_dscnt 0x0
	v_add_f32_e32 v32, v32, v33
	ds_bpermute_b32 v33, v42, v32
	s_wait_dscnt 0x0
	;; [unrolled: 3-line block ×3, first 2 shown]
	v_add_f32_e32 v32, v32, v33
	ds_bpermute_b32 v33, v44, v32
	s_and_saveexec_b32 s6, s3
	s_cbranch_execz .LBB556_29
; %bb.28:                               ;   in Loop: Header=BB556_17 Depth=2
	s_wait_dscnt 0x0
	v_add_f32_e32 v32, v32, v33
	ds_store_b32 v37, v32
.LBB556_29:                             ;   in Loop: Header=BB556_17 Depth=2
	s_or_b32 exec_lo, exec_lo, s6
	v_mov_b32_e32 v32, 0
	s_wait_dscnt 0x0
	s_barrier_signal -1
	s_barrier_wait -1
	s_and_saveexec_b32 s6, s2
	s_cbranch_execnz .LBB556_54
; %bb.30:                               ;   in Loop: Header=BB556_17 Depth=2
	s_or_b32 exec_lo, exec_lo, s6
	s_and_saveexec_b32 s6, s1
	s_cbranch_execnz .LBB556_55
.LBB556_31:                             ;   in Loop: Header=BB556_17 Depth=2
	s_or_b32 exec_lo, exec_lo, s6
	s_and_saveexec_b32 s6, s1
.LBB556_32:                             ;   in Loop: Header=BB556_17 Depth=2
	ds_store_b32 v36, v0
.LBB556_33:                             ;   in Loop: Header=BB556_17 Depth=2
	s_or_b32 exec_lo, exec_lo, s6
	ds_bpermute_b32 v33, v39, v6
	s_wait_dscnt 0x0
	s_barrier_signal -1
	s_barrier_wait -1
	v_add_f32_e32 v6, v6, v33
	ds_bpermute_b32 v33, v41, v6
	s_wait_dscnt 0x0
	v_add_f32_e32 v6, v6, v33
	ds_bpermute_b32 v33, v42, v6
	s_wait_dscnt 0x0
	;; [unrolled: 3-line block ×3, first 2 shown]
	v_add_f32_e32 v6, v6, v33
	ds_bpermute_b32 v33, v44, v6
	s_and_saveexec_b32 s6, s3
	s_cbranch_execz .LBB556_35
; %bb.34:                               ;   in Loop: Header=BB556_17 Depth=2
	s_wait_dscnt 0x0
	v_add_f32_e32 v6, v6, v33
	ds_store_b32 v37, v6
.LBB556_35:                             ;   in Loop: Header=BB556_17 Depth=2
	s_or_b32 exec_lo, exec_lo, s6
	v_mov_b32_e32 v6, 0
	s_wait_dscnt 0x0
	s_barrier_signal -1
	s_barrier_wait -1
	s_and_saveexec_b32 s6, s2
	s_cbranch_execnz .LBB556_56
; %bb.36:                               ;   in Loop: Header=BB556_17 Depth=2
	s_or_b32 exec_lo, exec_lo, s6
	s_and_saveexec_b32 s6, s1
	s_cbranch_execnz .LBB556_57
.LBB556_37:                             ;   in Loop: Header=BB556_17 Depth=2
	s_or_b32 exec_lo, exec_lo, s6
	s_and_saveexec_b32 s6, s1
.LBB556_38:                             ;   in Loop: Header=BB556_17 Depth=2
	ds_store_b32 v36, v0
.LBB556_39:                             ;   in Loop: Header=BB556_17 Depth=2
	s_or_b32 exec_lo, exec_lo, s6
	ds_bpermute_b32 v33, v39, v7
	s_wait_dscnt 0x0
	s_barrier_signal -1
	s_barrier_wait -1
	v_add_f32_e32 v7, v7, v33
	ds_bpermute_b32 v33, v41, v7
	s_wait_dscnt 0x0
	v_add_f32_e32 v7, v7, v33
	ds_bpermute_b32 v33, v42, v7
	s_wait_dscnt 0x0
	;; [unrolled: 3-line block ×3, first 2 shown]
	v_add_f32_e32 v7, v7, v33
	ds_bpermute_b32 v33, v44, v7
	s_and_saveexec_b32 s6, s3
	s_cbranch_execz .LBB556_41
; %bb.40:                               ;   in Loop: Header=BB556_17 Depth=2
	s_wait_dscnt 0x0
	v_add_f32_e32 v7, v7, v33
	ds_store_b32 v37, v7
.LBB556_41:                             ;   in Loop: Header=BB556_17 Depth=2
	s_or_b32 exec_lo, exec_lo, s6
	v_mov_b32_e32 v7, 0
	s_wait_dscnt 0x0
	s_barrier_signal -1
	s_barrier_wait -1
	s_and_saveexec_b32 s6, s2
	s_cbranch_execnz .LBB556_58
; %bb.42:                               ;   in Loop: Header=BB556_17 Depth=2
	s_or_b32 exec_lo, exec_lo, s6
	s_and_saveexec_b32 s6, s1
	s_cbranch_execnz .LBB556_59
.LBB556_43:                             ;   in Loop: Header=BB556_17 Depth=2
	s_or_b32 exec_lo, exec_lo, s6
	s_and_saveexec_b32 s6, s0
	s_cbranch_execz .LBB556_16
	s_branch .LBB556_60
.LBB556_44:                             ;   in Loop: Header=BB556_17 Depth=2
	s_mul_i32 s68, s30, s36
	s_clause 0x3
	global_load_u16 v1, v[22:23], off
	global_load_u16 v45, v[24:25], off
	;; [unrolled: 1-line block ×4, first 2 shown]
	s_ashr_i32 s69, s68, 31
	s_add_co_i32 s76, s68, s36
	v_lshl_add_u64 v[2:3], s[68:69], 1, v[20:21]
	s_add_co_i32 s68, s76, s36
	s_ashr_i32 s77, s76, 31
	s_add_co_i32 s78, s68, s36
	s_ashr_i32 s69, s68, 31
	s_ashr_i32 s79, s78, 31
	v_lshl_add_u64 v[4:5], s[68:69], 1, v[20:21]
	s_wait_dscnt 0x0
	v_lshl_add_u64 v[6:7], s[78:79], 1, v[20:21]
	s_clause 0x2
	global_load_b64 v[32:33], v[2:3], off
	global_load_b64 v[4:5], v[4:5], off
	;; [unrolled: 1-line block ×3, first 2 shown]
	s_wait_xcnt 0x2
	v_lshl_add_u64 v[2:3], s[76:77], 1, v[20:21]
	global_load_b64 v[34:35], v[2:3], off
	s_wait_loadcnt 0x7
	s_wait_xcnt 0x0
	v_lshlrev_b32_e32 v2, 16, v1
	s_wait_loadcnt 0x5
	v_dual_lshlrev_b32 v47, 16, v45 :: v_dual_lshlrev_b32 v50, 16, v46
	s_wait_loadcnt 0x4
	s_delay_alu instid0(VALU_DEP_1) | instskip(SKIP_1) | instid1(VALU_DEP_1)
	v_dual_mov_b32 v52, v47 :: v_dual_lshlrev_b32 v49, 16, v48
	s_wait_loadcnt 0x3
	v_dual_mov_b32 v54, v49 :: v_dual_lshlrev_b32 v56, 16, v32
	s_wait_loadcnt 0x2
	v_dual_lshlrev_b32 v58, 16, v33 :: v_dual_lshlrev_b32 v1, 16, v4
	s_wait_loadcnt 0x1
	v_lshlrev_b32_e32 v46, 16, v6
	v_and_b32_e32 v3, 0xffff0000, v6
	v_and_b32_e32 v45, 0xffff0000, v4
	v_dual_lshlrev_b32 v53, 16, v5 :: v_dual_lshlrev_b32 v48, 16, v7
	v_and_b32_e32 v55, 0xffff0000, v5
	s_delay_alu instid0(VALU_DEP_4) | instskip(SKIP_3) | instid1(VALU_DEP_3)
	v_pk_mul_f32 v[4:5], v[46:47], v[2:3]
	v_and_b32_e32 v51, 0xffff0000, v7
	s_wait_loadcnt 0x0
	v_dual_mul_f32 v6, v2, v1 :: v_dual_lshlrev_b32 v57, 16, v34
	v_dual_mov_b32 v3, v47 :: v_dual_mov_b32 v7, v4
	v_and_b32_e32 v32, 0xffff0000, v32
	v_and_b32_e32 v60, 0xffff0000, v33
	;; [unrolled: 1-line block ×3, first 2 shown]
	v_dual_mul_f32 v4, v47, v45 :: v_dual_lshlrev_b32 v59, 16, v35
	v_pk_mul_f32 v[46:47], v[48:49], v[50:51]
	v_pk_add_f32 v[6:7], v[6:7], 0 op_sel_hi:[1,0]
	v_pk_fma_f32 v[56:57], v[2:3], v[56:57], 0 op_sel_hi:[0,1,0]
	v_mul_f32_e32 v62, v50, v53
	v_and_b32_e32 v61, 0xffff0000, v35
	v_mov_b32_e32 v63, v46
	v_pk_add_f32 v[4:5], v[6:7], v[4:5]
	v_pk_fma_f32 v[6:7], v[52:53], v[32:33], v[56:57] op_sel_hi:[0,1,1]
	v_mul_f32_e32 v46, v49, v55
	s_delay_alu instid0(VALU_DEP_3) | instskip(NEXT) | instid1(VALU_DEP_3)
	v_pk_add_f32 v[32:33], v[4:5], v[62:63]
	v_pk_fma_f32 v[34:35], v[50:51], v[58:59], v[6:7] op_sel_hi:[0,1,1]
	v_dual_mov_b32 v4, v50 :: v_dual_mov_b32 v5, v49
	s_delay_alu instid0(VALU_DEP_3) | instskip(NEXT) | instid1(VALU_DEP_3)
	v_pk_add_f32 v[6:7], v[32:33], v[46:47]
	v_pk_fma_f32 v[32:33], v[54:55], v[60:61], v[34:35] op_sel_hi:[0,1,1]
	s_and_not1_saveexec_b32 s29, s6
	s_cbranch_execz .LBB556_19
.LBB556_45:                             ;   in Loop: Header=BB556_17 Depth=2
	s_wait_dscnt 0x0
	v_dual_mov_b32 v7, 0 :: v_dual_mov_b32 v6, 0
	v_dual_mov_b32 v33, 0 :: v_dual_mov_b32 v32, 0
	s_and_saveexec_b32 s41, s5
	s_cbranch_execz .LBB556_62
; %bb.46:                               ;   in Loop: Header=BB556_17 Depth=2
	s_and_not1_b32 vcc_lo, exec_lo, s73
	s_cbranch_vccnz .LBB556_49
; %bb.47:                               ;   in Loop: Header=BB556_17 Depth=2
	v_mov_b32_e32 v1, v8
	s_mov_b64 s[68:69], 0
.LBB556_48:                             ;   Parent Loop BB556_3 Depth=1
                                        ;     Parent Loop BB556_17 Depth=2
                                        ; =>    This Inner Loop Header: Depth=3
	global_load_u16 v6, v1, s[58:59] scale_offset
	s_cmp_eq_u32 s68, 3
	s_wait_xcnt 0x0
	v_add_nc_u32_e32 v1, s10, v1
	s_cselect_b32 vcc_lo, -1, 0
	s_cmp_eq_u32 s68, 2
	s_cselect_b32 s6, -1, 0
	s_cmp_eq_u32 s68, 1
	s_cselect_b32 s7, -1, 0
	s_cmp_eq_u32 s68, 0
	s_add_nc_u64 s[68:69], s[68:69], 1
	s_wait_loadcnt 0x0
	v_lshlrev_b32_e32 v6, 16, v6
	s_delay_alu instid0(VALU_DEP_1) | instskip(SKIP_1) | instid1(SALU_CYCLE_1)
	v_dual_cndmask_b32 v5, v5, v6, vcc_lo :: v_dual_cndmask_b32 v4, v4, v6, s6
	s_cselect_b32 vcc_lo, -1, 0
	v_dual_cndmask_b32 v3, v3, v6, s7 :: v_dual_cndmask_b32 v2, v2, v6, vcc_lo
	s_cmp_eq_u32 s71, s68
	s_cbranch_scc0 .LBB556_48
.LBB556_49:                             ;   in Loop: Header=BB556_17 Depth=2
	s_and_not1_b32 vcc_lo, exec_lo, s73
	s_cbranch_vccnz .LBB556_61
; %bb.50:                               ;   in Loop: Header=BB556_17 Depth=2
	v_mov_b32_e32 v32, 0
	s_ashr_i32 s63, s62, 31
	s_mov_b64 s[6:7], 0
	v_lshl_add_u64 v[34:35], s[62:63], 1, v[30:31]
	s_delay_alu instid0(VALU_DEP_2)
	v_dual_mov_b32 v33, v32 :: v_dual_mov_b32 v6, v32
	v_mov_b32_e32 v7, v32
.LBB556_51:                             ;   Parent Loop BB556_3 Depth=1
                                        ;     Parent Loop BB556_17 Depth=2
                                        ; =>    This Inner Loop Header: Depth=3
	s_cmp_eq_u32 s6, 1
	s_cselect_b32 vcc_lo, -1, 0
	s_cmp_eq_u32 s6, 2
	v_cndmask_b32_e32 v1, v2, v3, vcc_lo
	s_cselect_b32 vcc_lo, -1, 0
	s_cmp_eq_u32 s6, 3
	s_delay_alu instid0(VALU_DEP_1)
	v_cndmask_b32_e32 v1, v1, v4, vcc_lo
	s_cselect_b32 vcc_lo, -1, 0
	s_add_co_i32 s68, s66, s6
	s_add_co_i32 s78, s8, s6
	;; [unrolled: 1-line block ×3, first 2 shown]
	s_ashr_i32 s69, s68, 31
	s_ashr_i32 s79, s78, 31
	;; [unrolled: 1-line block ×3, first 2 shown]
	v_lshl_add_u64 v[46:47], s[68:69], 1, v[20:21]
	v_lshl_add_u64 v[48:49], s[78:79], 1, v[20:21]
	;; [unrolled: 1-line block ×3, first 2 shown]
	global_load_u16 v45, v[34:35], off
	s_clause 0x2
	global_load_u16 v47, v[46:47], off
	global_load_u16 v52, v[48:49], off
	global_load_u16 v50, v[50:51], off
	s_wait_xcnt 0x3
	v_add_nc_u64_e32 v[34:35], 2, v[34:35]
	s_add_nc_u64 s[6:7], s[6:7], 1
	s_delay_alu instid0(SALU_CYCLE_1)
	s_cmp_lg_u32 s71, s6
	s_wait_loadcnt 0x2
	s_wait_xcnt 0x1
	v_dual_lshlrev_b32 v48, 16, v45 :: v_dual_lshlrev_b32 v49, 16, v47
	s_wait_loadcnt 0x1
	s_wait_xcnt 0x0
	v_dual_cndmask_b32 v46, v1, v5 :: v_dual_lshlrev_b32 v51, 16, v52
	s_wait_loadcnt 0x0
	v_lshlrev_b32_e32 v50, 16, v50
	s_delay_alu instid0(VALU_DEP_2) | instskip(NEXT) | instid1(VALU_DEP_2)
	v_pk_fma_f32 v[32:33], v[46:47], v[48:49], v[32:33] op_sel_hi:[0,1,1]
	v_pk_fma_f32 v[6:7], v[46:47], v[50:51], v[6:7] op_sel_hi:[0,1,1]
	s_cbranch_scc1 .LBB556_51
	s_branch .LBB556_62
.LBB556_52:                             ;   in Loop: Header=BB556_17 Depth=2
	ds_load_b32 v1, v36
	s_or_b32 exec_lo, exec_lo, s6
	s_and_saveexec_b32 s6, s1
	s_cbranch_execz .LBB556_25
.LBB556_53:                             ;   in Loop: Header=BB556_17 Depth=2
	s_wait_dscnt 0x0
	ds_bpermute_b32 v32, v42, v1
	s_wait_dscnt 0x0
	v_add_f32_e32 v1, v1, v32
	ds_bpermute_b32 v32, v43, v1
	s_wait_dscnt 0x0
	v_add_f32_e32 v1, v1, v32
	ds_bpermute_b32 v32, v44, v1
	s_wait_dscnt 0x0
	v_add_f32_e32 v1, v1, v32
	s_or_b32 exec_lo, exec_lo, s6
	s_and_saveexec_b32 s6, s1
	s_cbranch_execnz .LBB556_26
	s_branch .LBB556_27
.LBB556_54:                             ;   in Loop: Header=BB556_17 Depth=2
	ds_load_b32 v32, v36
	s_or_b32 exec_lo, exec_lo, s6
	s_and_saveexec_b32 s6, s1
	s_cbranch_execz .LBB556_31
.LBB556_55:                             ;   in Loop: Header=BB556_17 Depth=2
	s_wait_dscnt 0x0
	ds_bpermute_b32 v33, v42, v32
	s_wait_dscnt 0x0
	v_add_f32_e32 v32, v32, v33
	ds_bpermute_b32 v33, v43, v32
	s_wait_dscnt 0x0
	v_add_f32_e32 v32, v32, v33
	;; [unrolled: 3-line block ×3, first 2 shown]
	s_or_b32 exec_lo, exec_lo, s6
	s_and_saveexec_b32 s6, s1
	s_cbranch_execnz .LBB556_32
	s_branch .LBB556_33
.LBB556_56:                             ;   in Loop: Header=BB556_17 Depth=2
	ds_load_b32 v6, v36
	s_or_b32 exec_lo, exec_lo, s6
	s_and_saveexec_b32 s6, s1
	s_cbranch_execz .LBB556_37
.LBB556_57:                             ;   in Loop: Header=BB556_17 Depth=2
	s_wait_dscnt 0x0
	ds_bpermute_b32 v33, v42, v6
	s_wait_dscnt 0x0
	v_add_f32_e32 v6, v6, v33
	ds_bpermute_b32 v33, v43, v6
	s_wait_dscnt 0x0
	v_add_f32_e32 v6, v6, v33
	;; [unrolled: 3-line block ×3, first 2 shown]
	s_or_b32 exec_lo, exec_lo, s6
	s_and_saveexec_b32 s6, s1
	s_cbranch_execnz .LBB556_38
	s_branch .LBB556_39
.LBB556_58:                             ;   in Loop: Header=BB556_17 Depth=2
	ds_load_b32 v7, v36
	s_or_b32 exec_lo, exec_lo, s6
	s_and_saveexec_b32 s6, s1
	s_cbranch_execz .LBB556_43
.LBB556_59:                             ;   in Loop: Header=BB556_17 Depth=2
	s_wait_dscnt 0x0
	ds_bpermute_b32 v33, v42, v7
	s_wait_dscnt 0x0
	v_add_f32_e32 v7, v7, v33
	ds_bpermute_b32 v33, v43, v7
	s_wait_dscnt 0x0
	v_add_f32_e32 v7, v7, v33
	;; [unrolled: 3-line block ×3, first 2 shown]
	s_or_b32 exec_lo, exec_lo, s6
	s_and_saveexec_b32 s6, s0
	s_cbranch_execz .LBB556_16
.LBB556_60:                             ;   in Loop: Header=BB556_17 Depth=2
	s_mul_i32 s7, s30, s38
	v_dual_mul_f32 v1, v40, v1 :: v_dual_mul_f32 v32, v40, v32
	s_add_co_i32 s7, s7, s40
	s_delay_alu instid0(SALU_CYCLE_1) | instskip(NEXT) | instid1(SALU_CYCLE_1)
	s_add_co_i32 s29, s7, s38
	v_dual_mov_b32 v33, s7 :: v_dual_mov_b32 v34, s29
	s_add_co_i32 s7, s29, s38
	s_delay_alu instid0(SALU_CYCLE_1)
	v_dual_mul_f32 v6, v40, v6 :: v_dual_mov_b32 v35, s7
	s_add_co_i32 s7, s7, s38
	s_wait_dscnt 0x0
	v_dual_mul_f32 v7, v40, v7 :: v_dual_mov_b32 v45, s7
	s_clause 0x3
	global_store_b32 v33, v1, s[60:61] scale_offset
	global_store_b32 v34, v32, s[60:61] scale_offset
	;; [unrolled: 1-line block ×4, first 2 shown]
	s_branch .LBB556_16
.LBB556_61:                             ;   in Loop: Header=BB556_17 Depth=2
	v_mov_b32_e32 v7, 0
	s_delay_alu instid0(VALU_DEP_1)
	v_dual_mov_b32 v6, v7 :: v_dual_mov_b32 v33, v7
	v_mov_b32_e32 v32, v7
.LBB556_62:                             ;   in Loop: Header=BB556_17 Depth=2
	s_or_b32 exec_lo, exec_lo, s41
	s_delay_alu instid0(SALU_CYCLE_1)
	s_or_b32 exec_lo, exec_lo, s29
	s_and_saveexec_b32 s6, s1
	s_cbranch_execnz .LBB556_20
	s_branch .LBB556_21
.LBB556_63:                             ;   in Loop: Header=BB556_3 Depth=1
	v_dual_mov_b32 v1, v0 :: v_dual_mov_b32 v2, v0
	v_mov_b32_e32 v3, v0
	s_mov_b32 s30, 0
	s_delay_alu instid0(VALU_DEP_1) | instskip(NEXT) | instid1(VALU_DEP_3)
	v_mov_b64_e32 v[4:5], v[2:3]
	v_mov_b64_e32 v[2:3], v[0:1]
.LBB556_64:                             ;   in Loop: Header=BB556_3 Depth=1
	s_cmp_ge_i32 s30, s35
	s_cbranch_scc1 .LBB556_2
; %bb.65:                               ;   in Loop: Header=BB556_3 Depth=1
	v_cmp_gt_u32_e32 vcc_lo, 24, v38
	s_add_nc_u64 s[8:9], s[60:61], s[22:23]
	s_mul_i32 s60, s36, s30
	v_cndmask_b32_e64 v1, 0, 8, vcc_lo
	v_cmp_gt_u32_e32 vcc_lo, 28, v38
	s_delay_alu instid0(VALU_DEP_2) | instskip(SKIP_4) | instid1(VALU_DEP_2)
	v_add_lshl_u32 v1, v1, v38, 2
	s_wait_dscnt 0x0
	v_cndmask_b32_e64 v6, 0, 4, vcc_lo
	v_cmp_gt_u32_e32 vcc_lo, 30, v38
	s_wait_dscnt 0x0
	v_add_lshl_u32 v7, v6, v38, 2
	v_cndmask_b32_e64 v32, 0, 2, vcc_lo
	v_cmp_ne_u32_e32 vcc_lo, 31, v38
	s_delay_alu instid0(VALU_DEP_2) | instskip(SKIP_1) | instid1(VALU_DEP_1)
	v_add_lshl_u32 v34, v32, v38, 2
	v_add_co_ci_u32_e64 v33, null, 0, v38, vcc_lo
	v_lshlrev_b32_e32 v35, 2, v33
	s_branch .LBB556_67
.LBB556_66:                             ;   in Loop: Header=BB556_67 Depth=2
	s_wait_xcnt 0x0
	s_or_b32 exec_lo, exec_lo, s6
	s_add_co_i32 s30, s30, 1
	s_add_co_i32 s60, s60, s36
	s_cmp_ge_i32 s30, s35
	s_cbranch_scc1 .LBB556_2
.LBB556_67:                             ;   Parent Loop BB556_3 Depth=1
                                        ; =>  This Loop Header: Depth=2
                                        ;       Child Loop BB556_80 Depth 3
                                        ;       Child Loop BB556_83 Depth 3
	s_wait_dscnt 0x0
	v_mov_b32_e32 v6, s31
	s_and_saveexec_b32 s6, s4
	s_delay_alu instid0(SALU_CYCLE_1)
	s_xor_b32 s6, exec_lo, s6
	s_cbranch_execnz .LBB556_76
; %bb.68:                               ;   in Loop: Header=BB556_67 Depth=2
	s_and_not1_saveexec_b32 s29, s6
	s_cbranch_execnz .LBB556_77
.LBB556_69:                             ;   in Loop: Header=BB556_67 Depth=2
	s_or_b32 exec_lo, exec_lo, s29
	s_and_saveexec_b32 s6, s1
.LBB556_70:                             ;   in Loop: Header=BB556_67 Depth=2
	ds_store_b32 v36, v0
.LBB556_71:                             ;   in Loop: Header=BB556_67 Depth=2
	s_or_b32 exec_lo, exec_lo, s6
	ds_bpermute_b32 v32, v39, v6
	s_wait_storecnt_dscnt 0x0
	s_barrier_signal -1
	s_barrier_wait -1
	v_add_f32_e32 v6, v6, v32
	ds_bpermute_b32 v32, v1, v6
	s_wait_dscnt 0x0
	v_add_f32_e32 v6, v6, v32
	ds_bpermute_b32 v32, v7, v6
	s_wait_dscnt 0x0
	;; [unrolled: 3-line block ×3, first 2 shown]
	v_add_f32_e32 v6, v6, v32
	ds_bpermute_b32 v32, v35, v6
	s_and_saveexec_b32 s6, s3
	s_cbranch_execz .LBB556_73
; %bb.72:                               ;   in Loop: Header=BB556_67 Depth=2
	s_wait_dscnt 0x0
	v_add_f32_e32 v6, v6, v32
	ds_store_b32 v37, v6
.LBB556_73:                             ;   in Loop: Header=BB556_67 Depth=2
	s_or_b32 exec_lo, exec_lo, s6
	v_mov_b32_e32 v6, 0
	s_wait_dscnt 0x0
	s_barrier_signal -1
	s_barrier_wait -1
	s_and_saveexec_b32 s6, s2
	s_cbranch_execnz .LBB556_85
; %bb.74:                               ;   in Loop: Header=BB556_67 Depth=2
	s_or_b32 exec_lo, exec_lo, s6
	s_and_saveexec_b32 s6, s1
	s_cbranch_execnz .LBB556_86
.LBB556_75:                             ;   in Loop: Header=BB556_67 Depth=2
	s_or_b32 exec_lo, exec_lo, s6
	s_and_saveexec_b32 s6, s0
	s_cbranch_execz .LBB556_66
	s_branch .LBB556_87
.LBB556_76:                             ;   in Loop: Header=BB556_67 Depth=2
	s_mul_i32 s62, s30, s36
	s_delay_alu instid0(SALU_CYCLE_1) | instskip(NEXT) | instid1(SALU_CYCLE_1)
	s_ashr_i32 s63, s62, 31
	v_lshl_add_u64 v[2:3], s[62:63], 1, v[20:21]
	s_clause 0x1
	global_load_u16 v4, v[24:25], off
	global_load_u16 v5, v[22:23], off
	global_load_b64 v[32:33], v[2:3], off
	s_clause 0x1
	global_load_u16 v6, v[28:29], off
	global_load_u16 v41, v[26:27], off
	s_wait_loadcnt 0x3
	s_wait_xcnt 0x2
	v_dual_lshlrev_b32 v3, 16, v4 :: v_dual_lshlrev_b32 v2, 16, v5
	s_wait_loadcnt 0x2
	v_and_b32_e32 v5, 0xffff0000, v32
	v_lshlrev_b32_e32 v4, 16, v32
	v_and_b32_e32 v45, 0xffff0000, v33
	s_delay_alu instid0(VALU_DEP_2) | instskip(SKIP_2) | instid1(VALU_DEP_2)
	v_pk_mul_f32 v[42:43], v[2:3], v[4:5]
	s_wait_loadcnt 0x0
	v_dual_lshlrev_b32 v5, 16, v6 :: v_dual_lshlrev_b32 v4, 16, v41
	v_dual_add_f32 v6, 0, v42 :: v_dual_lshlrev_b32 v44, 16, v33
	s_delay_alu instid0(VALU_DEP_1) | instskip(NEXT) | instid1(VALU_DEP_2)
	v_add_f32_e32 v6, v6, v43
	v_pk_mul_f32 v[32:33], v[4:5], v[44:45]
	s_delay_alu instid0(VALU_DEP_1) | instskip(NEXT) | instid1(VALU_DEP_1)
	v_add_f32_e32 v6, v6, v32
	v_add_f32_e32 v6, v6, v33
	s_wait_xcnt 0x0
	s_and_not1_saveexec_b32 s29, s6
	s_cbranch_execz .LBB556_69
.LBB556_77:                             ;   in Loop: Header=BB556_67 Depth=2
	s_and_saveexec_b32 s41, s5
	s_cbranch_execz .LBB556_84
; %bb.78:                               ;   in Loop: Header=BB556_67 Depth=2
	s_and_not1_b32 vcc_lo, exec_lo, s73
	s_cbranch_vccnz .LBB556_81
; %bb.79:                               ;   in Loop: Header=BB556_67 Depth=2
	v_mov_b32_e32 v32, v8
	s_mov_b64 s[62:63], 0
.LBB556_80:                             ;   Parent Loop BB556_3 Depth=1
                                        ;     Parent Loop BB556_67 Depth=2
                                        ; =>    This Inner Loop Header: Depth=3
	global_load_u16 v33, v32, s[58:59] scale_offset
	s_cmp_eq_u32 s62, 3
	s_wait_xcnt 0x0
	v_add_nc_u32_e32 v32, s10, v32
	s_cselect_b32 vcc_lo, -1, 0
	s_cmp_eq_u32 s62, 2
	s_cselect_b32 s6, -1, 0
	s_cmp_eq_u32 s62, 1
	s_cselect_b32 s7, -1, 0
	s_cmp_eq_u32 s62, 0
	s_add_nc_u64 s[62:63], s[62:63], 1
	s_wait_loadcnt 0x0
	v_lshlrev_b32_e32 v33, 16, v33
	s_delay_alu instid0(VALU_DEP_1) | instskip(SKIP_1) | instid1(SALU_CYCLE_1)
	v_dual_cndmask_b32 v5, v5, v33, vcc_lo :: v_dual_cndmask_b32 v4, v4, v33, s6
	s_cselect_b32 vcc_lo, -1, 0
	v_dual_cndmask_b32 v3, v3, v33, s7 :: v_dual_cndmask_b32 v2, v2, v33, vcc_lo
	s_cmp_eq_u32 s71, s62
	s_cbranch_scc0 .LBB556_80
.LBB556_81:                             ;   in Loop: Header=BB556_67 Depth=2
	s_and_not1_b32 vcc_lo, exec_lo, s73
	s_cbranch_vccnz .LBB556_84
; %bb.82:                               ;   in Loop: Header=BB556_67 Depth=2
	s_ashr_i32 s61, s60, 31
	s_mov_b64 s[6:7], 0
	v_lshl_add_u64 v[32:33], s[60:61], 1, v[30:31]
.LBB556_83:                             ;   Parent Loop BB556_3 Depth=1
                                        ;     Parent Loop BB556_67 Depth=2
                                        ; =>    This Inner Loop Header: Depth=3
	global_load_u16 v41, v[32:33], off
	s_cmp_eq_u32 s6, 1
	s_wait_xcnt 0x0
	v_add_nc_u64_e32 v[32:33], 2, v[32:33]
	s_cselect_b32 vcc_lo, -1, 0
	s_cmp_eq_u32 s6, 2
	v_cndmask_b32_e32 v42, v2, v3, vcc_lo
	s_cselect_b32 vcc_lo, -1, 0
	s_cmp_eq_u32 s6, 3
	s_add_nc_u64 s[6:7], s[6:7], 1
	s_delay_alu instid0(VALU_DEP_1) | instskip(SKIP_2) | instid1(VALU_DEP_1)
	v_cndmask_b32_e32 v42, v42, v4, vcc_lo
	s_cselect_b32 vcc_lo, -1, 0
	s_cmp_lg_u32 s71, s6
	v_cndmask_b32_e32 v42, v42, v5, vcc_lo
	s_wait_loadcnt 0x0
	s_delay_alu instid0(VALU_DEP_1)
	v_fma_mix_f32_bf16 v6, v42, v41, v6 op_sel_hi:[0,1,0]
	s_cbranch_scc1 .LBB556_83
.LBB556_84:                             ;   in Loop: Header=BB556_67 Depth=2
	s_or_b32 exec_lo, exec_lo, s41
	s_delay_alu instid0(SALU_CYCLE_1)
	s_or_b32 exec_lo, exec_lo, s29
	s_and_saveexec_b32 s6, s1
	s_cbranch_execnz .LBB556_70
	s_branch .LBB556_71
.LBB556_85:                             ;   in Loop: Header=BB556_67 Depth=2
	ds_load_b32 v6, v36
	s_or_b32 exec_lo, exec_lo, s6
	s_and_saveexec_b32 s6, s1
	s_cbranch_execz .LBB556_75
.LBB556_86:                             ;   in Loop: Header=BB556_67 Depth=2
	s_wait_dscnt 0x0
	ds_bpermute_b32 v32, v7, v6
	s_wait_dscnt 0x0
	v_add_f32_e32 v6, v6, v32
	ds_bpermute_b32 v32, v34, v6
	s_wait_dscnt 0x0
	v_add_f32_e32 v6, v6, v32
	;; [unrolled: 3-line block ×3, first 2 shown]
	s_or_b32 exec_lo, exec_lo, s6
	s_and_saveexec_b32 s6, s0
	s_cbranch_execz .LBB556_66
.LBB556_87:                             ;   in Loop: Header=BB556_67 Depth=2
	s_mul_u64 s[62:63], s[30:31], s[38:39]
	s_wait_dscnt 0x0
	v_mul_f32_e32 v6, v40, v6
	s_lshl_b64 s[62:63], s[62:63], 2
	s_delay_alu instid0(SALU_CYCLE_1)
	s_add_nc_u64 s[62:63], s[8:9], s[62:63]
	global_store_b32 v0, v6, s[62:63]
	s_branch .LBB556_66
.LBB556_88:
	s_endpgm
	.section	.rodata,"a",@progbits
	.p2align	6, 0x0
	.amdhsa_kernel _ZL23rocblas_gemvt_sn_kernelILb0ELi256ELi4Ei16rocblas_bfloat16PKffEviiT4_lPKT3_lilS6_lilPT5_i
		.amdhsa_group_segment_fixed_size 128
		.amdhsa_private_segment_fixed_size 0
		.amdhsa_kernarg_size 360
		.amdhsa_user_sgpr_count 2
		.amdhsa_user_sgpr_dispatch_ptr 0
		.amdhsa_user_sgpr_queue_ptr 0
		.amdhsa_user_sgpr_kernarg_segment_ptr 1
		.amdhsa_user_sgpr_dispatch_id 0
		.amdhsa_user_sgpr_kernarg_preload_length 0
		.amdhsa_user_sgpr_kernarg_preload_offset 0
		.amdhsa_user_sgpr_private_segment_size 0
		.amdhsa_wavefront_size32 1
		.amdhsa_uses_dynamic_stack 0
		.amdhsa_enable_private_segment 0
		.amdhsa_system_sgpr_workgroup_id_x 1
		.amdhsa_system_sgpr_workgroup_id_y 0
		.amdhsa_system_sgpr_workgroup_id_z 1
		.amdhsa_system_sgpr_workgroup_info 0
		.amdhsa_system_vgpr_workitem_id 0
		.amdhsa_next_free_vgpr 64
		.amdhsa_next_free_sgpr 80
		.amdhsa_named_barrier_count 0
		.amdhsa_reserve_vcc 1
		.amdhsa_float_round_mode_32 0
		.amdhsa_float_round_mode_16_64 0
		.amdhsa_float_denorm_mode_32 3
		.amdhsa_float_denorm_mode_16_64 3
		.amdhsa_fp16_overflow 0
		.amdhsa_memory_ordered 1
		.amdhsa_forward_progress 1
		.amdhsa_inst_pref_size 33
		.amdhsa_round_robin_scheduling 0
		.amdhsa_exception_fp_ieee_invalid_op 0
		.amdhsa_exception_fp_denorm_src 0
		.amdhsa_exception_fp_ieee_div_zero 0
		.amdhsa_exception_fp_ieee_overflow 0
		.amdhsa_exception_fp_ieee_underflow 0
		.amdhsa_exception_fp_ieee_inexact 0
		.amdhsa_exception_int_div_zero 0
	.end_amdhsa_kernel
	.section	.text._ZL23rocblas_gemvt_sn_kernelILb0ELi256ELi4Ei16rocblas_bfloat16PKffEviiT4_lPKT3_lilS6_lilPT5_i,"axG",@progbits,_ZL23rocblas_gemvt_sn_kernelILb0ELi256ELi4Ei16rocblas_bfloat16PKffEviiT4_lPKT3_lilS6_lilPT5_i,comdat
.Lfunc_end556:
	.size	_ZL23rocblas_gemvt_sn_kernelILb0ELi256ELi4Ei16rocblas_bfloat16PKffEviiT4_lPKT3_lilS6_lilPT5_i, .Lfunc_end556-_ZL23rocblas_gemvt_sn_kernelILb0ELi256ELi4Ei16rocblas_bfloat16PKffEviiT4_lPKT3_lilS6_lilPT5_i
                                        ; -- End function
	.set _ZL23rocblas_gemvt_sn_kernelILb0ELi256ELi4Ei16rocblas_bfloat16PKffEviiT4_lPKT3_lilS6_lilPT5_i.num_vgpr, 64
	.set _ZL23rocblas_gemvt_sn_kernelILb0ELi256ELi4Ei16rocblas_bfloat16PKffEviiT4_lPKT3_lilS6_lilPT5_i.num_agpr, 0
	.set _ZL23rocblas_gemvt_sn_kernelILb0ELi256ELi4Ei16rocblas_bfloat16PKffEviiT4_lPKT3_lilS6_lilPT5_i.numbered_sgpr, 80
	.set _ZL23rocblas_gemvt_sn_kernelILb0ELi256ELi4Ei16rocblas_bfloat16PKffEviiT4_lPKT3_lilS6_lilPT5_i.num_named_barrier, 0
	.set _ZL23rocblas_gemvt_sn_kernelILb0ELi256ELi4Ei16rocblas_bfloat16PKffEviiT4_lPKT3_lilS6_lilPT5_i.private_seg_size, 0
	.set _ZL23rocblas_gemvt_sn_kernelILb0ELi256ELi4Ei16rocblas_bfloat16PKffEviiT4_lPKT3_lilS6_lilPT5_i.uses_vcc, 1
	.set _ZL23rocblas_gemvt_sn_kernelILb0ELi256ELi4Ei16rocblas_bfloat16PKffEviiT4_lPKT3_lilS6_lilPT5_i.uses_flat_scratch, 0
	.set _ZL23rocblas_gemvt_sn_kernelILb0ELi256ELi4Ei16rocblas_bfloat16PKffEviiT4_lPKT3_lilS6_lilPT5_i.has_dyn_sized_stack, 0
	.set _ZL23rocblas_gemvt_sn_kernelILb0ELi256ELi4Ei16rocblas_bfloat16PKffEviiT4_lPKT3_lilS6_lilPT5_i.has_recursion, 0
	.set _ZL23rocblas_gemvt_sn_kernelILb0ELi256ELi4Ei16rocblas_bfloat16PKffEviiT4_lPKT3_lilS6_lilPT5_i.has_indirect_call, 0
	.section	.AMDGPU.csdata,"",@progbits
; Kernel info:
; codeLenInByte = 4148
; TotalNumSgprs: 82
; NumVgprs: 64
; ScratchSize: 0
; MemoryBound: 0
; FloatMode: 240
; IeeeMode: 1
; LDSByteSize: 128 bytes/workgroup (compile time only)
; SGPRBlocks: 0
; VGPRBlocks: 3
; NumSGPRsForWavesPerEU: 82
; NumVGPRsForWavesPerEU: 64
; NamedBarCnt: 0
; Occupancy: 16
; WaveLimiterHint : 0
; COMPUTE_PGM_RSRC2:SCRATCH_EN: 0
; COMPUTE_PGM_RSRC2:USER_SGPR: 2
; COMPUTE_PGM_RSRC2:TRAP_HANDLER: 0
; COMPUTE_PGM_RSRC2:TGID_X_EN: 1
; COMPUTE_PGM_RSRC2:TGID_Y_EN: 0
; COMPUTE_PGM_RSRC2:TGID_Z_EN: 1
; COMPUTE_PGM_RSRC2:TIDIG_COMP_CNT: 0
	.section	.text._ZL23rocblas_gemvt_sn_kernelILb0ELi256ELi4El16rocblas_bfloat16PKffEviiT4_lPKT3_lilS6_lilPT5_i,"axG",@progbits,_ZL23rocblas_gemvt_sn_kernelILb0ELi256ELi4El16rocblas_bfloat16PKffEviiT4_lPKT3_lilS6_lilPT5_i,comdat
	.globl	_ZL23rocblas_gemvt_sn_kernelILb0ELi256ELi4El16rocblas_bfloat16PKffEviiT4_lPKT3_lilS6_lilPT5_i ; -- Begin function _ZL23rocblas_gemvt_sn_kernelILb0ELi256ELi4El16rocblas_bfloat16PKffEviiT4_lPKT3_lilS6_lilPT5_i
	.p2align	8
	.type	_ZL23rocblas_gemvt_sn_kernelILb0ELi256ELi4El16rocblas_bfloat16PKffEviiT4_lPKT3_lilS6_lilPT5_i,@function
_ZL23rocblas_gemvt_sn_kernelILb0ELi256ELi4El16rocblas_bfloat16PKffEviiT4_lPKT3_lilS6_lilPT5_i: ; @_ZL23rocblas_gemvt_sn_kernelILb0ELi256ELi4El16rocblas_bfloat16PKffEviiT4_lPKT3_lilS6_lilPT5_i
; %bb.0:
	s_load_b32 s33, s[0:1], 0x60
	s_bfe_u32 s2, ttmp6, 0x40014
	s_lshr_b32 s3, ttmp7, 16
	s_add_co_i32 s2, s2, 1
	s_bfe_u32 s5, ttmp6, 0x40008
	s_mul_i32 s4, s3, s2
	s_getreg_b32 s2, hwreg(HW_REG_IB_STS2, 6, 4)
	s_add_co_i32 s5, s5, s4
	s_cmp_eq_u32 s2, 0
	s_mov_b32 s29, 0
	s_cselect_b32 s10, s3, s5
	s_wait_kmcnt 0x0
	s_cmp_ge_u32 s10, s33
	s_cbranch_scc1 .LBB557_88
; %bb.1:
	s_clause 0x6
	s_load_b32 s30, s[0:1], 0x28
	s_load_b96 s[4:6], s[0:1], 0x40
	s_load_b256 s[12:19], s[0:1], 0x8
	s_load_b64 s[34:35], s[0:1], 0x0
	s_load_b128 s[20:23], s[0:1], 0x30
	s_load_b128 s[24:27], s[0:1], 0x50
	s_load_b32 s36, s[0:1], 0x68
	s_wait_xcnt 0x0
	v_cmp_eq_u32_e64 s0, 0, v0
	v_mbcnt_lo_u32_b32 v42, -1, 0
	v_mov_b64_e32 v[20:21], 0
	s_mov_b32 s37, s29
	s_delay_alu instid0(VALU_DEP_2)
	v_lshl_or_b32 v43, v42, 2, 64
	s_wait_kmcnt 0x0
	s_ashr_i32 s31, s30, 31
	s_ashr_i32 s7, s6, 31
	s_lshl_b64 s[4:5], s[4:5], 1
	s_lshl_b64 s[8:9], s[18:19], 1
	s_ashr_i32 s43, s35, 31
	s_cmp_gt_i32 s35, 0
	s_add_nc_u64 s[18:19], s[22:23], s[4:5]
	s_cselect_b32 s1, -1, 0
	s_bfe_u32 s3, ttmp6, 0x4000c
	s_add_nc_u64 s[4:5], s[16:17], s[8:9]
	s_add_co_i32 s3, s3, 1
	s_and_b32 s8, ttmp6, 15
	s_mul_i32 s3, ttmp9, s3
	s_and_b32 s64, s0, s1
	s_add_co_i32 s8, s8, s3
	s_cmp_eq_u32 s2, 0
	s_mov_b32 s42, s35
	s_cselect_b32 s28, ttmp9, s8
	s_ashr_i32 s2, s34, 31
	s_lshl_b32 s3, s28, 10
	s_lshr_b32 s2, s2, 30
	v_lshl_or_b32 v2, v0, 2, s3
	s_add_co_i32 s2, s34, s2
	s_lshr_b32 s1, s43, 30
	s_and_b32 s2, s2, -4
	s_add_co_i32 s1, s35, s1
	s_sub_co_i32 s66, s34, s2
	v_dual_ashrrev_i32 v3, 31, v2 :: v_dual_add_nc_u32 v1, 4, v2
	v_dual_add_nc_u32 v4, s66, v2 :: v_dual_bitop2_b32 v6, 2, v2 bitop3:0x54
	s_and_b32 s65, s1, -4
	s_delay_alu instid0(VALU_DEP_2) | instskip(SKIP_1) | instid1(VALU_DEP_3)
	v_lshl_add_u64 v[8:9], v[2:3], 1, s[4:5]
	v_mul_u64_e32 v[10:11], s[6:7], v[2:3]
	v_cmp_ge_i32_e64 s2, s34, v4
	v_or_b32_e32 v4, 1, v2
	v_or_b32_e32 v2, 3, v2
	v_cmp_ge_i32_e64 s1, s34, v1
	v_dual_ashrrev_i32 v7, 31, v6 :: v_dual_bitop2_b32 v1, 31, v0 bitop3:0x40
	s_cmp_gt_i32 s65, 0
	v_dual_ashrrev_i32 v3, 31, v2 :: v_dual_ashrrev_i32 v5, 31, v4
	s_cselect_b32 s67, -1, 0
	s_delay_alu instid0(VALU_DEP_2) | instskip(SKIP_1) | instid1(VALU_DEP_2)
	v_mul_u64_e32 v[14:15], s[6:7], v[6:7]
	s_cmp_gt_i32 s66, 0
	v_mul_u64_e32 v[16:17], s[6:7], v[2:3]
	v_mul_u64_e32 v[12:13], s[6:7], v[4:5]
	s_cselect_b32 s34, -1, 0
	s_cmp_gt_u32 s35, 1
	v_cmp_gt_u32_e64 s3, 32, v0
	s_cselect_b32 s8, -1, 0
	s_cmp_eq_u32 s36, 1
	v_cmp_gt_u32_e64 s5, 8, v0
	v_dual_lshrrev_b32 v0, 3, v0 :: v_dual_lshlrev_b32 v40, 2, v1
	s_cselect_b32 s9, -1, 0
	s_and_b32 s68, s35, 0x7ffffffe
	s_and_b32 s69, s8, s9
	s_cmp_lg_u32 s35, s68
	v_cmp_eq_u32_e64 s4, 0, v1
	v_dual_mov_b32 v0, 0 :: v_dual_bitop2_b32 v41, 28, v0 bitop3:0x40
	s_mul_u64 s[16:17], s[42:43], s[36:37]
	s_cselect_b32 s70, -1, 0
	v_lshl_add_u64 v[18:19], v[10:11], 1, s[18:19]
	s_lshl_b64 s[22:23], s[28:29], 2
	s_lshl_b64 s[40:41], s[16:17], 2
	s_add_nc_u64 s[38:39], s[26:27], s[22:23]
	s_lshl_b64 s[42:43], s[42:43], 2
	s_lshl_b64 s[44:45], s[36:37], 2
	;; [unrolled: 1-line block ×8, first 2 shown]
	s_mul_u64 s[58:59], s[30:31], 6
	s_branch .LBB557_3
.LBB557_2:                              ;   in Loop: Header=BB557_3 Depth=1
	s_add_co_i32 s10, s10, 0x10000
	s_delay_alu instid0(SALU_CYCLE_1)
	s_cmp_lt_u32 s10, s33
	s_cbranch_scc0 .LBB557_88
.LBB557_3:                              ; =>This Loop Header: Depth=1
                                        ;     Child Loop BB557_7 Depth 2
                                        ;     Child Loop BB557_11 Depth 2
	;; [unrolled: 1-line block ×3, first 2 shown]
                                        ;       Child Loop BB557_48 Depth 3
                                        ;       Child Loop BB557_51 Depth 3
                                        ;     Child Loop BB557_67 Depth 2
                                        ;       Child Loop BB557_80 Depth 3
                                        ;       Child Loop BB557_83 Depth 3
	s_mov_b32 s11, s29
	s_delay_alu instid0(SALU_CYCLE_1) | instskip(NEXT) | instid1(SALU_CYCLE_1)
	s_mul_u64 s[6:7], s[14:15], s[10:11]
	s_lshl_b64 s[6:7], s[6:7], 2
	s_delay_alu instid0(SALU_CYCLE_1)
	s_add_nc_u64 s[6:7], s[12:13], s[6:7]
	global_load_b32 v44, v0, s[6:7]
	s_wait_xcnt 0x0
	s_mov_b32 s6, -1
	s_wait_loadcnt 0x0
	v_cmp_neq_f32_e32 vcc_lo, 0, v44
	s_cbranch_vccnz .LBB557_13
; %bb.4:                                ;   in Loop: Header=BB557_3 Depth=1
	s_and_saveexec_b32 s8, s64
	s_cbranch_execz .LBB557_12
; %bb.5:                                ;   in Loop: Header=BB557_3 Depth=1
	s_and_not1_b32 vcc_lo, exec_lo, s69
	s_cbranch_vccnz .LBB557_9
; %bb.6:                                ;   in Loop: Header=BB557_3 Depth=1
	s_mul_u64 s[6:7], s[40:41], s[10:11]
	s_mov_b32 s9, s68
	s_add_nc_u64 s[6:7], s[38:39], s[6:7]
.LBB557_7:                              ;   Parent Loop BB557_3 Depth=1
                                        ; =>  This Inner Loop Header: Depth=2
	s_add_co_i32 s9, s9, -2
	global_store_b64 v0, v[20:21], s[6:7]
	s_wait_xcnt 0x0
	s_add_nc_u64 s[6:7], s[6:7], 8
	s_mov_b32 s28, s68
	s_cmp_lg_u32 s9, 0
	s_mov_b32 s60, s70
	s_cbranch_scc1 .LBB557_7
; %bb.8:                                ;   in Loop: Header=BB557_3 Depth=1
	s_and_b32 vcc_lo, exec_lo, s60
	s_cbranch_vccnz .LBB557_10
	s_branch .LBB557_12
.LBB557_9:                              ;   in Loop: Header=BB557_3 Depth=1
	s_mov_b32 s28, 0
	s_cbranch_execz .LBB557_12
.LBB557_10:                             ;   in Loop: Header=BB557_3 Depth=1
	s_mul_u64 s[6:7], s[42:43], s[10:11]
	s_lshl_b64 s[60:61], s[28:29], 2
	s_sub_co_i32 s9, s35, s28
	s_add_nc_u64 s[6:7], s[6:7], s[60:61]
	s_delay_alu instid0(SALU_CYCLE_1) | instskip(NEXT) | instid1(SALU_CYCLE_1)
	s_mul_u64 s[6:7], s[36:37], s[6:7]
	s_add_nc_u64 s[6:7], s[38:39], s[6:7]
.LBB557_11:                             ;   Parent Loop BB557_3 Depth=1
                                        ; =>  This Inner Loop Header: Depth=2
	s_add_co_i32 s9, s9, -1
	global_store_b32 v0, v0, s[6:7]
	s_cmp_eq_u32 s9, 0
	s_wait_xcnt 0x0
	s_add_nc_u64 s[6:7], s[6:7], s[44:45]
	s_cbranch_scc0 .LBB557_11
.LBB557_12:                             ;   in Loop: Header=BB557_3 Depth=1
	s_or_b32 exec_lo, exec_lo, s8
	s_mov_b32 s6, 0
.LBB557_13:                             ;   in Loop: Header=BB557_3 Depth=1
	s_delay_alu instid0(SALU_CYCLE_1)
	s_and_not1_b32 vcc_lo, exec_lo, s6
	s_cbranch_vccnz .LBB557_2
; %bb.14:                               ;   in Loop: Header=BB557_3 Depth=1
	v_mad_nc_u64_u32 v[22:23], s46, s10, v[18:19]
	s_mul_u64 s[6:7], s[24:25], s[10:11]
	s_mul_u64 s[8:9], s[16:17], s[10:11]
	s_lshl_b64 s[6:7], s[6:7], 1
	s_mul_u64 s[60:61], s[20:21], s[10:11]
	s_add_nc_u64 s[6:7], s[18:19], s[6:7]
	s_lshl_b64 s[72:73], s[8:9], 2
	v_lshl_add_u64 v[24:25], s[60:61], 1, v[8:9]
	v_lshl_add_u64 v[26:27], v[10:11], 1, s[6:7]
	;; [unrolled: 1-line block ×4, first 2 shown]
	v_mad_u32 v23, s47, s10, v23
	v_lshl_add_u64 v[32:33], v[16:17], 1, s[6:7]
	v_cmp_gt_u32_e64 s9, 24, v42
	v_cmp_gt_u32_e64 s8, 28, v42
	;; [unrolled: 1-line block ×3, first 2 shown]
	v_cmp_ne_u32_e64 s6, 31, v42
	s_add_nc_u64 s[60:61], s[26:27], s[72:73]
	s_mul_u64 s[62:63], s[50:51], s[10:11]
	s_and_not1_b32 vcc_lo, exec_lo, s67
	s_add_nc_u64 s[60:61], s[60:61], s[22:23]
	s_cbranch_vccnz .LBB557_63
; %bb.15:                               ;   in Loop: Header=BB557_3 Depth=1
	v_cndmask_b32_e64 v4, 0, 8, s9
	v_cndmask_b32_e64 v5, 0, 4, s8
	s_wait_dscnt 0x0
	v_add_co_ci_u32_e64 v35, null, 0, v42, s6
	v_dual_mov_b32 v1, v0 :: v_dual_mov_b32 v2, v0
	s_delay_alu instid0(VALU_DEP_2) | instskip(SKIP_3) | instid1(VALU_DEP_4)
	v_dual_mov_b32 v3, v0 :: v_dual_lshlrev_b32 v48, 2, v35
	v_cndmask_b32_e64 v34, 0, 2, s7
	v_add_lshl_u32 v45, v4, v42, 2
	v_add_lshl_u32 v46, v5, v42, 2
	v_mov_b64_e32 v[4:5], v[2:3]
	v_add_nc_u64_e32 v[6:7], s[62:63], v[8:9]
	v_mov_b64_e32 v[2:3], v[0:1]
	v_add_lshl_u32 v47, v34, v42, 2
	s_mov_b32 s28, 0
	s_branch .LBB557_17
.LBB557_16:                             ;   in Loop: Header=BB557_17 Depth=2
	s_wait_xcnt 0x0
	s_or_b32 exec_lo, exec_lo, s6
	v_add_nc_u64_e32 v[6:7], s[52:53], v[6:7]
	s_add_co_i32 s28, s28, 4
	s_delay_alu instid0(SALU_CYCLE_1)
	s_cmp_ge_i32 s28, s65
	s_cbranch_scc1 .LBB557_64
.LBB557_17:                             ;   Parent Loop BB557_3 Depth=1
                                        ; =>  This Loop Header: Depth=2
                                        ;       Child Loop BB557_48 Depth 3
                                        ;       Child Loop BB557_51 Depth 3
                                        ; implicit-def: $vgpr35
                                        ; implicit-def: $vgpr37
	s_and_saveexec_b32 s6, s1
	s_delay_alu instid0(SALU_CYCLE_1)
	s_xor_b32 s6, exec_lo, s6
	s_cbranch_execnz .LBB557_44
; %bb.18:                               ;   in Loop: Header=BB557_17 Depth=2
	s_and_not1_saveexec_b32 s11, s6
	s_cbranch_execnz .LBB557_45
.LBB557_19:                             ;   in Loop: Header=BB557_17 Depth=2
	s_or_b32 exec_lo, exec_lo, s11
	s_and_saveexec_b32 s6, s3
.LBB557_20:                             ;   in Loop: Header=BB557_17 Depth=2
	ds_store_b32 v40, v0
.LBB557_21:                             ;   in Loop: Header=BB557_17 Depth=2
	s_or_b32 exec_lo, exec_lo, s6
	ds_bpermute_b32 v1, v43, v36
	s_wait_storecnt_dscnt 0x0
	s_barrier_signal -1
	s_barrier_wait -1
	v_add_f32_e32 v1, v36, v1
	ds_bpermute_b32 v36, v45, v1
	s_wait_dscnt 0x0
	v_add_f32_e32 v1, v1, v36
	ds_bpermute_b32 v36, v46, v1
	s_wait_dscnt 0x0
	;; [unrolled: 3-line block ×3, first 2 shown]
	v_add_f32_e32 v1, v1, v36
	ds_bpermute_b32 v36, v48, v1
	s_and_saveexec_b32 s6, s4
	s_cbranch_execz .LBB557_23
; %bb.22:                               ;   in Loop: Header=BB557_17 Depth=2
	s_wait_dscnt 0x0
	v_add_f32_e32 v1, v1, v36
	ds_store_b32 v41, v1
.LBB557_23:                             ;   in Loop: Header=BB557_17 Depth=2
	s_or_b32 exec_lo, exec_lo, s6
	v_mov_b32_e32 v1, 0
	s_wait_dscnt 0x0
	s_barrier_signal -1
	s_barrier_wait -1
	s_and_saveexec_b32 s6, s5
	s_cbranch_execnz .LBB557_52
; %bb.24:                               ;   in Loop: Header=BB557_17 Depth=2
	s_or_b32 exec_lo, exec_lo, s6
	s_and_saveexec_b32 s6, s3
	s_cbranch_execnz .LBB557_53
.LBB557_25:                             ;   in Loop: Header=BB557_17 Depth=2
	s_or_b32 exec_lo, exec_lo, s6
	s_and_saveexec_b32 s6, s3
.LBB557_26:                             ;   in Loop: Header=BB557_17 Depth=2
	ds_store_b32 v40, v0
.LBB557_27:                             ;   in Loop: Header=BB557_17 Depth=2
	s_or_b32 exec_lo, exec_lo, s6
	ds_bpermute_b32 v36, v43, v37
	s_wait_dscnt 0x0
	s_barrier_signal -1
	s_barrier_wait -1
	v_add_f32_e32 v36, v37, v36
	ds_bpermute_b32 v37, v45, v36
	s_wait_dscnt 0x0
	v_add_f32_e32 v36, v36, v37
	ds_bpermute_b32 v37, v46, v36
	s_wait_dscnt 0x0
	;; [unrolled: 3-line block ×3, first 2 shown]
	v_add_f32_e32 v36, v36, v37
	ds_bpermute_b32 v37, v48, v36
	s_and_saveexec_b32 s6, s4
	s_cbranch_execz .LBB557_29
; %bb.28:                               ;   in Loop: Header=BB557_17 Depth=2
	s_wait_dscnt 0x0
	v_add_f32_e32 v36, v36, v37
	ds_store_b32 v41, v36
.LBB557_29:                             ;   in Loop: Header=BB557_17 Depth=2
	s_or_b32 exec_lo, exec_lo, s6
	v_mov_b32_e32 v36, 0
	s_wait_dscnt 0x0
	s_barrier_signal -1
	s_barrier_wait -1
	s_and_saveexec_b32 s6, s5
	s_cbranch_execnz .LBB557_54
; %bb.30:                               ;   in Loop: Header=BB557_17 Depth=2
	s_or_b32 exec_lo, exec_lo, s6
	s_and_saveexec_b32 s6, s3
	s_cbranch_execnz .LBB557_55
.LBB557_31:                             ;   in Loop: Header=BB557_17 Depth=2
	s_or_b32 exec_lo, exec_lo, s6
	s_and_saveexec_b32 s6, s3
.LBB557_32:                             ;   in Loop: Header=BB557_17 Depth=2
	ds_store_b32 v40, v0
.LBB557_33:                             ;   in Loop: Header=BB557_17 Depth=2
	s_or_b32 exec_lo, exec_lo, s6
	ds_bpermute_b32 v37, v43, v34
	s_wait_dscnt 0x0
	s_barrier_signal -1
	s_barrier_wait -1
	v_add_f32_e32 v34, v34, v37
	ds_bpermute_b32 v37, v45, v34
	s_wait_dscnt 0x0
	v_add_f32_e32 v34, v34, v37
	ds_bpermute_b32 v37, v46, v34
	s_wait_dscnt 0x0
	;; [unrolled: 3-line block ×3, first 2 shown]
	v_add_f32_e32 v34, v34, v37
	ds_bpermute_b32 v37, v48, v34
	s_and_saveexec_b32 s6, s4
	s_cbranch_execz .LBB557_35
; %bb.34:                               ;   in Loop: Header=BB557_17 Depth=2
	s_wait_dscnt 0x0
	v_add_f32_e32 v34, v34, v37
	ds_store_b32 v41, v34
.LBB557_35:                             ;   in Loop: Header=BB557_17 Depth=2
	s_or_b32 exec_lo, exec_lo, s6
	v_mov_b32_e32 v34, 0
	s_wait_dscnt 0x0
	s_barrier_signal -1
	s_barrier_wait -1
	s_and_saveexec_b32 s6, s5
	s_cbranch_execnz .LBB557_56
; %bb.36:                               ;   in Loop: Header=BB557_17 Depth=2
	s_or_b32 exec_lo, exec_lo, s6
	s_and_saveexec_b32 s6, s3
	s_cbranch_execnz .LBB557_57
.LBB557_37:                             ;   in Loop: Header=BB557_17 Depth=2
	s_or_b32 exec_lo, exec_lo, s6
	s_and_saveexec_b32 s6, s3
.LBB557_38:                             ;   in Loop: Header=BB557_17 Depth=2
	ds_store_b32 v40, v0
.LBB557_39:                             ;   in Loop: Header=BB557_17 Depth=2
	s_or_b32 exec_lo, exec_lo, s6
	ds_bpermute_b32 v37, v43, v35
	s_wait_dscnt 0x0
	s_barrier_signal -1
	s_barrier_wait -1
	v_add_f32_e32 v35, v35, v37
	ds_bpermute_b32 v37, v45, v35
	s_wait_dscnt 0x0
	v_add_f32_e32 v35, v35, v37
	ds_bpermute_b32 v37, v46, v35
	s_wait_dscnt 0x0
	;; [unrolled: 3-line block ×3, first 2 shown]
	v_add_f32_e32 v35, v35, v37
	ds_bpermute_b32 v37, v48, v35
	s_and_saveexec_b32 s6, s4
	s_cbranch_execz .LBB557_41
; %bb.40:                               ;   in Loop: Header=BB557_17 Depth=2
	s_wait_dscnt 0x0
	v_add_f32_e32 v35, v35, v37
	ds_store_b32 v41, v35
.LBB557_41:                             ;   in Loop: Header=BB557_17 Depth=2
	s_or_b32 exec_lo, exec_lo, s6
	v_mov_b32_e32 v35, 0
	s_wait_dscnt 0x0
	s_barrier_signal -1
	s_barrier_wait -1
	s_and_saveexec_b32 s6, s5
	s_cbranch_execnz .LBB557_58
; %bb.42:                               ;   in Loop: Header=BB557_17 Depth=2
	s_or_b32 exec_lo, exec_lo, s6
	s_and_saveexec_b32 s6, s3
	s_cbranch_execnz .LBB557_59
.LBB557_43:                             ;   in Loop: Header=BB557_17 Depth=2
	s_or_b32 exec_lo, exec_lo, s6
	s_and_saveexec_b32 s6, s0
	s_cbranch_execz .LBB557_16
	s_branch .LBB557_60
.LBB557_44:                             ;   in Loop: Header=BB557_17 Depth=2
	s_mul_u64 s[8:9], s[28:29], s[30:31]
	s_or_b32 s72, s28, 2
	s_mov_b32 s73, s29
	v_lshl_add_u64 v[2:3], s[8:9], 1, v[24:25]
	s_or_b32 s8, s28, 3
	s_mov_b32 s9, s29
	s_mul_u64 s[72:73], s[72:73], s[30:31]
	s_mul_u64 s[8:9], s[8:9], s[30:31]
	v_lshl_add_u64 v[4:5], s[72:73], 1, v[24:25]
	s_wait_dscnt 0x0
	v_lshl_add_u64 v[34:35], s[8:9], 1, v[24:25]
	s_clause 0x3
	global_load_u16 v1, v[26:27], off
	global_load_u16 v49, v[28:29], off
	;; [unrolled: 1-line block ×4, first 2 shown]
	s_clause 0x2
	global_load_b64 v[36:37], v[2:3], off
	global_load_b64 v[4:5], v[4:5], off
	;; [unrolled: 1-line block ×3, first 2 shown]
	s_or_b32 s8, s28, 1
	s_mov_b32 s9, s29
	s_delay_alu instid0(SALU_CYCLE_1)
	s_mul_u64 s[8:9], s[8:9], s[30:31]
	s_wait_xcnt 0x2
	v_lshl_add_u64 v[2:3], s[8:9], 1, v[24:25]
	global_load_b64 v[38:39], v[2:3], off
	s_wait_loadcnt 0x7
	s_wait_xcnt 0x0
	v_lshlrev_b32_e32 v2, 16, v1
	s_wait_loadcnt 0x5
	v_dual_lshlrev_b32 v51, 16, v49 :: v_dual_lshlrev_b32 v54, 16, v50
	s_wait_loadcnt 0x4
	v_lshlrev_b32_e32 v53, 16, v52
	s_wait_loadcnt 0x3
	v_dual_lshlrev_b32 v60, 16, v36 :: v_dual_lshlrev_b32 v62, 16, v37
	s_wait_loadcnt 0x1
	v_dual_lshlrev_b32 v1, 16, v4 :: v_dual_lshlrev_b32 v50, 16, v34
	v_and_b32_e32 v3, 0xffff0000, v34
	v_and_b32_e32 v49, 0xffff0000, v4
	v_dual_lshlrev_b32 v57, 16, v5 :: v_dual_lshlrev_b32 v52, 16, v35
	v_and_b32_e32 v59, 0xffff0000, v5
	s_delay_alu instid0(VALU_DEP_4) | instskip(SKIP_3) | instid1(VALU_DEP_3)
	v_pk_mul_f32 v[4:5], v[50:51], v[2:3]
	v_and_b32_e32 v55, 0xffff0000, v35
	v_dual_mul_f32 v34, v2, v1 :: v_dual_mov_b32 v3, v51
	s_wait_loadcnt 0x0
	v_dual_lshlrev_b32 v61, 16, v38 :: v_dual_mov_b32 v35, v4
	v_dual_mov_b32 v56, v51 :: v_dual_mov_b32 v58, v53
	v_and_b32_e32 v36, 0xffff0000, v36
	v_and_b32_e32 v64, 0xffff0000, v37
	;; [unrolled: 1-line block ×3, first 2 shown]
	v_dual_mul_f32 v4, v51, v49 :: v_dual_lshlrev_b32 v63, 16, v39
	v_pk_mul_f32 v[50:51], v[52:53], v[54:55]
	v_pk_add_f32 v[34:35], v[34:35], 0 op_sel_hi:[1,0]
	v_pk_fma_f32 v[60:61], v[2:3], v[60:61], 0 op_sel_hi:[0,1,0]
	v_mul_f32_e32 v66, v54, v57
	v_and_b32_e32 v65, 0xffff0000, v39
	v_mov_b32_e32 v67, v50
	v_pk_add_f32 v[4:5], v[34:35], v[4:5]
	v_pk_fma_f32 v[34:35], v[56:57], v[36:37], v[60:61] op_sel_hi:[0,1,1]
	v_mul_f32_e32 v50, v53, v59
	s_delay_alu instid0(VALU_DEP_3) | instskip(NEXT) | instid1(VALU_DEP_3)
	v_pk_add_f32 v[36:37], v[4:5], v[66:67]
	v_pk_fma_f32 v[38:39], v[54:55], v[62:63], v[34:35] op_sel_hi:[0,1,1]
	v_dual_mov_b32 v4, v54 :: v_dual_mov_b32 v5, v53
	s_delay_alu instid0(VALU_DEP_3) | instskip(NEXT) | instid1(VALU_DEP_3)
	v_pk_add_f32 v[34:35], v[36:37], v[50:51]
	v_pk_fma_f32 v[36:37], v[58:59], v[64:65], v[38:39] op_sel_hi:[0,1,1]
	s_and_not1_saveexec_b32 s11, s6
	s_cbranch_execz .LBB557_19
.LBB557_45:                             ;   in Loop: Header=BB557_17 Depth=2
	s_wait_dscnt 0x0
	v_dual_mov_b32 v35, 0 :: v_dual_mov_b32 v34, 0
	v_dual_mov_b32 v37, 0 :: v_dual_mov_b32 v36, 0
	s_and_saveexec_b32 s71, s2
	s_cbranch_execz .LBB557_62
; %bb.46:                               ;   in Loop: Header=BB557_17 Depth=2
	s_and_not1_b32 vcc_lo, exec_lo, s34
	s_cbranch_vccnz .LBB557_49
; %bb.47:                               ;   in Loop: Header=BB557_17 Depth=2
	v_mov_b64_e32 v[34:35], v[22:23]
	s_mov_b64 s[8:9], 0
.LBB557_48:                             ;   Parent Loop BB557_3 Depth=1
                                        ;     Parent Loop BB557_17 Depth=2
                                        ; =>    This Inner Loop Header: Depth=3
	global_load_u16 v1, v[34:35], off
	s_cmp_eq_u32 s8, 3
	s_wait_xcnt 0x0
	v_add_nc_u64_e32 v[34:35], s[48:49], v[34:35]
	s_cselect_b32 vcc_lo, -1, 0
	s_cmp_eq_u32 s8, 2
	s_cselect_b32 s6, -1, 0
	s_cmp_eq_u32 s8, 1
	s_cselect_b32 s7, -1, 0
	s_cmp_eq_u32 s8, 0
	s_add_nc_u64 s[8:9], s[8:9], 1
	s_wait_loadcnt 0x0
	v_lshlrev_b32_e32 v1, 16, v1
	s_delay_alu instid0(VALU_DEP_1) | instskip(SKIP_1) | instid1(SALU_CYCLE_1)
	v_dual_cndmask_b32 v5, v5, v1, vcc_lo :: v_dual_cndmask_b32 v4, v4, v1, s6
	s_cselect_b32 vcc_lo, -1, 0
	v_dual_cndmask_b32 v3, v3, v1, s7 :: v_dual_cndmask_b32 v2, v2, v1, vcc_lo
	s_cmp_eq_u32 s66, s8
	s_cbranch_scc0 .LBB557_48
.LBB557_49:                             ;   in Loop: Header=BB557_17 Depth=2
	s_and_not1_b32 vcc_lo, exec_lo, s34
	s_cbranch_vccnz .LBB557_61
; %bb.50:                               ;   in Loop: Header=BB557_17 Depth=2
	v_mov_b32_e32 v36, 0
	v_mov_b64_e32 v[38:39], v[6:7]
	s_mov_b64 s[6:7], 0
	s_delay_alu instid0(VALU_DEP_2)
	v_dual_mov_b32 v37, v36 :: v_dual_mov_b32 v34, v36
	v_mov_b32_e32 v35, v36
.LBB557_51:                             ;   Parent Loop BB557_3 Depth=1
                                        ;     Parent Loop BB557_17 Depth=2
                                        ; =>    This Inner Loop Header: Depth=3
	s_delay_alu instid0(VALU_DEP_3)
	v_add_nc_u64_e32 v[50:51], s[54:55], v[38:39]
	v_add_nc_u64_e32 v[52:53], s[58:59], v[38:39]
	v_add_nc_u64_e32 v[54:55], s[56:57], v[38:39]
	s_cmp_eq_u32 s6, 1
	s_clause 0x3
	global_load_u16 v1, v[38:39], off
	global_load_u16 v49, v[50:51], off
	;; [unrolled: 1-line block ×4, first 2 shown]
	s_cselect_b32 vcc_lo, -1, 0
	s_cmp_eq_u32 s6, 2
	v_cndmask_b32_e32 v50, v2, v3, vcc_lo
	s_cselect_b32 vcc_lo, -1, 0
	s_cmp_eq_u32 s6, 3
	v_add_nc_u64_e32 v[38:39], 2, v[38:39]
	s_add_nc_u64 s[6:7], s[6:7], 1
	s_wait_loadcnt 0x3
	s_wait_xcnt 0x1
	v_dual_lshlrev_b32 v52, 16, v1 :: v_dual_cndmask_b32 v50, v50, v4, vcc_lo
	s_wait_loadcnt 0x2
	v_lshlrev_b32_e32 v53, 16, v49
	s_cselect_b32 vcc_lo, -1, 0
	s_wait_loadcnt 0x0
	v_dual_lshlrev_b32 v54, 16, v54 :: v_dual_lshlrev_b32 v55, 16, v51
	v_cndmask_b32_e32 v50, v50, v5, vcc_lo
	s_cmp_lg_u32 s66, s6
	s_delay_alu instid0(VALU_DEP_1) | instskip(NEXT) | instid1(VALU_DEP_3)
	v_pk_fma_f32 v[36:37], v[50:51], v[52:53], v[36:37] op_sel_hi:[0,1,1]
	v_pk_fma_f32 v[34:35], v[50:51], v[54:55], v[34:35] op_sel_hi:[0,1,1]
	s_cbranch_scc1 .LBB557_51
	s_branch .LBB557_62
.LBB557_52:                             ;   in Loop: Header=BB557_17 Depth=2
	ds_load_b32 v1, v40
	s_or_b32 exec_lo, exec_lo, s6
	s_and_saveexec_b32 s6, s3
	s_cbranch_execz .LBB557_25
.LBB557_53:                             ;   in Loop: Header=BB557_17 Depth=2
	s_wait_dscnt 0x0
	ds_bpermute_b32 v36, v46, v1
	s_wait_dscnt 0x0
	v_add_f32_e32 v1, v1, v36
	ds_bpermute_b32 v36, v47, v1
	s_wait_dscnt 0x0
	v_add_f32_e32 v1, v1, v36
	ds_bpermute_b32 v36, v48, v1
	s_wait_dscnt 0x0
	v_add_f32_e32 v1, v1, v36
	s_or_b32 exec_lo, exec_lo, s6
	s_and_saveexec_b32 s6, s3
	s_cbranch_execnz .LBB557_26
	s_branch .LBB557_27
.LBB557_54:                             ;   in Loop: Header=BB557_17 Depth=2
	ds_load_b32 v36, v40
	s_or_b32 exec_lo, exec_lo, s6
	s_and_saveexec_b32 s6, s3
	s_cbranch_execz .LBB557_31
.LBB557_55:                             ;   in Loop: Header=BB557_17 Depth=2
	s_wait_dscnt 0x0
	ds_bpermute_b32 v37, v46, v36
	s_wait_dscnt 0x0
	v_add_f32_e32 v36, v36, v37
	ds_bpermute_b32 v37, v47, v36
	s_wait_dscnt 0x0
	v_add_f32_e32 v36, v36, v37
	;; [unrolled: 3-line block ×3, first 2 shown]
	s_or_b32 exec_lo, exec_lo, s6
	s_and_saveexec_b32 s6, s3
	s_cbranch_execnz .LBB557_32
	s_branch .LBB557_33
.LBB557_56:                             ;   in Loop: Header=BB557_17 Depth=2
	ds_load_b32 v34, v40
	s_or_b32 exec_lo, exec_lo, s6
	s_and_saveexec_b32 s6, s3
	s_cbranch_execz .LBB557_37
.LBB557_57:                             ;   in Loop: Header=BB557_17 Depth=2
	s_wait_dscnt 0x0
	ds_bpermute_b32 v37, v46, v34
	s_wait_dscnt 0x0
	v_add_f32_e32 v34, v34, v37
	ds_bpermute_b32 v37, v47, v34
	s_wait_dscnt 0x0
	v_add_f32_e32 v34, v34, v37
	;; [unrolled: 3-line block ×3, first 2 shown]
	s_or_b32 exec_lo, exec_lo, s6
	s_and_saveexec_b32 s6, s3
	s_cbranch_execnz .LBB557_38
	s_branch .LBB557_39
.LBB557_58:                             ;   in Loop: Header=BB557_17 Depth=2
	ds_load_b32 v35, v40
	s_or_b32 exec_lo, exec_lo, s6
	s_and_saveexec_b32 s6, s3
	s_cbranch_execz .LBB557_43
.LBB557_59:                             ;   in Loop: Header=BB557_17 Depth=2
	s_wait_dscnt 0x0
	ds_bpermute_b32 v37, v46, v35
	s_wait_dscnt 0x0
	v_add_f32_e32 v35, v35, v37
	ds_bpermute_b32 v37, v47, v35
	s_wait_dscnt 0x0
	v_add_f32_e32 v35, v35, v37
	;; [unrolled: 3-line block ×3, first 2 shown]
	s_or_b32 exec_lo, exec_lo, s6
	s_and_saveexec_b32 s6, s0
	s_cbranch_execz .LBB557_16
.LBB557_60:                             ;   in Loop: Header=BB557_17 Depth=2
	s_or_b32 s72, s28, 1
	s_mov_b32 s73, s29
	s_mul_u64 s[8:9], s[28:29], s[36:37]
	v_dual_mul_f32 v1, v44, v1 :: v_dual_mul_f32 v36, v44, v36
	s_mul_u64 s[72:73], s[72:73], s[36:37]
	s_lshl_b64 s[8:9], s[8:9], 2
	s_lshl_b64 s[72:73], s[72:73], 2
	s_add_nc_u64 s[8:9], s[60:61], s[8:9]
	s_add_nc_u64 s[72:73], s[60:61], s[72:73]
	s_clause 0x1
	global_store_b32 v0, v1, s[8:9]
	global_store_b32 v0, v36, s[72:73]
	s_wait_xcnt 0x1
	s_or_b32 s8, s28, 2
	s_mov_b32 s9, s29
	s_wait_xcnt 0x0
	s_or_b32 s72, s28, 3
	s_mov_b32 s73, s29
	s_mul_u64 s[8:9], s[8:9], s[36:37]
	s_wait_dscnt 0x0
	v_dual_mul_f32 v1, v44, v34 :: v_dual_mul_f32 v34, v44, v35
	s_mul_u64 s[72:73], s[72:73], s[36:37]
	s_lshl_b64 s[8:9], s[8:9], 2
	s_lshl_b64 s[72:73], s[72:73], 2
	s_add_nc_u64 s[8:9], s[60:61], s[8:9]
	s_add_nc_u64 s[72:73], s[60:61], s[72:73]
	s_clause 0x1
	global_store_b32 v0, v1, s[8:9]
	global_store_b32 v0, v34, s[72:73]
	s_branch .LBB557_16
.LBB557_61:                             ;   in Loop: Header=BB557_17 Depth=2
	v_mov_b32_e32 v35, 0
	s_delay_alu instid0(VALU_DEP_1)
	v_dual_mov_b32 v34, v35 :: v_dual_mov_b32 v37, v35
	v_mov_b32_e32 v36, v35
.LBB557_62:                             ;   in Loop: Header=BB557_17 Depth=2
	s_or_b32 exec_lo, exec_lo, s71
	s_delay_alu instid0(SALU_CYCLE_1)
	s_or_b32 exec_lo, exec_lo, s11
	s_and_saveexec_b32 s6, s3
	s_cbranch_execnz .LBB557_20
	s_branch .LBB557_21
.LBB557_63:                             ;   in Loop: Header=BB557_3 Depth=1
	v_dual_mov_b32 v1, v0 :: v_dual_mov_b32 v2, v0
	v_mov_b32_e32 v3, v0
	s_mov_b32 s28, 0
	s_delay_alu instid0(VALU_DEP_1) | instskip(NEXT) | instid1(VALU_DEP_3)
	v_mov_b64_e32 v[4:5], v[2:3]
	v_mov_b64_e32 v[2:3], v[0:1]
.LBB557_64:                             ;   in Loop: Header=BB557_3 Depth=1
	s_cmp_ge_i32 s28, s35
	s_cbranch_scc1 .LBB557_2
; %bb.65:                               ;   in Loop: Header=BB557_3 Depth=1
	v_cmp_gt_u32_e32 vcc_lo, 24, v42
	s_mul_u64 s[6:7], s[54:55], s[28:29]
	s_delay_alu instid0(SALU_CYCLE_1) | instskip(SKIP_4) | instid1(VALU_DEP_2)
	s_add_nc_u64 s[6:7], s[6:7], s[62:63]
	s_wait_dscnt 0x0
	v_add_nc_u64_e32 v[34:35], s[6:7], v[8:9]
	v_cndmask_b32_e64 v1, 0, 8, vcc_lo
	v_cmp_gt_u32_e32 vcc_lo, 28, v42
	v_add_lshl_u32 v1, v1, v42, 2
	v_cndmask_b32_e64 v6, 0, 4, vcc_lo
	v_cmp_gt_u32_e32 vcc_lo, 30, v42
	s_delay_alu instid0(VALU_DEP_2) | instskip(SKIP_2) | instid1(VALU_DEP_2)
	v_add_lshl_u32 v7, v6, v42, 2
	v_cndmask_b32_e64 v36, 0, 2, vcc_lo
	v_cmp_ne_u32_e32 vcc_lo, 31, v42
	v_add_lshl_u32 v38, v36, v42, 2
	v_add_co_ci_u32_e64 v37, null, 0, v42, vcc_lo
	s_delay_alu instid0(VALU_DEP_1)
	v_lshlrev_b32_e32 v39, 2, v37
	s_branch .LBB557_67
.LBB557_66:                             ;   in Loop: Header=BB557_67 Depth=2
	s_wait_xcnt 0x0
	s_or_b32 exec_lo, exec_lo, s6
	v_add_nc_u64_e32 v[34:35], s[54:55], v[34:35]
	s_add_co_i32 s28, s28, 1
	s_delay_alu instid0(SALU_CYCLE_1)
	s_cmp_ge_i32 s28, s35
	s_cbranch_scc1 .LBB557_2
.LBB557_67:                             ;   Parent Loop BB557_3 Depth=1
                                        ; =>  This Loop Header: Depth=2
                                        ;       Child Loop BB557_80 Depth 3
                                        ;       Child Loop BB557_83 Depth 3
	s_wait_dscnt 0x0
	v_mov_b32_e32 v6, s29
	s_and_saveexec_b32 s6, s1
	s_delay_alu instid0(SALU_CYCLE_1)
	s_xor_b32 s6, exec_lo, s6
	s_cbranch_execnz .LBB557_76
; %bb.68:                               ;   in Loop: Header=BB557_67 Depth=2
	s_and_not1_saveexec_b32 s11, s6
	s_cbranch_execnz .LBB557_77
.LBB557_69:                             ;   in Loop: Header=BB557_67 Depth=2
	s_or_b32 exec_lo, exec_lo, s11
	s_and_saveexec_b32 s6, s3
.LBB557_70:                             ;   in Loop: Header=BB557_67 Depth=2
	ds_store_b32 v40, v0
.LBB557_71:                             ;   in Loop: Header=BB557_67 Depth=2
	s_or_b32 exec_lo, exec_lo, s6
	ds_bpermute_b32 v36, v43, v6
	s_wait_storecnt_dscnt 0x0
	s_barrier_signal -1
	s_barrier_wait -1
	v_add_f32_e32 v6, v6, v36
	ds_bpermute_b32 v36, v1, v6
	s_wait_dscnt 0x0
	v_add_f32_e32 v6, v6, v36
	ds_bpermute_b32 v36, v7, v6
	s_wait_dscnt 0x0
	;; [unrolled: 3-line block ×3, first 2 shown]
	v_add_f32_e32 v6, v6, v36
	ds_bpermute_b32 v36, v39, v6
	s_and_saveexec_b32 s6, s4
	s_cbranch_execz .LBB557_73
; %bb.72:                               ;   in Loop: Header=BB557_67 Depth=2
	s_wait_dscnt 0x0
	v_add_f32_e32 v6, v6, v36
	ds_store_b32 v41, v6
.LBB557_73:                             ;   in Loop: Header=BB557_67 Depth=2
	s_or_b32 exec_lo, exec_lo, s6
	v_mov_b32_e32 v6, 0
	s_wait_dscnt 0x0
	s_barrier_signal -1
	s_barrier_wait -1
	s_and_saveexec_b32 s6, s5
	s_cbranch_execnz .LBB557_85
; %bb.74:                               ;   in Loop: Header=BB557_67 Depth=2
	s_or_b32 exec_lo, exec_lo, s6
	s_and_saveexec_b32 s6, s3
	s_cbranch_execnz .LBB557_86
.LBB557_75:                             ;   in Loop: Header=BB557_67 Depth=2
	s_or_b32 exec_lo, exec_lo, s6
	s_and_saveexec_b32 s6, s0
	s_cbranch_execz .LBB557_66
	s_branch .LBB557_87
.LBB557_76:                             ;   in Loop: Header=BB557_67 Depth=2
	s_mul_u64 s[8:9], s[28:29], s[30:31]
	s_delay_alu instid0(SALU_CYCLE_1)
	v_lshl_add_u64 v[2:3], s[8:9], 1, v[24:25]
	s_clause 0x1
	global_load_u16 v4, v[28:29], off
	global_load_u16 v5, v[26:27], off
	global_load_b64 v[36:37], v[2:3], off
	s_clause 0x1
	global_load_u16 v6, v[32:33], off
	global_load_u16 v45, v[30:31], off
	s_wait_loadcnt 0x3
	s_wait_xcnt 0x2
	v_dual_lshlrev_b32 v3, 16, v4 :: v_dual_lshlrev_b32 v2, 16, v5
	s_wait_loadcnt 0x2
	v_and_b32_e32 v5, 0xffff0000, v36
	v_lshlrev_b32_e32 v4, 16, v36
	v_and_b32_e32 v49, 0xffff0000, v37
	s_delay_alu instid0(VALU_DEP_2) | instskip(SKIP_2) | instid1(VALU_DEP_2)
	v_pk_mul_f32 v[46:47], v[2:3], v[4:5]
	s_wait_loadcnt 0x0
	v_dual_lshlrev_b32 v5, 16, v6 :: v_dual_lshlrev_b32 v4, 16, v45
	v_dual_add_f32 v6, 0, v46 :: v_dual_lshlrev_b32 v48, 16, v37
	s_delay_alu instid0(VALU_DEP_1) | instskip(NEXT) | instid1(VALU_DEP_2)
	v_add_f32_e32 v6, v6, v47
	v_pk_mul_f32 v[36:37], v[4:5], v[48:49]
	s_delay_alu instid0(VALU_DEP_1) | instskip(NEXT) | instid1(VALU_DEP_1)
	v_add_f32_e32 v6, v6, v36
	v_add_f32_e32 v6, v6, v37
	s_wait_xcnt 0x0
	s_and_not1_saveexec_b32 s11, s6
	s_cbranch_execz .LBB557_69
.LBB557_77:                             ;   in Loop: Header=BB557_67 Depth=2
	s_and_saveexec_b32 s62, s2
	s_cbranch_execz .LBB557_84
; %bb.78:                               ;   in Loop: Header=BB557_67 Depth=2
	s_and_not1_b32 vcc_lo, exec_lo, s34
	s_cbranch_vccnz .LBB557_81
; %bb.79:                               ;   in Loop: Header=BB557_67 Depth=2
	v_mov_b64_e32 v[36:37], v[22:23]
	s_mov_b64 s[8:9], 0
.LBB557_80:                             ;   Parent Loop BB557_3 Depth=1
                                        ;     Parent Loop BB557_67 Depth=2
                                        ; =>    This Inner Loop Header: Depth=3
	global_load_u16 v45, v[36:37], off
	s_cmp_eq_u32 s8, 3
	s_wait_xcnt 0x0
	v_add_nc_u64_e32 v[36:37], s[48:49], v[36:37]
	s_cselect_b32 vcc_lo, -1, 0
	s_cmp_eq_u32 s8, 2
	s_cselect_b32 s6, -1, 0
	s_cmp_eq_u32 s8, 1
	s_cselect_b32 s7, -1, 0
	s_cmp_eq_u32 s8, 0
	s_add_nc_u64 s[8:9], s[8:9], 1
	s_wait_loadcnt 0x0
	v_lshlrev_b32_e32 v45, 16, v45
	s_delay_alu instid0(VALU_DEP_1) | instskip(SKIP_1) | instid1(SALU_CYCLE_1)
	v_dual_cndmask_b32 v5, v5, v45, vcc_lo :: v_dual_cndmask_b32 v4, v4, v45, s6
	s_cselect_b32 vcc_lo, -1, 0
	v_dual_cndmask_b32 v3, v3, v45, s7 :: v_dual_cndmask_b32 v2, v2, v45, vcc_lo
	s_cmp_eq_u32 s66, s8
	s_cbranch_scc0 .LBB557_80
.LBB557_81:                             ;   in Loop: Header=BB557_67 Depth=2
	s_and_not1_b32 vcc_lo, exec_lo, s34
	s_cbranch_vccnz .LBB557_84
; %bb.82:                               ;   in Loop: Header=BB557_67 Depth=2
	v_mov_b64_e32 v[36:37], v[34:35]
	s_mov_b64 s[6:7], 0
.LBB557_83:                             ;   Parent Loop BB557_3 Depth=1
                                        ;     Parent Loop BB557_67 Depth=2
                                        ; =>    This Inner Loop Header: Depth=3
	global_load_u16 v45, v[36:37], off
	s_cmp_eq_u32 s6, 1
	s_wait_xcnt 0x0
	v_add_nc_u64_e32 v[36:37], 2, v[36:37]
	s_cselect_b32 vcc_lo, -1, 0
	s_cmp_eq_u32 s6, 2
	v_cndmask_b32_e32 v46, v2, v3, vcc_lo
	s_cselect_b32 vcc_lo, -1, 0
	s_cmp_eq_u32 s6, 3
	s_add_nc_u64 s[6:7], s[6:7], 1
	s_delay_alu instid0(VALU_DEP_1) | instskip(SKIP_2) | instid1(VALU_DEP_1)
	v_cndmask_b32_e32 v46, v46, v4, vcc_lo
	s_cselect_b32 vcc_lo, -1, 0
	s_cmp_lg_u32 s66, s6
	v_cndmask_b32_e32 v46, v46, v5, vcc_lo
	s_wait_loadcnt 0x0
	s_delay_alu instid0(VALU_DEP_1)
	v_fma_mix_f32_bf16 v6, v46, v45, v6 op_sel_hi:[0,1,0]
	s_cbranch_scc1 .LBB557_83
.LBB557_84:                             ;   in Loop: Header=BB557_67 Depth=2
	s_or_b32 exec_lo, exec_lo, s62
	s_delay_alu instid0(SALU_CYCLE_1)
	s_or_b32 exec_lo, exec_lo, s11
	s_and_saveexec_b32 s6, s3
	s_cbranch_execnz .LBB557_70
	s_branch .LBB557_71
.LBB557_85:                             ;   in Loop: Header=BB557_67 Depth=2
	ds_load_b32 v6, v40
	s_or_b32 exec_lo, exec_lo, s6
	s_and_saveexec_b32 s6, s3
	s_cbranch_execz .LBB557_75
.LBB557_86:                             ;   in Loop: Header=BB557_67 Depth=2
	s_wait_dscnt 0x0
	ds_bpermute_b32 v36, v7, v6
	s_wait_dscnt 0x0
	v_add_f32_e32 v6, v6, v36
	ds_bpermute_b32 v36, v38, v6
	s_wait_dscnt 0x0
	v_add_f32_e32 v6, v6, v36
	;; [unrolled: 3-line block ×3, first 2 shown]
	s_or_b32 exec_lo, exec_lo, s6
	s_and_saveexec_b32 s6, s0
	s_cbranch_execz .LBB557_66
.LBB557_87:                             ;   in Loop: Header=BB557_67 Depth=2
	s_mul_u64 s[8:9], s[28:29], s[36:37]
	s_wait_dscnt 0x0
	v_mul_f32_e32 v6, v44, v6
	s_lshl_b64 s[8:9], s[8:9], 2
	s_delay_alu instid0(SALU_CYCLE_1)
	s_add_nc_u64 s[8:9], s[60:61], s[8:9]
	global_store_b32 v0, v6, s[8:9]
	s_branch .LBB557_66
.LBB557_88:
	s_sendmsg sendmsg(MSG_DEALLOC_VGPRS)
	s_endpgm
	.section	.rodata,"a",@progbits
	.p2align	6, 0x0
	.amdhsa_kernel _ZL23rocblas_gemvt_sn_kernelILb0ELi256ELi4El16rocblas_bfloat16PKffEviiT4_lPKT3_lilS6_lilPT5_i
		.amdhsa_group_segment_fixed_size 128
		.amdhsa_private_segment_fixed_size 0
		.amdhsa_kernarg_size 360
		.amdhsa_user_sgpr_count 2
		.amdhsa_user_sgpr_dispatch_ptr 0
		.amdhsa_user_sgpr_queue_ptr 0
		.amdhsa_user_sgpr_kernarg_segment_ptr 1
		.amdhsa_user_sgpr_dispatch_id 0
		.amdhsa_user_sgpr_kernarg_preload_length 0
		.amdhsa_user_sgpr_kernarg_preload_offset 0
		.amdhsa_user_sgpr_private_segment_size 0
		.amdhsa_wavefront_size32 1
		.amdhsa_uses_dynamic_stack 0
		.amdhsa_enable_private_segment 0
		.amdhsa_system_sgpr_workgroup_id_x 1
		.amdhsa_system_sgpr_workgroup_id_y 0
		.amdhsa_system_sgpr_workgroup_id_z 1
		.amdhsa_system_sgpr_workgroup_info 0
		.amdhsa_system_vgpr_workitem_id 0
		.amdhsa_next_free_vgpr 68
		.amdhsa_next_free_sgpr 74
		.amdhsa_named_barrier_count 0
		.amdhsa_reserve_vcc 1
		.amdhsa_float_round_mode_32 0
		.amdhsa_float_round_mode_16_64 0
		.amdhsa_float_denorm_mode_32 3
		.amdhsa_float_denorm_mode_16_64 3
		.amdhsa_fp16_overflow 0
		.amdhsa_memory_ordered 1
		.amdhsa_forward_progress 1
		.amdhsa_inst_pref_size 33
		.amdhsa_round_robin_scheduling 0
		.amdhsa_exception_fp_ieee_invalid_op 0
		.amdhsa_exception_fp_denorm_src 0
		.amdhsa_exception_fp_ieee_div_zero 0
		.amdhsa_exception_fp_ieee_overflow 0
		.amdhsa_exception_fp_ieee_underflow 0
		.amdhsa_exception_fp_ieee_inexact 0
		.amdhsa_exception_int_div_zero 0
	.end_amdhsa_kernel
	.section	.text._ZL23rocblas_gemvt_sn_kernelILb0ELi256ELi4El16rocblas_bfloat16PKffEviiT4_lPKT3_lilS6_lilPT5_i,"axG",@progbits,_ZL23rocblas_gemvt_sn_kernelILb0ELi256ELi4El16rocblas_bfloat16PKffEviiT4_lPKT3_lilS6_lilPT5_i,comdat
.Lfunc_end557:
	.size	_ZL23rocblas_gemvt_sn_kernelILb0ELi256ELi4El16rocblas_bfloat16PKffEviiT4_lPKT3_lilS6_lilPT5_i, .Lfunc_end557-_ZL23rocblas_gemvt_sn_kernelILb0ELi256ELi4El16rocblas_bfloat16PKffEviiT4_lPKT3_lilS6_lilPT5_i
                                        ; -- End function
	.set _ZL23rocblas_gemvt_sn_kernelILb0ELi256ELi4El16rocblas_bfloat16PKffEviiT4_lPKT3_lilS6_lilPT5_i.num_vgpr, 68
	.set _ZL23rocblas_gemvt_sn_kernelILb0ELi256ELi4El16rocblas_bfloat16PKffEviiT4_lPKT3_lilS6_lilPT5_i.num_agpr, 0
	.set _ZL23rocblas_gemvt_sn_kernelILb0ELi256ELi4El16rocblas_bfloat16PKffEviiT4_lPKT3_lilS6_lilPT5_i.numbered_sgpr, 74
	.set _ZL23rocblas_gemvt_sn_kernelILb0ELi256ELi4El16rocblas_bfloat16PKffEviiT4_lPKT3_lilS6_lilPT5_i.num_named_barrier, 0
	.set _ZL23rocblas_gemvt_sn_kernelILb0ELi256ELi4El16rocblas_bfloat16PKffEviiT4_lPKT3_lilS6_lilPT5_i.private_seg_size, 0
	.set _ZL23rocblas_gemvt_sn_kernelILb0ELi256ELi4El16rocblas_bfloat16PKffEviiT4_lPKT3_lilS6_lilPT5_i.uses_vcc, 1
	.set _ZL23rocblas_gemvt_sn_kernelILb0ELi256ELi4El16rocblas_bfloat16PKffEviiT4_lPKT3_lilS6_lilPT5_i.uses_flat_scratch, 0
	.set _ZL23rocblas_gemvt_sn_kernelILb0ELi256ELi4El16rocblas_bfloat16PKffEviiT4_lPKT3_lilS6_lilPT5_i.has_dyn_sized_stack, 0
	.set _ZL23rocblas_gemvt_sn_kernelILb0ELi256ELi4El16rocblas_bfloat16PKffEviiT4_lPKT3_lilS6_lilPT5_i.has_recursion, 0
	.set _ZL23rocblas_gemvt_sn_kernelILb0ELi256ELi4El16rocblas_bfloat16PKffEviiT4_lPKT3_lilS6_lilPT5_i.has_indirect_call, 0
	.section	.AMDGPU.csdata,"",@progbits
; Kernel info:
; codeLenInByte = 4148
; TotalNumSgprs: 76
; NumVgprs: 68
; ScratchSize: 0
; MemoryBound: 0
; FloatMode: 240
; IeeeMode: 1
; LDSByteSize: 128 bytes/workgroup (compile time only)
; SGPRBlocks: 0
; VGPRBlocks: 4
; NumSGPRsForWavesPerEU: 76
; NumVGPRsForWavesPerEU: 68
; NamedBarCnt: 0
; Occupancy: 12
; WaveLimiterHint : 0
; COMPUTE_PGM_RSRC2:SCRATCH_EN: 0
; COMPUTE_PGM_RSRC2:USER_SGPR: 2
; COMPUTE_PGM_RSRC2:TRAP_HANDLER: 0
; COMPUTE_PGM_RSRC2:TGID_X_EN: 1
; COMPUTE_PGM_RSRC2:TGID_Y_EN: 0
; COMPUTE_PGM_RSRC2:TGID_Z_EN: 1
; COMPUTE_PGM_RSRC2:TIDIG_COMP_CNT: 0
	.section	.text._ZL23rocblas_gemvt_sn_reduceILi256ELi8EfPKf16rocblas_bfloat16EviT2_lPT3_lilPT1_i,"axG",@progbits,_ZL23rocblas_gemvt_sn_reduceILi256ELi8EfPKf16rocblas_bfloat16EviT2_lPT3_lilPT1_i,comdat
	.globl	_ZL23rocblas_gemvt_sn_reduceILi256ELi8EfPKf16rocblas_bfloat16EviT2_lPT3_lilPT1_i ; -- Begin function _ZL23rocblas_gemvt_sn_reduceILi256ELi8EfPKf16rocblas_bfloat16EviT2_lPT3_lilPT1_i
	.p2align	8
	.type	_ZL23rocblas_gemvt_sn_reduceILi256ELi8EfPKf16rocblas_bfloat16EviT2_lPT3_lilPT1_i,@function
_ZL23rocblas_gemvt_sn_reduceILi256ELi8EfPKf16rocblas_bfloat16EviT2_lPT3_lilPT1_i: ; @_ZL23rocblas_gemvt_sn_reduceILi256ELi8EfPKf16rocblas_bfloat16EviT2_lPT3_lilPT1_i
; %bb.0:
	s_load_b32 s30, s[0:1], 0x40
	s_bfe_u32 s2, ttmp6, 0x40014
	s_lshr_b32 s3, ttmp7, 16
	s_add_co_i32 s2, s2, 1
	s_bfe_u32 s5, ttmp6, 0x40008
	s_mul_i32 s4, s3, s2
	s_getreg_b32 s2, hwreg(HW_REG_IB_STS2, 6, 4)
	s_add_co_i32 s5, s5, s4
	s_cmp_eq_u32 s2, 0
	s_mov_b32 s7, 0
	s_cselect_b32 s6, s3, s5
	s_wait_kmcnt 0x0
	s_cmp_ge_u32 s6, s30
	s_cbranch_scc1 .LBB558_32
; %bb.1:
	s_clause 0x5
	s_load_b32 s20, s[0:1], 0x0
	s_load_b32 s31, s[0:1], 0x4c
	;; [unrolled: 1-line block ×4, first 2 shown]
	s_load_b256 s[8:15], s[0:1], 0x8
	s_load_b128 s[16:19], s[0:1], 0x30
	v_mbcnt_lo_u32_b32 v1, -1, 0
	s_wait_xcnt 0x0
	s_bfe_u32 s0, ttmp6, 0x40010
	v_dual_lshlrev_b32 v6, 3, v0 :: v_dual_bitop2_b32 v13, 31, v0 bitop3:0x40
	v_mov_b32_e32 v3, 0
	v_cmp_gt_u32_e32 vcc_lo, 24, v1
	s_and_b32 s4, ttmp7, 0xffff
	s_add_co_i32 s0, s0, 1
	s_bfe_u32 s1, ttmp6, 0x40004
	s_mul_i32 s0, s4, s0
	v_cndmask_b32_e64 v4, 0, 8, vcc_lo
	v_cmp_gt_u32_e32 vcc_lo, 28, v1
	v_lshlrev_b32_e32 v7, 2, v13
	s_add_co_i32 s5, s1, s0
	v_mov_b32_e32 v5, v3
	v_add_lshl_u32 v9, v4, v1, 2
	v_cndmask_b32_e64 v10, 0, 4, vcc_lo
	v_cmp_gt_u32_e32 vcc_lo, 30, v1
	v_lshlrev_b32_e32 v4, 5, v0
	s_wait_kmcnt 0x0
	s_ashr_i32 s21, s20, 31
	s_ashr_i32 s23, s22, 31
	s_lshl_b64 s[0:1], s[14:15], 1
	s_cmp_eq_u32 s2, 0
	v_cndmask_b32_e64 v11, 0, 2, vcc_lo
	s_cselect_b32 s14, s4, s5
	s_lshr_b32 s2, s21, 29
	v_cmp_ne_u32_e32 vcc_lo, 31, v1
	v_add_nc_u64_e32 v[4:5], s[18:19], v[4:5]
	s_add_nc_u64 s[12:13], s[12:13], s[0:1]
	s_add_co_i32 s0, s20, s2
	v_lshrrev_b32_e32 v14, 3, v0
	s_and_b32 s33, s0, -8
	v_add_co_ci_u32_e64 v12, null, 0, v1, vcc_lo
	s_sub_co_i32 s1, s20, s33
	v_xad_u32 v2, v0, -1, s20
	v_cmp_gt_u32_e64 s1, s1, v0
	v_cmp_gt_u32_e64 s2, 32, v0
	v_lshl_or_b32 v8, v1, 2, 64
	v_add_lshl_u32 v10, v10, v1, 2
	v_add_lshl_u32 v11, v11, v1, 2
	v_cmp_gt_u32_e64 s4, 8, v0
	v_cmp_eq_u32_e64 s5, 0, v0
	v_add_nc_u64_e32 v[0:1], 28, v[4:5]
	s_mov_b32 s15, s7
	s_and_b32 s24, s3, 0xffff
	v_cmp_gt_i32_e64 s0, s33, v6
	v_lshlrev_b32_e32 v12, 2, v12
	v_cmp_eq_u32_e64 s3, 0, v13
	v_and_b32_e32 v13, 28, v14
	s_mul_u64 s[26:27], s[22:23], s[14:15]
	s_mul_i32 s15, s6, s31
	s_lshl_b32 s34, s24, 3
	s_lshl_b64 s[22:23], s[20:21], 2
	s_add_co_i32 s15, s14, s15
	s_lshl_b32 s35, s31, 16
	s_lshl_b32 s24, s24, 5
	s_mov_b32 s25, s7
	s_lshl_b64 s[26:27], s[26:27], 1
	s_branch .LBB558_5
.LBB558_2:                              ;   in Loop: Header=BB558_5 Depth=1
	s_or_b32 exec_lo, exec_lo, s37
.LBB558_3:                              ;   in Loop: Header=BB558_5 Depth=1
	global_store_d16_hi_b16 v3, v5, s[28:29]
.LBB558_4:                              ;   in Loop: Header=BB558_5 Depth=1
	s_wait_xcnt 0x0
	s_or_b32 exec_lo, exec_lo, s36
	s_add_co_i32 s6, s6, 0x10000
	s_add_co_i32 s15, s15, s35
	s_cmp_lt_u32 s6, s30
	s_cbranch_scc0 .LBB558_32
.LBB558_5:                              ; =>This Loop Header: Depth=1
                                        ;     Child Loop BB558_15 Depth 2
	s_mul_u64 s[28:29], s[10:11], s[6:7]
	v_mov_b32_e32 v15, 0
	s_lshl_b64 s[28:29], s[28:29], 2
	s_delay_alu instid0(SALU_CYCLE_1)
	s_add_nc_u64 s[28:29], s[8:9], s[28:29]
	global_load_b32 v14, v3, s[28:29]
	s_wait_xcnt 0x0
	s_and_saveexec_b32 s28, s0
	s_cbranch_execnz .LBB558_14
; %bb.6:                                ;   in Loop: Header=BB558_5 Depth=1
	s_or_b32 exec_lo, exec_lo, s28
	s_and_saveexec_b32 s28, s1
	s_cbranch_execnz .LBB558_17
.LBB558_7:                              ;   in Loop: Header=BB558_5 Depth=1
	s_or_b32 exec_lo, exec_lo, s28
	s_and_saveexec_b32 s28, s2
.LBB558_8:                              ;   in Loop: Header=BB558_5 Depth=1
	ds_store_b32 v7, v3
.LBB558_9:                              ;   in Loop: Header=BB558_5 Depth=1
	s_or_b32 exec_lo, exec_lo, s28
	s_wait_dscnt 0x0
	ds_bpermute_b32 v4, v8, v15
	s_wait_loadcnt_dscnt 0x0
	s_barrier_signal -1
	s_barrier_wait -1
	v_add_f32_e32 v4, v15, v4
	ds_bpermute_b32 v5, v9, v4
	s_wait_dscnt 0x0
	v_add_f32_e32 v4, v4, v5
	ds_bpermute_b32 v5, v10, v4
	s_wait_dscnt 0x0
	;; [unrolled: 3-line block ×3, first 2 shown]
	v_add_f32_e32 v4, v4, v5
	ds_bpermute_b32 v5, v12, v4
	s_and_saveexec_b32 s28, s3
	s_cbranch_execz .LBB558_11
; %bb.10:                               ;   in Loop: Header=BB558_5 Depth=1
	s_wait_dscnt 0x0
	v_add_f32_e32 v4, v4, v5
	ds_store_b32 v13, v4
.LBB558_11:                             ;   in Loop: Header=BB558_5 Depth=1
	s_or_b32 exec_lo, exec_lo, s28
	v_mov_b32_e32 v4, 0
	s_wait_dscnt 0x0
	s_barrier_signal -1
	s_barrier_wait -1
	s_and_saveexec_b32 s28, s4
	s_cbranch_execnz .LBB558_18
; %bb.12:                               ;   in Loop: Header=BB558_5 Depth=1
	s_or_b32 exec_lo, exec_lo, s28
	s_and_saveexec_b32 s28, s2
	s_cbranch_execnz .LBB558_19
.LBB558_13:                             ;   in Loop: Header=BB558_5 Depth=1
	s_or_b32 exec_lo, exec_lo, s28
	s_and_saveexec_b32 s36, s5
	s_cbranch_execz .LBB558_4
	s_branch .LBB558_20
.LBB558_14:                             ;   in Loop: Header=BB558_5 Depth=1
	s_wait_dscnt 0x0
	v_mad_nc_u64_u32 v[4:5], s22, s15, v[0:1]
	v_dual_mov_b32 v15, 0 :: v_dual_mov_b32 v16, v6
	s_mov_b32 s29, 0
	s_delay_alu instid0(VALU_DEP_2)
	v_mad_u32 v5, s23, s15, v5
.LBB558_15:                             ;   Parent Loop BB558_5 Depth=1
                                        ; =>  This Inner Loop Header: Depth=2
	s_clause 0x1
	global_load_b128 v[18:21], v[4:5], off offset:-28
	global_load_b128 v[22:25], v[4:5], off offset:-12
	s_wait_xcnt 0x0
	v_add_nc_u64_e32 v[4:5], s[24:25], v[4:5]
	v_add_nc_u32_e32 v16, s34, v16
	s_delay_alu instid0(VALU_DEP_1) | instskip(SKIP_3) | instid1(VALU_DEP_1)
	v_cmp_le_i32_e32 vcc_lo, s33, v16
	s_or_b32 s29, vcc_lo, s29
	s_wait_loadcnt 0x1
	v_add_f32_e32 v15, v15, v18
	v_add_f32_e32 v15, v15, v19
	s_delay_alu instid0(VALU_DEP_1) | instskip(NEXT) | instid1(VALU_DEP_1)
	v_add_f32_e32 v15, v15, v20
	v_add_f32_e32 v15, v15, v21
	s_wait_loadcnt 0x0
	s_delay_alu instid0(VALU_DEP_1) | instskip(NEXT) | instid1(VALU_DEP_1)
	v_add_f32_e32 v15, v15, v22
	v_add_f32_e32 v15, v15, v23
	s_delay_alu instid0(VALU_DEP_1) | instskip(NEXT) | instid1(VALU_DEP_1)
	v_add_f32_e32 v15, v15, v24
	v_add_f32_e32 v15, v15, v25
	s_and_not1_b32 exec_lo, exec_lo, s29
	s_cbranch_execnz .LBB558_15
; %bb.16:                               ;   in Loop: Header=BB558_5 Depth=1
	s_or_b32 exec_lo, exec_lo, s29
	s_delay_alu instid0(SALU_CYCLE_1)
	s_or_b32 exec_lo, exec_lo, s28
	s_and_saveexec_b32 s28, s1
	s_cbranch_execz .LBB558_7
.LBB558_17:                             ;   in Loop: Header=BB558_5 Depth=1
	s_mul_i32 s29, s31, s6
	s_mov_b32 s37, s7
	s_add_co_i32 s36, s29, s14
	s_delay_alu instid0(SALU_CYCLE_1) | instskip(NEXT) | instid1(SALU_CYCLE_1)
	s_mul_u64 s[36:37], s[36:37], s[20:21]
	s_lshl_b64 s[36:37], s[36:37], 2
	s_delay_alu instid0(SALU_CYCLE_1)
	s_add_nc_u64 s[36:37], s[18:19], s[36:37]
	s_wait_dscnt 0x0
	v_lshl_add_u64 v[4:5], v[2:3], 2, s[36:37]
	global_load_b32 v4, v[4:5], off
	s_wait_loadcnt 0x0
	v_add_f32_e32 v15, v15, v4
	s_wait_xcnt 0x0
	s_or_b32 exec_lo, exec_lo, s28
	s_and_saveexec_b32 s28, s2
	s_cbranch_execnz .LBB558_8
	s_branch .LBB558_9
.LBB558_18:                             ;   in Loop: Header=BB558_5 Depth=1
	ds_load_b32 v4, v7
	s_or_b32 exec_lo, exec_lo, s28
	s_and_saveexec_b32 s28, s2
	s_cbranch_execz .LBB558_13
.LBB558_19:                             ;   in Loop: Header=BB558_5 Depth=1
	s_wait_dscnt 0x0
	ds_bpermute_b32 v5, v10, v4
	s_wait_dscnt 0x0
	v_add_f32_e32 v4, v4, v5
	ds_bpermute_b32 v5, v11, v4
	s_wait_dscnt 0x0
	v_add_f32_e32 v4, v4, v5
	;; [unrolled: 3-line block ×3, first 2 shown]
	s_or_b32 exec_lo, exec_lo, s28
	s_and_saveexec_b32 s36, s5
	s_cbranch_execz .LBB558_4
.LBB558_20:                             ;   in Loop: Header=BB558_5 Depth=1
	v_cmp_eq_f32_e32 vcc_lo, 0, v14
	s_cbranch_vccz .LBB558_26
; %bb.21:                               ;   in Loop: Header=BB558_5 Depth=1
	s_wait_dscnt 0x0
	v_and_b32_e32 v5, 0x7f800000, v4
	s_delay_alu instid0(VALU_DEP_1) | instskip(SKIP_1) | instid1(SALU_CYCLE_1)
	v_cmp_ne_u32_e32 vcc_lo, 0x7f800000, v5
                                        ; implicit-def: $vgpr5
	s_and_saveexec_b32 s28, vcc_lo
	s_xor_b32 s28, exec_lo, s28
; %bb.22:                               ;   in Loop: Header=BB558_5 Depth=1
	v_bfe_u32 v5, v4, 16, 1
	s_delay_alu instid0(VALU_DEP_1)
	v_add3_u32 v5, v4, v5, 0x7fff
; %bb.23:                               ;   in Loop: Header=BB558_5 Depth=1
	s_and_not1_saveexec_b32 s28, s28
; %bb.24:                               ;   in Loop: Header=BB558_5 Depth=1
	v_and_b32_e32 v5, 0xffff, v4
	v_or_b32_e32 v15, 0x10000, v4
	s_delay_alu instid0(VALU_DEP_2) | instskip(NEXT) | instid1(VALU_DEP_2)
	v_cmp_eq_u32_e32 vcc_lo, 0, v5
	v_cndmask_b32_e32 v5, v15, v4, vcc_lo
; %bb.25:                               ;   in Loop: Header=BB558_5 Depth=1
	s_or_b32 exec_lo, exec_lo, s28
	s_mov_b32 s28, 0
	s_branch .LBB558_27
.LBB558_26:                             ;   in Loop: Header=BB558_5 Depth=1
	s_mov_b32 s28, -1
                                        ; implicit-def: $vgpr5
.LBB558_27:                             ;   in Loop: Header=BB558_5 Depth=1
	s_mul_u64 s[38:39], s[16:17], s[6:7]
	s_and_not1_b32 vcc_lo, exec_lo, s28
	s_lshl_b64 s[38:39], s[38:39], 1
	s_delay_alu instid0(SALU_CYCLE_1) | instskip(NEXT) | instid1(SALU_CYCLE_1)
	s_add_nc_u64 s[38:39], s[12:13], s[38:39]
	s_add_nc_u64 s[28:29], s[38:39], s[26:27]
	s_cbranch_vccnz .LBB558_3
; %bb.28:                               ;   in Loop: Header=BB558_5 Depth=1
	global_load_u16 v5, v3, s[28:29]
	s_wait_loadcnt_dscnt 0x0
	v_fma_mix_f32_bf16 v4, v14, v5, v4 op_sel_hi:[0,1,0]
	s_delay_alu instid0(VALU_DEP_1) | instskip(NEXT) | instid1(VALU_DEP_1)
	v_and_b32_e32 v5, 0x7f800000, v4
	v_cmp_ne_u32_e32 vcc_lo, 0x7f800000, v5
                                        ; implicit-def: $vgpr5
	s_wait_xcnt 0x0
	s_and_saveexec_b32 s37, vcc_lo
	s_delay_alu instid0(SALU_CYCLE_1)
	s_xor_b32 s37, exec_lo, s37
; %bb.29:                               ;   in Loop: Header=BB558_5 Depth=1
	v_bfe_u32 v5, v4, 16, 1
	s_delay_alu instid0(VALU_DEP_1)
	v_add3_u32 v5, v4, v5, 0x7fff
                                        ; implicit-def: $vgpr4
; %bb.30:                               ;   in Loop: Header=BB558_5 Depth=1
	s_and_not1_saveexec_b32 s37, s37
	s_cbranch_execz .LBB558_2
; %bb.31:                               ;   in Loop: Header=BB558_5 Depth=1
	v_and_b32_e32 v5, 0xffff, v4
	v_or_b32_e32 v14, 0x10000, v4
	s_delay_alu instid0(VALU_DEP_2) | instskip(NEXT) | instid1(VALU_DEP_2)
	v_cmp_eq_u32_e32 vcc_lo, 0, v5
	v_cndmask_b32_e32 v5, v14, v4, vcc_lo
	s_branch .LBB558_2
.LBB558_32:
	s_endpgm
	.section	.rodata,"a",@progbits
	.p2align	6, 0x0
	.amdhsa_kernel _ZL23rocblas_gemvt_sn_reduceILi256ELi8EfPKf16rocblas_bfloat16EviT2_lPT3_lilPT1_i
		.amdhsa_group_segment_fixed_size 128
		.amdhsa_private_segment_fixed_size 0
		.amdhsa_kernarg_size 328
		.amdhsa_user_sgpr_count 2
		.amdhsa_user_sgpr_dispatch_ptr 0
		.amdhsa_user_sgpr_queue_ptr 0
		.amdhsa_user_sgpr_kernarg_segment_ptr 1
		.amdhsa_user_sgpr_dispatch_id 0
		.amdhsa_user_sgpr_kernarg_preload_length 0
		.amdhsa_user_sgpr_kernarg_preload_offset 0
		.amdhsa_user_sgpr_private_segment_size 0
		.amdhsa_wavefront_size32 1
		.amdhsa_uses_dynamic_stack 0
		.amdhsa_enable_private_segment 0
		.amdhsa_system_sgpr_workgroup_id_x 1
		.amdhsa_system_sgpr_workgroup_id_y 1
		.amdhsa_system_sgpr_workgroup_id_z 1
		.amdhsa_system_sgpr_workgroup_info 0
		.amdhsa_system_vgpr_workitem_id 0
		.amdhsa_next_free_vgpr 26
		.amdhsa_next_free_sgpr 40
		.amdhsa_named_barrier_count 0
		.amdhsa_reserve_vcc 1
		.amdhsa_float_round_mode_32 0
		.amdhsa_float_round_mode_16_64 0
		.amdhsa_float_denorm_mode_32 3
		.amdhsa_float_denorm_mode_16_64 3
		.amdhsa_fp16_overflow 0
		.amdhsa_memory_ordered 1
		.amdhsa_forward_progress 1
		.amdhsa_inst_pref_size 11
		.amdhsa_round_robin_scheduling 0
		.amdhsa_exception_fp_ieee_invalid_op 0
		.amdhsa_exception_fp_denorm_src 0
		.amdhsa_exception_fp_ieee_div_zero 0
		.amdhsa_exception_fp_ieee_overflow 0
		.amdhsa_exception_fp_ieee_underflow 0
		.amdhsa_exception_fp_ieee_inexact 0
		.amdhsa_exception_int_div_zero 0
	.end_amdhsa_kernel
	.section	.text._ZL23rocblas_gemvt_sn_reduceILi256ELi8EfPKf16rocblas_bfloat16EviT2_lPT3_lilPT1_i,"axG",@progbits,_ZL23rocblas_gemvt_sn_reduceILi256ELi8EfPKf16rocblas_bfloat16EviT2_lPT3_lilPT1_i,comdat
.Lfunc_end558:
	.size	_ZL23rocblas_gemvt_sn_reduceILi256ELi8EfPKf16rocblas_bfloat16EviT2_lPT3_lilPT1_i, .Lfunc_end558-_ZL23rocblas_gemvt_sn_reduceILi256ELi8EfPKf16rocblas_bfloat16EviT2_lPT3_lilPT1_i
                                        ; -- End function
	.set _ZL23rocblas_gemvt_sn_reduceILi256ELi8EfPKf16rocblas_bfloat16EviT2_lPT3_lilPT1_i.num_vgpr, 26
	.set _ZL23rocblas_gemvt_sn_reduceILi256ELi8EfPKf16rocblas_bfloat16EviT2_lPT3_lilPT1_i.num_agpr, 0
	.set _ZL23rocblas_gemvt_sn_reduceILi256ELi8EfPKf16rocblas_bfloat16EviT2_lPT3_lilPT1_i.numbered_sgpr, 40
	.set _ZL23rocblas_gemvt_sn_reduceILi256ELi8EfPKf16rocblas_bfloat16EviT2_lPT3_lilPT1_i.num_named_barrier, 0
	.set _ZL23rocblas_gemvt_sn_reduceILi256ELi8EfPKf16rocblas_bfloat16EviT2_lPT3_lilPT1_i.private_seg_size, 0
	.set _ZL23rocblas_gemvt_sn_reduceILi256ELi8EfPKf16rocblas_bfloat16EviT2_lPT3_lilPT1_i.uses_vcc, 1
	.set _ZL23rocblas_gemvt_sn_reduceILi256ELi8EfPKf16rocblas_bfloat16EviT2_lPT3_lilPT1_i.uses_flat_scratch, 0
	.set _ZL23rocblas_gemvt_sn_reduceILi256ELi8EfPKf16rocblas_bfloat16EviT2_lPT3_lilPT1_i.has_dyn_sized_stack, 0
	.set _ZL23rocblas_gemvt_sn_reduceILi256ELi8EfPKf16rocblas_bfloat16EviT2_lPT3_lilPT1_i.has_recursion, 0
	.set _ZL23rocblas_gemvt_sn_reduceILi256ELi8EfPKf16rocblas_bfloat16EviT2_lPT3_lilPT1_i.has_indirect_call, 0
	.section	.AMDGPU.csdata,"",@progbits
; Kernel info:
; codeLenInByte = 1336
; TotalNumSgprs: 42
; NumVgprs: 26
; ScratchSize: 0
; MemoryBound: 0
; FloatMode: 240
; IeeeMode: 1
; LDSByteSize: 128 bytes/workgroup (compile time only)
; SGPRBlocks: 0
; VGPRBlocks: 1
; NumSGPRsForWavesPerEU: 42
; NumVGPRsForWavesPerEU: 26
; NamedBarCnt: 0
; Occupancy: 16
; WaveLimiterHint : 0
; COMPUTE_PGM_RSRC2:SCRATCH_EN: 0
; COMPUTE_PGM_RSRC2:USER_SGPR: 2
; COMPUTE_PGM_RSRC2:TRAP_HANDLER: 0
; COMPUTE_PGM_RSRC2:TGID_X_EN: 1
; COMPUTE_PGM_RSRC2:TGID_Y_EN: 1
; COMPUTE_PGM_RSRC2:TGID_Z_EN: 1
; COMPUTE_PGM_RSRC2:TIDIG_COMP_CNT: 0
	.section	.text._ZL23rocblas_gemvt_sn_kernelILb0ELi256ELi4Ei16rocblas_bfloat16ffEviiT4_lPKT3_lilS4_lilPT5_i,"axG",@progbits,_ZL23rocblas_gemvt_sn_kernelILb0ELi256ELi4Ei16rocblas_bfloat16ffEviiT4_lPKT3_lilS4_lilPT5_i,comdat
	.globl	_ZL23rocblas_gemvt_sn_kernelILb0ELi256ELi4Ei16rocblas_bfloat16ffEviiT4_lPKT3_lilS4_lilPT5_i ; -- Begin function _ZL23rocblas_gemvt_sn_kernelILb0ELi256ELi4Ei16rocblas_bfloat16ffEviiT4_lPKT3_lilS4_lilPT5_i
	.p2align	8
	.type	_ZL23rocblas_gemvt_sn_kernelILb0ELi256ELi4Ei16rocblas_bfloat16ffEviiT4_lPKT3_lilS4_lilPT5_i,@function
_ZL23rocblas_gemvt_sn_kernelILb0ELi256ELi4Ei16rocblas_bfloat16ffEviiT4_lPKT3_lilS4_lilPT5_i: ; @_ZL23rocblas_gemvt_sn_kernelILb0ELi256ELi4Ei16rocblas_bfloat16ffEviiT4_lPKT3_lilS4_lilPT5_i
; %bb.0:
	s_load_b32 s11, s[0:1], 0x60
	s_bfe_u32 s2, ttmp6, 0x40014
	s_lshr_b32 s3, ttmp7, 16
	s_add_co_i32 s2, s2, 1
	s_bfe_u32 s4, ttmp6, 0x40008
	s_mul_i32 s2, s3, s2
	s_getreg_b32 s25, hwreg(HW_REG_IB_STS2, 6, 4)
	s_add_co_i32 s4, s4, s2
	s_cmp_eq_u32 s25, 0
	s_mov_b32 s27, 0
	s_cselect_b32 s24, s3, s4
	s_wait_kmcnt 0x0
	s_cmp_ge_u32 s24, s11
	s_cbranch_scc1 .LBB559_88
; %bb.1:
	s_clause 0x6
	s_load_b96 s[8:10], s[0:1], 0x40
	s_load_b128 s[4:7], s[0:1], 0x18
	s_load_b96 s[20:22], s[0:1], 0x0
	s_load_b32 s28, s[0:1], 0x28
	s_load_b128 s[12:15], s[0:1], 0x30
	s_load_b128 s[16:19], s[0:1], 0x50
	s_load_b32 s30, s[0:1], 0x68
	s_wait_xcnt 0x0
	v_cmp_eq_u32_e64 s0, 0, v0
	v_dual_lshrrev_b32 v2, 3, v0 :: v_dual_bitop2_b32 v1, 31, v0 bitop3:0x40
	v_cmp_gt_u32_e64 s1, 32, v0
	v_cmp_gt_u32_e64 s2, 8, v0
	v_mbcnt_lo_u32_b32 v38, -1, 0
	s_delay_alu instid0(VALU_DEP_4)
	v_cmp_eq_u32_e64 s3, 0, v1
	v_dual_lshlrev_b32 v36, 2, v1 :: v_dual_bitop2_b32 v37, 28, v2 bitop3:0x40
	v_mov_b64_e32 v[18:19], 0
	s_mov_b32 s31, s27
	s_mov_b32 s35, s27
	v_lshl_or_b32 v39, v38, 2, 64
	s_wait_kmcnt 0x0
	s_lshl_b64 s[8:9], s[8:9], 1
	s_lshl_b64 s[6:7], s[6:7], 1
	s_ashr_i32 s45, s21, 31
	s_cmp_eq_f32 s22, 0
	s_add_nc_u64 s[14:15], s[14:15], s[8:9]
	s_add_nc_u64 s[4:5], s[4:5], s[6:7]
	s_mov_b32 s44, s21
	s_cselect_b32 s23, -1, 0
	s_cmp_gt_i32 s21, 0
	s_mul_u64 s[36:37], s[44:45], s[30:31]
	s_cselect_b32 s8, -1, 0
	s_bfe_u32 s9, ttmp6, 0x4000c
	s_and_b32 s6, ttmp6, 15
	s_add_co_i32 s9, s9, 1
	s_and_b32 s33, s0, s8
	s_mul_i32 s7, ttmp9, s9
	s_mov_b32 s29, s27
	s_add_co_i32 s6, s6, s7
	s_cmp_eq_u32 s25, 0
	s_mov_b32 s49, s27
	s_cselect_b32 s34, ttmp9, s6
	s_ashr_i32 s7, s20, 31
	s_lshl_b32 s8, s34, 10
	s_lshr_b32 s6, s45, 30
	v_lshl_or_b32 v0, v0, 2, s8
	s_lshr_b32 s7, s7, 30
	s_add_co_i32 s6, s21, s6
	s_add_co_i32 s7, s20, s7
	s_and_b32 s68, s6, -4
	v_mul_lo_u32 v8, s10, v0
	s_and_b32 s6, s7, -4
	v_dual_ashrrev_i32 v1, 31, v0 :: v_dual_add_nc_u32 v2, 4, v0
	s_sub_co_i32 s69, s20, s6
	s_cmp_gt_i32 s68, 0
	s_cselect_b32 s70, -1, 0
	s_cmp_gt_i32 s69, 0
	v_lshl_add_u64 v[10:11], v[0:1], 1, s[4:5]
	s_cselect_b32 s71, -1, 0
	s_delay_alu instid0(VALU_DEP_3)
	v_dual_add_nc_u32 v12, s10, v8 :: v_dual_ashrrev_i32 v9, 31, v8
	s_cmp_gt_u32 s21, 1
	v_cmp_ge_i32_e64 s4, s20, v2
	s_cselect_b32 s6, -1, 0
	v_dual_add_nc_u32 v14, s10, v12 :: v_dual_ashrrev_i32 v13, 31, v12
	v_add_nc_u32_e32 v3, s69, v0
	s_cmp_eq_u32 s30, 1
	v_mov_b32_e32 v0, 0
	s_cselect_b32 s7, -1, 0
	v_add_nc_u32_e32 v16, s10, v14
	v_cmp_ge_i32_e64 s5, s20, v3
	s_and_b32 s20, s21, 0x7ffffffe
	s_and_b32 s72, s6, s7
	s_cmp_lg_u32 s21, s20
	v_dual_ashrrev_i32 v15, 31, v14 :: v_dual_ashrrev_i32 v17, 31, v16
	s_cselect_b32 s73, -1, 0
	s_lshl_b32 s26, s28, 1
	s_lshl_b64 s[38:39], s[34:35], 2
	s_mov_b64 s[50:51], s[26:27]
	s_mul_i32 s26, s28, 3
	s_add_nc_u64 s[40:41], s[18:19], s[38:39]
	s_lshl_b64 s[42:43], s[36:37], 2
	s_lshl_b64 s[44:45], s[44:45], 2
	s_lshl_b64 s[46:47], s[30:31], 2
	s_lshl_b32 s48, s28, 2
	s_mov_b64 s[52:53], s[26:27]
	s_lshl_b64 s[54:55], s[12:13], 1
	s_branch .LBB559_3
.LBB559_2:                              ;   in Loop: Header=BB559_3 Depth=1
	s_add_co_i32 s24, s24, 0x10000
	s_delay_alu instid0(SALU_CYCLE_1)
	s_cmp_lt_u32 s24, s11
	s_cbranch_scc0 .LBB559_88
.LBB559_3:                              ; =>This Loop Header: Depth=1
                                        ;     Child Loop BB559_7 Depth 2
                                        ;     Child Loop BB559_11 Depth 2
	;; [unrolled: 1-line block ×3, first 2 shown]
                                        ;       Child Loop BB559_48 Depth 3
                                        ;       Child Loop BB559_51 Depth 3
                                        ;     Child Loop BB559_67 Depth 2
                                        ;       Child Loop BB559_80 Depth 3
                                        ;       Child Loop BB559_83 Depth 3
	s_mov_b32 s25, s27
	s_and_not1_b32 vcc_lo, exec_lo, s23
	s_mov_b32 s6, -1
	s_cbranch_vccnz .LBB559_13
; %bb.4:                                ;   in Loop: Header=BB559_3 Depth=1
	s_and_saveexec_b32 s8, s33
	s_cbranch_execz .LBB559_12
; %bb.5:                                ;   in Loop: Header=BB559_3 Depth=1
	s_and_not1_b32 vcc_lo, exec_lo, s72
	s_cbranch_vccnz .LBB559_9
; %bb.6:                                ;   in Loop: Header=BB559_3 Depth=1
	s_mul_u64 s[6:7], s[42:43], s[24:25]
	s_mov_b32 s9, s20
	s_add_nc_u64 s[6:7], s[40:41], s[6:7]
.LBB559_7:                              ;   Parent Loop BB559_3 Depth=1
                                        ; =>  This Inner Loop Header: Depth=2
	s_add_co_i32 s9, s9, -2
	global_store_b64 v0, v[18:19], s[6:7]
	s_wait_xcnt 0x0
	s_add_nc_u64 s[6:7], s[6:7], 8
	s_mov_b32 s26, s20
	s_cmp_lg_u32 s9, 0
	s_mov_b32 s35, s73
	s_cbranch_scc1 .LBB559_7
; %bb.8:                                ;   in Loop: Header=BB559_3 Depth=1
	s_and_b32 vcc_lo, exec_lo, s35
	s_cbranch_vccnz .LBB559_10
	s_branch .LBB559_12
.LBB559_9:                              ;   in Loop: Header=BB559_3 Depth=1
	s_mov_b32 s26, 0
	s_cbranch_execz .LBB559_12
.LBB559_10:                             ;   in Loop: Header=BB559_3 Depth=1
	s_mul_u64 s[6:7], s[44:45], s[24:25]
	s_lshl_b64 s[56:57], s[26:27], 2
	s_sub_co_i32 s9, s21, s26
	s_add_nc_u64 s[6:7], s[6:7], s[56:57]
	s_delay_alu instid0(SALU_CYCLE_1) | instskip(NEXT) | instid1(SALU_CYCLE_1)
	s_mul_u64 s[6:7], s[30:31], s[6:7]
	s_add_nc_u64 s[6:7], s[40:41], s[6:7]
.LBB559_11:                             ;   Parent Loop BB559_3 Depth=1
                                        ; =>  This Inner Loop Header: Depth=2
	s_add_co_i32 s9, s9, -1
	global_store_b32 v0, v0, s[6:7]
	s_cmp_eq_u32 s9, 0
	s_wait_xcnt 0x0
	s_add_nc_u64 s[6:7], s[6:7], s[46:47]
	s_cbranch_scc0 .LBB559_11
.LBB559_12:                             ;   in Loop: Header=BB559_3 Depth=1
	s_or_b32 exec_lo, exec_lo, s8
	s_mov_b32 s6, 0
.LBB559_13:                             ;   in Loop: Header=BB559_3 Depth=1
	s_delay_alu instid0(SALU_CYCLE_1)
	s_and_not1_b32 vcc_lo, exec_lo, s6
	s_cbranch_vccnz .LBB559_2
; %bb.14:                               ;   in Loop: Header=BB559_3 Depth=1
	s_mul_u64 s[6:7], s[16:17], s[24:25]
	s_mul_u64 s[8:9], s[54:55], s[24:25]
	s_lshl_b64 s[6:7], s[6:7], 1
	s_mul_u64 s[58:59], s[12:13], s[24:25]
	s_add_nc_u64 s[56:57], s[14:15], s[6:7]
	v_add_nc_u64_e32 v[30:31], s[8:9], v[10:11]
	s_mul_u64 s[60:61], s[36:37], s[24:25]
	v_lshl_add_u64 v[20:21], s[58:59], 1, v[10:11]
	v_lshl_add_u64 v[22:23], v[8:9], 1, s[56:57]
	;; [unrolled: 1-line block ×5, first 2 shown]
	v_cmp_gt_u32_e64 s9, 24, v38
	v_cmp_gt_u32_e64 s8, 28, v38
	;; [unrolled: 1-line block ×3, first 2 shown]
	v_cmp_ne_u32_e64 s6, 31, v38
	s_lshl_b64 s[58:59], s[60:61], 2
	s_and_not1_b32 vcc_lo, exec_lo, s70
	s_add_nc_u64 s[58:59], s[18:19], s[58:59]
	s_cbranch_vccnz .LBB559_63
; %bb.15:                               ;   in Loop: Header=BB559_3 Depth=1
	v_cndmask_b32_e64 v1, 0, 8, s9
	v_cndmask_b32_e64 v4, 0, 4, s8
	;; [unrolled: 1-line block ×3, first 2 shown]
	s_wait_dscnt 0x0
	v_add_co_ci_u32_e64 v6, null, 0, v38, s6
	v_add_lshl_u32 v40, v1, v38, 2
	v_dual_mov_b32 v1, v0 :: v_dual_mov_b32 v2, v0
	s_delay_alu instid0(VALU_DEP_3) | instskip(SKIP_3) | instid1(VALU_DEP_3)
	v_dual_mov_b32 v3, v0 :: v_dual_lshlrev_b32 v43, 2, v6
	v_add_lshl_u32 v41, v4, v38, 2
	v_add_lshl_u32 v42, v5, v38, 2
	s_mov_b32 s60, 0
	v_mov_b64_e32 v[4:5], v[2:3]
	v_mov_b64_e32 v[2:3], v[0:1]
	s_mov_b64 s[8:9], s[52:53]
	s_mov_b64 s[62:63], s[50:51]
	s_mov_b64 s[64:65], s[28:29]
	s_mov_b32 s26, s60
	s_branch .LBB559_17
.LBB559_16:                             ;   in Loop: Header=BB559_17 Depth=2
	s_wait_xcnt 0x0
	s_or_b32 exec_lo, exec_lo, s6
	s_add_co_i32 s26, s26, 4
	s_add_co_i32 s60, s60, s48
	s_add_nc_u64 s[64:65], s[64:65], s[48:49]
	s_add_nc_u64 s[62:63], s[62:63], s[48:49]
	s_cmp_ge_i32 s26, s68
	s_add_nc_u64 s[8:9], s[8:9], s[48:49]
	s_cbranch_scc1 .LBB559_64
.LBB559_17:                             ;   Parent Loop BB559_3 Depth=1
                                        ; =>  This Loop Header: Depth=2
                                        ;       Child Loop BB559_48 Depth 3
                                        ;       Child Loop BB559_51 Depth 3
                                        ; implicit-def: $vgpr7
                                        ; implicit-def: $vgpr33
	s_and_saveexec_b32 s6, s4
	s_delay_alu instid0(SALU_CYCLE_1)
	s_xor_b32 s6, exec_lo, s6
	s_cbranch_execnz .LBB559_44
; %bb.18:                               ;   in Loop: Header=BB559_17 Depth=2
	s_and_not1_saveexec_b32 s25, s6
	s_cbranch_execnz .LBB559_45
.LBB559_19:                             ;   in Loop: Header=BB559_17 Depth=2
	s_or_b32 exec_lo, exec_lo, s25
	s_and_saveexec_b32 s6, s1
.LBB559_20:                             ;   in Loop: Header=BB559_17 Depth=2
	ds_store_b32 v36, v0
.LBB559_21:                             ;   in Loop: Header=BB559_17 Depth=2
	s_or_b32 exec_lo, exec_lo, s6
	ds_bpermute_b32 v1, v39, v32
	s_wait_storecnt_dscnt 0x0
	s_barrier_signal -1
	s_barrier_wait -1
	v_add_f32_e32 v1, v32, v1
	ds_bpermute_b32 v32, v40, v1
	s_wait_dscnt 0x0
	v_add_f32_e32 v1, v1, v32
	ds_bpermute_b32 v32, v41, v1
	s_wait_dscnt 0x0
	;; [unrolled: 3-line block ×3, first 2 shown]
	v_add_f32_e32 v1, v1, v32
	ds_bpermute_b32 v32, v43, v1
	s_and_saveexec_b32 s6, s3
	s_cbranch_execz .LBB559_23
; %bb.22:                               ;   in Loop: Header=BB559_17 Depth=2
	s_wait_dscnt 0x0
	v_add_f32_e32 v1, v1, v32
	ds_store_b32 v37, v1
.LBB559_23:                             ;   in Loop: Header=BB559_17 Depth=2
	s_or_b32 exec_lo, exec_lo, s6
	v_mov_b32_e32 v1, 0
	s_wait_dscnt 0x0
	s_barrier_signal -1
	s_barrier_wait -1
	s_and_saveexec_b32 s6, s2
	s_cbranch_execnz .LBB559_52
; %bb.24:                               ;   in Loop: Header=BB559_17 Depth=2
	s_or_b32 exec_lo, exec_lo, s6
	s_and_saveexec_b32 s6, s1
	s_cbranch_execnz .LBB559_53
.LBB559_25:                             ;   in Loop: Header=BB559_17 Depth=2
	s_or_b32 exec_lo, exec_lo, s6
	s_and_saveexec_b32 s6, s1
.LBB559_26:                             ;   in Loop: Header=BB559_17 Depth=2
	ds_store_b32 v36, v0
.LBB559_27:                             ;   in Loop: Header=BB559_17 Depth=2
	s_or_b32 exec_lo, exec_lo, s6
	ds_bpermute_b32 v32, v39, v33
	s_wait_dscnt 0x0
	s_barrier_signal -1
	s_barrier_wait -1
	v_add_f32_e32 v32, v33, v32
	ds_bpermute_b32 v33, v40, v32
	s_wait_dscnt 0x0
	v_add_f32_e32 v32, v32, v33
	ds_bpermute_b32 v33, v41, v32
	s_wait_dscnt 0x0
	;; [unrolled: 3-line block ×3, first 2 shown]
	v_add_f32_e32 v32, v32, v33
	ds_bpermute_b32 v33, v43, v32
	s_and_saveexec_b32 s6, s3
	s_cbranch_execz .LBB559_29
; %bb.28:                               ;   in Loop: Header=BB559_17 Depth=2
	s_wait_dscnt 0x0
	v_add_f32_e32 v32, v32, v33
	ds_store_b32 v37, v32
.LBB559_29:                             ;   in Loop: Header=BB559_17 Depth=2
	s_or_b32 exec_lo, exec_lo, s6
	v_mov_b32_e32 v32, 0
	s_wait_dscnt 0x0
	s_barrier_signal -1
	s_barrier_wait -1
	s_and_saveexec_b32 s6, s2
	s_cbranch_execnz .LBB559_54
; %bb.30:                               ;   in Loop: Header=BB559_17 Depth=2
	s_or_b32 exec_lo, exec_lo, s6
	s_and_saveexec_b32 s6, s1
	s_cbranch_execnz .LBB559_55
.LBB559_31:                             ;   in Loop: Header=BB559_17 Depth=2
	s_or_b32 exec_lo, exec_lo, s6
	s_and_saveexec_b32 s6, s1
.LBB559_32:                             ;   in Loop: Header=BB559_17 Depth=2
	ds_store_b32 v36, v0
.LBB559_33:                             ;   in Loop: Header=BB559_17 Depth=2
	s_or_b32 exec_lo, exec_lo, s6
	ds_bpermute_b32 v33, v39, v6
	s_wait_dscnt 0x0
	s_barrier_signal -1
	s_barrier_wait -1
	v_add_f32_e32 v6, v6, v33
	ds_bpermute_b32 v33, v40, v6
	s_wait_dscnt 0x0
	v_add_f32_e32 v6, v6, v33
	ds_bpermute_b32 v33, v41, v6
	s_wait_dscnt 0x0
	;; [unrolled: 3-line block ×3, first 2 shown]
	v_add_f32_e32 v6, v6, v33
	ds_bpermute_b32 v33, v43, v6
	s_and_saveexec_b32 s6, s3
	s_cbranch_execz .LBB559_35
; %bb.34:                               ;   in Loop: Header=BB559_17 Depth=2
	s_wait_dscnt 0x0
	v_add_f32_e32 v6, v6, v33
	ds_store_b32 v37, v6
.LBB559_35:                             ;   in Loop: Header=BB559_17 Depth=2
	s_or_b32 exec_lo, exec_lo, s6
	v_mov_b32_e32 v6, 0
	s_wait_dscnt 0x0
	s_barrier_signal -1
	s_barrier_wait -1
	s_and_saveexec_b32 s6, s2
	s_cbranch_execnz .LBB559_56
; %bb.36:                               ;   in Loop: Header=BB559_17 Depth=2
	s_or_b32 exec_lo, exec_lo, s6
	s_and_saveexec_b32 s6, s1
	s_cbranch_execnz .LBB559_57
.LBB559_37:                             ;   in Loop: Header=BB559_17 Depth=2
	s_or_b32 exec_lo, exec_lo, s6
	s_and_saveexec_b32 s6, s1
.LBB559_38:                             ;   in Loop: Header=BB559_17 Depth=2
	ds_store_b32 v36, v0
.LBB559_39:                             ;   in Loop: Header=BB559_17 Depth=2
	s_or_b32 exec_lo, exec_lo, s6
	ds_bpermute_b32 v33, v39, v7
	s_wait_dscnt 0x0
	s_barrier_signal -1
	s_barrier_wait -1
	v_add_f32_e32 v7, v7, v33
	ds_bpermute_b32 v33, v40, v7
	s_wait_dscnt 0x0
	v_add_f32_e32 v7, v7, v33
	ds_bpermute_b32 v33, v41, v7
	s_wait_dscnt 0x0
	v_add_f32_e32 v7, v7, v33
	ds_bpermute_b32 v33, v42, v7
	s_wait_dscnt 0x0
	v_add_f32_e32 v7, v7, v33
	ds_bpermute_b32 v33, v43, v7
	s_and_saveexec_b32 s6, s3
	s_cbranch_execz .LBB559_41
; %bb.40:                               ;   in Loop: Header=BB559_17 Depth=2
	s_wait_dscnt 0x0
	v_add_f32_e32 v7, v7, v33
	ds_store_b32 v37, v7
.LBB559_41:                             ;   in Loop: Header=BB559_17 Depth=2
	s_or_b32 exec_lo, exec_lo, s6
	v_mov_b32_e32 v7, 0
	s_wait_dscnt 0x0
	s_barrier_signal -1
	s_barrier_wait -1
	s_and_saveexec_b32 s6, s2
	s_cbranch_execnz .LBB559_58
; %bb.42:                               ;   in Loop: Header=BB559_17 Depth=2
	s_or_b32 exec_lo, exec_lo, s6
	s_and_saveexec_b32 s6, s1
	s_cbranch_execnz .LBB559_59
.LBB559_43:                             ;   in Loop: Header=BB559_17 Depth=2
	s_or_b32 exec_lo, exec_lo, s6
	s_and_saveexec_b32 s6, s0
	s_cbranch_execz .LBB559_16
	s_branch .LBB559_60
.LBB559_44:                             ;   in Loop: Header=BB559_17 Depth=2
	s_mul_i32 s66, s26, s28
	s_clause 0x3
	global_load_u16 v1, v[22:23], off
	global_load_u16 v44, v[24:25], off
	;; [unrolled: 1-line block ×4, first 2 shown]
	s_ashr_i32 s67, s66, 31
	s_add_co_i32 s74, s66, s28
	v_lshl_add_u64 v[2:3], s[66:67], 1, v[20:21]
	s_add_co_i32 s66, s74, s28
	s_ashr_i32 s75, s74, 31
	s_add_co_i32 s76, s66, s28
	s_ashr_i32 s67, s66, 31
	s_ashr_i32 s77, s76, 31
	v_lshl_add_u64 v[4:5], s[66:67], 1, v[20:21]
	s_wait_dscnt 0x0
	v_lshl_add_u64 v[6:7], s[76:77], 1, v[20:21]
	s_clause 0x2
	global_load_b64 v[32:33], v[2:3], off
	global_load_b64 v[4:5], v[4:5], off
	;; [unrolled: 1-line block ×3, first 2 shown]
	s_wait_xcnt 0x2
	v_lshl_add_u64 v[2:3], s[74:75], 1, v[20:21]
	global_load_b64 v[34:35], v[2:3], off
	s_wait_loadcnt 0x6
	s_wait_xcnt 0x0
	v_dual_lshlrev_b32 v2, 16, v1 :: v_dual_lshlrev_b32 v45, 16, v44
	s_wait_loadcnt 0x4
	v_dual_lshlrev_b32 v48, 16, v46 :: v_dual_lshlrev_b32 v47, 16, v47
	s_delay_alu instid0(VALU_DEP_1)
	v_dual_mov_b32 v50, v45 :: v_dual_mov_b32 v52, v47
	s_wait_loadcnt 0x3
	v_dual_lshlrev_b32 v54, 16, v32 :: v_dual_lshlrev_b32 v56, 16, v33
	s_wait_loadcnt 0x1
	v_dual_lshlrev_b32 v1, 16, v4 :: v_dual_lshlrev_b32 v44, 16, v6
	v_and_b32_e32 v3, 0xffff0000, v6
	v_and_b32_e32 v51, 0xffff0000, v4
	v_dual_lshlrev_b32 v53, 16, v5 :: v_dual_lshlrev_b32 v46, 16, v7
	v_and_b32_e32 v62, 0xffff0000, v5
	s_delay_alu instid0(VALU_DEP_4) | instskip(SKIP_3) | instid1(VALU_DEP_3)
	v_pk_mul_f32 v[4:5], v[44:45], v[2:3]
	v_and_b32_e32 v49, 0xffff0000, v7
	s_wait_loadcnt 0x0
	v_dual_mul_f32 v6, v2, v1 :: v_dual_lshlrev_b32 v55, 16, v34
	v_dual_mov_b32 v3, v45 :: v_dual_mov_b32 v7, v4
	v_and_b32_e32 v32, 0xffff0000, v32
	v_and_b32_e32 v58, 0xffff0000, v33
	v_and_b32_e32 v33, 0xffff0000, v34
	v_dual_mul_f32 v4, v45, v51 :: v_dual_mul_f32 v60, v48, v53
	v_pk_mul_f32 v[44:45], v[46:47], v[48:49]
	v_pk_add_f32 v[6:7], v[6:7], 0 op_sel_hi:[1,0]
	v_pk_fma_f32 v[54:55], v[2:3], v[54:55], 0 op_sel_hi:[0,1,0]
	v_lshlrev_b32_e32 v57, 16, v35
	v_and_b32_e32 v59, 0xffff0000, v35
	v_mov_b32_e32 v61, v44
	v_pk_add_f32 v[4:5], v[6:7], v[4:5]
	v_pk_fma_f32 v[6:7], v[50:51], v[32:33], v[54:55] op_sel_hi:[0,1,1]
	v_mul_f32_e32 v44, v47, v62
	s_delay_alu instid0(VALU_DEP_3) | instskip(NEXT) | instid1(VALU_DEP_3)
	v_pk_add_f32 v[32:33], v[4:5], v[60:61]
	v_pk_fma_f32 v[34:35], v[48:49], v[56:57], v[6:7] op_sel_hi:[0,1,1]
	v_dual_mov_b32 v4, v48 :: v_dual_mov_b32 v5, v47
	s_delay_alu instid0(VALU_DEP_3) | instskip(NEXT) | instid1(VALU_DEP_3)
	v_pk_add_f32 v[6:7], v[32:33], v[44:45]
	v_pk_fma_f32 v[32:33], v[52:53], v[58:59], v[34:35] op_sel_hi:[0,1,1]
	s_and_not1_saveexec_b32 s25, s6
	s_cbranch_execz .LBB559_19
.LBB559_45:                             ;   in Loop: Header=BB559_17 Depth=2
	s_wait_dscnt 0x0
	v_dual_mov_b32 v7, 0 :: v_dual_mov_b32 v6, 0
	v_dual_mov_b32 v33, 0 :: v_dual_mov_b32 v32, 0
	s_and_saveexec_b32 s35, s5
	s_cbranch_execz .LBB559_62
; %bb.46:                               ;   in Loop: Header=BB559_17 Depth=2
	s_and_not1_b32 vcc_lo, exec_lo, s71
	s_cbranch_vccnz .LBB559_49
; %bb.47:                               ;   in Loop: Header=BB559_17 Depth=2
	v_mov_b32_e32 v1, v8
	s_mov_b64 s[66:67], 0
.LBB559_48:                             ;   Parent Loop BB559_3 Depth=1
                                        ;     Parent Loop BB559_17 Depth=2
                                        ; =>    This Inner Loop Header: Depth=3
	global_load_u16 v6, v1, s[56:57] scale_offset
	s_cmp_eq_u32 s66, 3
	s_wait_xcnt 0x0
	v_add_nc_u32_e32 v1, s10, v1
	s_cselect_b32 vcc_lo, -1, 0
	s_cmp_eq_u32 s66, 2
	s_cselect_b32 s6, -1, 0
	s_cmp_eq_u32 s66, 1
	s_cselect_b32 s7, -1, 0
	s_cmp_eq_u32 s66, 0
	s_add_nc_u64 s[66:67], s[66:67], 1
	s_wait_loadcnt 0x0
	v_lshlrev_b32_e32 v6, 16, v6
	s_delay_alu instid0(VALU_DEP_1) | instskip(SKIP_1) | instid1(SALU_CYCLE_1)
	v_dual_cndmask_b32 v5, v5, v6, vcc_lo :: v_dual_cndmask_b32 v4, v4, v6, s6
	s_cselect_b32 vcc_lo, -1, 0
	v_dual_cndmask_b32 v3, v3, v6, s7 :: v_dual_cndmask_b32 v2, v2, v6, vcc_lo
	s_cmp_eq_u32 s69, s66
	s_cbranch_scc0 .LBB559_48
.LBB559_49:                             ;   in Loop: Header=BB559_17 Depth=2
	s_and_not1_b32 vcc_lo, exec_lo, s71
	s_cbranch_vccnz .LBB559_61
; %bb.50:                               ;   in Loop: Header=BB559_17 Depth=2
	v_mov_b32_e32 v32, 0
	s_ashr_i32 s61, s60, 31
	s_mov_b64 s[6:7], 0
	v_lshl_add_u64 v[34:35], s[60:61], 1, v[30:31]
	s_delay_alu instid0(VALU_DEP_2)
	v_dual_mov_b32 v33, v32 :: v_dual_mov_b32 v6, v32
	v_mov_b32_e32 v7, v32
.LBB559_51:                             ;   Parent Loop BB559_3 Depth=1
                                        ;     Parent Loop BB559_17 Depth=2
                                        ; =>    This Inner Loop Header: Depth=3
	s_cmp_eq_u32 s6, 1
	s_cselect_b32 vcc_lo, -1, 0
	s_cmp_eq_u32 s6, 2
	v_cndmask_b32_e32 v1, v2, v3, vcc_lo
	s_cselect_b32 vcc_lo, -1, 0
	s_cmp_eq_u32 s6, 3
	s_delay_alu instid0(VALU_DEP_1)
	v_cndmask_b32_e32 v1, v1, v4, vcc_lo
	s_cselect_b32 vcc_lo, -1, 0
	s_add_co_i32 s66, s64, s6
	s_add_co_i32 s76, s8, s6
	;; [unrolled: 1-line block ×3, first 2 shown]
	s_ashr_i32 s67, s66, 31
	s_ashr_i32 s77, s76, 31
	;; [unrolled: 1-line block ×3, first 2 shown]
	v_lshl_add_u64 v[44:45], s[66:67], 1, v[20:21]
	v_lshl_add_u64 v[46:47], s[76:77], 1, v[20:21]
	;; [unrolled: 1-line block ×3, first 2 shown]
	global_load_u16 v50, v[34:35], off
	s_clause 0x2
	global_load_u16 v45, v[44:45], off
	global_load_u16 v51, v[46:47], off
	;; [unrolled: 1-line block ×3, first 2 shown]
	s_wait_xcnt 0x3
	v_add_nc_u64_e32 v[34:35], 2, v[34:35]
	s_add_nc_u64 s[6:7], s[6:7], 1
	s_delay_alu instid0(SALU_CYCLE_1)
	s_cmp_lg_u32 s69, s6
	s_wait_loadcnt 0x2
	s_wait_xcnt 0x1
	v_dual_lshlrev_b32 v46, 16, v50 :: v_dual_lshlrev_b32 v47, 16, v45
	s_wait_loadcnt 0x1
	s_wait_xcnt 0x0
	v_dual_cndmask_b32 v44, v1, v5 :: v_dual_lshlrev_b32 v49, 16, v51
	s_wait_loadcnt 0x0
	v_lshlrev_b32_e32 v48, 16, v48
	s_delay_alu instid0(VALU_DEP_2) | instskip(NEXT) | instid1(VALU_DEP_2)
	v_pk_fma_f32 v[32:33], v[44:45], v[46:47], v[32:33] op_sel_hi:[0,1,1]
	v_pk_fma_f32 v[6:7], v[44:45], v[48:49], v[6:7] op_sel_hi:[0,1,1]
	s_cbranch_scc1 .LBB559_51
	s_branch .LBB559_62
.LBB559_52:                             ;   in Loop: Header=BB559_17 Depth=2
	ds_load_b32 v1, v36
	s_or_b32 exec_lo, exec_lo, s6
	s_and_saveexec_b32 s6, s1
	s_cbranch_execz .LBB559_25
.LBB559_53:                             ;   in Loop: Header=BB559_17 Depth=2
	s_wait_dscnt 0x0
	ds_bpermute_b32 v32, v41, v1
	s_wait_dscnt 0x0
	v_add_f32_e32 v1, v1, v32
	ds_bpermute_b32 v32, v42, v1
	s_wait_dscnt 0x0
	v_add_f32_e32 v1, v1, v32
	ds_bpermute_b32 v32, v43, v1
	s_wait_dscnt 0x0
	v_add_f32_e32 v1, v1, v32
	s_or_b32 exec_lo, exec_lo, s6
	s_and_saveexec_b32 s6, s1
	s_cbranch_execnz .LBB559_26
	s_branch .LBB559_27
.LBB559_54:                             ;   in Loop: Header=BB559_17 Depth=2
	ds_load_b32 v32, v36
	s_or_b32 exec_lo, exec_lo, s6
	s_and_saveexec_b32 s6, s1
	s_cbranch_execz .LBB559_31
.LBB559_55:                             ;   in Loop: Header=BB559_17 Depth=2
	s_wait_dscnt 0x0
	ds_bpermute_b32 v33, v41, v32
	s_wait_dscnt 0x0
	v_add_f32_e32 v32, v32, v33
	ds_bpermute_b32 v33, v42, v32
	s_wait_dscnt 0x0
	v_add_f32_e32 v32, v32, v33
	;; [unrolled: 3-line block ×3, first 2 shown]
	s_or_b32 exec_lo, exec_lo, s6
	s_and_saveexec_b32 s6, s1
	s_cbranch_execnz .LBB559_32
	s_branch .LBB559_33
.LBB559_56:                             ;   in Loop: Header=BB559_17 Depth=2
	ds_load_b32 v6, v36
	s_or_b32 exec_lo, exec_lo, s6
	s_and_saveexec_b32 s6, s1
	s_cbranch_execz .LBB559_37
.LBB559_57:                             ;   in Loop: Header=BB559_17 Depth=2
	s_wait_dscnt 0x0
	ds_bpermute_b32 v33, v41, v6
	s_wait_dscnt 0x0
	v_add_f32_e32 v6, v6, v33
	ds_bpermute_b32 v33, v42, v6
	s_wait_dscnt 0x0
	v_add_f32_e32 v6, v6, v33
	;; [unrolled: 3-line block ×3, first 2 shown]
	s_or_b32 exec_lo, exec_lo, s6
	s_and_saveexec_b32 s6, s1
	s_cbranch_execnz .LBB559_38
	s_branch .LBB559_39
.LBB559_58:                             ;   in Loop: Header=BB559_17 Depth=2
	ds_load_b32 v7, v36
	s_or_b32 exec_lo, exec_lo, s6
	s_and_saveexec_b32 s6, s1
	s_cbranch_execz .LBB559_43
.LBB559_59:                             ;   in Loop: Header=BB559_17 Depth=2
	s_wait_dscnt 0x0
	ds_bpermute_b32 v33, v41, v7
	s_wait_dscnt 0x0
	v_add_f32_e32 v7, v7, v33
	ds_bpermute_b32 v33, v42, v7
	s_wait_dscnt 0x0
	v_add_f32_e32 v7, v7, v33
	;; [unrolled: 3-line block ×3, first 2 shown]
	s_or_b32 exec_lo, exec_lo, s6
	s_and_saveexec_b32 s6, s0
	s_cbranch_execz .LBB559_16
.LBB559_60:                             ;   in Loop: Header=BB559_17 Depth=2
	s_mul_i32 s7, s26, s30
	v_dual_mul_f32 v1, s22, v1 :: v_dual_mul_f32 v32, s22, v32
	s_add_co_i32 s7, s7, s34
	s_delay_alu instid0(SALU_CYCLE_1) | instskip(NEXT) | instid1(SALU_CYCLE_1)
	s_add_co_i32 s25, s7, s30
	v_dual_mov_b32 v33, s7 :: v_dual_mov_b32 v34, s25
	s_add_co_i32 s7, s25, s30
	s_delay_alu instid0(SALU_CYCLE_1)
	v_dual_mul_f32 v6, s22, v6 :: v_dual_mov_b32 v35, s7
	s_add_co_i32 s7, s7, s30
	s_wait_dscnt 0x0
	v_dual_mul_f32 v7, s22, v7 :: v_dual_mov_b32 v44, s7
	s_clause 0x3
	global_store_b32 v33, v1, s[58:59] scale_offset
	global_store_b32 v34, v32, s[58:59] scale_offset
	;; [unrolled: 1-line block ×4, first 2 shown]
	s_branch .LBB559_16
.LBB559_61:                             ;   in Loop: Header=BB559_17 Depth=2
	v_mov_b32_e32 v7, 0
	s_delay_alu instid0(VALU_DEP_1)
	v_dual_mov_b32 v6, v7 :: v_dual_mov_b32 v33, v7
	v_mov_b32_e32 v32, v7
.LBB559_62:                             ;   in Loop: Header=BB559_17 Depth=2
	s_or_b32 exec_lo, exec_lo, s35
	s_delay_alu instid0(SALU_CYCLE_1)
	s_or_b32 exec_lo, exec_lo, s25
	s_and_saveexec_b32 s6, s1
	s_cbranch_execnz .LBB559_20
	s_branch .LBB559_21
.LBB559_63:                             ;   in Loop: Header=BB559_3 Depth=1
	v_dual_mov_b32 v1, v0 :: v_dual_mov_b32 v2, v0
	v_mov_b32_e32 v3, v0
	s_mov_b32 s26, 0
	s_delay_alu instid0(VALU_DEP_1) | instskip(NEXT) | instid1(VALU_DEP_3)
	v_mov_b64_e32 v[4:5], v[2:3]
	v_mov_b64_e32 v[2:3], v[0:1]
.LBB559_64:                             ;   in Loop: Header=BB559_3 Depth=1
	s_cmp_ge_i32 s26, s21
	s_cbranch_scc1 .LBB559_2
; %bb.65:                               ;   in Loop: Header=BB559_3 Depth=1
	v_cmp_gt_u32_e32 vcc_lo, 24, v38
	s_add_nc_u64 s[8:9], s[58:59], s[38:39]
	s_mul_i32 s58, s28, s26
	v_cndmask_b32_e64 v1, 0, 8, vcc_lo
	v_cmp_gt_u32_e32 vcc_lo, 28, v38
	s_delay_alu instid0(VALU_DEP_2) | instskip(SKIP_4) | instid1(VALU_DEP_2)
	v_add_lshl_u32 v1, v1, v38, 2
	s_wait_dscnt 0x0
	v_cndmask_b32_e64 v6, 0, 4, vcc_lo
	v_cmp_gt_u32_e32 vcc_lo, 30, v38
	s_wait_dscnt 0x0
	v_add_lshl_u32 v7, v6, v38, 2
	v_cndmask_b32_e64 v32, 0, 2, vcc_lo
	v_cmp_ne_u32_e32 vcc_lo, 31, v38
	s_delay_alu instid0(VALU_DEP_2) | instskip(SKIP_1) | instid1(VALU_DEP_1)
	v_add_lshl_u32 v34, v32, v38, 2
	v_add_co_ci_u32_e64 v33, null, 0, v38, vcc_lo
	v_lshlrev_b32_e32 v35, 2, v33
	s_branch .LBB559_67
.LBB559_66:                             ;   in Loop: Header=BB559_67 Depth=2
	s_wait_xcnt 0x0
	s_or_b32 exec_lo, exec_lo, s6
	s_add_co_i32 s26, s26, 1
	s_add_co_i32 s58, s58, s28
	s_cmp_ge_i32 s26, s21
	s_cbranch_scc1 .LBB559_2
.LBB559_67:                             ;   Parent Loop BB559_3 Depth=1
                                        ; =>  This Loop Header: Depth=2
                                        ;       Child Loop BB559_80 Depth 3
                                        ;       Child Loop BB559_83 Depth 3
	s_wait_dscnt 0x0
	v_mov_b32_e32 v6, s27
	s_and_saveexec_b32 s6, s4
	s_delay_alu instid0(SALU_CYCLE_1)
	s_xor_b32 s6, exec_lo, s6
	s_cbranch_execnz .LBB559_76
; %bb.68:                               ;   in Loop: Header=BB559_67 Depth=2
	s_and_not1_saveexec_b32 s25, s6
	s_cbranch_execnz .LBB559_77
.LBB559_69:                             ;   in Loop: Header=BB559_67 Depth=2
	s_or_b32 exec_lo, exec_lo, s25
	s_and_saveexec_b32 s6, s1
.LBB559_70:                             ;   in Loop: Header=BB559_67 Depth=2
	ds_store_b32 v36, v0
.LBB559_71:                             ;   in Loop: Header=BB559_67 Depth=2
	s_or_b32 exec_lo, exec_lo, s6
	ds_bpermute_b32 v32, v39, v6
	s_wait_storecnt_dscnt 0x0
	s_barrier_signal -1
	s_barrier_wait -1
	v_add_f32_e32 v6, v6, v32
	ds_bpermute_b32 v32, v1, v6
	s_wait_dscnt 0x0
	v_add_f32_e32 v6, v6, v32
	ds_bpermute_b32 v32, v7, v6
	s_wait_dscnt 0x0
	;; [unrolled: 3-line block ×3, first 2 shown]
	v_add_f32_e32 v6, v6, v32
	ds_bpermute_b32 v32, v35, v6
	s_and_saveexec_b32 s6, s3
	s_cbranch_execz .LBB559_73
; %bb.72:                               ;   in Loop: Header=BB559_67 Depth=2
	s_wait_dscnt 0x0
	v_add_f32_e32 v6, v6, v32
	ds_store_b32 v37, v6
.LBB559_73:                             ;   in Loop: Header=BB559_67 Depth=2
	s_or_b32 exec_lo, exec_lo, s6
	v_mov_b32_e32 v6, 0
	s_wait_dscnt 0x0
	s_barrier_signal -1
	s_barrier_wait -1
	s_and_saveexec_b32 s6, s2
	s_cbranch_execnz .LBB559_85
; %bb.74:                               ;   in Loop: Header=BB559_67 Depth=2
	s_or_b32 exec_lo, exec_lo, s6
	s_and_saveexec_b32 s6, s1
	s_cbranch_execnz .LBB559_86
.LBB559_75:                             ;   in Loop: Header=BB559_67 Depth=2
	s_or_b32 exec_lo, exec_lo, s6
	s_and_saveexec_b32 s6, s0
	s_cbranch_execz .LBB559_66
	s_branch .LBB559_87
.LBB559_76:                             ;   in Loop: Header=BB559_67 Depth=2
	s_mul_i32 s60, s26, s28
	s_delay_alu instid0(SALU_CYCLE_1) | instskip(NEXT) | instid1(SALU_CYCLE_1)
	s_ashr_i32 s61, s60, 31
	v_lshl_add_u64 v[2:3], s[60:61], 1, v[20:21]
	s_clause 0x1
	global_load_u16 v4, v[24:25], off
	global_load_u16 v5, v[22:23], off
	global_load_b64 v[32:33], v[2:3], off
	s_clause 0x1
	global_load_u16 v6, v[28:29], off
	global_load_u16 v42, v[26:27], off
	s_wait_loadcnt 0x3
	s_wait_xcnt 0x2
	v_dual_lshlrev_b32 v3, 16, v4 :: v_dual_lshlrev_b32 v2, 16, v5
	s_wait_loadcnt 0x2
	v_and_b32_e32 v5, 0xffff0000, v32
	v_lshlrev_b32_e32 v4, 16, v32
	v_and_b32_e32 v43, 0xffff0000, v33
	s_delay_alu instid0(VALU_DEP_2) | instskip(SKIP_3) | instid1(VALU_DEP_2)
	v_pk_mul_f32 v[40:41], v[2:3], v[4:5]
	s_wait_loadcnt 0x1
	v_lshlrev_b32_e32 v5, 16, v6
	s_wait_loadcnt 0x0
	v_dual_lshlrev_b32 v4, 16, v42 :: v_dual_add_f32 v6, 0, v40
	s_delay_alu instid0(VALU_DEP_1) | instskip(SKIP_1) | instid1(VALU_DEP_1)
	v_add_f32_e32 v6, v6, v41
	v_lshlrev_b32_e32 v42, 16, v33
	v_pk_mul_f32 v[32:33], v[4:5], v[42:43]
	s_delay_alu instid0(VALU_DEP_1) | instskip(NEXT) | instid1(VALU_DEP_1)
	v_add_f32_e32 v6, v6, v32
	v_add_f32_e32 v6, v6, v33
	s_wait_xcnt 0x0
	s_and_not1_saveexec_b32 s25, s6
	s_cbranch_execz .LBB559_69
.LBB559_77:                             ;   in Loop: Header=BB559_67 Depth=2
	s_and_saveexec_b32 s35, s5
	s_cbranch_execz .LBB559_84
; %bb.78:                               ;   in Loop: Header=BB559_67 Depth=2
	s_and_not1_b32 vcc_lo, exec_lo, s71
	s_cbranch_vccnz .LBB559_81
; %bb.79:                               ;   in Loop: Header=BB559_67 Depth=2
	v_mov_b32_e32 v32, v8
	s_mov_b64 s[60:61], 0
.LBB559_80:                             ;   Parent Loop BB559_3 Depth=1
                                        ;     Parent Loop BB559_67 Depth=2
                                        ; =>    This Inner Loop Header: Depth=3
	global_load_u16 v33, v32, s[56:57] scale_offset
	s_cmp_eq_u32 s60, 3
	s_wait_xcnt 0x0
	v_add_nc_u32_e32 v32, s10, v32
	s_cselect_b32 vcc_lo, -1, 0
	s_cmp_eq_u32 s60, 2
	s_cselect_b32 s6, -1, 0
	s_cmp_eq_u32 s60, 1
	s_cselect_b32 s7, -1, 0
	s_cmp_eq_u32 s60, 0
	s_add_nc_u64 s[60:61], s[60:61], 1
	s_wait_loadcnt 0x0
	v_lshlrev_b32_e32 v33, 16, v33
	s_delay_alu instid0(VALU_DEP_1) | instskip(SKIP_1) | instid1(SALU_CYCLE_1)
	v_dual_cndmask_b32 v5, v5, v33, vcc_lo :: v_dual_cndmask_b32 v4, v4, v33, s6
	s_cselect_b32 vcc_lo, -1, 0
	v_dual_cndmask_b32 v3, v3, v33, s7 :: v_dual_cndmask_b32 v2, v2, v33, vcc_lo
	s_cmp_eq_u32 s69, s60
	s_cbranch_scc0 .LBB559_80
.LBB559_81:                             ;   in Loop: Header=BB559_67 Depth=2
	s_and_not1_b32 vcc_lo, exec_lo, s71
	s_cbranch_vccnz .LBB559_84
; %bb.82:                               ;   in Loop: Header=BB559_67 Depth=2
	s_ashr_i32 s59, s58, 31
	s_mov_b64 s[6:7], 0
	v_lshl_add_u64 v[32:33], s[58:59], 1, v[30:31]
.LBB559_83:                             ;   Parent Loop BB559_3 Depth=1
                                        ;     Parent Loop BB559_67 Depth=2
                                        ; =>    This Inner Loop Header: Depth=3
	global_load_u16 v40, v[32:33], off
	s_cmp_eq_u32 s6, 1
	s_wait_xcnt 0x0
	v_add_nc_u64_e32 v[32:33], 2, v[32:33]
	s_cselect_b32 vcc_lo, -1, 0
	s_cmp_eq_u32 s6, 2
	v_cndmask_b32_e32 v41, v2, v3, vcc_lo
	s_cselect_b32 vcc_lo, -1, 0
	s_cmp_eq_u32 s6, 3
	s_add_nc_u64 s[6:7], s[6:7], 1
	s_delay_alu instid0(VALU_DEP_1) | instskip(SKIP_2) | instid1(VALU_DEP_1)
	v_cndmask_b32_e32 v41, v41, v4, vcc_lo
	s_cselect_b32 vcc_lo, -1, 0
	s_cmp_lg_u32 s69, s6
	v_cndmask_b32_e32 v41, v41, v5, vcc_lo
	s_wait_loadcnt 0x0
	s_delay_alu instid0(VALU_DEP_1)
	v_fma_mix_f32_bf16 v6, v41, v40, v6 op_sel_hi:[0,1,0]
	s_cbranch_scc1 .LBB559_83
.LBB559_84:                             ;   in Loop: Header=BB559_67 Depth=2
	s_or_b32 exec_lo, exec_lo, s35
	s_delay_alu instid0(SALU_CYCLE_1)
	s_or_b32 exec_lo, exec_lo, s25
	s_and_saveexec_b32 s6, s1
	s_cbranch_execnz .LBB559_70
	s_branch .LBB559_71
.LBB559_85:                             ;   in Loop: Header=BB559_67 Depth=2
	ds_load_b32 v6, v36
	s_or_b32 exec_lo, exec_lo, s6
	s_and_saveexec_b32 s6, s1
	s_cbranch_execz .LBB559_75
.LBB559_86:                             ;   in Loop: Header=BB559_67 Depth=2
	s_wait_dscnt 0x0
	ds_bpermute_b32 v32, v7, v6
	s_wait_dscnt 0x0
	v_add_f32_e32 v6, v6, v32
	ds_bpermute_b32 v32, v34, v6
	s_wait_dscnt 0x0
	v_add_f32_e32 v6, v6, v32
	;; [unrolled: 3-line block ×3, first 2 shown]
	s_or_b32 exec_lo, exec_lo, s6
	s_and_saveexec_b32 s6, s0
	s_cbranch_execz .LBB559_66
.LBB559_87:                             ;   in Loop: Header=BB559_67 Depth=2
	s_mul_u64 s[60:61], s[26:27], s[30:31]
	s_wait_dscnt 0x0
	v_mul_f32_e32 v6, s22, v6
	s_lshl_b64 s[60:61], s[60:61], 2
	s_delay_alu instid0(SALU_CYCLE_1)
	s_add_nc_u64 s[60:61], s[8:9], s[60:61]
	global_store_b32 v0, v6, s[60:61]
	s_branch .LBB559_66
.LBB559_88:
	s_endpgm
	.section	.rodata,"a",@progbits
	.p2align	6, 0x0
	.amdhsa_kernel _ZL23rocblas_gemvt_sn_kernelILb0ELi256ELi4Ei16rocblas_bfloat16ffEviiT4_lPKT3_lilS4_lilPT5_i
		.amdhsa_group_segment_fixed_size 128
		.amdhsa_private_segment_fixed_size 0
		.amdhsa_kernarg_size 360
		.amdhsa_user_sgpr_count 2
		.amdhsa_user_sgpr_dispatch_ptr 0
		.amdhsa_user_sgpr_queue_ptr 0
		.amdhsa_user_sgpr_kernarg_segment_ptr 1
		.amdhsa_user_sgpr_dispatch_id 0
		.amdhsa_user_sgpr_kernarg_preload_length 0
		.amdhsa_user_sgpr_kernarg_preload_offset 0
		.amdhsa_user_sgpr_private_segment_size 0
		.amdhsa_wavefront_size32 1
		.amdhsa_uses_dynamic_stack 0
		.amdhsa_enable_private_segment 0
		.amdhsa_system_sgpr_workgroup_id_x 1
		.amdhsa_system_sgpr_workgroup_id_y 0
		.amdhsa_system_sgpr_workgroup_id_z 1
		.amdhsa_system_sgpr_workgroup_info 0
		.amdhsa_system_vgpr_workitem_id 0
		.amdhsa_next_free_vgpr 63
		.amdhsa_next_free_sgpr 78
		.amdhsa_named_barrier_count 0
		.amdhsa_reserve_vcc 1
		.amdhsa_float_round_mode_32 0
		.amdhsa_float_round_mode_16_64 0
		.amdhsa_float_denorm_mode_32 3
		.amdhsa_float_denorm_mode_16_64 3
		.amdhsa_fp16_overflow 0
		.amdhsa_memory_ordered 1
		.amdhsa_forward_progress 1
		.amdhsa_inst_pref_size 33
		.amdhsa_round_robin_scheduling 0
		.amdhsa_exception_fp_ieee_invalid_op 0
		.amdhsa_exception_fp_denorm_src 0
		.amdhsa_exception_fp_ieee_div_zero 0
		.amdhsa_exception_fp_ieee_overflow 0
		.amdhsa_exception_fp_ieee_underflow 0
		.amdhsa_exception_fp_ieee_inexact 0
		.amdhsa_exception_int_div_zero 0
	.end_amdhsa_kernel
	.section	.text._ZL23rocblas_gemvt_sn_kernelILb0ELi256ELi4Ei16rocblas_bfloat16ffEviiT4_lPKT3_lilS4_lilPT5_i,"axG",@progbits,_ZL23rocblas_gemvt_sn_kernelILb0ELi256ELi4Ei16rocblas_bfloat16ffEviiT4_lPKT3_lilS4_lilPT5_i,comdat
.Lfunc_end559:
	.size	_ZL23rocblas_gemvt_sn_kernelILb0ELi256ELi4Ei16rocblas_bfloat16ffEviiT4_lPKT3_lilS4_lilPT5_i, .Lfunc_end559-_ZL23rocblas_gemvt_sn_kernelILb0ELi256ELi4Ei16rocblas_bfloat16ffEviiT4_lPKT3_lilS4_lilPT5_i
                                        ; -- End function
	.set _ZL23rocblas_gemvt_sn_kernelILb0ELi256ELi4Ei16rocblas_bfloat16ffEviiT4_lPKT3_lilS4_lilPT5_i.num_vgpr, 63
	.set _ZL23rocblas_gemvt_sn_kernelILb0ELi256ELi4Ei16rocblas_bfloat16ffEviiT4_lPKT3_lilS4_lilPT5_i.num_agpr, 0
	.set _ZL23rocblas_gemvt_sn_kernelILb0ELi256ELi4Ei16rocblas_bfloat16ffEviiT4_lPKT3_lilS4_lilPT5_i.numbered_sgpr, 78
	.set _ZL23rocblas_gemvt_sn_kernelILb0ELi256ELi4Ei16rocblas_bfloat16ffEviiT4_lPKT3_lilS4_lilPT5_i.num_named_barrier, 0
	.set _ZL23rocblas_gemvt_sn_kernelILb0ELi256ELi4Ei16rocblas_bfloat16ffEviiT4_lPKT3_lilS4_lilPT5_i.private_seg_size, 0
	.set _ZL23rocblas_gemvt_sn_kernelILb0ELi256ELi4Ei16rocblas_bfloat16ffEviiT4_lPKT3_lilS4_lilPT5_i.uses_vcc, 1
	.set _ZL23rocblas_gemvt_sn_kernelILb0ELi256ELi4Ei16rocblas_bfloat16ffEviiT4_lPKT3_lilS4_lilPT5_i.uses_flat_scratch, 0
	.set _ZL23rocblas_gemvt_sn_kernelILb0ELi256ELi4Ei16rocblas_bfloat16ffEviiT4_lPKT3_lilS4_lilPT5_i.has_dyn_sized_stack, 0
	.set _ZL23rocblas_gemvt_sn_kernelILb0ELi256ELi4Ei16rocblas_bfloat16ffEviiT4_lPKT3_lilS4_lilPT5_i.has_recursion, 0
	.set _ZL23rocblas_gemvt_sn_kernelILb0ELi256ELi4Ei16rocblas_bfloat16ffEviiT4_lPKT3_lilS4_lilPT5_i.has_indirect_call, 0
	.section	.AMDGPU.csdata,"",@progbits
; Kernel info:
; codeLenInByte = 4116
; TotalNumSgprs: 80
; NumVgprs: 63
; ScratchSize: 0
; MemoryBound: 0
; FloatMode: 240
; IeeeMode: 1
; LDSByteSize: 128 bytes/workgroup (compile time only)
; SGPRBlocks: 0
; VGPRBlocks: 3
; NumSGPRsForWavesPerEU: 80
; NumVGPRsForWavesPerEU: 63
; NamedBarCnt: 0
; Occupancy: 16
; WaveLimiterHint : 0
; COMPUTE_PGM_RSRC2:SCRATCH_EN: 0
; COMPUTE_PGM_RSRC2:USER_SGPR: 2
; COMPUTE_PGM_RSRC2:TRAP_HANDLER: 0
; COMPUTE_PGM_RSRC2:TGID_X_EN: 1
; COMPUTE_PGM_RSRC2:TGID_Y_EN: 0
; COMPUTE_PGM_RSRC2:TGID_Z_EN: 1
; COMPUTE_PGM_RSRC2:TIDIG_COMP_CNT: 0
	.section	.text._ZL23rocblas_gemvt_sn_kernelILb0ELi256ELi4El16rocblas_bfloat16ffEviiT4_lPKT3_lilS4_lilPT5_i,"axG",@progbits,_ZL23rocblas_gemvt_sn_kernelILb0ELi256ELi4El16rocblas_bfloat16ffEviiT4_lPKT3_lilS4_lilPT5_i,comdat
	.globl	_ZL23rocblas_gemvt_sn_kernelILb0ELi256ELi4El16rocblas_bfloat16ffEviiT4_lPKT3_lilS4_lilPT5_i ; -- Begin function _ZL23rocblas_gemvt_sn_kernelILb0ELi256ELi4El16rocblas_bfloat16ffEviiT4_lPKT3_lilS4_lilPT5_i
	.p2align	8
	.type	_ZL23rocblas_gemvt_sn_kernelILb0ELi256ELi4El16rocblas_bfloat16ffEviiT4_lPKT3_lilS4_lilPT5_i,@function
_ZL23rocblas_gemvt_sn_kernelILb0ELi256ELi4El16rocblas_bfloat16ffEviiT4_lPKT3_lilS4_lilPT5_i: ; @_ZL23rocblas_gemvt_sn_kernelILb0ELi256ELi4El16rocblas_bfloat16ffEviiT4_lPKT3_lilS4_lilPT5_i
; %bb.0:
	s_load_b32 s23, s[0:1], 0x60
	s_bfe_u32 s2, ttmp6, 0x40014
	s_lshr_b32 s3, ttmp7, 16
	s_add_co_i32 s2, s2, 1
	s_bfe_u32 s4, ttmp6, 0x40008
	s_mul_i32 s2, s3, s2
	s_getreg_b32 s25, hwreg(HW_REG_IB_STS2, 6, 4)
	s_add_co_i32 s4, s4, s2
	s_cmp_eq_u32 s25, 0
	s_mov_b32 s11, 0
	s_cselect_b32 s24, s3, s4
	s_wait_kmcnt 0x0
	s_cmp_ge_u32 s24, s23
	s_cbranch_scc1 .LBB560_88
; %bb.1:
	s_clause 0x6
	s_load_b32 s26, s[0:1], 0x28
	s_load_b96 s[8:10], s[0:1], 0x40
	s_load_b128 s[4:7], s[0:1], 0x18
	s_load_b96 s[20:22], s[0:1], 0x0
	s_load_b128 s[12:15], s[0:1], 0x30
	s_load_b128 s[16:19], s[0:1], 0x50
	s_load_b32 s28, s[0:1], 0x68
	s_wait_xcnt 0x0
	v_cmp_eq_u32_e64 s0, 0, v0
	v_dual_lshrrev_b32 v2, 3, v0 :: v_dual_bitop2_b32 v1, 31, v0 bitop3:0x40
	v_cmp_gt_u32_e64 s1, 32, v0
	v_cmp_gt_u32_e64 s2, 8, v0
	v_mbcnt_lo_u32_b32 v42, -1, 0
	s_delay_alu instid0(VALU_DEP_4)
	v_cmp_eq_u32_e64 s3, 0, v1
	v_dual_lshlrev_b32 v40, 2, v1 :: v_dual_bitop2_b32 v41, 28, v2 bitop3:0x40
	v_mov_b64_e32 v[20:21], 0
	s_mov_b32 s29, s11
	v_lshl_or_b32 v43, v42, 2, 64
	s_wait_kmcnt 0x0
	s_ashr_i32 s27, s26, 31
	s_ashr_i32 s47, s10, 31
	s_lshl_b64 s[8:9], s[8:9], 1
	s_lshl_b64 s[6:7], s[6:7], 1
	s_ashr_i32 s39, s21, 31
	s_cmp_eq_f32 s22, 0
	s_mov_b32 s46, s10
	s_add_nc_u64 s[14:15], s[14:15], s[8:9]
	s_add_nc_u64 s[4:5], s[4:5], s[6:7]
	s_cselect_b32 s33, -1, 0
	s_cmp_gt_i32 s21, 0
	s_mov_b32 s38, s21
	s_cselect_b32 s10, -1, 0
	s_bfe_u32 s30, ttmp6, 0x4000c
	s_and_b32 s8, ttmp6, 15
	s_add_co_i32 s30, s30, 1
	s_and_b32 s62, s0, s10
	s_mul_i32 s9, ttmp9, s30
	s_mul_u64 s[30:31], s[38:39], s[28:29]
	s_add_co_i32 s8, s8, s9
	s_cmp_eq_u32 s25, 0
	s_mul_u64 s[56:57], s[26:27], 6
	s_cselect_b32 s10, ttmp9, s8
	s_ashr_i32 s7, s20, 31
	s_lshl_b32 s6, s10, 10
	s_lshr_b32 s7, s7, 30
	v_lshl_or_b32 v0, v0, 2, s6
	s_add_co_i32 s7, s20, s7
	s_lshr_b32 s6, s39, 30
	s_and_b32 s7, s7, -4
	s_add_co_i32 s6, s21, s6
	s_sub_co_i32 s64, s20, s7
	v_dual_ashrrev_i32 v1, 31, v0 :: v_dual_add_nc_u32 v18, 4, v0
	v_dual_add_nc_u32 v19, s64, v0 :: v_dual_bitop2_b32 v2, 1, v0 bitop3:0x54
	v_or_b32_e32 v4, 2, v0
	v_or_b32_e32 v6, 3, v0
	s_delay_alu instid0(VALU_DEP_4) | instskip(NEXT) | instid1(VALU_DEP_4)
	v_mul_u64_e32 v[8:9], s[46:47], v[0:1]
	v_ashrrev_i32_e32 v3, 31, v2
	v_lshl_add_u64 v[16:17], v[0:1], 1, s[4:5]
	v_dual_mov_b32 v0, 0 :: v_dual_ashrrev_i32 v5, 31, v4
	v_ashrrev_i32_e32 v7, 31, v6
	s_delay_alu instid0(VALU_DEP_4)
	v_mul_u64_e32 v[10:11], s[46:47], v[2:3]
	s_and_b32 s63, s6, -4
	v_cmp_ge_i32_e64 s4, s20, v18
	v_mul_u64_e32 v[12:13], s[46:47], v[4:5]
	v_mul_u64_e32 v[14:15], s[46:47], v[6:7]
	s_cmp_gt_i32 s63, 0
	s_cselect_b32 s65, -1, 0
	s_cmp_gt_i32 s64, 0
	s_cselect_b32 s66, -1, 0
	s_cmp_gt_u32 s21, 1
	s_cselect_b32 s5, -1, 0
	s_cmp_eq_u32 s28, 1
	s_cselect_b32 s6, -1, 0
	s_and_b32 s67, s21, 0x7ffffffe
	s_and_b32 s68, s5, s6
	s_cmp_lg_u32 s21, s67
	v_cmp_ge_i32_e64 s5, s20, v19
	s_cselect_b32 s20, -1, 0
	s_lshl_b64 s[34:35], s[10:11], 2
	s_lshl_b64 s[36:37], s[30:31], 2
	;; [unrolled: 1-line block ×4, first 2 shown]
	v_lshl_add_u64 v[18:19], v[8:9], 1, s[14:15]
	s_lshl_b64 s[42:43], s[16:17], 1
	s_add_nc_u64 s[44:45], s[18:19], s[34:35]
	s_lshl_b64 s[46:47], s[46:47], 1
	s_lshl_b64 s[48:49], s[12:13], 1
	;; [unrolled: 1-line block ×5, first 2 shown]
	s_branch .LBB560_3
.LBB560_2:                              ;   in Loop: Header=BB560_3 Depth=1
	s_add_co_i32 s24, s24, 0x10000
	s_delay_alu instid0(SALU_CYCLE_1)
	s_cmp_lt_u32 s24, s23
	s_cbranch_scc0 .LBB560_88
.LBB560_3:                              ; =>This Loop Header: Depth=1
                                        ;     Child Loop BB560_7 Depth 2
                                        ;     Child Loop BB560_11 Depth 2
	;; [unrolled: 1-line block ×3, first 2 shown]
                                        ;       Child Loop BB560_48 Depth 3
                                        ;       Child Loop BB560_51 Depth 3
                                        ;     Child Loop BB560_67 Depth 2
                                        ;       Child Loop BB560_80 Depth 3
                                        ;       Child Loop BB560_83 Depth 3
	s_mov_b32 s25, s11
	s_and_not1_b32 vcc_lo, exec_lo, s33
	s_mov_b32 s6, -1
	s_cbranch_vccnz .LBB560_13
; %bb.4:                                ;   in Loop: Header=BB560_3 Depth=1
	s_and_saveexec_b32 s8, s62
	s_cbranch_execz .LBB560_12
; %bb.5:                                ;   in Loop: Header=BB560_3 Depth=1
	s_and_not1_b32 vcc_lo, exec_lo, s68
	s_cbranch_vccnz .LBB560_9
; %bb.6:                                ;   in Loop: Header=BB560_3 Depth=1
	s_mul_u64 s[6:7], s[36:37], s[24:25]
	s_mov_b32 s9, s67
	s_add_nc_u64 s[6:7], s[44:45], s[6:7]
.LBB560_7:                              ;   Parent Loop BB560_3 Depth=1
                                        ; =>  This Inner Loop Header: Depth=2
	s_add_co_i32 s9, s9, -2
	global_store_b64 v0, v[20:21], s[6:7]
	s_wait_xcnt 0x0
	s_add_nc_u64 s[6:7], s[6:7], 8
	s_mov_b32 s10, s67
	s_cmp_lg_u32 s9, 0
	s_mov_b32 s58, s20
	s_cbranch_scc1 .LBB560_7
; %bb.8:                                ;   in Loop: Header=BB560_3 Depth=1
	s_and_b32 vcc_lo, exec_lo, s58
	s_cbranch_vccnz .LBB560_10
	s_branch .LBB560_12
.LBB560_9:                              ;   in Loop: Header=BB560_3 Depth=1
	s_mov_b32 s10, 0
	s_cbranch_execz .LBB560_12
.LBB560_10:                             ;   in Loop: Header=BB560_3 Depth=1
	s_mul_u64 s[6:7], s[38:39], s[24:25]
	s_lshl_b64 s[58:59], s[10:11], 2
	s_sub_co_i32 s9, s21, s10
	s_add_nc_u64 s[6:7], s[6:7], s[58:59]
	s_delay_alu instid0(SALU_CYCLE_1) | instskip(NEXT) | instid1(SALU_CYCLE_1)
	s_mul_u64 s[6:7], s[28:29], s[6:7]
	s_add_nc_u64 s[6:7], s[44:45], s[6:7]
.LBB560_11:                             ;   Parent Loop BB560_3 Depth=1
                                        ; =>  This Inner Loop Header: Depth=2
	s_add_co_i32 s9, s9, -1
	global_store_b32 v0, v0, s[6:7]
	s_cmp_eq_u32 s9, 0
	s_wait_xcnt 0x0
	s_add_nc_u64 s[6:7], s[6:7], s[40:41]
	s_cbranch_scc0 .LBB560_11
.LBB560_12:                             ;   in Loop: Header=BB560_3 Depth=1
	s_or_b32 exec_lo, exec_lo, s8
	s_mov_b32 s6, 0
.LBB560_13:                             ;   in Loop: Header=BB560_3 Depth=1
	s_delay_alu instid0(SALU_CYCLE_1)
	s_and_not1_b32 vcc_lo, exec_lo, s6
	s_cbranch_vccnz .LBB560_2
; %bb.14:                               ;   in Loop: Header=BB560_3 Depth=1
	v_mad_nc_u64_u32 v[22:23], s42, s24, v[18:19]
	s_mul_u64 s[6:7], s[16:17], s[24:25]
	s_mul_u64 s[8:9], s[30:31], s[24:25]
	s_lshl_b64 s[6:7], s[6:7], 1
	s_mul_u64 s[58:59], s[12:13], s[24:25]
	s_add_nc_u64 s[6:7], s[14:15], s[6:7]
	s_lshl_b64 s[70:71], s[8:9], 2
	v_lshl_add_u64 v[24:25], s[58:59], 1, v[16:17]
	v_lshl_add_u64 v[26:27], v[8:9], 1, s[6:7]
	;; [unrolled: 1-line block ×4, first 2 shown]
	v_mad_u32 v23, s43, s24, v23
	v_lshl_add_u64 v[32:33], v[14:15], 1, s[6:7]
	v_cmp_gt_u32_e64 s9, 24, v42
	v_cmp_gt_u32_e64 s8, 28, v42
	;; [unrolled: 1-line block ×3, first 2 shown]
	v_cmp_ne_u32_e64 s6, 31, v42
	s_add_nc_u64 s[58:59], s[18:19], s[70:71]
	s_mul_u64 s[60:61], s[48:49], s[24:25]
	s_and_not1_b32 vcc_lo, exec_lo, s65
	s_add_nc_u64 s[58:59], s[58:59], s[34:35]
	s_cbranch_vccnz .LBB560_63
; %bb.15:                               ;   in Loop: Header=BB560_3 Depth=1
	v_cndmask_b32_e64 v4, 0, 8, s9
	v_cndmask_b32_e64 v5, 0, 4, s8
	s_wait_dscnt 0x0
	v_add_co_ci_u32_e64 v35, null, 0, v42, s6
	v_dual_mov_b32 v1, v0 :: v_dual_mov_b32 v2, v0
	s_delay_alu instid0(VALU_DEP_2) | instskip(SKIP_3) | instid1(VALU_DEP_4)
	v_dual_mov_b32 v3, v0 :: v_dual_lshlrev_b32 v47, 2, v35
	v_cndmask_b32_e64 v34, 0, 2, s7
	v_add_lshl_u32 v44, v4, v42, 2
	v_add_lshl_u32 v45, v5, v42, 2
	v_mov_b64_e32 v[4:5], v[2:3]
	v_add_nc_u64_e32 v[6:7], s[60:61], v[16:17]
	v_mov_b64_e32 v[2:3], v[0:1]
	v_add_lshl_u32 v46, v34, v42, 2
	s_mov_b32 s10, 0
	s_branch .LBB560_17
.LBB560_16:                             ;   in Loop: Header=BB560_17 Depth=2
	s_wait_xcnt 0x0
	s_or_b32 exec_lo, exec_lo, s6
	v_add_nc_u64_e32 v[6:7], s[50:51], v[6:7]
	s_add_co_i32 s10, s10, 4
	s_delay_alu instid0(SALU_CYCLE_1)
	s_cmp_ge_i32 s10, s63
	s_cbranch_scc1 .LBB560_64
.LBB560_17:                             ;   Parent Loop BB560_3 Depth=1
                                        ; =>  This Loop Header: Depth=2
                                        ;       Child Loop BB560_48 Depth 3
                                        ;       Child Loop BB560_51 Depth 3
                                        ; implicit-def: $vgpr35
                                        ; implicit-def: $vgpr37
	s_and_saveexec_b32 s6, s4
	s_delay_alu instid0(SALU_CYCLE_1)
	s_xor_b32 s6, exec_lo, s6
	s_cbranch_execnz .LBB560_44
; %bb.18:                               ;   in Loop: Header=BB560_17 Depth=2
	s_and_not1_saveexec_b32 s25, s6
	s_cbranch_execnz .LBB560_45
.LBB560_19:                             ;   in Loop: Header=BB560_17 Depth=2
	s_or_b32 exec_lo, exec_lo, s25
	s_and_saveexec_b32 s6, s1
.LBB560_20:                             ;   in Loop: Header=BB560_17 Depth=2
	ds_store_b32 v40, v0
.LBB560_21:                             ;   in Loop: Header=BB560_17 Depth=2
	s_or_b32 exec_lo, exec_lo, s6
	ds_bpermute_b32 v1, v43, v36
	s_wait_storecnt_dscnt 0x0
	s_barrier_signal -1
	s_barrier_wait -1
	v_add_f32_e32 v1, v36, v1
	ds_bpermute_b32 v36, v44, v1
	s_wait_dscnt 0x0
	v_add_f32_e32 v1, v1, v36
	ds_bpermute_b32 v36, v45, v1
	s_wait_dscnt 0x0
	;; [unrolled: 3-line block ×3, first 2 shown]
	v_add_f32_e32 v1, v1, v36
	ds_bpermute_b32 v36, v47, v1
	s_and_saveexec_b32 s6, s3
	s_cbranch_execz .LBB560_23
; %bb.22:                               ;   in Loop: Header=BB560_17 Depth=2
	s_wait_dscnt 0x0
	v_add_f32_e32 v1, v1, v36
	ds_store_b32 v41, v1
.LBB560_23:                             ;   in Loop: Header=BB560_17 Depth=2
	s_or_b32 exec_lo, exec_lo, s6
	v_mov_b32_e32 v1, 0
	s_wait_dscnt 0x0
	s_barrier_signal -1
	s_barrier_wait -1
	s_and_saveexec_b32 s6, s2
	s_cbranch_execnz .LBB560_52
; %bb.24:                               ;   in Loop: Header=BB560_17 Depth=2
	s_or_b32 exec_lo, exec_lo, s6
	s_and_saveexec_b32 s6, s1
	s_cbranch_execnz .LBB560_53
.LBB560_25:                             ;   in Loop: Header=BB560_17 Depth=2
	s_or_b32 exec_lo, exec_lo, s6
	s_and_saveexec_b32 s6, s1
.LBB560_26:                             ;   in Loop: Header=BB560_17 Depth=2
	ds_store_b32 v40, v0
.LBB560_27:                             ;   in Loop: Header=BB560_17 Depth=2
	s_or_b32 exec_lo, exec_lo, s6
	ds_bpermute_b32 v36, v43, v37
	s_wait_dscnt 0x0
	s_barrier_signal -1
	s_barrier_wait -1
	v_add_f32_e32 v36, v37, v36
	ds_bpermute_b32 v37, v44, v36
	s_wait_dscnt 0x0
	v_add_f32_e32 v36, v36, v37
	ds_bpermute_b32 v37, v45, v36
	s_wait_dscnt 0x0
	;; [unrolled: 3-line block ×3, first 2 shown]
	v_add_f32_e32 v36, v36, v37
	ds_bpermute_b32 v37, v47, v36
	s_and_saveexec_b32 s6, s3
	s_cbranch_execz .LBB560_29
; %bb.28:                               ;   in Loop: Header=BB560_17 Depth=2
	s_wait_dscnt 0x0
	v_add_f32_e32 v36, v36, v37
	ds_store_b32 v41, v36
.LBB560_29:                             ;   in Loop: Header=BB560_17 Depth=2
	s_or_b32 exec_lo, exec_lo, s6
	v_mov_b32_e32 v36, 0
	s_wait_dscnt 0x0
	s_barrier_signal -1
	s_barrier_wait -1
	s_and_saveexec_b32 s6, s2
	s_cbranch_execnz .LBB560_54
; %bb.30:                               ;   in Loop: Header=BB560_17 Depth=2
	s_or_b32 exec_lo, exec_lo, s6
	s_and_saveexec_b32 s6, s1
	s_cbranch_execnz .LBB560_55
.LBB560_31:                             ;   in Loop: Header=BB560_17 Depth=2
	s_or_b32 exec_lo, exec_lo, s6
	s_and_saveexec_b32 s6, s1
.LBB560_32:                             ;   in Loop: Header=BB560_17 Depth=2
	ds_store_b32 v40, v0
.LBB560_33:                             ;   in Loop: Header=BB560_17 Depth=2
	s_or_b32 exec_lo, exec_lo, s6
	ds_bpermute_b32 v37, v43, v34
	s_wait_dscnt 0x0
	s_barrier_signal -1
	s_barrier_wait -1
	v_add_f32_e32 v34, v34, v37
	ds_bpermute_b32 v37, v44, v34
	s_wait_dscnt 0x0
	v_add_f32_e32 v34, v34, v37
	ds_bpermute_b32 v37, v45, v34
	s_wait_dscnt 0x0
	;; [unrolled: 3-line block ×3, first 2 shown]
	v_add_f32_e32 v34, v34, v37
	ds_bpermute_b32 v37, v47, v34
	s_and_saveexec_b32 s6, s3
	s_cbranch_execz .LBB560_35
; %bb.34:                               ;   in Loop: Header=BB560_17 Depth=2
	s_wait_dscnt 0x0
	v_add_f32_e32 v34, v34, v37
	ds_store_b32 v41, v34
.LBB560_35:                             ;   in Loop: Header=BB560_17 Depth=2
	s_or_b32 exec_lo, exec_lo, s6
	v_mov_b32_e32 v34, 0
	s_wait_dscnt 0x0
	s_barrier_signal -1
	s_barrier_wait -1
	s_and_saveexec_b32 s6, s2
	s_cbranch_execnz .LBB560_56
; %bb.36:                               ;   in Loop: Header=BB560_17 Depth=2
	s_or_b32 exec_lo, exec_lo, s6
	s_and_saveexec_b32 s6, s1
	s_cbranch_execnz .LBB560_57
.LBB560_37:                             ;   in Loop: Header=BB560_17 Depth=2
	s_or_b32 exec_lo, exec_lo, s6
	s_and_saveexec_b32 s6, s1
.LBB560_38:                             ;   in Loop: Header=BB560_17 Depth=2
	ds_store_b32 v40, v0
.LBB560_39:                             ;   in Loop: Header=BB560_17 Depth=2
	s_or_b32 exec_lo, exec_lo, s6
	ds_bpermute_b32 v37, v43, v35
	s_wait_dscnt 0x0
	s_barrier_signal -1
	s_barrier_wait -1
	v_add_f32_e32 v35, v35, v37
	ds_bpermute_b32 v37, v44, v35
	s_wait_dscnt 0x0
	v_add_f32_e32 v35, v35, v37
	ds_bpermute_b32 v37, v45, v35
	s_wait_dscnt 0x0
	;; [unrolled: 3-line block ×3, first 2 shown]
	v_add_f32_e32 v35, v35, v37
	ds_bpermute_b32 v37, v47, v35
	s_and_saveexec_b32 s6, s3
	s_cbranch_execz .LBB560_41
; %bb.40:                               ;   in Loop: Header=BB560_17 Depth=2
	s_wait_dscnt 0x0
	v_add_f32_e32 v35, v35, v37
	ds_store_b32 v41, v35
.LBB560_41:                             ;   in Loop: Header=BB560_17 Depth=2
	s_or_b32 exec_lo, exec_lo, s6
	v_mov_b32_e32 v35, 0
	s_wait_dscnt 0x0
	s_barrier_signal -1
	s_barrier_wait -1
	s_and_saveexec_b32 s6, s2
	s_cbranch_execnz .LBB560_58
; %bb.42:                               ;   in Loop: Header=BB560_17 Depth=2
	s_or_b32 exec_lo, exec_lo, s6
	s_and_saveexec_b32 s6, s1
	s_cbranch_execnz .LBB560_59
.LBB560_43:                             ;   in Loop: Header=BB560_17 Depth=2
	s_or_b32 exec_lo, exec_lo, s6
	s_and_saveexec_b32 s6, s0
	s_cbranch_execz .LBB560_16
	s_branch .LBB560_60
.LBB560_44:                             ;   in Loop: Header=BB560_17 Depth=2
	s_mul_u64 s[8:9], s[10:11], s[26:27]
	s_or_b32 s70, s10, 2
	s_mov_b32 s71, s11
	v_lshl_add_u64 v[2:3], s[8:9], 1, v[24:25]
	s_or_b32 s8, s10, 3
	s_mov_b32 s9, s11
	s_mul_u64 s[70:71], s[70:71], s[26:27]
	s_mul_u64 s[8:9], s[8:9], s[26:27]
	v_lshl_add_u64 v[4:5], s[70:71], 1, v[24:25]
	s_wait_dscnt 0x0
	v_lshl_add_u64 v[34:35], s[8:9], 1, v[24:25]
	s_clause 0x3
	global_load_u16 v1, v[26:27], off
	global_load_u16 v48, v[28:29], off
	;; [unrolled: 1-line block ×4, first 2 shown]
	s_clause 0x2
	global_load_b64 v[36:37], v[2:3], off
	global_load_b64 v[4:5], v[4:5], off
	;; [unrolled: 1-line block ×3, first 2 shown]
	s_or_b32 s8, s10, 1
	s_mov_b32 s9, s11
	s_delay_alu instid0(SALU_CYCLE_1)
	s_mul_u64 s[8:9], s[8:9], s[26:27]
	s_wait_xcnt 0x2
	v_lshl_add_u64 v[2:3], s[8:9], 1, v[24:25]
	global_load_b64 v[38:39], v[2:3], off
	s_wait_loadcnt 0x6
	s_wait_xcnt 0x0
	v_dual_lshlrev_b32 v2, 16, v1 :: v_dual_lshlrev_b32 v49, 16, v48
	s_wait_loadcnt 0x4
	v_dual_lshlrev_b32 v52, 16, v50 :: v_dual_lshlrev_b32 v51, 16, v51
	s_wait_loadcnt 0x3
	v_dual_lshlrev_b32 v58, 16, v36 :: v_dual_lshlrev_b32 v60, 16, v37
	s_wait_loadcnt 0x1
	v_dual_lshlrev_b32 v1, 16, v4 :: v_dual_lshlrev_b32 v48, 16, v34
	v_and_b32_e32 v3, 0xffff0000, v34
	v_and_b32_e32 v55, 0xffff0000, v4
	v_dual_lshlrev_b32 v57, 16, v5 :: v_dual_lshlrev_b32 v50, 16, v35
	v_and_b32_e32 v66, 0xffff0000, v5
	s_delay_alu instid0(VALU_DEP_4) | instskip(SKIP_3) | instid1(VALU_DEP_3)
	v_pk_mul_f32 v[4:5], v[48:49], v[2:3]
	v_and_b32_e32 v53, 0xffff0000, v35
	v_dual_mul_f32 v34, v2, v1 :: v_dual_mov_b32 v3, v49
	s_wait_loadcnt 0x0
	v_dual_lshlrev_b32 v59, 16, v38 :: v_dual_mov_b32 v35, v4
	v_dual_mov_b32 v54, v49 :: v_dual_mov_b32 v56, v51
	v_and_b32_e32 v36, 0xffff0000, v36
	v_and_b32_e32 v62, 0xffff0000, v37
	;; [unrolled: 1-line block ×3, first 2 shown]
	v_dual_mul_f32 v4, v49, v55 :: v_dual_mul_f32 v64, v52, v57
	v_pk_mul_f32 v[48:49], v[50:51], v[52:53]
	v_pk_add_f32 v[34:35], v[34:35], 0 op_sel_hi:[1,0]
	v_pk_fma_f32 v[58:59], v[2:3], v[58:59], 0 op_sel_hi:[0,1,0]
	v_lshlrev_b32_e32 v61, 16, v39
	v_and_b32_e32 v63, 0xffff0000, v39
	v_mov_b32_e32 v65, v48
	v_pk_add_f32 v[4:5], v[34:35], v[4:5]
	v_pk_fma_f32 v[34:35], v[54:55], v[36:37], v[58:59] op_sel_hi:[0,1,1]
	v_mul_f32_e32 v48, v51, v66
	s_delay_alu instid0(VALU_DEP_3) | instskip(NEXT) | instid1(VALU_DEP_3)
	v_pk_add_f32 v[36:37], v[4:5], v[64:65]
	v_pk_fma_f32 v[38:39], v[52:53], v[60:61], v[34:35] op_sel_hi:[0,1,1]
	v_dual_mov_b32 v4, v52 :: v_dual_mov_b32 v5, v51
	s_delay_alu instid0(VALU_DEP_3) | instskip(NEXT) | instid1(VALU_DEP_3)
	v_pk_add_f32 v[34:35], v[36:37], v[48:49]
	v_pk_fma_f32 v[36:37], v[56:57], v[62:63], v[38:39] op_sel_hi:[0,1,1]
	s_and_not1_saveexec_b32 s25, s6
	s_cbranch_execz .LBB560_19
.LBB560_45:                             ;   in Loop: Header=BB560_17 Depth=2
	s_wait_dscnt 0x0
	v_dual_mov_b32 v35, 0 :: v_dual_mov_b32 v34, 0
	v_dual_mov_b32 v37, 0 :: v_dual_mov_b32 v36, 0
	s_and_saveexec_b32 s69, s5
	s_cbranch_execz .LBB560_62
; %bb.46:                               ;   in Loop: Header=BB560_17 Depth=2
	s_and_not1_b32 vcc_lo, exec_lo, s66
	s_cbranch_vccnz .LBB560_49
; %bb.47:                               ;   in Loop: Header=BB560_17 Depth=2
	v_mov_b64_e32 v[34:35], v[22:23]
	s_mov_b64 s[8:9], 0
.LBB560_48:                             ;   Parent Loop BB560_3 Depth=1
                                        ;     Parent Loop BB560_17 Depth=2
                                        ; =>    This Inner Loop Header: Depth=3
	global_load_u16 v1, v[34:35], off
	s_cmp_eq_u32 s8, 3
	s_wait_xcnt 0x0
	v_add_nc_u64_e32 v[34:35], s[46:47], v[34:35]
	s_cselect_b32 vcc_lo, -1, 0
	s_cmp_eq_u32 s8, 2
	s_cselect_b32 s6, -1, 0
	s_cmp_eq_u32 s8, 1
	s_cselect_b32 s7, -1, 0
	s_cmp_eq_u32 s8, 0
	s_add_nc_u64 s[8:9], s[8:9], 1
	s_wait_loadcnt 0x0
	v_lshlrev_b32_e32 v1, 16, v1
	s_delay_alu instid0(VALU_DEP_1) | instskip(SKIP_1) | instid1(SALU_CYCLE_1)
	v_dual_cndmask_b32 v5, v5, v1, vcc_lo :: v_dual_cndmask_b32 v4, v4, v1, s6
	s_cselect_b32 vcc_lo, -1, 0
	v_dual_cndmask_b32 v3, v3, v1, s7 :: v_dual_cndmask_b32 v2, v2, v1, vcc_lo
	s_cmp_eq_u32 s64, s8
	s_cbranch_scc0 .LBB560_48
.LBB560_49:                             ;   in Loop: Header=BB560_17 Depth=2
	s_and_not1_b32 vcc_lo, exec_lo, s66
	s_cbranch_vccnz .LBB560_61
; %bb.50:                               ;   in Loop: Header=BB560_17 Depth=2
	v_mov_b32_e32 v36, 0
	v_mov_b64_e32 v[38:39], v[6:7]
	s_mov_b64 s[6:7], 0
	s_delay_alu instid0(VALU_DEP_2)
	v_dual_mov_b32 v37, v36 :: v_dual_mov_b32 v34, v36
	v_mov_b32_e32 v35, v36
.LBB560_51:                             ;   Parent Loop BB560_3 Depth=1
                                        ;     Parent Loop BB560_17 Depth=2
                                        ; =>    This Inner Loop Header: Depth=3
	s_delay_alu instid0(VALU_DEP_3)
	v_add_nc_u64_e32 v[48:49], s[52:53], v[38:39]
	v_add_nc_u64_e32 v[50:51], s[56:57], v[38:39]
	;; [unrolled: 1-line block ×3, first 2 shown]
	s_cmp_eq_u32 s6, 1
	s_clause 0x3
	global_load_u16 v1, v[38:39], off
	global_load_u16 v49, v[48:49], off
	;; [unrolled: 1-line block ×4, first 2 shown]
	s_cselect_b32 vcc_lo, -1, 0
	s_cmp_eq_u32 s6, 2
	s_wait_xcnt 0x2
	v_cndmask_b32_e32 v48, v2, v3, vcc_lo
	s_cselect_b32 vcc_lo, -1, 0
	s_cmp_eq_u32 s6, 3
	v_add_nc_u64_e32 v[38:39], 2, v[38:39]
	s_add_nc_u64 s[6:7], s[6:7], 1
	s_wait_loadcnt 0x3
	s_wait_xcnt 0x1
	v_dual_lshlrev_b32 v50, 16, v1 :: v_dual_cndmask_b32 v48, v48, v4, vcc_lo
	s_wait_loadcnt 0x2
	v_lshlrev_b32_e32 v51, 16, v49
	s_cselect_b32 vcc_lo, -1, 0
	s_wait_loadcnt 0x0
	v_dual_lshlrev_b32 v52, 16, v52 :: v_dual_lshlrev_b32 v53, 16, v54
	v_cndmask_b32_e32 v48, v48, v5, vcc_lo
	s_cmp_lg_u32 s64, s6
	s_delay_alu instid0(VALU_DEP_1) | instskip(NEXT) | instid1(VALU_DEP_3)
	v_pk_fma_f32 v[36:37], v[48:49], v[50:51], v[36:37] op_sel_hi:[0,1,1]
	v_pk_fma_f32 v[34:35], v[48:49], v[52:53], v[34:35] op_sel_hi:[0,1,1]
	s_cbranch_scc1 .LBB560_51
	s_branch .LBB560_62
.LBB560_52:                             ;   in Loop: Header=BB560_17 Depth=2
	ds_load_b32 v1, v40
	s_or_b32 exec_lo, exec_lo, s6
	s_and_saveexec_b32 s6, s1
	s_cbranch_execz .LBB560_25
.LBB560_53:                             ;   in Loop: Header=BB560_17 Depth=2
	s_wait_dscnt 0x0
	ds_bpermute_b32 v36, v45, v1
	s_wait_dscnt 0x0
	v_add_f32_e32 v1, v1, v36
	ds_bpermute_b32 v36, v46, v1
	s_wait_dscnt 0x0
	v_add_f32_e32 v1, v1, v36
	;; [unrolled: 3-line block ×3, first 2 shown]
	s_or_b32 exec_lo, exec_lo, s6
	s_and_saveexec_b32 s6, s1
	s_cbranch_execnz .LBB560_26
	s_branch .LBB560_27
.LBB560_54:                             ;   in Loop: Header=BB560_17 Depth=2
	ds_load_b32 v36, v40
	s_or_b32 exec_lo, exec_lo, s6
	s_and_saveexec_b32 s6, s1
	s_cbranch_execz .LBB560_31
.LBB560_55:                             ;   in Loop: Header=BB560_17 Depth=2
	s_wait_dscnt 0x0
	ds_bpermute_b32 v37, v45, v36
	s_wait_dscnt 0x0
	v_add_f32_e32 v36, v36, v37
	ds_bpermute_b32 v37, v46, v36
	s_wait_dscnt 0x0
	v_add_f32_e32 v36, v36, v37
	;; [unrolled: 3-line block ×3, first 2 shown]
	s_or_b32 exec_lo, exec_lo, s6
	s_and_saveexec_b32 s6, s1
	s_cbranch_execnz .LBB560_32
	s_branch .LBB560_33
.LBB560_56:                             ;   in Loop: Header=BB560_17 Depth=2
	ds_load_b32 v34, v40
	s_or_b32 exec_lo, exec_lo, s6
	s_and_saveexec_b32 s6, s1
	s_cbranch_execz .LBB560_37
.LBB560_57:                             ;   in Loop: Header=BB560_17 Depth=2
	s_wait_dscnt 0x0
	ds_bpermute_b32 v37, v45, v34
	s_wait_dscnt 0x0
	v_add_f32_e32 v34, v34, v37
	ds_bpermute_b32 v37, v46, v34
	s_wait_dscnt 0x0
	v_add_f32_e32 v34, v34, v37
	;; [unrolled: 3-line block ×3, first 2 shown]
	s_or_b32 exec_lo, exec_lo, s6
	s_and_saveexec_b32 s6, s1
	s_cbranch_execnz .LBB560_38
	s_branch .LBB560_39
.LBB560_58:                             ;   in Loop: Header=BB560_17 Depth=2
	ds_load_b32 v35, v40
	s_or_b32 exec_lo, exec_lo, s6
	s_and_saveexec_b32 s6, s1
	s_cbranch_execz .LBB560_43
.LBB560_59:                             ;   in Loop: Header=BB560_17 Depth=2
	s_wait_dscnt 0x0
	ds_bpermute_b32 v37, v45, v35
	s_wait_dscnt 0x0
	v_add_f32_e32 v35, v35, v37
	ds_bpermute_b32 v37, v46, v35
	s_wait_dscnt 0x0
	v_add_f32_e32 v35, v35, v37
	;; [unrolled: 3-line block ×3, first 2 shown]
	s_or_b32 exec_lo, exec_lo, s6
	s_and_saveexec_b32 s6, s0
	s_cbranch_execz .LBB560_16
.LBB560_60:                             ;   in Loop: Header=BB560_17 Depth=2
	s_or_b32 s70, s10, 1
	s_mov_b32 s71, s11
	s_mul_u64 s[8:9], s[10:11], s[28:29]
	v_dual_mul_f32 v1, s22, v1 :: v_dual_mul_f32 v36, s22, v36
	s_mul_u64 s[70:71], s[70:71], s[28:29]
	s_lshl_b64 s[8:9], s[8:9], 2
	s_lshl_b64 s[70:71], s[70:71], 2
	s_add_nc_u64 s[8:9], s[58:59], s[8:9]
	s_add_nc_u64 s[70:71], s[58:59], s[70:71]
	s_clause 0x1
	global_store_b32 v0, v1, s[8:9]
	global_store_b32 v0, v36, s[70:71]
	s_wait_xcnt 0x1
	s_or_b32 s8, s10, 2
	s_mov_b32 s9, s11
	s_wait_xcnt 0x0
	s_or_b32 s70, s10, 3
	s_mov_b32 s71, s11
	s_mul_u64 s[8:9], s[8:9], s[28:29]
	s_wait_dscnt 0x0
	v_dual_mul_f32 v1, s22, v34 :: v_dual_mul_f32 v34, s22, v35
	s_mul_u64 s[70:71], s[70:71], s[28:29]
	s_lshl_b64 s[8:9], s[8:9], 2
	s_lshl_b64 s[70:71], s[70:71], 2
	s_add_nc_u64 s[8:9], s[58:59], s[8:9]
	s_add_nc_u64 s[70:71], s[58:59], s[70:71]
	s_clause 0x1
	global_store_b32 v0, v1, s[8:9]
	global_store_b32 v0, v34, s[70:71]
	s_branch .LBB560_16
.LBB560_61:                             ;   in Loop: Header=BB560_17 Depth=2
	v_mov_b32_e32 v35, 0
	s_delay_alu instid0(VALU_DEP_1)
	v_dual_mov_b32 v34, v35 :: v_dual_mov_b32 v37, v35
	v_mov_b32_e32 v36, v35
.LBB560_62:                             ;   in Loop: Header=BB560_17 Depth=2
	s_or_b32 exec_lo, exec_lo, s69
	s_delay_alu instid0(SALU_CYCLE_1)
	s_or_b32 exec_lo, exec_lo, s25
	s_and_saveexec_b32 s6, s1
	s_cbranch_execnz .LBB560_20
	s_branch .LBB560_21
.LBB560_63:                             ;   in Loop: Header=BB560_3 Depth=1
	v_dual_mov_b32 v1, v0 :: v_dual_mov_b32 v2, v0
	v_mov_b32_e32 v3, v0
	s_mov_b32 s10, 0
	s_delay_alu instid0(VALU_DEP_1) | instskip(NEXT) | instid1(VALU_DEP_3)
	v_mov_b64_e32 v[4:5], v[2:3]
	v_mov_b64_e32 v[2:3], v[0:1]
.LBB560_64:                             ;   in Loop: Header=BB560_3 Depth=1
	s_cmp_ge_i32 s10, s21
	s_cbranch_scc1 .LBB560_2
; %bb.65:                               ;   in Loop: Header=BB560_3 Depth=1
	v_cmp_gt_u32_e32 vcc_lo, 24, v42
	s_mul_u64 s[6:7], s[52:53], s[10:11]
	s_delay_alu instid0(SALU_CYCLE_1) | instskip(SKIP_4) | instid1(VALU_DEP_2)
	s_add_nc_u64 s[6:7], s[6:7], s[60:61]
	s_wait_dscnt 0x0
	v_add_nc_u64_e32 v[34:35], s[6:7], v[16:17]
	v_cndmask_b32_e64 v1, 0, 8, vcc_lo
	v_cmp_gt_u32_e32 vcc_lo, 28, v42
	v_add_lshl_u32 v1, v1, v42, 2
	v_cndmask_b32_e64 v6, 0, 4, vcc_lo
	v_cmp_gt_u32_e32 vcc_lo, 30, v42
	s_delay_alu instid0(VALU_DEP_2) | instskip(SKIP_2) | instid1(VALU_DEP_2)
	v_add_lshl_u32 v7, v6, v42, 2
	v_cndmask_b32_e64 v36, 0, 2, vcc_lo
	v_cmp_ne_u32_e32 vcc_lo, 31, v42
	v_add_lshl_u32 v38, v36, v42, 2
	v_add_co_ci_u32_e64 v37, null, 0, v42, vcc_lo
	s_delay_alu instid0(VALU_DEP_1)
	v_lshlrev_b32_e32 v39, 2, v37
	s_branch .LBB560_67
.LBB560_66:                             ;   in Loop: Header=BB560_67 Depth=2
	s_wait_xcnt 0x0
	s_or_b32 exec_lo, exec_lo, s6
	v_add_nc_u64_e32 v[34:35], s[52:53], v[34:35]
	s_add_co_i32 s10, s10, 1
	s_delay_alu instid0(SALU_CYCLE_1)
	s_cmp_ge_i32 s10, s21
	s_cbranch_scc1 .LBB560_2
.LBB560_67:                             ;   Parent Loop BB560_3 Depth=1
                                        ; =>  This Loop Header: Depth=2
                                        ;       Child Loop BB560_80 Depth 3
                                        ;       Child Loop BB560_83 Depth 3
	s_wait_dscnt 0x0
	v_mov_b32_e32 v6, s11
	s_and_saveexec_b32 s6, s4
	s_delay_alu instid0(SALU_CYCLE_1)
	s_xor_b32 s6, exec_lo, s6
	s_cbranch_execnz .LBB560_76
; %bb.68:                               ;   in Loop: Header=BB560_67 Depth=2
	s_and_not1_saveexec_b32 s25, s6
	s_cbranch_execnz .LBB560_77
.LBB560_69:                             ;   in Loop: Header=BB560_67 Depth=2
	s_or_b32 exec_lo, exec_lo, s25
	s_and_saveexec_b32 s6, s1
.LBB560_70:                             ;   in Loop: Header=BB560_67 Depth=2
	ds_store_b32 v40, v0
.LBB560_71:                             ;   in Loop: Header=BB560_67 Depth=2
	s_or_b32 exec_lo, exec_lo, s6
	ds_bpermute_b32 v36, v43, v6
	s_wait_storecnt_dscnt 0x0
	s_barrier_signal -1
	s_barrier_wait -1
	v_add_f32_e32 v6, v6, v36
	ds_bpermute_b32 v36, v1, v6
	s_wait_dscnt 0x0
	v_add_f32_e32 v6, v6, v36
	ds_bpermute_b32 v36, v7, v6
	s_wait_dscnt 0x0
	;; [unrolled: 3-line block ×3, first 2 shown]
	v_add_f32_e32 v6, v6, v36
	ds_bpermute_b32 v36, v39, v6
	s_and_saveexec_b32 s6, s3
	s_cbranch_execz .LBB560_73
; %bb.72:                               ;   in Loop: Header=BB560_67 Depth=2
	s_wait_dscnt 0x0
	v_add_f32_e32 v6, v6, v36
	ds_store_b32 v41, v6
.LBB560_73:                             ;   in Loop: Header=BB560_67 Depth=2
	s_or_b32 exec_lo, exec_lo, s6
	v_mov_b32_e32 v6, 0
	s_wait_dscnt 0x0
	s_barrier_signal -1
	s_barrier_wait -1
	s_and_saveexec_b32 s6, s2
	s_cbranch_execnz .LBB560_85
; %bb.74:                               ;   in Loop: Header=BB560_67 Depth=2
	s_or_b32 exec_lo, exec_lo, s6
	s_and_saveexec_b32 s6, s1
	s_cbranch_execnz .LBB560_86
.LBB560_75:                             ;   in Loop: Header=BB560_67 Depth=2
	s_or_b32 exec_lo, exec_lo, s6
	s_and_saveexec_b32 s6, s0
	s_cbranch_execz .LBB560_66
	s_branch .LBB560_87
.LBB560_76:                             ;   in Loop: Header=BB560_67 Depth=2
	s_mul_u64 s[8:9], s[10:11], s[26:27]
	s_delay_alu instid0(SALU_CYCLE_1)
	v_lshl_add_u64 v[2:3], s[8:9], 1, v[24:25]
	s_clause 0x1
	global_load_u16 v4, v[28:29], off
	global_load_u16 v5, v[26:27], off
	global_load_b64 v[36:37], v[2:3], off
	s_clause 0x1
	global_load_u16 v6, v[32:33], off
	global_load_u16 v46, v[30:31], off
	s_wait_loadcnt 0x3
	s_wait_xcnt 0x2
	v_dual_lshlrev_b32 v3, 16, v4 :: v_dual_lshlrev_b32 v2, 16, v5
	s_wait_loadcnt 0x2
	v_and_b32_e32 v5, 0xffff0000, v36
	v_lshlrev_b32_e32 v4, 16, v36
	v_and_b32_e32 v47, 0xffff0000, v37
	s_delay_alu instid0(VALU_DEP_2) | instskip(SKIP_3) | instid1(VALU_DEP_2)
	v_pk_mul_f32 v[44:45], v[2:3], v[4:5]
	s_wait_loadcnt 0x1
	v_lshlrev_b32_e32 v5, 16, v6
	s_wait_loadcnt 0x0
	v_dual_lshlrev_b32 v4, 16, v46 :: v_dual_add_f32 v6, 0, v44
	s_delay_alu instid0(VALU_DEP_1) | instskip(SKIP_1) | instid1(VALU_DEP_1)
	v_add_f32_e32 v6, v6, v45
	v_lshlrev_b32_e32 v46, 16, v37
	v_pk_mul_f32 v[36:37], v[4:5], v[46:47]
	s_delay_alu instid0(VALU_DEP_1) | instskip(NEXT) | instid1(VALU_DEP_1)
	v_add_f32_e32 v6, v6, v36
	v_add_f32_e32 v6, v6, v37
	s_wait_xcnt 0x0
	s_and_not1_saveexec_b32 s25, s6
	s_cbranch_execz .LBB560_69
.LBB560_77:                             ;   in Loop: Header=BB560_67 Depth=2
	s_and_saveexec_b32 s60, s5
	s_cbranch_execz .LBB560_84
; %bb.78:                               ;   in Loop: Header=BB560_67 Depth=2
	s_and_not1_b32 vcc_lo, exec_lo, s66
	s_cbranch_vccnz .LBB560_81
; %bb.79:                               ;   in Loop: Header=BB560_67 Depth=2
	v_mov_b64_e32 v[36:37], v[22:23]
	s_mov_b64 s[8:9], 0
.LBB560_80:                             ;   Parent Loop BB560_3 Depth=1
                                        ;     Parent Loop BB560_67 Depth=2
                                        ; =>    This Inner Loop Header: Depth=3
	global_load_u16 v44, v[36:37], off
	s_cmp_eq_u32 s8, 3
	s_wait_xcnt 0x0
	v_add_nc_u64_e32 v[36:37], s[46:47], v[36:37]
	s_cselect_b32 vcc_lo, -1, 0
	s_cmp_eq_u32 s8, 2
	s_cselect_b32 s6, -1, 0
	s_cmp_eq_u32 s8, 1
	s_cselect_b32 s7, -1, 0
	s_cmp_eq_u32 s8, 0
	s_add_nc_u64 s[8:9], s[8:9], 1
	s_wait_loadcnt 0x0
	v_lshlrev_b32_e32 v44, 16, v44
	s_delay_alu instid0(VALU_DEP_1) | instskip(SKIP_1) | instid1(SALU_CYCLE_1)
	v_dual_cndmask_b32 v5, v5, v44, vcc_lo :: v_dual_cndmask_b32 v4, v4, v44, s6
	s_cselect_b32 vcc_lo, -1, 0
	v_dual_cndmask_b32 v3, v3, v44, s7 :: v_dual_cndmask_b32 v2, v2, v44, vcc_lo
	s_cmp_eq_u32 s64, s8
	s_cbranch_scc0 .LBB560_80
.LBB560_81:                             ;   in Loop: Header=BB560_67 Depth=2
	s_and_not1_b32 vcc_lo, exec_lo, s66
	s_cbranch_vccnz .LBB560_84
; %bb.82:                               ;   in Loop: Header=BB560_67 Depth=2
	v_mov_b64_e32 v[36:37], v[34:35]
	s_mov_b64 s[6:7], 0
.LBB560_83:                             ;   Parent Loop BB560_3 Depth=1
                                        ;     Parent Loop BB560_67 Depth=2
                                        ; =>    This Inner Loop Header: Depth=3
	global_load_u16 v44, v[36:37], off
	s_cmp_eq_u32 s6, 1
	s_wait_xcnt 0x0
	v_add_nc_u64_e32 v[36:37], 2, v[36:37]
	s_cselect_b32 vcc_lo, -1, 0
	s_cmp_eq_u32 s6, 2
	v_cndmask_b32_e32 v45, v2, v3, vcc_lo
	s_cselect_b32 vcc_lo, -1, 0
	s_cmp_eq_u32 s6, 3
	s_add_nc_u64 s[6:7], s[6:7], 1
	s_delay_alu instid0(VALU_DEP_1) | instskip(SKIP_2) | instid1(VALU_DEP_1)
	v_cndmask_b32_e32 v45, v45, v4, vcc_lo
	s_cselect_b32 vcc_lo, -1, 0
	s_cmp_lg_u32 s64, s6
	v_cndmask_b32_e32 v45, v45, v5, vcc_lo
	s_wait_loadcnt 0x0
	s_delay_alu instid0(VALU_DEP_1)
	v_fma_mix_f32_bf16 v6, v45, v44, v6 op_sel_hi:[0,1,0]
	s_cbranch_scc1 .LBB560_83
.LBB560_84:                             ;   in Loop: Header=BB560_67 Depth=2
	s_or_b32 exec_lo, exec_lo, s60
	s_delay_alu instid0(SALU_CYCLE_1)
	s_or_b32 exec_lo, exec_lo, s25
	s_and_saveexec_b32 s6, s1
	s_cbranch_execnz .LBB560_70
	s_branch .LBB560_71
.LBB560_85:                             ;   in Loop: Header=BB560_67 Depth=2
	ds_load_b32 v6, v40
	s_or_b32 exec_lo, exec_lo, s6
	s_and_saveexec_b32 s6, s1
	s_cbranch_execz .LBB560_75
.LBB560_86:                             ;   in Loop: Header=BB560_67 Depth=2
	s_wait_dscnt 0x0
	ds_bpermute_b32 v36, v7, v6
	s_wait_dscnt 0x0
	v_add_f32_e32 v6, v6, v36
	ds_bpermute_b32 v36, v38, v6
	s_wait_dscnt 0x0
	v_add_f32_e32 v6, v6, v36
	;; [unrolled: 3-line block ×3, first 2 shown]
	s_or_b32 exec_lo, exec_lo, s6
	s_and_saveexec_b32 s6, s0
	s_cbranch_execz .LBB560_66
.LBB560_87:                             ;   in Loop: Header=BB560_67 Depth=2
	s_mul_u64 s[8:9], s[10:11], s[28:29]
	s_wait_dscnt 0x0
	v_mul_f32_e32 v6, s22, v6
	s_lshl_b64 s[8:9], s[8:9], 2
	s_delay_alu instid0(SALU_CYCLE_1)
	s_add_nc_u64 s[8:9], s[58:59], s[8:9]
	global_store_b32 v0, v6, s[8:9]
	s_branch .LBB560_66
.LBB560_88:
	s_sendmsg sendmsg(MSG_DEALLOC_VGPRS)
	s_endpgm
	.section	.rodata,"a",@progbits
	.p2align	6, 0x0
	.amdhsa_kernel _ZL23rocblas_gemvt_sn_kernelILb0ELi256ELi4El16rocblas_bfloat16ffEviiT4_lPKT3_lilS4_lilPT5_i
		.amdhsa_group_segment_fixed_size 128
		.amdhsa_private_segment_fixed_size 0
		.amdhsa_kernarg_size 360
		.amdhsa_user_sgpr_count 2
		.amdhsa_user_sgpr_dispatch_ptr 0
		.amdhsa_user_sgpr_queue_ptr 0
		.amdhsa_user_sgpr_kernarg_segment_ptr 1
		.amdhsa_user_sgpr_dispatch_id 0
		.amdhsa_user_sgpr_kernarg_preload_length 0
		.amdhsa_user_sgpr_kernarg_preload_offset 0
		.amdhsa_user_sgpr_private_segment_size 0
		.amdhsa_wavefront_size32 1
		.amdhsa_uses_dynamic_stack 0
		.amdhsa_enable_private_segment 0
		.amdhsa_system_sgpr_workgroup_id_x 1
		.amdhsa_system_sgpr_workgroup_id_y 0
		.amdhsa_system_sgpr_workgroup_id_z 1
		.amdhsa_system_sgpr_workgroup_info 0
		.amdhsa_system_vgpr_workitem_id 0
		.amdhsa_next_free_vgpr 67
		.amdhsa_next_free_sgpr 72
		.amdhsa_named_barrier_count 0
		.amdhsa_reserve_vcc 1
		.amdhsa_float_round_mode_32 0
		.amdhsa_float_round_mode_16_64 0
		.amdhsa_float_denorm_mode_32 3
		.amdhsa_float_denorm_mode_16_64 3
		.amdhsa_fp16_overflow 0
		.amdhsa_memory_ordered 1
		.amdhsa_forward_progress 1
		.amdhsa_inst_pref_size 33
		.amdhsa_round_robin_scheduling 0
		.amdhsa_exception_fp_ieee_invalid_op 0
		.amdhsa_exception_fp_denorm_src 0
		.amdhsa_exception_fp_ieee_div_zero 0
		.amdhsa_exception_fp_ieee_overflow 0
		.amdhsa_exception_fp_ieee_underflow 0
		.amdhsa_exception_fp_ieee_inexact 0
		.amdhsa_exception_int_div_zero 0
	.end_amdhsa_kernel
	.section	.text._ZL23rocblas_gemvt_sn_kernelILb0ELi256ELi4El16rocblas_bfloat16ffEviiT4_lPKT3_lilS4_lilPT5_i,"axG",@progbits,_ZL23rocblas_gemvt_sn_kernelILb0ELi256ELi4El16rocblas_bfloat16ffEviiT4_lPKT3_lilS4_lilPT5_i,comdat
.Lfunc_end560:
	.size	_ZL23rocblas_gemvt_sn_kernelILb0ELi256ELi4El16rocblas_bfloat16ffEviiT4_lPKT3_lilS4_lilPT5_i, .Lfunc_end560-_ZL23rocblas_gemvt_sn_kernelILb0ELi256ELi4El16rocblas_bfloat16ffEviiT4_lPKT3_lilS4_lilPT5_i
                                        ; -- End function
	.set _ZL23rocblas_gemvt_sn_kernelILb0ELi256ELi4El16rocblas_bfloat16ffEviiT4_lPKT3_lilS4_lilPT5_i.num_vgpr, 67
	.set _ZL23rocblas_gemvt_sn_kernelILb0ELi256ELi4El16rocblas_bfloat16ffEviiT4_lPKT3_lilS4_lilPT5_i.num_agpr, 0
	.set _ZL23rocblas_gemvt_sn_kernelILb0ELi256ELi4El16rocblas_bfloat16ffEviiT4_lPKT3_lilS4_lilPT5_i.numbered_sgpr, 72
	.set _ZL23rocblas_gemvt_sn_kernelILb0ELi256ELi4El16rocblas_bfloat16ffEviiT4_lPKT3_lilS4_lilPT5_i.num_named_barrier, 0
	.set _ZL23rocblas_gemvt_sn_kernelILb0ELi256ELi4El16rocblas_bfloat16ffEviiT4_lPKT3_lilS4_lilPT5_i.private_seg_size, 0
	.set _ZL23rocblas_gemvt_sn_kernelILb0ELi256ELi4El16rocblas_bfloat16ffEviiT4_lPKT3_lilS4_lilPT5_i.uses_vcc, 1
	.set _ZL23rocblas_gemvt_sn_kernelILb0ELi256ELi4El16rocblas_bfloat16ffEviiT4_lPKT3_lilS4_lilPT5_i.uses_flat_scratch, 0
	.set _ZL23rocblas_gemvt_sn_kernelILb0ELi256ELi4El16rocblas_bfloat16ffEviiT4_lPKT3_lilS4_lilPT5_i.has_dyn_sized_stack, 0
	.set _ZL23rocblas_gemvt_sn_kernelILb0ELi256ELi4El16rocblas_bfloat16ffEviiT4_lPKT3_lilS4_lilPT5_i.has_recursion, 0
	.set _ZL23rocblas_gemvt_sn_kernelILb0ELi256ELi4El16rocblas_bfloat16ffEviiT4_lPKT3_lilS4_lilPT5_i.has_indirect_call, 0
	.section	.AMDGPU.csdata,"",@progbits
; Kernel info:
; codeLenInByte = 4124
; TotalNumSgprs: 74
; NumVgprs: 67
; ScratchSize: 0
; MemoryBound: 0
; FloatMode: 240
; IeeeMode: 1
; LDSByteSize: 128 bytes/workgroup (compile time only)
; SGPRBlocks: 0
; VGPRBlocks: 4
; NumSGPRsForWavesPerEU: 74
; NumVGPRsForWavesPerEU: 67
; NamedBarCnt: 0
; Occupancy: 12
; WaveLimiterHint : 0
; COMPUTE_PGM_RSRC2:SCRATCH_EN: 0
; COMPUTE_PGM_RSRC2:USER_SGPR: 2
; COMPUTE_PGM_RSRC2:TRAP_HANDLER: 0
; COMPUTE_PGM_RSRC2:TGID_X_EN: 1
; COMPUTE_PGM_RSRC2:TGID_Y_EN: 0
; COMPUTE_PGM_RSRC2:TGID_Z_EN: 1
; COMPUTE_PGM_RSRC2:TIDIG_COMP_CNT: 0
	.section	.text._ZL23rocblas_gemvt_sn_reduceILi256ELi8Eff16rocblas_bfloat16EviT2_lPT3_lilPT1_i,"axG",@progbits,_ZL23rocblas_gemvt_sn_reduceILi256ELi8Eff16rocblas_bfloat16EviT2_lPT3_lilPT1_i,comdat
	.globl	_ZL23rocblas_gemvt_sn_reduceILi256ELi8Eff16rocblas_bfloat16EviT2_lPT3_lilPT1_i ; -- Begin function _ZL23rocblas_gemvt_sn_reduceILi256ELi8Eff16rocblas_bfloat16EviT2_lPT3_lilPT1_i
	.p2align	8
	.type	_ZL23rocblas_gemvt_sn_reduceILi256ELi8Eff16rocblas_bfloat16EviT2_lPT3_lilPT1_i,@function
_ZL23rocblas_gemvt_sn_reduceILi256ELi8Eff16rocblas_bfloat16EviT2_lPT3_lilPT1_i: ; @_ZL23rocblas_gemvt_sn_reduceILi256ELi8Eff16rocblas_bfloat16EviT2_lPT3_lilPT1_i
; %bb.0:
	s_load_b32 s28, s[0:1], 0x38
	s_bfe_u32 s2, ttmp6, 0x40014
	s_lshr_b32 s3, ttmp7, 16
	s_add_co_i32 s2, s2, 1
	s_bfe_u32 s5, ttmp6, 0x40008
	s_mul_i32 s4, s3, s2
	s_getreg_b32 s2, hwreg(HW_REG_IB_STS2, 6, 4)
	s_add_co_i32 s5, s5, s4
	s_cmp_eq_u32 s2, 0
	s_mov_b32 s7, 0
	s_cselect_b32 s6, s3, s5
	s_wait_kmcnt 0x0
	s_cmp_ge_u32 s6, s28
	s_cbranch_scc1 .LBB561_32
; %bb.1:
	v_mbcnt_lo_u32_b32 v11, -1, 0
	s_clause 0x5
	s_load_b32 s29, s[0:1], 0x44
	s_load_b32 s3, s[0:1], 0x4c
	;; [unrolled: 1-line block ×3, first 2 shown]
	s_load_b128 s[20:23], s[0:1], 0x10
	s_load_b64 s[12:13], s[0:1], 0x0
	s_load_b128 s[8:11], s[0:1], 0x28
	s_wait_xcnt 0x0
	s_bfe_u32 s0, ttmp6, 0x40010
	v_dual_mov_b32 v3, 0 :: v_dual_lshlrev_b32 v6, 3, v0
	v_cmp_gt_u32_e32 vcc_lo, 24, v11
	v_dual_lshrrev_b32 v14, 3, v0 :: v_dual_bitop2_b32 v1, 31, v0 bitop3:0x40
	s_and_b32 s4, ttmp7, 0xffff
	s_add_co_i32 s0, s0, 1
	v_cndmask_b32_e64 v4, 0, 8, vcc_lo
	v_cmp_gt_u32_e32 vcc_lo, 28, v11
	s_bfe_u32 s1, ttmp6, 0x40004
	s_mul_i32 s0, s4, s0
	v_lshlrev_b32_e32 v7, 2, v1
	v_add_lshl_u32 v9, v4, v11, 2
	v_cndmask_b32_e64 v5, 0, 4, vcc_lo
	v_cmp_gt_u32_e32 vcc_lo, 30, v11
	v_lshlrev_b32_e32 v4, 5, v0
	s_add_co_i32 s5, s1, s0
	s_wait_kmcnt 0x0
	s_ashr_i32 s25, s24, 31
	v_add_lshl_u32 v10, v5, v11, 2
	v_cndmask_b32_e64 v12, 0, 2, vcc_lo
	v_cmp_ne_u32_e32 vcc_lo, 31, v11
	s_lshl_b64 s[0:1], s[22:23], 1
	s_ashr_i32 s15, s12, 31
	s_cmp_eq_u32 s2, 0
	v_lshl_or_b32 v8, v11, 2, 64
	v_add_co_ci_u32_e64 v13, null, 0, v11, vcc_lo
	v_mov_b32_e32 v5, v3
	s_cselect_b32 s16, s4, s5
	s_lshr_b32 s2, s15, 29
	v_add_lshl_u32 v11, v12, v11, 2
	v_lshlrev_b32_e32 v12, 2, v13
	v_add_nc_u64_e32 v[4:5], s[10:11], v[4:5]
	s_add_nc_u64 s[18:19], s[20:21], s[0:1]
	s_add_co_i32 s0, s12, s2
	s_and_b32 s22, s3, 0xffff
	s_and_b32 s30, s0, -8
	v_xad_u32 v2, v0, -1, s12
	s_sub_co_i32 s1, s12, s30
	s_lshl_b32 s31, s22, 3
	v_cmp_gt_u32_e64 s1, s1, v0
	v_cmp_gt_u32_e64 s2, 32, v0
	v_cmp_eq_u32_e64 s3, 0, v1
	v_cmp_gt_u32_e64 s4, 8, v0
	v_cmp_eq_u32_e64 s5, 0, v0
	v_add_nc_u64_e32 v[0:1], 28, v[4:5]
	s_cmp_eq_f32 s13, 0
	s_mov_b32 s17, s7
	v_cmp_gt_i32_e64 s0, s30, v6
	v_and_b32_e32 v13, 28, v14
	s_mov_b32 s14, s12
	s_mul_u64 s[24:25], s[24:25], s[16:17]
	s_mul_i32 s17, s6, s29
	s_cselect_b32 s12, -1, 0
	s_lshl_b64 s[20:21], s[14:15], 2
	s_add_co_i32 s17, s16, s17
	s_lshl_b32 s33, s29, 16
	s_lshl_b32 s22, s22, 5
	s_mov_b32 s23, s7
	s_lshl_b64 s[24:25], s[24:25], 1
	s_branch .LBB561_5
.LBB561_2:                              ;   in Loop: Header=BB561_5 Depth=1
	s_or_b32 exec_lo, exec_lo, s35
.LBB561_3:                              ;   in Loop: Header=BB561_5 Depth=1
	global_store_d16_hi_b16 v3, v5, s[26:27]
.LBB561_4:                              ;   in Loop: Header=BB561_5 Depth=1
	s_wait_xcnt 0x0
	s_or_b32 exec_lo, exec_lo, s34
	s_add_co_i32 s6, s6, 0x10000
	s_add_co_i32 s17, s17, s33
	s_cmp_lt_u32 s6, s28
	s_cbranch_scc0 .LBB561_32
.LBB561_5:                              ; =>This Loop Header: Depth=1
                                        ;     Child Loop BB561_15 Depth 2
	v_mov_b32_e32 v14, 0
	s_and_saveexec_b32 s26, s0
	s_cbranch_execnz .LBB561_14
; %bb.6:                                ;   in Loop: Header=BB561_5 Depth=1
	s_or_b32 exec_lo, exec_lo, s26
	s_and_saveexec_b32 s26, s1
	s_cbranch_execnz .LBB561_17
.LBB561_7:                              ;   in Loop: Header=BB561_5 Depth=1
	s_or_b32 exec_lo, exec_lo, s26
	s_and_saveexec_b32 s26, s2
.LBB561_8:                              ;   in Loop: Header=BB561_5 Depth=1
	ds_store_b32 v7, v3
.LBB561_9:                              ;   in Loop: Header=BB561_5 Depth=1
	s_or_b32 exec_lo, exec_lo, s26
	s_wait_dscnt 0x0
	ds_bpermute_b32 v4, v8, v14
	s_wait_dscnt 0x0
	s_barrier_signal -1
	s_barrier_wait -1
	v_add_f32_e32 v4, v14, v4
	ds_bpermute_b32 v5, v9, v4
	s_wait_dscnt 0x0
	v_add_f32_e32 v4, v4, v5
	ds_bpermute_b32 v5, v10, v4
	s_wait_dscnt 0x0
	;; [unrolled: 3-line block ×3, first 2 shown]
	v_add_f32_e32 v4, v4, v5
	ds_bpermute_b32 v5, v12, v4
	s_and_saveexec_b32 s26, s3
	s_cbranch_execz .LBB561_11
; %bb.10:                               ;   in Loop: Header=BB561_5 Depth=1
	s_wait_dscnt 0x0
	v_add_f32_e32 v4, v4, v5
	ds_store_b32 v13, v4
.LBB561_11:                             ;   in Loop: Header=BB561_5 Depth=1
	s_or_b32 exec_lo, exec_lo, s26
	v_mov_b32_e32 v4, 0
	s_wait_dscnt 0x0
	s_barrier_signal -1
	s_barrier_wait -1
	s_and_saveexec_b32 s26, s4
	s_cbranch_execnz .LBB561_18
; %bb.12:                               ;   in Loop: Header=BB561_5 Depth=1
	s_or_b32 exec_lo, exec_lo, s26
	s_and_saveexec_b32 s26, s2
	s_cbranch_execnz .LBB561_19
.LBB561_13:                             ;   in Loop: Header=BB561_5 Depth=1
	s_or_b32 exec_lo, exec_lo, s26
	s_and_saveexec_b32 s34, s5
	s_cbranch_execz .LBB561_4
	s_branch .LBB561_20
.LBB561_14:                             ;   in Loop: Header=BB561_5 Depth=1
	s_wait_dscnt 0x0
	v_mad_nc_u64_u32 v[4:5], s20, s17, v[0:1]
	v_dual_mov_b32 v14, 0 :: v_dual_mov_b32 v15, v6
	s_mov_b32 s27, 0
	s_delay_alu instid0(VALU_DEP_2)
	v_mad_u32 v5, s21, s17, v5
.LBB561_15:                             ;   Parent Loop BB561_5 Depth=1
                                        ; =>  This Inner Loop Header: Depth=2
	s_clause 0x1
	global_load_b128 v[16:19], v[4:5], off offset:-28
	global_load_b128 v[20:23], v[4:5], off offset:-12
	s_wait_xcnt 0x0
	v_add_nc_u64_e32 v[4:5], s[22:23], v[4:5]
	v_add_nc_u32_e32 v15, s31, v15
	s_delay_alu instid0(VALU_DEP_1) | instskip(SKIP_3) | instid1(VALU_DEP_1)
	v_cmp_le_i32_e32 vcc_lo, s30, v15
	s_or_b32 s27, vcc_lo, s27
	s_wait_loadcnt 0x1
	v_add_f32_e32 v14, v14, v16
	v_add_f32_e32 v14, v14, v17
	s_delay_alu instid0(VALU_DEP_1) | instskip(NEXT) | instid1(VALU_DEP_1)
	v_add_f32_e32 v14, v14, v18
	v_add_f32_e32 v14, v14, v19
	s_wait_loadcnt 0x0
	s_delay_alu instid0(VALU_DEP_1) | instskip(NEXT) | instid1(VALU_DEP_1)
	v_add_f32_e32 v14, v14, v20
	v_add_f32_e32 v14, v14, v21
	s_delay_alu instid0(VALU_DEP_1) | instskip(NEXT) | instid1(VALU_DEP_1)
	v_add_f32_e32 v14, v14, v22
	v_add_f32_e32 v14, v14, v23
	s_and_not1_b32 exec_lo, exec_lo, s27
	s_cbranch_execnz .LBB561_15
; %bb.16:                               ;   in Loop: Header=BB561_5 Depth=1
	s_or_b32 exec_lo, exec_lo, s27
	s_delay_alu instid0(SALU_CYCLE_1)
	s_or_b32 exec_lo, exec_lo, s26
	s_and_saveexec_b32 s26, s1
	s_cbranch_execz .LBB561_7
.LBB561_17:                             ;   in Loop: Header=BB561_5 Depth=1
	s_mul_i32 s27, s29, s6
	s_mov_b32 s35, s7
	s_add_co_i32 s34, s27, s16
	s_delay_alu instid0(SALU_CYCLE_1) | instskip(NEXT) | instid1(SALU_CYCLE_1)
	s_mul_u64 s[34:35], s[34:35], s[14:15]
	s_lshl_b64 s[34:35], s[34:35], 2
	s_delay_alu instid0(SALU_CYCLE_1)
	s_add_nc_u64 s[34:35], s[10:11], s[34:35]
	s_wait_dscnt 0x0
	v_lshl_add_u64 v[4:5], v[2:3], 2, s[34:35]
	global_load_b32 v4, v[4:5], off
	s_wait_loadcnt 0x0
	v_add_f32_e32 v14, v14, v4
	s_wait_xcnt 0x0
	s_or_b32 exec_lo, exec_lo, s26
	s_and_saveexec_b32 s26, s2
	s_cbranch_execnz .LBB561_8
	s_branch .LBB561_9
.LBB561_18:                             ;   in Loop: Header=BB561_5 Depth=1
	ds_load_b32 v4, v7
	s_or_b32 exec_lo, exec_lo, s26
	s_and_saveexec_b32 s26, s2
	s_cbranch_execz .LBB561_13
.LBB561_19:                             ;   in Loop: Header=BB561_5 Depth=1
	s_wait_dscnt 0x0
	ds_bpermute_b32 v5, v10, v4
	s_wait_dscnt 0x0
	v_add_f32_e32 v4, v4, v5
	ds_bpermute_b32 v5, v11, v4
	s_wait_dscnt 0x0
	v_add_f32_e32 v4, v4, v5
	;; [unrolled: 3-line block ×3, first 2 shown]
	s_or_b32 exec_lo, exec_lo, s26
	s_and_saveexec_b32 s34, s5
	s_cbranch_execz .LBB561_4
.LBB561_20:                             ;   in Loop: Header=BB561_5 Depth=1
	s_and_b32 vcc_lo, exec_lo, s12
	s_cbranch_vccz .LBB561_26
; %bb.21:                               ;   in Loop: Header=BB561_5 Depth=1
	s_wait_dscnt 0x0
	v_and_b32_e32 v5, 0x7f800000, v4
	s_delay_alu instid0(VALU_DEP_1) | instskip(SKIP_1) | instid1(SALU_CYCLE_1)
	v_cmp_ne_u32_e32 vcc_lo, 0x7f800000, v5
                                        ; implicit-def: $vgpr5
	s_and_saveexec_b32 s26, vcc_lo
	s_xor_b32 s26, exec_lo, s26
; %bb.22:                               ;   in Loop: Header=BB561_5 Depth=1
	v_bfe_u32 v5, v4, 16, 1
	s_delay_alu instid0(VALU_DEP_1)
	v_add3_u32 v5, v4, v5, 0x7fff
; %bb.23:                               ;   in Loop: Header=BB561_5 Depth=1
	s_and_not1_saveexec_b32 s26, s26
; %bb.24:                               ;   in Loop: Header=BB561_5 Depth=1
	v_and_b32_e32 v5, 0xffff, v4
	v_or_b32_e32 v14, 0x10000, v4
	s_delay_alu instid0(VALU_DEP_2) | instskip(NEXT) | instid1(VALU_DEP_2)
	v_cmp_eq_u32_e32 vcc_lo, 0, v5
	v_cndmask_b32_e32 v5, v14, v4, vcc_lo
; %bb.25:                               ;   in Loop: Header=BB561_5 Depth=1
	s_or_b32 exec_lo, exec_lo, s26
	s_mov_b32 s26, 0
	s_branch .LBB561_27
.LBB561_26:                             ;   in Loop: Header=BB561_5 Depth=1
	s_mov_b32 s26, -1
                                        ; implicit-def: $vgpr5
.LBB561_27:                             ;   in Loop: Header=BB561_5 Depth=1
	s_mul_u64 s[36:37], s[8:9], s[6:7]
	s_and_not1_b32 vcc_lo, exec_lo, s26
	s_lshl_b64 s[36:37], s[36:37], 1
	s_delay_alu instid0(SALU_CYCLE_1) | instskip(NEXT) | instid1(SALU_CYCLE_1)
	s_add_nc_u64 s[36:37], s[18:19], s[36:37]
	s_add_nc_u64 s[26:27], s[36:37], s[24:25]
	s_cbranch_vccnz .LBB561_3
; %bb.28:                               ;   in Loop: Header=BB561_5 Depth=1
	global_load_u16 v5, v3, s[26:27]
	s_wait_loadcnt_dscnt 0x0
	v_fma_mix_f32_bf16 v4, s13, v5, v4 op_sel_hi:[0,1,0]
	s_delay_alu instid0(VALU_DEP_1) | instskip(NEXT) | instid1(VALU_DEP_1)
	v_and_b32_e32 v5, 0x7f800000, v4
	v_cmp_ne_u32_e32 vcc_lo, 0x7f800000, v5
                                        ; implicit-def: $vgpr5
	s_wait_xcnt 0x0
	s_and_saveexec_b32 s35, vcc_lo
	s_delay_alu instid0(SALU_CYCLE_1)
	s_xor_b32 s35, exec_lo, s35
; %bb.29:                               ;   in Loop: Header=BB561_5 Depth=1
	v_bfe_u32 v5, v4, 16, 1
	s_delay_alu instid0(VALU_DEP_1)
	v_add3_u32 v5, v4, v5, 0x7fff
                                        ; implicit-def: $vgpr4
; %bb.30:                               ;   in Loop: Header=BB561_5 Depth=1
	s_and_not1_saveexec_b32 s35, s35
	s_cbranch_execz .LBB561_2
; %bb.31:                               ;   in Loop: Header=BB561_5 Depth=1
	v_and_b32_e32 v5, 0xffff, v4
	v_or_b32_e32 v14, 0x10000, v4
	s_delay_alu instid0(VALU_DEP_2) | instskip(NEXT) | instid1(VALU_DEP_2)
	v_cmp_eq_u32_e32 vcc_lo, 0, v5
	v_cndmask_b32_e32 v5, v14, v4, vcc_lo
	s_branch .LBB561_2
.LBB561_32:
	s_endpgm
	.section	.rodata,"a",@progbits
	.p2align	6, 0x0
	.amdhsa_kernel _ZL23rocblas_gemvt_sn_reduceILi256ELi8Eff16rocblas_bfloat16EviT2_lPT3_lilPT1_i
		.amdhsa_group_segment_fixed_size 128
		.amdhsa_private_segment_fixed_size 0
		.amdhsa_kernarg_size 320
		.amdhsa_user_sgpr_count 2
		.amdhsa_user_sgpr_dispatch_ptr 0
		.amdhsa_user_sgpr_queue_ptr 0
		.amdhsa_user_sgpr_kernarg_segment_ptr 1
		.amdhsa_user_sgpr_dispatch_id 0
		.amdhsa_user_sgpr_kernarg_preload_length 0
		.amdhsa_user_sgpr_kernarg_preload_offset 0
		.amdhsa_user_sgpr_private_segment_size 0
		.amdhsa_wavefront_size32 1
		.amdhsa_uses_dynamic_stack 0
		.amdhsa_enable_private_segment 0
		.amdhsa_system_sgpr_workgroup_id_x 1
		.amdhsa_system_sgpr_workgroup_id_y 1
		.amdhsa_system_sgpr_workgroup_id_z 1
		.amdhsa_system_sgpr_workgroup_info 0
		.amdhsa_system_vgpr_workitem_id 0
		.amdhsa_next_free_vgpr 24
		.amdhsa_next_free_sgpr 38
		.amdhsa_named_barrier_count 0
		.amdhsa_reserve_vcc 1
		.amdhsa_float_round_mode_32 0
		.amdhsa_float_round_mode_16_64 0
		.amdhsa_float_denorm_mode_32 3
		.amdhsa_float_denorm_mode_16_64 3
		.amdhsa_fp16_overflow 0
		.amdhsa_memory_ordered 1
		.amdhsa_forward_progress 1
		.amdhsa_inst_pref_size 11
		.amdhsa_round_robin_scheduling 0
		.amdhsa_exception_fp_ieee_invalid_op 0
		.amdhsa_exception_fp_denorm_src 0
		.amdhsa_exception_fp_ieee_div_zero 0
		.amdhsa_exception_fp_ieee_overflow 0
		.amdhsa_exception_fp_ieee_underflow 0
		.amdhsa_exception_fp_ieee_inexact 0
		.amdhsa_exception_int_div_zero 0
	.end_amdhsa_kernel
	.section	.text._ZL23rocblas_gemvt_sn_reduceILi256ELi8Eff16rocblas_bfloat16EviT2_lPT3_lilPT1_i,"axG",@progbits,_ZL23rocblas_gemvt_sn_reduceILi256ELi8Eff16rocblas_bfloat16EviT2_lPT3_lilPT1_i,comdat
.Lfunc_end561:
	.size	_ZL23rocblas_gemvt_sn_reduceILi256ELi8Eff16rocblas_bfloat16EviT2_lPT3_lilPT1_i, .Lfunc_end561-_ZL23rocblas_gemvt_sn_reduceILi256ELi8Eff16rocblas_bfloat16EviT2_lPT3_lilPT1_i
                                        ; -- End function
	.set _ZL23rocblas_gemvt_sn_reduceILi256ELi8Eff16rocblas_bfloat16EviT2_lPT3_lilPT1_i.num_vgpr, 24
	.set _ZL23rocblas_gemvt_sn_reduceILi256ELi8Eff16rocblas_bfloat16EviT2_lPT3_lilPT1_i.num_agpr, 0
	.set _ZL23rocblas_gemvt_sn_reduceILi256ELi8Eff16rocblas_bfloat16EviT2_lPT3_lilPT1_i.numbered_sgpr, 38
	.set _ZL23rocblas_gemvt_sn_reduceILi256ELi8Eff16rocblas_bfloat16EviT2_lPT3_lilPT1_i.num_named_barrier, 0
	.set _ZL23rocblas_gemvt_sn_reduceILi256ELi8Eff16rocblas_bfloat16EviT2_lPT3_lilPT1_i.private_seg_size, 0
	.set _ZL23rocblas_gemvt_sn_reduceILi256ELi8Eff16rocblas_bfloat16EviT2_lPT3_lilPT1_i.uses_vcc, 1
	.set _ZL23rocblas_gemvt_sn_reduceILi256ELi8Eff16rocblas_bfloat16EviT2_lPT3_lilPT1_i.uses_flat_scratch, 0
	.set _ZL23rocblas_gemvt_sn_reduceILi256ELi8Eff16rocblas_bfloat16EviT2_lPT3_lilPT1_i.has_dyn_sized_stack, 0
	.set _ZL23rocblas_gemvt_sn_reduceILi256ELi8Eff16rocblas_bfloat16EviT2_lPT3_lilPT1_i.has_recursion, 0
	.set _ZL23rocblas_gemvt_sn_reduceILi256ELi8Eff16rocblas_bfloat16EviT2_lPT3_lilPT1_i.has_indirect_call, 0
	.section	.AMDGPU.csdata,"",@progbits
; Kernel info:
; codeLenInByte = 1316
; TotalNumSgprs: 40
; NumVgprs: 24
; ScratchSize: 0
; MemoryBound: 0
; FloatMode: 240
; IeeeMode: 1
; LDSByteSize: 128 bytes/workgroup (compile time only)
; SGPRBlocks: 0
; VGPRBlocks: 1
; NumSGPRsForWavesPerEU: 40
; NumVGPRsForWavesPerEU: 24
; NamedBarCnt: 0
; Occupancy: 16
; WaveLimiterHint : 0
; COMPUTE_PGM_RSRC2:SCRATCH_EN: 0
; COMPUTE_PGM_RSRC2:USER_SGPR: 2
; COMPUTE_PGM_RSRC2:TRAP_HANDLER: 0
; COMPUTE_PGM_RSRC2:TGID_X_EN: 1
; COMPUTE_PGM_RSRC2:TGID_Y_EN: 1
; COMPUTE_PGM_RSRC2:TGID_Z_EN: 1
; COMPUTE_PGM_RSRC2:TIDIG_COMP_CNT: 0
	.section	.text._ZL32rocblas_gemvt_warp_reduce_kernelILb0ELi256Ei16rocblas_bfloat16PKfS0_EviiT3_lPKT2_lT1_lS6_lS7_lS3_lPT4_lS7_li,"axG",@progbits,_ZL32rocblas_gemvt_warp_reduce_kernelILb0ELi256Ei16rocblas_bfloat16PKfS0_EviiT3_lPKT2_lT1_lS6_lS7_lS3_lPT4_lS7_li,comdat
	.globl	_ZL32rocblas_gemvt_warp_reduce_kernelILb0ELi256Ei16rocblas_bfloat16PKfS0_EviiT3_lPKT2_lT1_lS6_lS7_lS3_lPT4_lS7_li ; -- Begin function _ZL32rocblas_gemvt_warp_reduce_kernelILb0ELi256Ei16rocblas_bfloat16PKfS0_EviiT3_lPKT2_lT1_lS6_lS7_lS3_lPT4_lS7_li
	.p2align	8
	.type	_ZL32rocblas_gemvt_warp_reduce_kernelILb0ELi256Ei16rocblas_bfloat16PKfS0_EviiT3_lPKT2_lT1_lS6_lS7_lS3_lPT4_lS7_li,@function
_ZL32rocblas_gemvt_warp_reduce_kernelILb0ELi256Ei16rocblas_bfloat16PKfS0_EviiT3_lPKT2_lT1_lS6_lS7_lS3_lPT4_lS7_li: ; @_ZL32rocblas_gemvt_warp_reduce_kernelILb0ELi256Ei16rocblas_bfloat16PKfS0_EviiT3_lPKT2_lT1_lS6_lS7_lS3_lPT4_lS7_li
; %bb.0:
	s_load_b32 s33, s[0:1], 0x88
	s_bfe_u32 s2, ttmp6, 0x40014
	s_lshr_b32 s3, ttmp7, 16
	s_add_co_i32 s2, s2, 1
	s_bfe_u32 s5, ttmp6, 0x40008
	s_mul_i32 s4, s3, s2
	s_getreg_b32 s2, hwreg(HW_REG_IB_STS2, 6, 4)
	s_add_co_i32 s5, s5, s4
	s_cmp_eq_u32 s2, 0
	s_mov_b32 s35, 0
	s_cselect_b32 s34, s3, s5
	s_wait_kmcnt 0x0
	s_cmp_ge_u32 s34, s33
	s_cbranch_scc1 .LBB562_59
; %bb.1:
	s_clause 0x7
	s_load_b96 s[4:6], s[0:1], 0x40
	s_load_b96 s[28:30], s[0:1], 0x70
	s_load_b256 s[8:15], s[0:1], 0x8
	s_load_b32 s7, s[0:1], 0x0
	s_load_b32 s3, s[0:1], 0x28
	s_load_b128 s[24:27], s[0:1], 0x30
	s_load_b256 s[16:23], s[0:1], 0x50
	s_load_b64 s[36:37], s[0:1], 0x80
	s_wait_xcnt 0x0
	s_bfe_u32 s1, ttmp6, 0x4000c
	s_and_b32 s31, ttmp6, 15
	s_add_co_i32 s1, s1, 1
	v_dual_mov_b32 v3, 0 :: v_dual_bitop2_b32 v2, 31, v0 bitop3:0x40
	s_mul_i32 s1, ttmp9, s1
	v_lshrrev_b32_e32 v8, 3, v0
	s_add_co_i32 s31, s31, s1
	v_mbcnt_lo_u32_b32 v13, -1, 0
	v_lshlrev_b32_e32 v1, 2, v2
	v_cmp_eq_u32_e64 s0, 0, v0
	v_and_b32_e32 v14, 28, v8
	s_wait_kmcnt 0x0
	s_lshl_b64 s[4:5], s[4:5], 1
	s_lshl_b64 s[28:29], s[28:29], 1
	;; [unrolled: 1-line block ×3, first 2 shown]
	s_cmp_eq_u32 s2, 0
	v_cmp_gt_i32_e32 vcc_lo, s7, v0
	s_cselect_b32 s15, ttmp9, s31
	s_ashr_i32 s2, s7, 31
	s_add_nc_u64 s[26:27], s[26:27], s[4:5]
	s_lshr_b32 s2, s2, 24
	s_add_nc_u64 s[4:5], s[12:13], s[38:39]
	s_add_co_i32 s2, s7, s2
	s_add_nc_u64 s[22:23], s[22:23], s[28:29]
	s_and_b32 s14, s2, 0xffffff00
	s_delay_alu instid0(SALU_CYCLE_1)
	v_dual_cndmask_b32 v4, 0, v0, vcc_lo :: v_dual_bitop2_b32 v5, s14, v0 bitop3:0x54
	v_cmp_eq_u32_e64 s2, 0, v2
	s_mul_i32 s28, s30, s15
	s_mul_i32 s30, s3, s15
	v_lshlrev_b32_e32 v2, 1, v4
	v_mul_lo_u32 v4, s6, v5
	s_ashr_i32 s31, s30, 31
	v_mul_lo_u32 v12, v0, s6
	s_lshl_b64 s[30:31], s[30:31], 1
	v_add_nc_u64_e32 v[6:7], s[4:5], v[2:3]
	v_cmp_gt_i32_e64 s4, s7, v5
	v_cmp_gt_u32_e64 s1, 32, v0
	v_cmp_gt_i32_e64 s3, s14, v0
	v_cmp_gt_u32_e64 s5, 8, v0
	s_ashr_i32 s29, s28, 31
	s_ashr_i32 s15, s14, 31
	v_add_nc_u64_e32 v[6:7], s[30:31], v[6:7]
	s_add_nc_u64 s[30:31], s[38:39], s[30:31]
	v_ashrrev_i32_e32 v5, 31, v4
	s_add_nc_u64 s[12:13], s[12:13], s[30:31]
	s_lshl_b32 s38, s6, 8
	v_add_nc_u64_e32 v[8:9], s[12:13], v[2:3]
	v_lshl_or_b32 v2, v13, 2, 64
	s_lshl_b64 s[12:13], s[24:25], 1
	s_lshl_b64 s[28:29], s[28:29], 1
	s_branch .LBB562_4
.LBB562_2:                              ;   in Loop: Header=BB562_4 Depth=1
	s_wait_xcnt 0x0
	s_or_b32 exec_lo, exec_lo, s30
.LBB562_3:                              ;   in Loop: Header=BB562_4 Depth=1
	s_add_co_i32 s34, s34, 0x10000
	s_delay_alu instid0(SALU_CYCLE_1)
	s_cmp_lt_u32 s34, s33
	s_cbranch_scc0 .LBB562_59
.LBB562_4:                              ; =>This Loop Header: Depth=1
                                        ;     Child Loop BB562_26 Depth 2
	s_mul_u64 s[6:7], s[10:11], s[34:35]
	s_wait_xcnt 0x0
	s_mul_u64 s[30:31], s[20:21], s[34:35]
	s_lshl_b64 s[6:7], s[6:7], 2
	s_lshl_b64 s[30:31], s[30:31], 2
	s_add_nc_u64 s[6:7], s[8:9], s[6:7]
	s_add_nc_u64 s[30:31], s[18:19], s[30:31]
	s_clause 0x1
	global_load_b32 v15, v3, s[6:7]
	global_load_b32 v10, v3, s[30:31]
	s_wait_loadcnt 0x1
	v_cmp_eq_f32_e32 vcc_lo, 0, v15
	s_wait_loadcnt 0x0
	s_wait_xcnt 0x1
	v_cmp_eq_f32_e64 s6, 1.0, v10
	v_readfirstlane_b32 s40, v10
	s_and_b32 s6, vcc_lo, s6
	s_delay_alu instid0(SALU_CYCLE_1)
	s_and_b32 vcc_lo, exec_lo, s6
	s_cbranch_vccnz .LBB562_3
; %bb.5:                                ;   in Loop: Header=BB562_4 Depth=1
	v_cmp_neq_f32_e32 vcc_lo, 0, v15
	s_mul_u64 s[6:7], s[36:37], s[34:35]
	s_delay_alu instid0(SALU_CYCLE_1) | instskip(NEXT) | instid1(SALU_CYCLE_1)
	s_lshl_b64 s[6:7], s[6:7], 1
	s_add_nc_u64 s[6:7], s[22:23], s[6:7]
	s_cbranch_vccnz .LBB562_13
; %bb.6:                                ;   in Loop: Header=BB562_4 Depth=1
	s_wait_xcnt 0x0
	s_mov_b32 s30, 0
	s_mov_b32 s39, 0
                                        ; implicit-def: $sgpr41
	s_and_saveexec_b32 s31, s0
	s_cbranch_execz .LBB562_14
; %bb.7:                                ;   in Loop: Header=BB562_4 Depth=1
	s_cmp_eq_f32 s40, 0
	s_cbranch_scc1 .LBB562_44
; %bb.8:                                ;   in Loop: Header=BB562_4 Depth=1
	s_add_nc_u64 s[42:43], s[6:7], s[28:29]
	global_load_u16 v10, v3, s[42:43]
	s_wait_xcnt 0x0
	s_mov_b32 s42, -1
	s_wait_loadcnt 0x0
	v_readfirstlane_b32 s39, v10
	s_lshl_b32 s39, s39, 16
	s_delay_alu instid0(SALU_CYCLE_1) | instskip(NEXT) | instid1(SALU_CYCLE_3)
	s_mul_f32 s39, s40, s39
	s_and_b32 s41, s39, 0x7f800000
	s_delay_alu instid0(SALU_CYCLE_1)
	s_cmp_eq_u32 s41, 0x7f800000
                                        ; implicit-def: $sgpr41
	s_cbranch_scc1 .LBB562_10
; %bb.9:                                ;   in Loop: Header=BB562_4 Depth=1
	s_bfe_u32 s41, s39, 0x10010
	s_mov_b32 s42, 0
	s_add_co_i32 s41, s39, s41
	s_delay_alu instid0(SALU_CYCLE_1)
	s_addk_co_i32 s41, 0x7fff
.LBB562_10:                             ;   in Loop: Header=BB562_4 Depth=1
	s_and_not1_b32 vcc_lo, exec_lo, s42
	s_cbranch_vccnz .LBB562_12
; %bb.11:                               ;   in Loop: Header=BB562_4 Depth=1
	s_and_b32 s41, s39, 0xffff
	s_or_b32 s42, s39, 0x10000
	s_cmp_eq_u32 s41, 0
	s_cselect_b32 s41, s39, s42
.LBB562_12:                             ;   in Loop: Header=BB562_4 Depth=1
	s_delay_alu instid0(SALU_CYCLE_1) | instskip(SKIP_2) | instid1(SALU_CYCLE_1)
	s_lshr_b32 s41, s41, 16
	s_mov_b32 s39, exec_lo
	s_or_b32 exec_lo, exec_lo, s31
	s_and_b32 vcc_lo, exec_lo, s30
	s_cbranch_vccnz .LBB562_15
	s_branch .LBB562_45
.LBB562_13:                             ;   in Loop: Header=BB562_4 Depth=1
	s_wait_xcnt 0x0
	s_mov_b32 s39, 0
                                        ; implicit-def: $sgpr41
	s_cbranch_execnz .LBB562_15
	s_branch .LBB562_45
.LBB562_14:                             ;   in Loop: Header=BB562_4 Depth=1
	s_or_b32 exec_lo, exec_lo, s31
	s_delay_alu instid0(SALU_CYCLE_1)
	s_and_b32 vcc_lo, exec_lo, s30
	s_cbranch_vccz .LBB562_45
.LBB562_15:                             ;   in Loop: Header=BB562_4 Depth=1
	s_mul_u64 s[30:31], s[16:17], s[34:35]
	v_mov_b32_e32 v16, 0
	s_lshl_b64 s[30:31], s[30:31], 1
	s_delay_alu instid0(SALU_CYCLE_1)
	s_add_nc_u64 s[30:31], s[26:27], s[30:31]
	s_and_saveexec_b32 s41, s3
	s_cbranch_execnz .LBB562_24
; %bb.16:                               ;   in Loop: Header=BB562_4 Depth=1
	s_or_b32 exec_lo, exec_lo, s41
	s_and_saveexec_b32 s41, s4
	s_cbranch_execnz .LBB562_39
.LBB562_17:                             ;   in Loop: Header=BB562_4 Depth=1
	s_or_b32 exec_lo, exec_lo, s41
	s_and_saveexec_b32 s30, s1
.LBB562_18:                             ;   in Loop: Header=BB562_4 Depth=1
	ds_store_b32 v1, v3
.LBB562_19:                             ;   in Loop: Header=BB562_4 Depth=1
	s_or_b32 exec_lo, exec_lo, s30
	ds_bpermute_b32 v10, v2, v16
	v_cmp_gt_u32_e32 vcc_lo, 24, v13
	s_wait_dscnt 0x0
	s_barrier_signal -1
	s_barrier_wait -1
	v_cndmask_b32_e64 v11, 0, 8, vcc_lo
	v_cmp_gt_u32_e32 vcc_lo, 28, v13
	s_delay_alu instid0(VALU_DEP_2)
	v_add_lshl_u32 v11, v11, v13, 2
	v_add_f32_e32 v16, v16, v10
	v_cndmask_b32_e64 v10, 0, 4, vcc_lo
	v_cmp_gt_u32_e32 vcc_lo, 30, v13
	ds_bpermute_b32 v11, v11, v16
	v_add_lshl_u32 v10, v10, v13, 2
	s_wait_dscnt 0x0
	v_add_f32_e32 v16, v16, v11
	v_cndmask_b32_e64 v11, 0, 2, vcc_lo
	v_cmp_ne_u32_e32 vcc_lo, 31, v13
	ds_bpermute_b32 v17, v10, v16
	v_add_lshl_u32 v11, v11, v13, 2
	v_add_co_ci_u32_e64 v18, null, 0, v13, vcc_lo
	s_wait_dscnt 0x0
	v_add_f32_e32 v16, v16, v17
	ds_bpermute_b32 v17, v11, v16
	s_wait_dscnt 0x0
	v_dual_add_f32 v17, v16, v17 :: v_dual_lshlrev_b32 v16, 2, v18
	ds_bpermute_b32 v18, v16, v17
	s_and_saveexec_b32 s30, s2
	s_cbranch_execz .LBB562_21
; %bb.20:                               ;   in Loop: Header=BB562_4 Depth=1
	s_wait_dscnt 0x0
	v_add_f32_e32 v17, v17, v18
	ds_store_b32 v14, v17
.LBB562_21:                             ;   in Loop: Header=BB562_4 Depth=1
	s_or_b32 exec_lo, exec_lo, s30
	v_mov_b32_e32 v17, 0
	s_wait_dscnt 0x0
	s_barrier_signal -1
	s_barrier_wait -1
	s_and_saveexec_b32 s30, s5
	s_cbranch_execnz .LBB562_30
; %bb.22:                               ;   in Loop: Header=BB562_4 Depth=1
	s_or_b32 exec_lo, exec_lo, s30
	s_and_saveexec_b32 s30, s1
	s_cbranch_execnz .LBB562_31
.LBB562_23:                             ;   in Loop: Header=BB562_4 Depth=1
	s_or_b32 exec_lo, exec_lo, s30
                                        ; implicit-def: $vgpr10
	s_and_saveexec_b32 s30, s0
	s_cbranch_execnz .LBB562_32
	s_branch .LBB562_57
.LBB562_24:                             ;   in Loop: Header=BB562_4 Depth=1
	v_mad_nc_u64_u32 v[10:11], s12, s34, v[8:9]
	s_wait_dscnt 0x0
	v_dual_mov_b32 v16, 0 :: v_dual_mov_b32 v17, v12
	v_mov_b32_e32 v18, v0
	s_mov_b32 s42, 0
	s_delay_alu instid0(VALU_DEP_3)
	v_mad_u32 v11, s13, s34, v11
	s_branch .LBB562_26
.LBB562_25:                             ;   in Loop: Header=BB562_26 Depth=2
	s_or_b32 exec_lo, exec_lo, s43
	v_add_nc_u32_e32 v18, 0x100, v18
	s_delay_alu instid0(VALU_DEP_2) | instskip(SKIP_2) | instid1(VALU_DEP_4)
	v_and_b32_e32 v19, 0xffff0000, v20
	v_add_nc_u64_e32 v[10:11], 0x200, v[10:11]
	v_add_nc_u32_e32 v17, s38, v17
	v_cmp_le_i32_e32 vcc_lo, s14, v18
	s_delay_alu instid0(VALU_DEP_4) | instskip(SKIP_1) | instid1(SALU_CYCLE_1)
	v_add_f32_e32 v16, v16, v19
	s_or_b32 s42, vcc_lo, s42
	s_and_not1_b32 exec_lo, exec_lo, s42
	s_cbranch_execz .LBB562_38
.LBB562_26:                             ;   Parent Loop BB562_4 Depth=1
                                        ; =>  This Inner Loop Header: Depth=2
	global_load_u16 v19, v[10:11], off
	global_load_u16 v20, v17, s[30:31] scale_offset
	s_wait_loadcnt 0x0
	v_dual_lshlrev_b32 v19, 16, v19 :: v_dual_lshlrev_b32 v20, 16, v20
	s_delay_alu instid0(VALU_DEP_1) | instskip(NEXT) | instid1(VALU_DEP_1)
	v_mul_f32_e32 v19, v20, v19
	v_and_b32_e32 v20, 0x7f800000, v19
	s_delay_alu instid0(VALU_DEP_1) | instskip(SKIP_2) | instid1(SALU_CYCLE_1)
	v_cmp_ne_u32_e32 vcc_lo, 0x7f800000, v20
                                        ; implicit-def: $vgpr20
	s_wait_xcnt 0x0
	s_and_saveexec_b32 s43, vcc_lo
	s_xor_b32 s43, exec_lo, s43
; %bb.27:                               ;   in Loop: Header=BB562_26 Depth=2
	v_bfe_u32 v20, v19, 16, 1
	s_delay_alu instid0(VALU_DEP_1)
	v_add3_u32 v20, v19, v20, 0x7fff
                                        ; implicit-def: $vgpr19
; %bb.28:                               ;   in Loop: Header=BB562_26 Depth=2
	s_and_not1_saveexec_b32 s43, s43
	s_cbranch_execz .LBB562_25
; %bb.29:                               ;   in Loop: Header=BB562_26 Depth=2
	v_and_b32_e32 v20, 0xffff, v19
	v_or_b32_e32 v21, 0x10000, v19
	s_delay_alu instid0(VALU_DEP_2) | instskip(NEXT) | instid1(VALU_DEP_2)
	v_cmp_eq_u32_e32 vcc_lo, 0, v20
	v_cndmask_b32_e32 v20, v21, v19, vcc_lo
	s_branch .LBB562_25
.LBB562_30:                             ;   in Loop: Header=BB562_4 Depth=1
	ds_load_b32 v17, v1
	s_or_b32 exec_lo, exec_lo, s30
	s_and_saveexec_b32 s30, s1
	s_cbranch_execz .LBB562_23
.LBB562_31:                             ;   in Loop: Header=BB562_4 Depth=1
	s_wait_dscnt 0x0
	ds_bpermute_b32 v10, v10, v17
	s_wait_dscnt 0x0
	v_add_f32_e32 v10, v17, v10
	ds_bpermute_b32 v11, v11, v10
	s_wait_dscnt 0x0
	v_add_f32_e32 v10, v10, v11
	;; [unrolled: 3-line block ×3, first 2 shown]
	s_or_b32 exec_lo, exec_lo, s30
                                        ; implicit-def: $vgpr10
	s_and_saveexec_b32 s30, s0
	s_cbranch_execz .LBB562_57
.LBB562_32:                             ;   in Loop: Header=BB562_4 Depth=1
	s_wait_dscnt 0x0
	v_mul_f32_e32 v10, v15, v17
	s_cmp_eq_f32 s40, 0
	s_cbranch_scc0 .LBB562_46
; %bb.33:                               ;   in Loop: Header=BB562_4 Depth=1
	s_delay_alu instid0(VALU_DEP_1) | instskip(NEXT) | instid1(VALU_DEP_1)
	v_and_b32_e32 v11, 0x7f800000, v10
	v_cmp_ne_u32_e32 vcc_lo, 0x7f800000, v11
                                        ; implicit-def: $vgpr11
	s_and_saveexec_b32 s31, vcc_lo
	s_delay_alu instid0(SALU_CYCLE_1)
	s_xor_b32 s31, exec_lo, s31
; %bb.34:                               ;   in Loop: Header=BB562_4 Depth=1
	v_bfe_u32 v11, v10, 16, 1
	s_delay_alu instid0(VALU_DEP_1)
	v_add3_u32 v11, v10, v11, 0x7fff
; %bb.35:                               ;   in Loop: Header=BB562_4 Depth=1
	s_and_not1_saveexec_b32 s31, s31
; %bb.36:                               ;   in Loop: Header=BB562_4 Depth=1
	v_and_b32_e32 v11, 0xffff, v10
	v_or_b32_e32 v15, 0x10000, v10
	s_delay_alu instid0(VALU_DEP_2) | instskip(NEXT) | instid1(VALU_DEP_2)
	v_cmp_eq_u32_e32 vcc_lo, 0, v11
	v_cndmask_b32_e32 v11, v15, v10, vcc_lo
; %bb.37:                               ;   in Loop: Header=BB562_4 Depth=1
	s_or_b32 exec_lo, exec_lo, s31
	s_cbranch_execz .LBB562_47
	s_branch .LBB562_56
.LBB562_38:                             ;   in Loop: Header=BB562_4 Depth=1
	s_or_b32 exec_lo, exec_lo, s42
	s_delay_alu instid0(SALU_CYCLE_1)
	s_or_b32 exec_lo, exec_lo, s41
	s_and_saveexec_b32 s41, s4
	s_cbranch_execz .LBB562_17
.LBB562_39:                             ;   in Loop: Header=BB562_4 Depth=1
	s_mul_u64 s[42:43], s[24:25], s[34:35]
	v_lshl_add_u64 v[18:19], v[4:5], 1, s[30:31]
	v_lshl_add_u64 v[10:11], s[42:43], 1, v[6:7]
	s_delay_alu instid0(VALU_DEP_1)
	v_lshl_add_u64 v[10:11], s[14:15], 1, v[10:11]
	s_wait_dscnt 0x0
	global_load_u16 v17, v[18:19], off
	global_load_u16 v20, v[10:11], off
	s_wait_loadcnt 0x0
	s_wait_xcnt 0x0
	v_dual_lshlrev_b32 v10, 16, v17 :: v_dual_lshlrev_b32 v11, 16, v20
	s_delay_alu instid0(VALU_DEP_1) | instskip(NEXT) | instid1(VALU_DEP_1)
	v_mul_f32_e32 v10, v10, v11
	v_and_b32_e32 v11, 0x7f800000, v10
	s_delay_alu instid0(VALU_DEP_1) | instskip(SKIP_1) | instid1(SALU_CYCLE_1)
	v_cmp_ne_u32_e32 vcc_lo, 0x7f800000, v11
                                        ; implicit-def: $vgpr11
	s_and_saveexec_b32 s30, vcc_lo
	s_xor_b32 s30, exec_lo, s30
; %bb.40:                               ;   in Loop: Header=BB562_4 Depth=1
	v_bfe_u32 v11, v10, 16, 1
	s_delay_alu instid0(VALU_DEP_1)
	v_add3_u32 v11, v10, v11, 0x7fff
                                        ; implicit-def: $vgpr10
; %bb.41:                               ;   in Loop: Header=BB562_4 Depth=1
	s_and_not1_saveexec_b32 s30, s30
; %bb.42:                               ;   in Loop: Header=BB562_4 Depth=1
	v_and_b32_e32 v11, 0xffff, v10
	v_or_b32_e32 v17, 0x10000, v10
	s_delay_alu instid0(VALU_DEP_2) | instskip(NEXT) | instid1(VALU_DEP_2)
	v_cmp_eq_u32_e32 vcc_lo, 0, v11
	v_cndmask_b32_e32 v11, v17, v10, vcc_lo
; %bb.43:                               ;   in Loop: Header=BB562_4 Depth=1
	s_or_b32 exec_lo, exec_lo, s30
	s_delay_alu instid0(VALU_DEP_1) | instskip(NEXT) | instid1(VALU_DEP_1)
	v_and_b32_e32 v10, 0xffff0000, v11
	v_add_f32_e32 v16, v16, v10
	s_or_b32 exec_lo, exec_lo, s41
	s_and_saveexec_b32 s30, s1
	s_cbranch_execnz .LBB562_18
	s_branch .LBB562_19
.LBB562_44:                             ;   in Loop: Header=BB562_4 Depth=1
	s_mov_b32 s41, 0
	s_mov_b32 s39, exec_lo
	s_or_b32 exec_lo, exec_lo, s31
	s_delay_alu instid0(SALU_CYCLE_1)
	s_and_b32 vcc_lo, exec_lo, s30
	s_cbranch_vccnz .LBB562_15
.LBB562_45:                             ;   in Loop: Header=BB562_4 Depth=1
	v_mov_b32_e32 v10, s41
	s_and_saveexec_b32 s30, s39
	s_cbranch_execz .LBB562_2
	s_branch .LBB562_58
.LBB562_46:                             ;   in Loop: Header=BB562_4 Depth=1
                                        ; implicit-def: $vgpr11
.LBB562_47:                             ;   in Loop: Header=BB562_4 Depth=1
	s_add_nc_u64 s[42:43], s[6:7], s[28:29]
	s_mov_b32 s41, -1
	global_load_u16 v11, v3, s[42:43]
	s_wait_loadcnt 0x0
	v_readfirstlane_b32 s31, v11
	s_lshl_b32 s31, s31, 16
	s_delay_alu instid0(SALU_CYCLE_1) | instskip(NEXT) | instid1(SALU_CYCLE_3)
	s_mul_f32 s31, s40, s31
	s_and_b32 s40, s31, 0x7f800000
	s_delay_alu instid0(SALU_CYCLE_1)
	s_cmp_eq_u32 s40, 0x7f800000
                                        ; implicit-def: $sgpr40
	s_cbranch_scc1 .LBB562_49
; %bb.48:                               ;   in Loop: Header=BB562_4 Depth=1
	s_bfe_u32 s40, s31, 0x10010
	s_mov_b32 s41, 0
	s_add_co_i32 s40, s31, s40
	s_delay_alu instid0(SALU_CYCLE_1)
	s_addk_co_i32 s40, 0x7fff
.LBB562_49:                             ;   in Loop: Header=BB562_4 Depth=1
	s_and_not1_b32 vcc_lo, exec_lo, s41
	s_cbranch_vccnz .LBB562_51
; %bb.50:                               ;   in Loop: Header=BB562_4 Depth=1
	s_and_b32 s40, s31, 0xffff
	s_or_b32 s41, s31, 0x10000
	s_cmp_eq_u32 s40, 0
	s_cselect_b32 s40, s31, s41
.LBB562_51:                             ;   in Loop: Header=BB562_4 Depth=1
	s_delay_alu instid0(SALU_CYCLE_1) | instskip(NEXT) | instid1(SALU_CYCLE_1)
	s_and_b32 s31, s40, 0xffff0000
	v_add_f32_e32 v10, s31, v10
	s_delay_alu instid0(VALU_DEP_1) | instskip(NEXT) | instid1(VALU_DEP_1)
	v_and_b32_e32 v11, 0x7f800000, v10
	v_cmp_ne_u32_e32 vcc_lo, 0x7f800000, v11
                                        ; implicit-def: $vgpr11
	s_wait_xcnt 0x0
	s_and_saveexec_b32 s31, vcc_lo
	s_delay_alu instid0(SALU_CYCLE_1)
	s_xor_b32 s31, exec_lo, s31
; %bb.52:                               ;   in Loop: Header=BB562_4 Depth=1
	v_bfe_u32 v11, v10, 16, 1
	s_delay_alu instid0(VALU_DEP_1)
	v_add3_u32 v11, v10, v11, 0x7fff
                                        ; implicit-def: $vgpr10
; %bb.53:                               ;   in Loop: Header=BB562_4 Depth=1
	s_and_not1_saveexec_b32 s31, s31
; %bb.54:                               ;   in Loop: Header=BB562_4 Depth=1
	v_and_b32_e32 v11, 0xffff, v10
	v_or_b32_e32 v15, 0x10000, v10
	s_delay_alu instid0(VALU_DEP_2) | instskip(NEXT) | instid1(VALU_DEP_2)
	v_cmp_eq_u32_e32 vcc_lo, 0, v11
	v_cndmask_b32_e32 v11, v15, v10, vcc_lo
; %bb.55:                               ;   in Loop: Header=BB562_4 Depth=1
	s_or_b32 exec_lo, exec_lo, s31
.LBB562_56:                             ;   in Loop: Header=BB562_4 Depth=1
	s_delay_alu instid0(VALU_DEP_1)
	v_lshrrev_b32_e32 v10, 16, v11
	s_or_b32 s39, s39, exec_lo
.LBB562_57:                             ;   in Loop: Header=BB562_4 Depth=1
	s_or_b32 exec_lo, exec_lo, s30
	s_and_saveexec_b32 s30, s39
	s_cbranch_execz .LBB562_2
.LBB562_58:                             ;   in Loop: Header=BB562_4 Depth=1
	s_add_nc_u64 s[6:7], s[6:7], s[28:29]
	global_store_b16 v3, v10, s[6:7]
	s_branch .LBB562_2
.LBB562_59:
	s_endpgm
	.section	.rodata,"a",@progbits
	.p2align	6, 0x0
	.amdhsa_kernel _ZL32rocblas_gemvt_warp_reduce_kernelILb0ELi256Ei16rocblas_bfloat16PKfS0_EviiT3_lPKT2_lT1_lS6_lS7_lS3_lPT4_lS7_li
		.amdhsa_group_segment_fixed_size 128
		.amdhsa_private_segment_fixed_size 0
		.amdhsa_kernarg_size 140
		.amdhsa_user_sgpr_count 2
		.amdhsa_user_sgpr_dispatch_ptr 0
		.amdhsa_user_sgpr_queue_ptr 0
		.amdhsa_user_sgpr_kernarg_segment_ptr 1
		.amdhsa_user_sgpr_dispatch_id 0
		.amdhsa_user_sgpr_kernarg_preload_length 0
		.amdhsa_user_sgpr_kernarg_preload_offset 0
		.amdhsa_user_sgpr_private_segment_size 0
		.amdhsa_wavefront_size32 1
		.amdhsa_uses_dynamic_stack 0
		.amdhsa_enable_private_segment 0
		.amdhsa_system_sgpr_workgroup_id_x 1
		.amdhsa_system_sgpr_workgroup_id_y 0
		.amdhsa_system_sgpr_workgroup_id_z 1
		.amdhsa_system_sgpr_workgroup_info 0
		.amdhsa_system_vgpr_workitem_id 0
		.amdhsa_next_free_vgpr 22
		.amdhsa_next_free_sgpr 44
		.amdhsa_named_barrier_count 0
		.amdhsa_reserve_vcc 1
		.amdhsa_float_round_mode_32 0
		.amdhsa_float_round_mode_16_64 0
		.amdhsa_float_denorm_mode_32 3
		.amdhsa_float_denorm_mode_16_64 3
		.amdhsa_fp16_overflow 0
		.amdhsa_memory_ordered 1
		.amdhsa_forward_progress 1
		.amdhsa_inst_pref_size 17
		.amdhsa_round_robin_scheduling 0
		.amdhsa_exception_fp_ieee_invalid_op 0
		.amdhsa_exception_fp_denorm_src 0
		.amdhsa_exception_fp_ieee_div_zero 0
		.amdhsa_exception_fp_ieee_overflow 0
		.amdhsa_exception_fp_ieee_underflow 0
		.amdhsa_exception_fp_ieee_inexact 0
		.amdhsa_exception_int_div_zero 0
	.end_amdhsa_kernel
	.section	.text._ZL32rocblas_gemvt_warp_reduce_kernelILb0ELi256Ei16rocblas_bfloat16PKfS0_EviiT3_lPKT2_lT1_lS6_lS7_lS3_lPT4_lS7_li,"axG",@progbits,_ZL32rocblas_gemvt_warp_reduce_kernelILb0ELi256Ei16rocblas_bfloat16PKfS0_EviiT3_lPKT2_lT1_lS6_lS7_lS3_lPT4_lS7_li,comdat
.Lfunc_end562:
	.size	_ZL32rocblas_gemvt_warp_reduce_kernelILb0ELi256Ei16rocblas_bfloat16PKfS0_EviiT3_lPKT2_lT1_lS6_lS7_lS3_lPT4_lS7_li, .Lfunc_end562-_ZL32rocblas_gemvt_warp_reduce_kernelILb0ELi256Ei16rocblas_bfloat16PKfS0_EviiT3_lPKT2_lT1_lS6_lS7_lS3_lPT4_lS7_li
                                        ; -- End function
	.set _ZL32rocblas_gemvt_warp_reduce_kernelILb0ELi256Ei16rocblas_bfloat16PKfS0_EviiT3_lPKT2_lT1_lS6_lS7_lS3_lPT4_lS7_li.num_vgpr, 22
	.set _ZL32rocblas_gemvt_warp_reduce_kernelILb0ELi256Ei16rocblas_bfloat16PKfS0_EviiT3_lPKT2_lT1_lS6_lS7_lS3_lPT4_lS7_li.num_agpr, 0
	.set _ZL32rocblas_gemvt_warp_reduce_kernelILb0ELi256Ei16rocblas_bfloat16PKfS0_EviiT3_lPKT2_lT1_lS6_lS7_lS3_lPT4_lS7_li.numbered_sgpr, 44
	.set _ZL32rocblas_gemvt_warp_reduce_kernelILb0ELi256Ei16rocblas_bfloat16PKfS0_EviiT3_lPKT2_lT1_lS6_lS7_lS3_lPT4_lS7_li.num_named_barrier, 0
	.set _ZL32rocblas_gemvt_warp_reduce_kernelILb0ELi256Ei16rocblas_bfloat16PKfS0_EviiT3_lPKT2_lT1_lS6_lS7_lS3_lPT4_lS7_li.private_seg_size, 0
	.set _ZL32rocblas_gemvt_warp_reduce_kernelILb0ELi256Ei16rocblas_bfloat16PKfS0_EviiT3_lPKT2_lT1_lS6_lS7_lS3_lPT4_lS7_li.uses_vcc, 1
	.set _ZL32rocblas_gemvt_warp_reduce_kernelILb0ELi256Ei16rocblas_bfloat16PKfS0_EviiT3_lPKT2_lT1_lS6_lS7_lS3_lPT4_lS7_li.uses_flat_scratch, 0
	.set _ZL32rocblas_gemvt_warp_reduce_kernelILb0ELi256Ei16rocblas_bfloat16PKfS0_EviiT3_lPKT2_lT1_lS6_lS7_lS3_lPT4_lS7_li.has_dyn_sized_stack, 0
	.set _ZL32rocblas_gemvt_warp_reduce_kernelILb0ELi256Ei16rocblas_bfloat16PKfS0_EviiT3_lPKT2_lT1_lS6_lS7_lS3_lPT4_lS7_li.has_recursion, 0
	.set _ZL32rocblas_gemvt_warp_reduce_kernelILb0ELi256Ei16rocblas_bfloat16PKfS0_EviiT3_lPKT2_lT1_lS6_lS7_lS3_lPT4_lS7_li.has_indirect_call, 0
	.section	.AMDGPU.csdata,"",@progbits
; Kernel info:
; codeLenInByte = 2072
; TotalNumSgprs: 46
; NumVgprs: 22
; ScratchSize: 0
; MemoryBound: 0
; FloatMode: 240
; IeeeMode: 1
; LDSByteSize: 128 bytes/workgroup (compile time only)
; SGPRBlocks: 0
; VGPRBlocks: 1
; NumSGPRsForWavesPerEU: 46
; NumVGPRsForWavesPerEU: 22
; NamedBarCnt: 0
; Occupancy: 16
; WaveLimiterHint : 0
; COMPUTE_PGM_RSRC2:SCRATCH_EN: 0
; COMPUTE_PGM_RSRC2:USER_SGPR: 2
; COMPUTE_PGM_RSRC2:TRAP_HANDLER: 0
; COMPUTE_PGM_RSRC2:TGID_X_EN: 1
; COMPUTE_PGM_RSRC2:TGID_Y_EN: 0
; COMPUTE_PGM_RSRC2:TGID_Z_EN: 1
; COMPUTE_PGM_RSRC2:TIDIG_COMP_CNT: 0
	.section	.text._ZL32rocblas_gemvt_warp_reduce_kernelILb0ELi256El16rocblas_bfloat16PKfS0_EviiT3_lPKT2_lT1_lS6_lS7_lS3_lPT4_lS7_li,"axG",@progbits,_ZL32rocblas_gemvt_warp_reduce_kernelILb0ELi256El16rocblas_bfloat16PKfS0_EviiT3_lPKT2_lT1_lS6_lS7_lS3_lPT4_lS7_li,comdat
	.globl	_ZL32rocblas_gemvt_warp_reduce_kernelILb0ELi256El16rocblas_bfloat16PKfS0_EviiT3_lPKT2_lT1_lS6_lS7_lS3_lPT4_lS7_li ; -- Begin function _ZL32rocblas_gemvt_warp_reduce_kernelILb0ELi256El16rocblas_bfloat16PKfS0_EviiT3_lPKT2_lT1_lS6_lS7_lS3_lPT4_lS7_li
	.p2align	8
	.type	_ZL32rocblas_gemvt_warp_reduce_kernelILb0ELi256El16rocblas_bfloat16PKfS0_EviiT3_lPKT2_lT1_lS6_lS7_lS3_lPT4_lS7_li,@function
_ZL32rocblas_gemvt_warp_reduce_kernelILb0ELi256El16rocblas_bfloat16PKfS0_EviiT3_lPKT2_lT1_lS6_lS7_lS3_lPT4_lS7_li: ; @_ZL32rocblas_gemvt_warp_reduce_kernelILb0ELi256El16rocblas_bfloat16PKfS0_EviiT3_lPKT2_lT1_lS6_lS7_lS3_lPT4_lS7_li
; %bb.0:
	s_load_b32 s30, s[0:1], 0x88
	s_bfe_u32 s2, ttmp6, 0x40014
	s_lshr_b32 s3, ttmp7, 16
	s_add_co_i32 s2, s2, 1
	s_bfe_u32 s5, ttmp6, 0x40008
	s_mul_i32 s4, s3, s2
	s_getreg_b32 s2, hwreg(HW_REG_IB_STS2, 6, 4)
	s_add_co_i32 s5, s5, s4
	s_cmp_eq_u32 s2, 0
	s_mov_b32 s25, 0
	s_cselect_b32 s24, s3, s5
	s_wait_kmcnt 0x0
	s_cmp_ge_u32 s24, s30
	s_cbranch_scc1 .LBB563_59
; %bb.1:
	s_clause 0x2
	s_load_b512 s[8:23], s[0:1], 0x8
	s_load_b512 s[36:51], s[0:1], 0x48
	s_load_b32 s26, s[0:1], 0x0
	s_wait_xcnt 0x0
	s_bfe_u32 s0, ttmp6, 0x4000c
	s_and_b32 s1, ttmp6, 15
	s_add_co_i32 s0, s0, 1
	v_mbcnt_lo_u32_b32 v17, -1, 0
	s_mul_i32 s0, ttmp9, s0
	s_delay_alu instid0(SALU_CYCLE_1)
	s_add_co_i32 s3, s1, s0
	s_wait_kmcnt 0x0
	s_lshl_b64 s[0:1], s[22:23], 1
	s_lshl_b64 s[4:5], s[46:47], 1
	;; [unrolled: 1-line block ×3, first 2 shown]
	s_cmp_eq_u32 s2, 0
	v_cmp_gt_i32_e32 vcc_lo, s26, v0
	s_cselect_b32 s2, ttmp9, s3
	s_ashr_i32 s3, s26, 31
	s_add_nc_u64 s[22:23], s[12:13], s[6:7]
	s_lshr_b32 s3, s3, 24
	s_add_nc_u64 s[20:21], s[20:21], s[0:1]
	s_add_co_i32 s3, s26, s3
	v_cmp_eq_u32_e64 s0, 0, v0
	s_and_b32 s14, s3, 0xffffff00
	s_delay_alu instid0(SALU_CYCLE_1) | instskip(SKIP_3) | instid1(VALU_DEP_3)
	v_dual_mov_b32 v3, 0 :: v_dual_bitop2_b32 v8, s14, v0 bitop3:0x54
	v_cndmask_b32_e32 v2, 0, v0, vcc_lo
	s_ashr_i32 s3, s2, 31
	v_cmp_gt_i32_e64 s1, s14, v0
	v_dual_mov_b32 v1, v3 :: v_dual_ashrrev_i32 v9, 31, v8
	s_delay_alu instid0(VALU_DEP_3) | instskip(SKIP_2) | instid1(VALU_DEP_2)
	v_lshlrev_b32_e32 v2, 1, v2
	s_mul_u64 s[28:29], s[48:49], s[2:3]
	s_ashr_i32 s15, s14, 31
	v_mul_u64_e32 v[10:11], s[36:37], v[0:1]
	v_mul_u64_e32 v[4:5], s[36:37], v[8:9]
	v_add_nc_u64_e32 v[6:7], s[22:23], v[2:3]
	s_add_nc_u64 s[22:23], s[44:45], s[4:5]
	s_mul_u64 s[4:5], s[16:17], s[2:3]
	v_and_b32_e32 v9, 31, v0
	s_lshl_b64 s[16:17], s[4:5], 1
	v_cmp_gt_i32_e64 s2, s26, v8
	v_lshrrev_b32_e32 v8, 3, v0
	s_add_nc_u64 s[6:7], s[16:17], s[6:7]
	v_add_nc_u64_e32 v[6:7], s[16:17], v[6:7]
	s_add_nc_u64 s[6:7], s[12:13], s[6:7]
	s_delay_alu instid0(VALU_DEP_2)
	v_dual_lshlrev_b32 v1, 2, v9 :: v_dual_bitop2_b32 v16, 28, v8 bitop3:0x40
	v_cmp_eq_u32_e64 s4, 0, v9
	v_add_nc_u64_e32 v[8:9], s[6:7], v[2:3]
	v_cmp_gt_u32_e64 s3, 32, v0
	v_cmp_gt_u32_e64 s5, 8, v0
	v_lshl_or_b32 v2, v17, 2, 64
	s_lshl_b64 s[12:13], s[18:19], 1
	s_lshl_b64 s[16:17], s[38:39], 1
	;; [unrolled: 1-line block ×4, first 2 shown]
	v_lshl_add_u64 v[10:11], v[10:11], 1, s[20:21]
	s_branch .LBB563_4
.LBB563_2:                              ;   in Loop: Header=BB563_4 Depth=1
	s_wait_xcnt 0x0
	s_or_b32 exec_lo, exec_lo, s33
.LBB563_3:                              ;   in Loop: Header=BB563_4 Depth=1
	s_add_co_i32 s24, s24, 0x10000
	s_delay_alu instid0(SALU_CYCLE_1)
	s_cmp_lt_u32 s24, s30
	s_cbranch_scc0 .LBB563_59
.LBB563_4:                              ; =>This Loop Header: Depth=1
                                        ;     Child Loop BB563_26 Depth 2
	s_mul_u64 s[6:7], s[10:11], s[24:25]
	s_wait_xcnt 0x0
	s_mul_u64 s[34:35], s[42:43], s[24:25]
	s_lshl_b64 s[6:7], s[6:7], 2
	s_lshl_b64 s[34:35], s[34:35], 2
	s_add_nc_u64 s[6:7], s[8:9], s[6:7]
	s_add_nc_u64 s[34:35], s[40:41], s[34:35]
	s_clause 0x1
	global_load_b32 v18, v3, s[6:7]
	global_load_b32 v12, v3, s[34:35]
	s_wait_loadcnt 0x1
	v_cmp_eq_f32_e32 vcc_lo, 0, v18
	s_wait_loadcnt 0x0
	s_wait_xcnt 0x1
	v_cmp_eq_f32_e64 s6, 1.0, v12
	v_readfirstlane_b32 s33, v12
	s_and_b32 s6, vcc_lo, s6
	s_delay_alu instid0(SALU_CYCLE_1)
	s_and_b32 vcc_lo, exec_lo, s6
	s_cbranch_vccnz .LBB563_3
; %bb.5:                                ;   in Loop: Header=BB563_4 Depth=1
	v_cmp_neq_f32_e32 vcc_lo, 0, v18
	s_mul_u64 s[6:7], s[50:51], s[24:25]
	s_delay_alu instid0(SALU_CYCLE_1) | instskip(NEXT) | instid1(SALU_CYCLE_1)
	s_lshl_b64 s[6:7], s[6:7], 1
	s_add_nc_u64 s[6:7], s[22:23], s[6:7]
	s_cbranch_vccnz .LBB563_13
; %bb.6:                                ;   in Loop: Header=BB563_4 Depth=1
	s_wait_xcnt 0x0
	s_mov_b32 s34, 0
	s_mov_b32 s31, 0
                                        ; implicit-def: $sgpr36
	s_and_saveexec_b32 s35, s0
	s_cbranch_execz .LBB563_14
; %bb.7:                                ;   in Loop: Header=BB563_4 Depth=1
	s_cmp_eq_f32 s33, 0
	s_cbranch_scc1 .LBB563_44
; %bb.8:                                ;   in Loop: Header=BB563_4 Depth=1
	s_add_nc_u64 s[36:37], s[6:7], s[28:29]
	global_load_u16 v12, v3, s[36:37]
	s_wait_xcnt 0x0
	s_mov_b32 s37, -1
	s_wait_loadcnt 0x0
	v_readfirstlane_b32 s31, v12
	s_lshl_b32 s31, s31, 16
	s_delay_alu instid0(SALU_CYCLE_1) | instskip(NEXT) | instid1(SALU_CYCLE_3)
	s_mul_f32 s31, s33, s31
	s_and_b32 s36, s31, 0x7f800000
	s_delay_alu instid0(SALU_CYCLE_1)
	s_cmp_eq_u32 s36, 0x7f800000
                                        ; implicit-def: $sgpr36
	s_cbranch_scc1 .LBB563_10
; %bb.9:                                ;   in Loop: Header=BB563_4 Depth=1
	s_bfe_u32 s36, s31, 0x10010
	s_mov_b32 s37, 0
	s_add_co_i32 s36, s31, s36
	s_delay_alu instid0(SALU_CYCLE_1)
	s_addk_co_i32 s36, 0x7fff
.LBB563_10:                             ;   in Loop: Header=BB563_4 Depth=1
	s_and_not1_b32 vcc_lo, exec_lo, s37
	s_cbranch_vccnz .LBB563_12
; %bb.11:                               ;   in Loop: Header=BB563_4 Depth=1
	s_and_b32 s36, s31, 0xffff
	s_or_b32 s37, s31, 0x10000
	s_cmp_eq_u32 s36, 0
	s_cselect_b32 s36, s31, s37
.LBB563_12:                             ;   in Loop: Header=BB563_4 Depth=1
	s_delay_alu instid0(SALU_CYCLE_1) | instskip(SKIP_2) | instid1(SALU_CYCLE_1)
	s_lshr_b32 s36, s36, 16
	s_mov_b32 s31, exec_lo
	s_or_b32 exec_lo, exec_lo, s35
	s_and_b32 vcc_lo, exec_lo, s34
	s_cbranch_vccnz .LBB563_15
	s_branch .LBB563_45
.LBB563_13:                             ;   in Loop: Header=BB563_4 Depth=1
	s_wait_xcnt 0x0
	s_mov_b32 s31, 0
                                        ; implicit-def: $sgpr36
	s_cbranch_execnz .LBB563_15
	s_branch .LBB563_45
.LBB563_14:                             ;   in Loop: Header=BB563_4 Depth=1
	s_or_b32 exec_lo, exec_lo, s35
	s_delay_alu instid0(SALU_CYCLE_1)
	s_and_b32 vcc_lo, exec_lo, s34
	s_cbranch_vccz .LBB563_45
.LBB563_15:                             ;   in Loop: Header=BB563_4 Depth=1
	v_mov_b32_e32 v19, 0
	s_and_saveexec_b32 s34, s1
	s_cbranch_execnz .LBB563_24
; %bb.16:                               ;   in Loop: Header=BB563_4 Depth=1
	s_or_b32 exec_lo, exec_lo, s34
	s_and_saveexec_b32 s34, s2
	s_cbranch_execnz .LBB563_39
.LBB563_17:                             ;   in Loop: Header=BB563_4 Depth=1
	s_or_b32 exec_lo, exec_lo, s34
	s_and_saveexec_b32 s34, s3
.LBB563_18:                             ;   in Loop: Header=BB563_4 Depth=1
	ds_store_b32 v1, v3
.LBB563_19:                             ;   in Loop: Header=BB563_4 Depth=1
	s_or_b32 exec_lo, exec_lo, s34
	ds_bpermute_b32 v12, v2, v19
	v_cmp_gt_u32_e32 vcc_lo, 24, v17
	s_wait_dscnt 0x0
	s_barrier_signal -1
	s_barrier_wait -1
	v_cndmask_b32_e64 v13, 0, 8, vcc_lo
	v_cmp_gt_u32_e32 vcc_lo, 28, v17
	s_delay_alu instid0(VALU_DEP_2)
	v_add_lshl_u32 v13, v13, v17, 2
	v_add_f32_e32 v14, v19, v12
	v_cndmask_b32_e64 v12, 0, 4, vcc_lo
	v_cmp_gt_u32_e32 vcc_lo, 30, v17
	ds_bpermute_b32 v13, v13, v14
	v_add_lshl_u32 v12, v12, v17, 2
	s_wait_dscnt 0x0
	v_add_f32_e32 v14, v14, v13
	v_cndmask_b32_e64 v13, 0, 2, vcc_lo
	v_cmp_ne_u32_e32 vcc_lo, 31, v17
	ds_bpermute_b32 v15, v12, v14
	v_add_lshl_u32 v13, v13, v17, 2
	v_add_co_ci_u32_e64 v19, null, 0, v17, vcc_lo
	s_wait_dscnt 0x0
	v_add_f32_e32 v14, v14, v15
	ds_bpermute_b32 v15, v13, v14
	s_wait_dscnt 0x0
	v_add_f32_e32 v15, v14, v15
	v_lshlrev_b32_e32 v14, 2, v19
	ds_bpermute_b32 v19, v14, v15
	s_and_saveexec_b32 s34, s4
	s_cbranch_execz .LBB563_21
; %bb.20:                               ;   in Loop: Header=BB563_4 Depth=1
	s_wait_dscnt 0x0
	v_add_f32_e32 v15, v15, v19
	ds_store_b32 v16, v15
.LBB563_21:                             ;   in Loop: Header=BB563_4 Depth=1
	s_or_b32 exec_lo, exec_lo, s34
	v_mov_b32_e32 v15, 0
	s_wait_dscnt 0x0
	s_barrier_signal -1
	s_barrier_wait -1
	s_and_saveexec_b32 s34, s5
	s_cbranch_execnz .LBB563_30
; %bb.22:                               ;   in Loop: Header=BB563_4 Depth=1
	s_or_b32 exec_lo, exec_lo, s34
	s_and_saveexec_b32 s34, s3
	s_cbranch_execnz .LBB563_31
.LBB563_23:                             ;   in Loop: Header=BB563_4 Depth=1
	s_or_b32 exec_lo, exec_lo, s34
                                        ; implicit-def: $vgpr12
	s_and_saveexec_b32 s34, s0
	s_cbranch_execnz .LBB563_32
	s_branch .LBB563_57
.LBB563_24:                             ;   in Loop: Header=BB563_4 Depth=1
	v_mad_nc_u64_u32 v[12:13], s12, s24, v[8:9]
	s_wait_dscnt 0x0
	v_mad_nc_u64_u32 v[14:15], s16, s24, v[10:11]
	v_dual_mov_b32 v19, 0 :: v_dual_mov_b32 v20, v0
	s_mov_b32 s35, 0
	s_delay_alu instid0(VALU_DEP_3) | instskip(NEXT) | instid1(VALU_DEP_3)
	v_mad_u32 v13, s13, s24, v13
	v_mad_u32 v15, s17, s24, v15
	s_branch .LBB563_26
.LBB563_25:                             ;   in Loop: Header=BB563_26 Depth=2
	s_or_b32 exec_lo, exec_lo, s36
	s_delay_alu instid0(VALU_DEP_1) | instskip(SKIP_3) | instid1(VALU_DEP_4)
	v_and_b32_e32 v21, 0xffff0000, v22
	v_add_nc_u32_e32 v20, 0x100, v20
	v_add_nc_u64_e32 v[12:13], 0x200, v[12:13]
	v_add_nc_u64_e32 v[14:15], s[26:27], v[14:15]
	v_add_f32_e32 v19, v19, v21
	s_delay_alu instid0(VALU_DEP_4) | instskip(SKIP_1) | instid1(SALU_CYCLE_1)
	v_cmp_le_i32_e32 vcc_lo, s14, v20
	s_or_b32 s35, vcc_lo, s35
	s_and_not1_b32 exec_lo, exec_lo, s35
	s_cbranch_execz .LBB563_38
.LBB563_26:                             ;   Parent Loop BB563_4 Depth=1
                                        ; =>  This Inner Loop Header: Depth=2
	global_load_u16 v21, v[12:13], off
	global_load_u16 v22, v[14:15], off
	s_wait_loadcnt 0x0
	v_dual_lshlrev_b32 v21, 16, v21 :: v_dual_lshlrev_b32 v22, 16, v22
	s_delay_alu instid0(VALU_DEP_1) | instskip(NEXT) | instid1(VALU_DEP_1)
	v_mul_f32_e32 v21, v22, v21
	v_and_b32_e32 v22, 0x7f800000, v21
	s_delay_alu instid0(VALU_DEP_1) | instskip(SKIP_2) | instid1(SALU_CYCLE_1)
	v_cmp_ne_u32_e32 vcc_lo, 0x7f800000, v22
                                        ; implicit-def: $vgpr22
	s_wait_xcnt 0x0
	s_and_saveexec_b32 s36, vcc_lo
	s_xor_b32 s36, exec_lo, s36
; %bb.27:                               ;   in Loop: Header=BB563_26 Depth=2
	v_bfe_u32 v22, v21, 16, 1
	s_delay_alu instid0(VALU_DEP_1)
	v_add3_u32 v22, v21, v22, 0x7fff
                                        ; implicit-def: $vgpr21
; %bb.28:                               ;   in Loop: Header=BB563_26 Depth=2
	s_and_not1_saveexec_b32 s36, s36
	s_cbranch_execz .LBB563_25
; %bb.29:                               ;   in Loop: Header=BB563_26 Depth=2
	v_and_b32_e32 v22, 0xffff, v21
	v_or_b32_e32 v23, 0x10000, v21
	s_delay_alu instid0(VALU_DEP_2) | instskip(NEXT) | instid1(VALU_DEP_2)
	v_cmp_eq_u32_e32 vcc_lo, 0, v22
	v_cndmask_b32_e32 v22, v23, v21, vcc_lo
	s_branch .LBB563_25
.LBB563_30:                             ;   in Loop: Header=BB563_4 Depth=1
	ds_load_b32 v15, v1
	s_or_b32 exec_lo, exec_lo, s34
	s_and_saveexec_b32 s34, s3
	s_cbranch_execz .LBB563_23
.LBB563_31:                             ;   in Loop: Header=BB563_4 Depth=1
	s_wait_dscnt 0x0
	ds_bpermute_b32 v12, v12, v15
	s_wait_dscnt 0x0
	v_add_f32_e32 v12, v15, v12
	ds_bpermute_b32 v13, v13, v12
	s_wait_dscnt 0x0
	v_add_f32_e32 v12, v12, v13
	;; [unrolled: 3-line block ×3, first 2 shown]
	s_or_b32 exec_lo, exec_lo, s34
                                        ; implicit-def: $vgpr12
	s_and_saveexec_b32 s34, s0
	s_cbranch_execz .LBB563_57
.LBB563_32:                             ;   in Loop: Header=BB563_4 Depth=1
	s_wait_dscnt 0x0
	v_mul_f32_e32 v12, v18, v15
	s_cmp_eq_f32 s33, 0
	s_cbranch_scc0 .LBB563_46
; %bb.33:                               ;   in Loop: Header=BB563_4 Depth=1
	s_delay_alu instid0(VALU_DEP_1) | instskip(NEXT) | instid1(VALU_DEP_1)
	v_and_b32_e32 v13, 0x7f800000, v12
	v_cmp_ne_u32_e32 vcc_lo, 0x7f800000, v13
                                        ; implicit-def: $vgpr13
	s_and_saveexec_b32 s35, vcc_lo
	s_delay_alu instid0(SALU_CYCLE_1)
	s_xor_b32 s35, exec_lo, s35
; %bb.34:                               ;   in Loop: Header=BB563_4 Depth=1
	v_bfe_u32 v13, v12, 16, 1
	s_delay_alu instid0(VALU_DEP_1)
	v_add3_u32 v13, v12, v13, 0x7fff
; %bb.35:                               ;   in Loop: Header=BB563_4 Depth=1
	s_and_not1_saveexec_b32 s35, s35
; %bb.36:                               ;   in Loop: Header=BB563_4 Depth=1
	v_and_b32_e32 v13, 0xffff, v12
	v_or_b32_e32 v14, 0x10000, v12
	s_delay_alu instid0(VALU_DEP_2) | instskip(NEXT) | instid1(VALU_DEP_2)
	v_cmp_eq_u32_e32 vcc_lo, 0, v13
	v_cndmask_b32_e32 v13, v14, v12, vcc_lo
; %bb.37:                               ;   in Loop: Header=BB563_4 Depth=1
	s_or_b32 exec_lo, exec_lo, s35
	s_cbranch_execz .LBB563_47
	s_branch .LBB563_56
.LBB563_38:                             ;   in Loop: Header=BB563_4 Depth=1
	s_or_b32 exec_lo, exec_lo, s35
	s_delay_alu instid0(SALU_CYCLE_1)
	s_or_b32 exec_lo, exec_lo, s34
	s_and_saveexec_b32 s34, s2
	s_cbranch_execz .LBB563_17
.LBB563_39:                             ;   in Loop: Header=BB563_4 Depth=1
	s_mul_u64 s[36:37], s[18:19], s[24:25]
	s_mul_u64 s[44:45], s[38:39], s[24:25]
	v_lshl_add_u64 v[12:13], s[36:37], 1, v[6:7]
	s_lshl_b64 s[36:37], s[44:45], 1
	s_delay_alu instid0(SALU_CYCLE_1)
	s_add_nc_u64 s[36:37], s[20:21], s[36:37]
	s_wait_dscnt 0x0
	v_lshl_add_u64 v[14:15], v[4:5], 1, s[36:37]
	v_lshl_add_u64 v[12:13], s[14:15], 1, v[12:13]
	global_load_u16 v20, v[12:13], off
	global_load_u16 v21, v[14:15], off
	s_wait_loadcnt 0x0
	s_wait_xcnt 0x1
	v_dual_lshlrev_b32 v12, 16, v20 :: v_dual_lshlrev_b32 v13, 16, v21
	s_delay_alu instid0(VALU_DEP_1) | instskip(NEXT) | instid1(VALU_DEP_1)
	v_mul_f32_e32 v12, v13, v12
	v_and_b32_e32 v13, 0x7f800000, v12
	s_delay_alu instid0(VALU_DEP_1) | instskip(SKIP_2) | instid1(SALU_CYCLE_1)
	v_cmp_ne_u32_e32 vcc_lo, 0x7f800000, v13
                                        ; implicit-def: $vgpr13
	s_wait_xcnt 0x0
	s_and_saveexec_b32 s35, vcc_lo
	s_xor_b32 s35, exec_lo, s35
; %bb.40:                               ;   in Loop: Header=BB563_4 Depth=1
	v_bfe_u32 v13, v12, 16, 1
	s_delay_alu instid0(VALU_DEP_1)
	v_add3_u32 v13, v12, v13, 0x7fff
                                        ; implicit-def: $vgpr12
; %bb.41:                               ;   in Loop: Header=BB563_4 Depth=1
	s_and_not1_saveexec_b32 s35, s35
; %bb.42:                               ;   in Loop: Header=BB563_4 Depth=1
	v_and_b32_e32 v13, 0xffff, v12
	v_or_b32_e32 v14, 0x10000, v12
	s_delay_alu instid0(VALU_DEP_2) | instskip(NEXT) | instid1(VALU_DEP_2)
	v_cmp_eq_u32_e32 vcc_lo, 0, v13
	v_cndmask_b32_e32 v13, v14, v12, vcc_lo
; %bb.43:                               ;   in Loop: Header=BB563_4 Depth=1
	s_or_b32 exec_lo, exec_lo, s35
	s_delay_alu instid0(VALU_DEP_1) | instskip(NEXT) | instid1(VALU_DEP_1)
	v_and_b32_e32 v12, 0xffff0000, v13
	v_add_f32_e32 v19, v19, v12
	s_or_b32 exec_lo, exec_lo, s34
	s_and_saveexec_b32 s34, s3
	s_cbranch_execnz .LBB563_18
	s_branch .LBB563_19
.LBB563_44:                             ;   in Loop: Header=BB563_4 Depth=1
	s_mov_b32 s36, 0
	s_mov_b32 s31, exec_lo
	s_or_b32 exec_lo, exec_lo, s35
	s_delay_alu instid0(SALU_CYCLE_1)
	s_and_b32 vcc_lo, exec_lo, s34
	s_cbranch_vccnz .LBB563_15
.LBB563_45:                             ;   in Loop: Header=BB563_4 Depth=1
	v_mov_b32_e32 v12, s36
	s_and_saveexec_b32 s33, s31
	s_cbranch_execz .LBB563_2
	s_branch .LBB563_58
.LBB563_46:                             ;   in Loop: Header=BB563_4 Depth=1
                                        ; implicit-def: $vgpr13
.LBB563_47:                             ;   in Loop: Header=BB563_4 Depth=1
	s_add_nc_u64 s[36:37], s[6:7], s[28:29]
	global_load_u16 v13, v3, s[36:37]
	s_wait_xcnt 0x0
	s_mov_b32 s36, -1
	s_wait_loadcnt 0x0
	v_readfirstlane_b32 s35, v13
	s_lshl_b32 s35, s35, 16
	s_delay_alu instid0(SALU_CYCLE_1) | instskip(NEXT) | instid1(SALU_CYCLE_3)
	s_mul_f32 s33, s33, s35
	s_and_b32 s35, s33, 0x7f800000
	s_delay_alu instid0(SALU_CYCLE_1)
	s_cmp_eq_u32 s35, 0x7f800000
                                        ; implicit-def: $sgpr35
	s_cbranch_scc1 .LBB563_49
; %bb.48:                               ;   in Loop: Header=BB563_4 Depth=1
	s_bfe_u32 s35, s33, 0x10010
	s_mov_b32 s36, 0
	s_add_co_i32 s35, s33, s35
	s_delay_alu instid0(SALU_CYCLE_1)
	s_addk_co_i32 s35, 0x7fff
.LBB563_49:                             ;   in Loop: Header=BB563_4 Depth=1
	s_and_not1_b32 vcc_lo, exec_lo, s36
	s_cbranch_vccnz .LBB563_51
; %bb.50:                               ;   in Loop: Header=BB563_4 Depth=1
	s_and_b32 s35, s33, 0xffff
	s_or_b32 s36, s33, 0x10000
	s_cmp_eq_u32 s35, 0
	s_cselect_b32 s35, s33, s36
.LBB563_51:                             ;   in Loop: Header=BB563_4 Depth=1
	s_delay_alu instid0(SALU_CYCLE_1) | instskip(NEXT) | instid1(SALU_CYCLE_1)
	s_and_b32 s33, s35, 0xffff0000
	v_add_f32_e32 v12, s33, v12
	s_delay_alu instid0(VALU_DEP_1) | instskip(NEXT) | instid1(VALU_DEP_1)
	v_and_b32_e32 v13, 0x7f800000, v12
	v_cmp_ne_u32_e32 vcc_lo, 0x7f800000, v13
                                        ; implicit-def: $vgpr13
	s_and_saveexec_b32 s33, vcc_lo
	s_delay_alu instid0(SALU_CYCLE_1)
	s_xor_b32 s33, exec_lo, s33
; %bb.52:                               ;   in Loop: Header=BB563_4 Depth=1
	v_bfe_u32 v13, v12, 16, 1
	s_delay_alu instid0(VALU_DEP_1)
	v_add3_u32 v13, v12, v13, 0x7fff
                                        ; implicit-def: $vgpr12
; %bb.53:                               ;   in Loop: Header=BB563_4 Depth=1
	s_and_not1_saveexec_b32 s33, s33
; %bb.54:                               ;   in Loop: Header=BB563_4 Depth=1
	v_and_b32_e32 v13, 0xffff, v12
	v_or_b32_e32 v14, 0x10000, v12
	s_delay_alu instid0(VALU_DEP_2) | instskip(NEXT) | instid1(VALU_DEP_2)
	v_cmp_eq_u32_e32 vcc_lo, 0, v13
	v_cndmask_b32_e32 v13, v14, v12, vcc_lo
; %bb.55:                               ;   in Loop: Header=BB563_4 Depth=1
	s_or_b32 exec_lo, exec_lo, s33
.LBB563_56:                             ;   in Loop: Header=BB563_4 Depth=1
	s_delay_alu instid0(VALU_DEP_1)
	v_lshrrev_b32_e32 v12, 16, v13
	s_or_b32 s31, s31, exec_lo
.LBB563_57:                             ;   in Loop: Header=BB563_4 Depth=1
	s_or_b32 exec_lo, exec_lo, s34
	s_and_saveexec_b32 s33, s31
	s_cbranch_execz .LBB563_2
.LBB563_58:                             ;   in Loop: Header=BB563_4 Depth=1
	s_add_nc_u64 s[6:7], s[6:7], s[28:29]
	global_store_b16 v3, v12, s[6:7]
	s_branch .LBB563_2
.LBB563_59:
	s_endpgm
	.section	.rodata,"a",@progbits
	.p2align	6, 0x0
	.amdhsa_kernel _ZL32rocblas_gemvt_warp_reduce_kernelILb0ELi256El16rocblas_bfloat16PKfS0_EviiT3_lPKT2_lT1_lS6_lS7_lS3_lPT4_lS7_li
		.amdhsa_group_segment_fixed_size 128
		.amdhsa_private_segment_fixed_size 0
		.amdhsa_kernarg_size 140
		.amdhsa_user_sgpr_count 2
		.amdhsa_user_sgpr_dispatch_ptr 0
		.amdhsa_user_sgpr_queue_ptr 0
		.amdhsa_user_sgpr_kernarg_segment_ptr 1
		.amdhsa_user_sgpr_dispatch_id 0
		.amdhsa_user_sgpr_kernarg_preload_length 0
		.amdhsa_user_sgpr_kernarg_preload_offset 0
		.amdhsa_user_sgpr_private_segment_size 0
		.amdhsa_wavefront_size32 1
		.amdhsa_uses_dynamic_stack 0
		.amdhsa_enable_private_segment 0
		.amdhsa_system_sgpr_workgroup_id_x 1
		.amdhsa_system_sgpr_workgroup_id_y 0
		.amdhsa_system_sgpr_workgroup_id_z 1
		.amdhsa_system_sgpr_workgroup_info 0
		.amdhsa_system_vgpr_workitem_id 0
		.amdhsa_next_free_vgpr 24
		.amdhsa_next_free_sgpr 52
		.amdhsa_named_barrier_count 0
		.amdhsa_reserve_vcc 1
		.amdhsa_float_round_mode_32 0
		.amdhsa_float_round_mode_16_64 0
		.amdhsa_float_denorm_mode_32 3
		.amdhsa_float_denorm_mode_16_64 3
		.amdhsa_fp16_overflow 0
		.amdhsa_memory_ordered 1
		.amdhsa_forward_progress 1
		.amdhsa_inst_pref_size 17
		.amdhsa_round_robin_scheduling 0
		.amdhsa_exception_fp_ieee_invalid_op 0
		.amdhsa_exception_fp_denorm_src 0
		.amdhsa_exception_fp_ieee_div_zero 0
		.amdhsa_exception_fp_ieee_overflow 0
		.amdhsa_exception_fp_ieee_underflow 0
		.amdhsa_exception_fp_ieee_inexact 0
		.amdhsa_exception_int_div_zero 0
	.end_amdhsa_kernel
	.section	.text._ZL32rocblas_gemvt_warp_reduce_kernelILb0ELi256El16rocblas_bfloat16PKfS0_EviiT3_lPKT2_lT1_lS6_lS7_lS3_lPT4_lS7_li,"axG",@progbits,_ZL32rocblas_gemvt_warp_reduce_kernelILb0ELi256El16rocblas_bfloat16PKfS0_EviiT3_lPKT2_lT1_lS6_lS7_lS3_lPT4_lS7_li,comdat
.Lfunc_end563:
	.size	_ZL32rocblas_gemvt_warp_reduce_kernelILb0ELi256El16rocblas_bfloat16PKfS0_EviiT3_lPKT2_lT1_lS6_lS7_lS3_lPT4_lS7_li, .Lfunc_end563-_ZL32rocblas_gemvt_warp_reduce_kernelILb0ELi256El16rocblas_bfloat16PKfS0_EviiT3_lPKT2_lT1_lS6_lS7_lS3_lPT4_lS7_li
                                        ; -- End function
	.set _ZL32rocblas_gemvt_warp_reduce_kernelILb0ELi256El16rocblas_bfloat16PKfS0_EviiT3_lPKT2_lT1_lS6_lS7_lS3_lPT4_lS7_li.num_vgpr, 24
	.set _ZL32rocblas_gemvt_warp_reduce_kernelILb0ELi256El16rocblas_bfloat16PKfS0_EviiT3_lPKT2_lT1_lS6_lS7_lS3_lPT4_lS7_li.num_agpr, 0
	.set _ZL32rocblas_gemvt_warp_reduce_kernelILb0ELi256El16rocblas_bfloat16PKfS0_EviiT3_lPKT2_lT1_lS6_lS7_lS3_lPT4_lS7_li.numbered_sgpr, 52
	.set _ZL32rocblas_gemvt_warp_reduce_kernelILb0ELi256El16rocblas_bfloat16PKfS0_EviiT3_lPKT2_lT1_lS6_lS7_lS3_lPT4_lS7_li.num_named_barrier, 0
	.set _ZL32rocblas_gemvt_warp_reduce_kernelILb0ELi256El16rocblas_bfloat16PKfS0_EviiT3_lPKT2_lT1_lS6_lS7_lS3_lPT4_lS7_li.private_seg_size, 0
	.set _ZL32rocblas_gemvt_warp_reduce_kernelILb0ELi256El16rocblas_bfloat16PKfS0_EviiT3_lPKT2_lT1_lS6_lS7_lS3_lPT4_lS7_li.uses_vcc, 1
	.set _ZL32rocblas_gemvt_warp_reduce_kernelILb0ELi256El16rocblas_bfloat16PKfS0_EviiT3_lPKT2_lT1_lS6_lS7_lS3_lPT4_lS7_li.uses_flat_scratch, 0
	.set _ZL32rocblas_gemvt_warp_reduce_kernelILb0ELi256El16rocblas_bfloat16PKfS0_EviiT3_lPKT2_lT1_lS6_lS7_lS3_lPT4_lS7_li.has_dyn_sized_stack, 0
	.set _ZL32rocblas_gemvt_warp_reduce_kernelILb0ELi256El16rocblas_bfloat16PKfS0_EviiT3_lPKT2_lT1_lS6_lS7_lS3_lPT4_lS7_li.has_recursion, 0
	.set _ZL32rocblas_gemvt_warp_reduce_kernelILb0ELi256El16rocblas_bfloat16PKfS0_EviiT3_lPKT2_lT1_lS6_lS7_lS3_lPT4_lS7_li.has_indirect_call, 0
	.section	.AMDGPU.csdata,"",@progbits
; Kernel info:
; codeLenInByte = 2064
; TotalNumSgprs: 54
; NumVgprs: 24
; ScratchSize: 0
; MemoryBound: 0
; FloatMode: 240
; IeeeMode: 1
; LDSByteSize: 128 bytes/workgroup (compile time only)
; SGPRBlocks: 0
; VGPRBlocks: 1
; NumSGPRsForWavesPerEU: 54
; NumVGPRsForWavesPerEU: 24
; NamedBarCnt: 0
; Occupancy: 16
; WaveLimiterHint : 0
; COMPUTE_PGM_RSRC2:SCRATCH_EN: 0
; COMPUTE_PGM_RSRC2:USER_SGPR: 2
; COMPUTE_PGM_RSRC2:TRAP_HANDLER: 0
; COMPUTE_PGM_RSRC2:TGID_X_EN: 1
; COMPUTE_PGM_RSRC2:TGID_Y_EN: 0
; COMPUTE_PGM_RSRC2:TGID_Z_EN: 1
; COMPUTE_PGM_RSRC2:TIDIG_COMP_CNT: 0
	.section	.text._ZL32rocblas_gemvt_warp_reduce_kernelILb0ELi256Ei16rocblas_bfloat16fS0_EviiT3_lPKT2_lT1_lS4_lS5_lS1_lPT4_lS5_li,"axG",@progbits,_ZL32rocblas_gemvt_warp_reduce_kernelILb0ELi256Ei16rocblas_bfloat16fS0_EviiT3_lPKT2_lT1_lS4_lS5_lS1_lPT4_lS5_li,comdat
	.globl	_ZL32rocblas_gemvt_warp_reduce_kernelILb0ELi256Ei16rocblas_bfloat16fS0_EviiT3_lPKT2_lT1_lS4_lS5_lS1_lPT4_lS5_li ; -- Begin function _ZL32rocblas_gemvt_warp_reduce_kernelILb0ELi256Ei16rocblas_bfloat16fS0_EviiT3_lPKT2_lT1_lS4_lS5_lS1_lPT4_lS5_li
	.p2align	8
	.type	_ZL32rocblas_gemvt_warp_reduce_kernelILb0ELi256Ei16rocblas_bfloat16fS0_EviiT3_lPKT2_lT1_lS4_lS5_lS1_lPT4_lS5_li,@function
_ZL32rocblas_gemvt_warp_reduce_kernelILb0ELi256Ei16rocblas_bfloat16fS0_EviiT3_lPKT2_lT1_lS4_lS5_lS1_lPT4_lS5_li: ; @_ZL32rocblas_gemvt_warp_reduce_kernelILb0ELi256Ei16rocblas_bfloat16fS0_EviiT3_lPKT2_lT1_lS4_lS5_lS1_lPT4_lS5_li
; %bb.0:
	s_load_b32 s19, s[0:1], 0x88
	s_bfe_u32 s2, ttmp6, 0x40014
	s_lshr_b32 s3, ttmp7, 16
	s_add_co_i32 s2, s2, 1
	s_bfe_u32 s4, ttmp6, 0x40008
	s_mul_i32 s2, s3, s2
	s_getreg_b32 s23, hwreg(HW_REG_IB_STS2, 6, 4)
	s_add_co_i32 s4, s4, s2
	s_cmp_eq_u32 s23, 0
	s_mov_b32 s25, 0
	s_cselect_b32 s24, s3, s4
	s_wait_kmcnt 0x0
	s_cmp_ge_u32 s24, s19
	s_cbranch_scc1 .LBB564_59
; %bb.1:
	s_clause 0x7
	s_load_b96 s[20:22], s[0:1], 0x40
	s_load_b128 s[4:7], s[0:1], 0x68
	s_load_b128 s[12:15], s[0:1], 0x18
	s_load_b32 s30, s[0:1], 0x8
	s_load_b96 s[16:18], s[0:1], 0x50
	s_load_b32 s36, s[0:1], 0x28
	s_load_b32 s37, s[0:1], 0x0
	s_load_b128 s[8:11], s[0:1], 0x30
	v_dual_mov_b32 v3, 0 :: v_dual_bitop2_b32 v2, 31, v0 bitop3:0x40
	v_lshrrev_b32_e32 v4, 3, v0
	v_mbcnt_lo_u32_b32 v1, -1, 0
	v_cmp_gt_u32_e64 s2, 8, v0
	s_delay_alu instid0(VALU_DEP_4)
	v_lshlrev_b32_e32 v12, 2, v2
	s_wait_kmcnt 0x0
	s_lshl_b64 s[20:21], s[20:21], 1
	s_lshl_b64 s[28:29], s[6:7], 1
	;; [unrolled: 1-line block ×3, first 2 shown]
	s_cmp_eq_f32 s30, 0
	s_clause 0x1
	s_load_b32 s38, s[0:1], 0x78
	s_load_b64 s[6:7], s[0:1], 0x80
	v_cmp_gt_i32_e32 vcc_lo, s37, v0
	s_add_nc_u64 s[10:11], s[10:11], s[20:21]
	s_cselect_b32 s31, -1, 0
	s_cmp_neq_f32 s30, 0
	v_mul_lo_u32 v14, v0, s22
	s_wait_xcnt 0x0
	v_cmp_eq_u32_e64 s0, 0, v0
	v_cmp_gt_u32_e64 s1, 32, v0
	s_cselect_b32 s3, -1, 0
	s_cmp_neq_f32 s18, 1.0
	s_cselect_b32 s14, -1, 0
	s_delay_alu instid0(SALU_CYCLE_1)
	s_or_b32 s33, s3, s14
	s_cmp_neq_f32 s18, 0
	v_cmp_eq_u32_e64 s3, 0, v2
	s_cselect_b32 s34, -1, 0
	s_cmp_eq_f32 s18, 0
	s_cselect_b32 s35, -1, 0
	s_bfe_u32 s14, ttmp6, 0x4000c
	s_and_b32 s15, ttmp6, 15
	s_add_co_i32 s14, s14, 1
	s_delay_alu instid0(SALU_CYCLE_1) | instskip(NEXT) | instid1(SALU_CYCLE_1)
	s_mul_i32 s14, ttmp9, s14
	s_add_co_i32 s20, s15, s14
	s_cmp_eq_u32 s23, 0
	s_add_nc_u64 s[14:15], s[4:5], s[28:29]
	s_cselect_b32 s21, ttmp9, s20
	s_ashr_i32 s4, s37, 31
	s_wait_kmcnt 0x0
	s_mul_i32 s28, s38, s21
	s_lshr_b32 s20, s4, 24
	s_add_nc_u64 s[4:5], s[12:13], s[26:27]
	s_add_co_i32 s20, s37, s20
	s_ashr_i32 s29, s28, 31
	s_and_b32 s20, s20, 0xffffff00
	s_delay_alu instid0(SALU_CYCLE_1) | instskip(NEXT) | instid1(VALU_DEP_1)
	v_dual_cndmask_b32 v2, 0, v0, vcc_lo :: v_dual_bitop2_b32 v5, s20, v0 bitop3:0x54
	v_dual_lshlrev_b32 v2, 1, v2 :: v_dual_bitop2_b32 v13, 28, v4 bitop3:0x40
	s_delay_alu instid0(VALU_DEP_2) | instskip(NEXT) | instid1(VALU_DEP_2)
	v_mul_lo_u32 v4, s22, v5
	v_add_nc_u64_e32 v[6:7], s[4:5], v[2:3]
	s_mul_i32 s4, s36, s21
	s_ashr_i32 s21, s20, 31
	s_ashr_i32 s5, s4, 31
	s_lshl_b32 s36, s22, 8
	s_lshl_b64 s[4:5], s[4:5], 1
	s_lshl_b64 s[22:23], s[28:29], 1
	s_add_nc_u64 s[26:27], s[26:27], s[4:5]
	v_add_nc_u64_e32 v[6:7], s[4:5], v[6:7]
	s_add_nc_u64 s[12:13], s[12:13], s[26:27]
	v_cmp_gt_i32_e64 s4, s20, v0
	v_add_nc_u64_e32 v[8:9], s[12:13], v[2:3]
	v_cmp_gt_i32_e64 s5, s37, v5
	v_ashrrev_i32_e32 v5, 31, v4
	v_lshl_or_b32 v2, v1, 2, 64
	s_lshl_b64 s[12:13], s[8:9], 1
	s_branch .LBB564_4
.LBB564_2:                              ;   in Loop: Header=BB564_4 Depth=1
	s_wait_xcnt 0x0
	s_or_b32 exec_lo, exec_lo, s28
.LBB564_3:                              ;   in Loop: Header=BB564_4 Depth=1
	s_add_co_i32 s24, s24, 0x10000
	s_delay_alu instid0(SALU_CYCLE_1)
	s_cmp_lt_u32 s24, s19
	s_cbranch_scc0 .LBB564_59
.LBB564_4:                              ; =>This Loop Header: Depth=1
                                        ;     Child Loop BB564_26 Depth 2
	s_and_not1_b32 vcc_lo, exec_lo, s33
	s_cbranch_vccnz .LBB564_3
; %bb.5:                                ;   in Loop: Header=BB564_4 Depth=1
	s_mul_u64 s[26:27], s[6:7], s[24:25]
	s_and_not1_b32 vcc_lo, exec_lo, s31
	s_lshl_b64 s[26:27], s[26:27], 1
	s_delay_alu instid0(SALU_CYCLE_1)
	s_add_nc_u64 s[26:27], s[14:15], s[26:27]
	s_cbranch_vccnz .LBB564_13
; %bb.6:                                ;   in Loop: Header=BB564_4 Depth=1
	s_mov_b32 s28, 0
	s_mov_b32 s37, 0
                                        ; implicit-def: $sgpr38
	s_and_saveexec_b32 s29, s0
	s_cbranch_execz .LBB564_14
; %bb.7:                                ;   in Loop: Header=BB564_4 Depth=1
	s_and_not1_b32 vcc_lo, exec_lo, s34
	s_cbranch_vccnz .LBB564_56
; %bb.8:                                ;   in Loop: Header=BB564_4 Depth=1
	s_add_nc_u64 s[38:39], s[26:27], s[22:23]
	global_load_u16 v10, v3, s[38:39]
	s_wait_xcnt 0x0
	s_mov_b32 s39, -1
	s_wait_loadcnt 0x0
	v_readfirstlane_b32 s37, v10
	s_lshl_b32 s37, s37, 16
	s_delay_alu instid0(SALU_CYCLE_1) | instskip(NEXT) | instid1(SALU_CYCLE_3)
	s_mul_f32 s37, s18, s37
	s_and_b32 s38, s37, 0x7f800000
	s_delay_alu instid0(SALU_CYCLE_1)
	s_cmp_eq_u32 s38, 0x7f800000
                                        ; implicit-def: $sgpr38
	s_cbranch_scc1 .LBB564_10
; %bb.9:                                ;   in Loop: Header=BB564_4 Depth=1
	s_bfe_u32 s38, s37, 0x10010
	s_mov_b32 s39, 0
	s_add_co_i32 s38, s37, s38
	s_delay_alu instid0(SALU_CYCLE_1)
	s_addk_co_i32 s38, 0x7fff
.LBB564_10:                             ;   in Loop: Header=BB564_4 Depth=1
	s_and_not1_b32 vcc_lo, exec_lo, s39
	s_cbranch_vccnz .LBB564_12
; %bb.11:                               ;   in Loop: Header=BB564_4 Depth=1
	s_and_b32 s38, s37, 0xffff
	s_or_b32 s39, s37, 0x10000
	s_cmp_eq_u32 s38, 0
	s_cselect_b32 s38, s37, s39
.LBB564_12:                             ;   in Loop: Header=BB564_4 Depth=1
	s_delay_alu instid0(SALU_CYCLE_1) | instskip(SKIP_2) | instid1(SALU_CYCLE_1)
	s_lshr_b32 s38, s38, 16
	s_mov_b32 s37, exec_lo
	s_or_b32 exec_lo, exec_lo, s29
	s_and_b32 vcc_lo, exec_lo, s28
	s_cbranch_vccnz .LBB564_15
	s_branch .LBB564_57
.LBB564_13:                             ;   in Loop: Header=BB564_4 Depth=1
	s_mov_b32 s37, 0
                                        ; implicit-def: $sgpr38
	s_cbranch_execnz .LBB564_15
	s_branch .LBB564_57
.LBB564_14:                             ;   in Loop: Header=BB564_4 Depth=1
	s_or_b32 exec_lo, exec_lo, s29
	s_delay_alu instid0(SALU_CYCLE_1)
	s_and_b32 vcc_lo, exec_lo, s28
	s_cbranch_vccz .LBB564_57
.LBB564_15:                             ;   in Loop: Header=BB564_4 Depth=1
	s_mul_u64 s[28:29], s[16:17], s[24:25]
	v_mov_b32_e32 v15, 0
	s_lshl_b64 s[28:29], s[28:29], 1
	s_delay_alu instid0(SALU_CYCLE_1)
	s_add_nc_u64 s[28:29], s[10:11], s[28:29]
	s_and_saveexec_b32 s38, s4
	s_cbranch_execnz .LBB564_24
; %bb.16:                               ;   in Loop: Header=BB564_4 Depth=1
	s_or_b32 exec_lo, exec_lo, s38
	s_and_saveexec_b32 s38, s5
	s_cbranch_execnz .LBB564_51
.LBB564_17:                             ;   in Loop: Header=BB564_4 Depth=1
	s_or_b32 exec_lo, exec_lo, s38
	s_and_saveexec_b32 s28, s1
.LBB564_18:                             ;   in Loop: Header=BB564_4 Depth=1
	ds_store_b32 v12, v3
.LBB564_19:                             ;   in Loop: Header=BB564_4 Depth=1
	s_or_b32 exec_lo, exec_lo, s28
	ds_bpermute_b32 v10, v2, v15
	v_cmp_gt_u32_e32 vcc_lo, 24, v1
	s_wait_dscnt 0x0
	s_barrier_signal -1
	s_barrier_wait -1
	v_cndmask_b32_e64 v11, 0, 8, vcc_lo
	v_cmp_gt_u32_e32 vcc_lo, 28, v1
	s_delay_alu instid0(VALU_DEP_2)
	v_add_lshl_u32 v11, v11, v1, 2
	v_add_f32_e32 v15, v15, v10
	v_cndmask_b32_e64 v10, 0, 4, vcc_lo
	v_cmp_gt_u32_e32 vcc_lo, 30, v1
	ds_bpermute_b32 v11, v11, v15
	v_add_lshl_u32 v10, v10, v1, 2
	s_wait_dscnt 0x0
	v_add_f32_e32 v15, v15, v11
	v_cndmask_b32_e64 v11, 0, 2, vcc_lo
	v_cmp_ne_u32_e32 vcc_lo, 31, v1
	ds_bpermute_b32 v16, v10, v15
	v_add_lshl_u32 v11, v11, v1, 2
	v_add_co_ci_u32_e64 v17, null, 0, v1, vcc_lo
	s_wait_dscnt 0x0
	v_add_f32_e32 v15, v15, v16
	ds_bpermute_b32 v16, v11, v15
	s_wait_dscnt 0x0
	v_dual_add_f32 v16, v15, v16 :: v_dual_lshlrev_b32 v15, 2, v17
	ds_bpermute_b32 v17, v15, v16
	s_and_saveexec_b32 s28, s3
	s_cbranch_execz .LBB564_21
; %bb.20:                               ;   in Loop: Header=BB564_4 Depth=1
	s_wait_dscnt 0x0
	v_add_f32_e32 v16, v16, v17
	ds_store_b32 v13, v16
.LBB564_21:                             ;   in Loop: Header=BB564_4 Depth=1
	s_or_b32 exec_lo, exec_lo, s28
	v_mov_b32_e32 v16, 0
	s_wait_dscnt 0x0
	s_barrier_signal -1
	s_barrier_wait -1
	s_and_saveexec_b32 s28, s2
	s_cbranch_execnz .LBB564_30
; %bb.22:                               ;   in Loop: Header=BB564_4 Depth=1
	s_or_b32 exec_lo, exec_lo, s28
	s_and_saveexec_b32 s28, s1
	s_cbranch_execnz .LBB564_31
.LBB564_23:                             ;   in Loop: Header=BB564_4 Depth=1
	s_or_b32 exec_lo, exec_lo, s28
                                        ; implicit-def: $vgpr10
	s_and_saveexec_b32 s28, s0
	s_cbranch_execnz .LBB564_32
	s_branch .LBB564_49
.LBB564_24:                             ;   in Loop: Header=BB564_4 Depth=1
	v_mad_nc_u64_u32 v[10:11], s12, s24, v[8:9]
	s_wait_dscnt 0x0
	v_dual_mov_b32 v15, 0 :: v_dual_mov_b32 v16, v14
	v_mov_b32_e32 v17, v0
	s_mov_b32 s39, 0
	s_delay_alu instid0(VALU_DEP_3)
	v_mad_u32 v11, s13, s24, v11
	s_branch .LBB564_26
.LBB564_25:                             ;   in Loop: Header=BB564_26 Depth=2
	s_or_b32 exec_lo, exec_lo, s40
	v_add_nc_u32_e32 v17, 0x100, v17
	s_delay_alu instid0(VALU_DEP_2) | instskip(SKIP_2) | instid1(VALU_DEP_4)
	v_and_b32_e32 v18, 0xffff0000, v19
	v_add_nc_u64_e32 v[10:11], 0x200, v[10:11]
	v_add_nc_u32_e32 v16, s36, v16
	v_cmp_le_i32_e32 vcc_lo, s20, v17
	s_delay_alu instid0(VALU_DEP_4) | instskip(SKIP_1) | instid1(SALU_CYCLE_1)
	v_add_f32_e32 v15, v15, v18
	s_or_b32 s39, vcc_lo, s39
	s_and_not1_b32 exec_lo, exec_lo, s39
	s_cbranch_execz .LBB564_50
.LBB564_26:                             ;   Parent Loop BB564_4 Depth=1
                                        ; =>  This Inner Loop Header: Depth=2
	global_load_u16 v18, v[10:11], off
	global_load_u16 v19, v16, s[28:29] scale_offset
	s_wait_loadcnt 0x0
	v_dual_lshlrev_b32 v18, 16, v18 :: v_dual_lshlrev_b32 v19, 16, v19
	s_delay_alu instid0(VALU_DEP_1) | instskip(NEXT) | instid1(VALU_DEP_1)
	v_mul_f32_e32 v18, v19, v18
	v_and_b32_e32 v19, 0x7f800000, v18
	s_delay_alu instid0(VALU_DEP_1) | instskip(SKIP_2) | instid1(SALU_CYCLE_1)
	v_cmp_ne_u32_e32 vcc_lo, 0x7f800000, v19
                                        ; implicit-def: $vgpr19
	s_wait_xcnt 0x0
	s_and_saveexec_b32 s40, vcc_lo
	s_xor_b32 s40, exec_lo, s40
; %bb.27:                               ;   in Loop: Header=BB564_26 Depth=2
	v_bfe_u32 v19, v18, 16, 1
	s_delay_alu instid0(VALU_DEP_1)
	v_add3_u32 v19, v18, v19, 0x7fff
                                        ; implicit-def: $vgpr18
; %bb.28:                               ;   in Loop: Header=BB564_26 Depth=2
	s_and_not1_saveexec_b32 s40, s40
	s_cbranch_execz .LBB564_25
; %bb.29:                               ;   in Loop: Header=BB564_26 Depth=2
	v_and_b32_e32 v19, 0xffff, v18
	v_or_b32_e32 v20, 0x10000, v18
	s_delay_alu instid0(VALU_DEP_2) | instskip(NEXT) | instid1(VALU_DEP_2)
	v_cmp_eq_u32_e32 vcc_lo, 0, v19
	v_cndmask_b32_e32 v19, v20, v18, vcc_lo
	s_branch .LBB564_25
.LBB564_30:                             ;   in Loop: Header=BB564_4 Depth=1
	ds_load_b32 v16, v12
	s_or_b32 exec_lo, exec_lo, s28
	s_and_saveexec_b32 s28, s1
	s_cbranch_execz .LBB564_23
.LBB564_31:                             ;   in Loop: Header=BB564_4 Depth=1
	s_wait_dscnt 0x0
	ds_bpermute_b32 v10, v10, v16
	s_wait_dscnt 0x0
	v_add_f32_e32 v10, v16, v10
	ds_bpermute_b32 v11, v11, v10
	s_wait_dscnt 0x0
	v_add_f32_e32 v10, v10, v11
	;; [unrolled: 3-line block ×3, first 2 shown]
	s_or_b32 exec_lo, exec_lo, s28
                                        ; implicit-def: $vgpr10
	s_and_saveexec_b32 s28, s0
	s_cbranch_execz .LBB564_49
.LBB564_32:                             ;   in Loop: Header=BB564_4 Depth=1
	s_wait_dscnt 0x0
	v_mul_f32_e32 v10, s30, v16
	s_and_b32 vcc_lo, exec_lo, s35
	s_mov_b32 s29, -1
                                        ; implicit-def: $vgpr11
	s_cbranch_vccz .LBB564_38
; %bb.33:                               ;   in Loop: Header=BB564_4 Depth=1
	s_delay_alu instid0(VALU_DEP_1) | instskip(NEXT) | instid1(VALU_DEP_1)
	v_and_b32_e32 v11, 0x7f800000, v10
	v_cmp_ne_u32_e32 vcc_lo, 0x7f800000, v11
                                        ; implicit-def: $vgpr11
	s_and_saveexec_b32 s29, vcc_lo
	s_delay_alu instid0(SALU_CYCLE_1)
	s_xor_b32 s29, exec_lo, s29
; %bb.34:                               ;   in Loop: Header=BB564_4 Depth=1
	v_bfe_u32 v11, v10, 16, 1
	s_delay_alu instid0(VALU_DEP_1)
	v_add3_u32 v11, v10, v11, 0x7fff
; %bb.35:                               ;   in Loop: Header=BB564_4 Depth=1
	s_and_not1_saveexec_b32 s29, s29
; %bb.36:                               ;   in Loop: Header=BB564_4 Depth=1
	v_and_b32_e32 v11, 0xffff, v10
	v_or_b32_e32 v15, 0x10000, v10
	s_delay_alu instid0(VALU_DEP_2) | instskip(NEXT) | instid1(VALU_DEP_2)
	v_cmp_eq_u32_e32 vcc_lo, 0, v11
	v_cndmask_b32_e32 v11, v15, v10, vcc_lo
; %bb.37:                               ;   in Loop: Header=BB564_4 Depth=1
	s_or_b32 exec_lo, exec_lo, s29
	s_mov_b32 s29, 0
.LBB564_38:                             ;   in Loop: Header=BB564_4 Depth=1
	s_delay_alu instid0(SALU_CYCLE_1)
	s_and_not1_b32 vcc_lo, exec_lo, s29
	s_cbranch_vccnz .LBB564_48
; %bb.39:                               ;   in Loop: Header=BB564_4 Depth=1
	s_add_nc_u64 s[38:39], s[26:27], s[22:23]
	global_load_u16 v11, v3, s[38:39]
	s_wait_xcnt 0x0
	s_mov_b32 s39, -1
	s_wait_loadcnt 0x0
	v_readfirstlane_b32 s29, v11
	s_lshl_b32 s29, s29, 16
	s_delay_alu instid0(SALU_CYCLE_1) | instskip(NEXT) | instid1(SALU_CYCLE_3)
	s_mul_f32 s29, s18, s29
	s_and_b32 s38, s29, 0x7f800000
	s_delay_alu instid0(SALU_CYCLE_1)
	s_cmp_eq_u32 s38, 0x7f800000
                                        ; implicit-def: $sgpr38
	s_cbranch_scc1 .LBB564_41
; %bb.40:                               ;   in Loop: Header=BB564_4 Depth=1
	s_bfe_u32 s38, s29, 0x10010
	s_mov_b32 s39, 0
	s_add_co_i32 s38, s29, s38
	s_delay_alu instid0(SALU_CYCLE_1)
	s_addk_co_i32 s38, 0x7fff
.LBB564_41:                             ;   in Loop: Header=BB564_4 Depth=1
	s_and_not1_b32 vcc_lo, exec_lo, s39
	s_cbranch_vccnz .LBB564_43
; %bb.42:                               ;   in Loop: Header=BB564_4 Depth=1
	s_and_b32 s38, s29, 0xffff
	s_or_b32 s39, s29, 0x10000
	s_cmp_eq_u32 s38, 0
	s_cselect_b32 s38, s29, s39
.LBB564_43:                             ;   in Loop: Header=BB564_4 Depth=1
	s_delay_alu instid0(SALU_CYCLE_1) | instskip(NEXT) | instid1(SALU_CYCLE_1)
	s_and_b32 s29, s38, 0xffff0000
	v_add_f32_e32 v10, s29, v10
	s_delay_alu instid0(VALU_DEP_1) | instskip(NEXT) | instid1(VALU_DEP_1)
	v_and_b32_e32 v11, 0x7f800000, v10
	v_cmp_ne_u32_e32 vcc_lo, 0x7f800000, v11
                                        ; implicit-def: $vgpr11
	s_and_saveexec_b32 s29, vcc_lo
	s_delay_alu instid0(SALU_CYCLE_1)
	s_xor_b32 s29, exec_lo, s29
; %bb.44:                               ;   in Loop: Header=BB564_4 Depth=1
	v_bfe_u32 v11, v10, 16, 1
	s_delay_alu instid0(VALU_DEP_1)
	v_add3_u32 v11, v10, v11, 0x7fff
                                        ; implicit-def: $vgpr10
; %bb.45:                               ;   in Loop: Header=BB564_4 Depth=1
	s_and_not1_saveexec_b32 s29, s29
; %bb.46:                               ;   in Loop: Header=BB564_4 Depth=1
	v_and_b32_e32 v11, 0xffff, v10
	v_or_b32_e32 v15, 0x10000, v10
	s_delay_alu instid0(VALU_DEP_2) | instskip(NEXT) | instid1(VALU_DEP_2)
	v_cmp_eq_u32_e32 vcc_lo, 0, v11
	v_cndmask_b32_e32 v11, v15, v10, vcc_lo
; %bb.47:                               ;   in Loop: Header=BB564_4 Depth=1
	s_or_b32 exec_lo, exec_lo, s29
.LBB564_48:                             ;   in Loop: Header=BB564_4 Depth=1
	s_delay_alu instid0(VALU_DEP_1)
	v_lshrrev_b32_e32 v10, 16, v11
	s_or_b32 s37, s37, exec_lo
.LBB564_49:                             ;   in Loop: Header=BB564_4 Depth=1
	s_or_b32 exec_lo, exec_lo, s28
	s_and_saveexec_b32 s28, s37
	s_cbranch_execz .LBB564_2
	s_branch .LBB564_58
.LBB564_50:                             ;   in Loop: Header=BB564_4 Depth=1
	s_or_b32 exec_lo, exec_lo, s39
	s_delay_alu instid0(SALU_CYCLE_1)
	s_or_b32 exec_lo, exec_lo, s38
	s_and_saveexec_b32 s38, s5
	s_cbranch_execz .LBB564_17
.LBB564_51:                             ;   in Loop: Header=BB564_4 Depth=1
	s_mul_u64 s[40:41], s[8:9], s[24:25]
	s_wait_dscnt 0x0
	v_lshl_add_u64 v[16:17], v[4:5], 1, s[28:29]
	v_lshl_add_u64 v[10:11], s[40:41], 1, v[6:7]
	s_delay_alu instid0(VALU_DEP_1)
	v_lshl_add_u64 v[10:11], s[20:21], 1, v[10:11]
	global_load_u16 v18, v[16:17], off
	global_load_u16 v19, v[10:11], off
	s_wait_loadcnt 0x0
	s_wait_xcnt 0x0
	v_dual_lshlrev_b32 v10, 16, v18 :: v_dual_lshlrev_b32 v11, 16, v19
	s_delay_alu instid0(VALU_DEP_1) | instskip(NEXT) | instid1(VALU_DEP_1)
	v_mul_f32_e32 v10, v10, v11
	v_and_b32_e32 v11, 0x7f800000, v10
	s_delay_alu instid0(VALU_DEP_1) | instskip(SKIP_1) | instid1(SALU_CYCLE_1)
	v_cmp_ne_u32_e32 vcc_lo, 0x7f800000, v11
                                        ; implicit-def: $vgpr11
	s_and_saveexec_b32 s28, vcc_lo
	s_xor_b32 s28, exec_lo, s28
; %bb.52:                               ;   in Loop: Header=BB564_4 Depth=1
	v_bfe_u32 v11, v10, 16, 1
	s_delay_alu instid0(VALU_DEP_1)
	v_add3_u32 v11, v10, v11, 0x7fff
                                        ; implicit-def: $vgpr10
; %bb.53:                               ;   in Loop: Header=BB564_4 Depth=1
	s_and_not1_saveexec_b32 s28, s28
; %bb.54:                               ;   in Loop: Header=BB564_4 Depth=1
	v_and_b32_e32 v11, 0xffff, v10
	v_or_b32_e32 v16, 0x10000, v10
	s_delay_alu instid0(VALU_DEP_2) | instskip(NEXT) | instid1(VALU_DEP_2)
	v_cmp_eq_u32_e32 vcc_lo, 0, v11
	v_cndmask_b32_e32 v11, v16, v10, vcc_lo
; %bb.55:                               ;   in Loop: Header=BB564_4 Depth=1
	s_or_b32 exec_lo, exec_lo, s28
	s_delay_alu instid0(VALU_DEP_1) | instskip(NEXT) | instid1(VALU_DEP_1)
	v_and_b32_e32 v10, 0xffff0000, v11
	v_add_f32_e32 v15, v15, v10
	s_or_b32 exec_lo, exec_lo, s38
	s_and_saveexec_b32 s28, s1
	s_cbranch_execnz .LBB564_18
	s_branch .LBB564_19
.LBB564_56:                             ;   in Loop: Header=BB564_4 Depth=1
	s_mov_b32 s38, 0
	s_mov_b32 s37, exec_lo
	s_or_b32 exec_lo, exec_lo, s29
	s_delay_alu instid0(SALU_CYCLE_1)
	s_and_b32 vcc_lo, exec_lo, s28
	s_cbranch_vccnz .LBB564_15
.LBB564_57:                             ;   in Loop: Header=BB564_4 Depth=1
	v_mov_b32_e32 v10, s38
	s_and_saveexec_b32 s28, s37
	s_cbranch_execz .LBB564_2
.LBB564_58:                             ;   in Loop: Header=BB564_4 Depth=1
	s_add_nc_u64 s[26:27], s[26:27], s[22:23]
	global_store_b16 v3, v10, s[26:27]
	s_branch .LBB564_2
.LBB564_59:
	s_endpgm
	.section	.rodata,"a",@progbits
	.p2align	6, 0x0
	.amdhsa_kernel _ZL32rocblas_gemvt_warp_reduce_kernelILb0ELi256Ei16rocblas_bfloat16fS0_EviiT3_lPKT2_lT1_lS4_lS5_lS1_lPT4_lS5_li
		.amdhsa_group_segment_fixed_size 128
		.amdhsa_private_segment_fixed_size 0
		.amdhsa_kernarg_size 140
		.amdhsa_user_sgpr_count 2
		.amdhsa_user_sgpr_dispatch_ptr 0
		.amdhsa_user_sgpr_queue_ptr 0
		.amdhsa_user_sgpr_kernarg_segment_ptr 1
		.amdhsa_user_sgpr_dispatch_id 0
		.amdhsa_user_sgpr_kernarg_preload_length 0
		.amdhsa_user_sgpr_kernarg_preload_offset 0
		.amdhsa_user_sgpr_private_segment_size 0
		.amdhsa_wavefront_size32 1
		.amdhsa_uses_dynamic_stack 0
		.amdhsa_enable_private_segment 0
		.amdhsa_system_sgpr_workgroup_id_x 1
		.amdhsa_system_sgpr_workgroup_id_y 0
		.amdhsa_system_sgpr_workgroup_id_z 1
		.amdhsa_system_sgpr_workgroup_info 0
		.amdhsa_system_vgpr_workitem_id 0
		.amdhsa_next_free_vgpr 21
		.amdhsa_next_free_sgpr 42
		.amdhsa_named_barrier_count 0
		.amdhsa_reserve_vcc 1
		.amdhsa_float_round_mode_32 0
		.amdhsa_float_round_mode_16_64 0
		.amdhsa_float_denorm_mode_32 3
		.amdhsa_float_denorm_mode_16_64 3
		.amdhsa_fp16_overflow 0
		.amdhsa_memory_ordered 1
		.amdhsa_forward_progress 1
		.amdhsa_inst_pref_size 17
		.amdhsa_round_robin_scheduling 0
		.amdhsa_exception_fp_ieee_invalid_op 0
		.amdhsa_exception_fp_denorm_src 0
		.amdhsa_exception_fp_ieee_div_zero 0
		.amdhsa_exception_fp_ieee_overflow 0
		.amdhsa_exception_fp_ieee_underflow 0
		.amdhsa_exception_fp_ieee_inexact 0
		.amdhsa_exception_int_div_zero 0
	.end_amdhsa_kernel
	.section	.text._ZL32rocblas_gemvt_warp_reduce_kernelILb0ELi256Ei16rocblas_bfloat16fS0_EviiT3_lPKT2_lT1_lS4_lS5_lS1_lPT4_lS5_li,"axG",@progbits,_ZL32rocblas_gemvt_warp_reduce_kernelILb0ELi256Ei16rocblas_bfloat16fS0_EviiT3_lPKT2_lT1_lS4_lS5_lS1_lPT4_lS5_li,comdat
.Lfunc_end564:
	.size	_ZL32rocblas_gemvt_warp_reduce_kernelILb0ELi256Ei16rocblas_bfloat16fS0_EviiT3_lPKT2_lT1_lS4_lS5_lS1_lPT4_lS5_li, .Lfunc_end564-_ZL32rocblas_gemvt_warp_reduce_kernelILb0ELi256Ei16rocblas_bfloat16fS0_EviiT3_lPKT2_lT1_lS4_lS5_lS1_lPT4_lS5_li
                                        ; -- End function
	.set _ZL32rocblas_gemvt_warp_reduce_kernelILb0ELi256Ei16rocblas_bfloat16fS0_EviiT3_lPKT2_lT1_lS4_lS5_lS1_lPT4_lS5_li.num_vgpr, 21
	.set _ZL32rocblas_gemvt_warp_reduce_kernelILb0ELi256Ei16rocblas_bfloat16fS0_EviiT3_lPKT2_lT1_lS4_lS5_lS1_lPT4_lS5_li.num_agpr, 0
	.set _ZL32rocblas_gemvt_warp_reduce_kernelILb0ELi256Ei16rocblas_bfloat16fS0_EviiT3_lPKT2_lT1_lS4_lS5_lS1_lPT4_lS5_li.numbered_sgpr, 42
	.set _ZL32rocblas_gemvt_warp_reduce_kernelILb0ELi256Ei16rocblas_bfloat16fS0_EviiT3_lPKT2_lT1_lS4_lS5_lS1_lPT4_lS5_li.num_named_barrier, 0
	.set _ZL32rocblas_gemvt_warp_reduce_kernelILb0ELi256Ei16rocblas_bfloat16fS0_EviiT3_lPKT2_lT1_lS4_lS5_lS1_lPT4_lS5_li.private_seg_size, 0
	.set _ZL32rocblas_gemvt_warp_reduce_kernelILb0ELi256Ei16rocblas_bfloat16fS0_EviiT3_lPKT2_lT1_lS4_lS5_lS1_lPT4_lS5_li.uses_vcc, 1
	.set _ZL32rocblas_gemvt_warp_reduce_kernelILb0ELi256Ei16rocblas_bfloat16fS0_EviiT3_lPKT2_lT1_lS4_lS5_lS1_lPT4_lS5_li.uses_flat_scratch, 0
	.set _ZL32rocblas_gemvt_warp_reduce_kernelILb0ELi256Ei16rocblas_bfloat16fS0_EviiT3_lPKT2_lT1_lS4_lS5_lS1_lPT4_lS5_li.has_dyn_sized_stack, 0
	.set _ZL32rocblas_gemvt_warp_reduce_kernelILb0ELi256Ei16rocblas_bfloat16fS0_EviiT3_lPKT2_lT1_lS4_lS5_lS1_lPT4_lS5_li.has_recursion, 0
	.set _ZL32rocblas_gemvt_warp_reduce_kernelILb0ELi256Ei16rocblas_bfloat16fS0_EviiT3_lPKT2_lT1_lS4_lS5_lS1_lPT4_lS5_li.has_indirect_call, 0
	.section	.AMDGPU.csdata,"",@progbits
; Kernel info:
; codeLenInByte = 2072
; TotalNumSgprs: 44
; NumVgprs: 21
; ScratchSize: 0
; MemoryBound: 0
; FloatMode: 240
; IeeeMode: 1
; LDSByteSize: 128 bytes/workgroup (compile time only)
; SGPRBlocks: 0
; VGPRBlocks: 1
; NumSGPRsForWavesPerEU: 44
; NumVGPRsForWavesPerEU: 21
; NamedBarCnt: 0
; Occupancy: 16
; WaveLimiterHint : 0
; COMPUTE_PGM_RSRC2:SCRATCH_EN: 0
; COMPUTE_PGM_RSRC2:USER_SGPR: 2
; COMPUTE_PGM_RSRC2:TRAP_HANDLER: 0
; COMPUTE_PGM_RSRC2:TGID_X_EN: 1
; COMPUTE_PGM_RSRC2:TGID_Y_EN: 0
; COMPUTE_PGM_RSRC2:TGID_Z_EN: 1
; COMPUTE_PGM_RSRC2:TIDIG_COMP_CNT: 0
	.section	.text._ZL32rocblas_gemvt_warp_reduce_kernelILb0ELi256El16rocblas_bfloat16fS0_EviiT3_lPKT2_lT1_lS4_lS5_lS1_lPT4_lS5_li,"axG",@progbits,_ZL32rocblas_gemvt_warp_reduce_kernelILb0ELi256El16rocblas_bfloat16fS0_EviiT3_lPKT2_lT1_lS4_lS5_lS1_lPT4_lS5_li,comdat
	.globl	_ZL32rocblas_gemvt_warp_reduce_kernelILb0ELi256El16rocblas_bfloat16fS0_EviiT3_lPKT2_lT1_lS4_lS5_lS1_lPT4_lS5_li ; -- Begin function _ZL32rocblas_gemvt_warp_reduce_kernelILb0ELi256El16rocblas_bfloat16fS0_EviiT3_lPKT2_lT1_lS4_lS5_lS1_lPT4_lS5_li
	.p2align	8
	.type	_ZL32rocblas_gemvt_warp_reduce_kernelILb0ELi256El16rocblas_bfloat16fS0_EviiT3_lPKT2_lT1_lS4_lS5_lS1_lPT4_lS5_li,@function
_ZL32rocblas_gemvt_warp_reduce_kernelILb0ELi256El16rocblas_bfloat16fS0_EviiT3_lPKT2_lT1_lS4_lS5_lS1_lPT4_lS5_li: ; @_ZL32rocblas_gemvt_warp_reduce_kernelILb0ELi256El16rocblas_bfloat16fS0_EviiT3_lPKT2_lT1_lS4_lS5_lS1_lPT4_lS5_li
; %bb.0:
	s_load_b32 s33, s[0:1], 0x88
	s_bfe_u32 s2, ttmp6, 0x40014
	s_lshr_b32 s3, ttmp7, 16
	s_add_co_i32 s2, s2, 1
	s_bfe_u32 s5, ttmp6, 0x40008
	s_mul_i32 s4, s3, s2
	s_getreg_b32 s2, hwreg(HW_REG_IB_STS2, 6, 4)
	s_add_co_i32 s5, s5, s4
	s_cmp_eq_u32 s2, 0
	s_mov_b32 s7, 0
	s_cselect_b32 s6, s3, s5
	s_wait_kmcnt 0x0
	s_cmp_ge_u32 s6, s33
	s_cbranch_scc1 .LBB565_59
; %bb.1:
	s_clause 0x3
	s_load_b512 s[8:23], s[0:1], 0x18
	s_load_b256 s[24:31], s[0:1], 0x68
	s_load_b32 s34, s[0:1], 0x8
	s_load_b32 s35, s[0:1], 0x58
	s_wait_kmcnt 0x0
	s_lshl_b64 s[4:5], s[18:19], 1
	s_lshl_b64 s[18:19], s[26:27], 1
	;; [unrolled: 1-line block ×3, first 2 shown]
	s_cmp_eq_f32 s34, 0
	s_load_b32 s11, s[0:1], 0x0
	s_add_nc_u64 s[16:17], s[16:17], s[4:5]
	s_add_nc_u64 s[18:19], s[24:25], s[18:19]
	s_cselect_b32 s36, -1, 0
	s_cmp_neq_f32 s34, 0
	s_cselect_b32 s3, -1, 0
	s_cmp_neq_f32 s35, 1.0
	s_cselect_b32 s10, -1, 0
	s_delay_alu instid0(SALU_CYCLE_1)
	s_or_b32 s37, s3, s10
	s_cmp_neq_f32 s35, 0
	s_cselect_b32 s38, -1, 0
	s_cmp_eq_f32 s35, 0
	s_wait_kmcnt 0x0
	v_cmp_gt_i32_e32 vcc_lo, s11, v0
	v_mov_b32_e32 v3, 0
	s_cselect_b32 s39, -1, 0
	s_bfe_u32 s0, ttmp6, 0x4000c
	s_and_b32 s1, ttmp6, 15
	s_add_co_i32 s0, s0, 1
	v_cndmask_b32_e32 v2, 0, v0, vcc_lo
	s_mul_i32 s0, ttmp9, s0
	s_delay_alu instid0(SALU_CYCLE_1)
	s_add_co_i32 s1, s1, s0
	s_cmp_eq_u32 s2, 0
	s_cselect_b32 s2, ttmp9, s1
	s_ashr_i32 s0, s11, 31
	s_ashr_i32 s3, s2, 31
	s_lshr_b32 s0, s0, 24
	s_mul_u64 s[4:5], s[12:13], s[2:3]
	s_add_co_i32 s0, s11, s0
	s_lshl_b64 s[12:13], s[4:5], 1
	s_and_b32 s10, s0, 0xffffff00
	s_delay_alu instid0(SALU_CYCLE_1) | instskip(SKIP_3) | instid1(VALU_DEP_2)
	v_dual_mov_b32 v1, v3 :: v_dual_bitop2_b32 v8, s10, v0 bitop3:0x54
	v_lshlrev_b32_e32 v2, 1, v2
	s_add_nc_u64 s[0:1], s[8:9], s[26:27]
	s_mul_u64 s[24:25], s[28:29], s[2:3]
	v_mul_u64_e32 v[10:11], s[20:21], v[0:1]
	v_ashrrev_i32_e32 v9, 31, v8
	v_add_nc_u64_e32 v[6:7], s[0:1], v[2:3]
	v_cmp_gt_i32_e64 s2, s11, v8
	v_cmp_eq_u32_e64 s0, 0, v0
	v_cmp_gt_i32_e64 s1, s10, v0
	v_mul_u64_e32 v[4:5], s[20:21], v[8:9]
	v_dual_lshrrev_b32 v8, 3, v0 :: v_dual_bitop2_b32 v9, 31, v0 bitop3:0x40
	v_add_nc_u64_e32 v[6:7], s[12:13], v[6:7]
	s_add_nc_u64 s[12:13], s[12:13], s[26:27]
	v_cmp_gt_u32_e64 s3, 32, v0
	s_add_nc_u64 s[8:9], s[8:9], s[12:13]
	v_dual_lshlrev_b32 v1, 2, v9 :: v_dual_bitop2_b32 v16, 28, v8 bitop3:0x40
	v_cmp_eq_u32_e64 s4, 0, v9
	v_add_nc_u64_e32 v[8:9], s[8:9], v[2:3]
	v_mbcnt_lo_u32_b32 v2, -1, 0
	v_cmp_gt_u32_e64 s5, 8, v0
	s_ashr_i32 s11, s10, 31
	s_lshl_b64 s[8:9], s[14:15], 1
	s_lshl_b64 s[12:13], s[22:23], 1
	v_lshl_or_b32 v17, v2, 2, 64
	s_lshl_b64 s[20:21], s[20:21], 9
	s_lshl_b64 s[24:25], s[24:25], 1
	v_lshl_add_u64 v[10:11], v[10:11], 1, s[16:17]
	s_branch .LBB565_4
.LBB565_2:                              ;   in Loop: Header=BB565_4 Depth=1
	s_wait_xcnt 0x0
	s_or_b32 exec_lo, exec_lo, s29
.LBB565_3:                              ;   in Loop: Header=BB565_4 Depth=1
	s_add_co_i32 s6, s6, 0x10000
	s_delay_alu instid0(SALU_CYCLE_1)
	s_cmp_lt_u32 s6, s33
	s_cbranch_scc0 .LBB565_59
.LBB565_4:                              ; =>This Loop Header: Depth=1
                                        ;     Child Loop BB565_26 Depth 2
	s_and_not1_b32 vcc_lo, exec_lo, s37
	s_cbranch_vccnz .LBB565_3
; %bb.5:                                ;   in Loop: Header=BB565_4 Depth=1
	s_mul_u64 s[26:27], s[30:31], s[6:7]
	s_and_not1_b32 vcc_lo, exec_lo, s36
	s_lshl_b64 s[26:27], s[26:27], 1
	s_delay_alu instid0(SALU_CYCLE_1)
	s_add_nc_u64 s[26:27], s[18:19], s[26:27]
	s_cbranch_vccnz .LBB565_13
; %bb.6:                                ;   in Loop: Header=BB565_4 Depth=1
	s_mov_b32 s29, 0
	s_mov_b32 s28, 0
                                        ; implicit-def: $sgpr41
	s_and_saveexec_b32 s40, s0
	s_cbranch_execz .LBB565_14
; %bb.7:                                ;   in Loop: Header=BB565_4 Depth=1
	s_and_not1_b32 vcc_lo, exec_lo, s38
	s_cbranch_vccnz .LBB565_56
; %bb.8:                                ;   in Loop: Header=BB565_4 Depth=1
	s_add_nc_u64 s[42:43], s[26:27], s[24:25]
	global_load_u16 v12, v3, s[42:43]
	s_wait_xcnt 0x0
	s_mov_b32 s42, -1
	s_wait_loadcnt 0x0
	v_readfirstlane_b32 s28, v12
	s_lshl_b32 s28, s28, 16
	s_delay_alu instid0(SALU_CYCLE_1) | instskip(NEXT) | instid1(SALU_CYCLE_3)
	s_mul_f32 s28, s35, s28
	s_and_b32 s41, s28, 0x7f800000
	s_delay_alu instid0(SALU_CYCLE_1)
	s_cmp_eq_u32 s41, 0x7f800000
                                        ; implicit-def: $sgpr41
	s_cbranch_scc1 .LBB565_10
; %bb.9:                                ;   in Loop: Header=BB565_4 Depth=1
	s_bfe_u32 s41, s28, 0x10010
	s_mov_b32 s42, 0
	s_add_co_i32 s41, s28, s41
	s_delay_alu instid0(SALU_CYCLE_1)
	s_addk_co_i32 s41, 0x7fff
.LBB565_10:                             ;   in Loop: Header=BB565_4 Depth=1
	s_and_not1_b32 vcc_lo, exec_lo, s42
	s_cbranch_vccnz .LBB565_12
; %bb.11:                               ;   in Loop: Header=BB565_4 Depth=1
	s_and_b32 s41, s28, 0xffff
	s_or_b32 s42, s28, 0x10000
	s_cmp_eq_u32 s41, 0
	s_cselect_b32 s41, s28, s42
.LBB565_12:                             ;   in Loop: Header=BB565_4 Depth=1
	s_delay_alu instid0(SALU_CYCLE_1) | instskip(SKIP_2) | instid1(SALU_CYCLE_1)
	s_lshr_b32 s41, s41, 16
	s_mov_b32 s28, exec_lo
	s_or_b32 exec_lo, exec_lo, s40
	s_and_b32 vcc_lo, exec_lo, s29
	s_cbranch_vccnz .LBB565_15
	s_branch .LBB565_57
.LBB565_13:                             ;   in Loop: Header=BB565_4 Depth=1
	s_mov_b32 s28, 0
                                        ; implicit-def: $sgpr41
	s_cbranch_execnz .LBB565_15
	s_branch .LBB565_57
.LBB565_14:                             ;   in Loop: Header=BB565_4 Depth=1
	s_or_b32 exec_lo, exec_lo, s40
	s_delay_alu instid0(SALU_CYCLE_1)
	s_and_b32 vcc_lo, exec_lo, s29
	s_cbranch_vccz .LBB565_57
.LBB565_15:                             ;   in Loop: Header=BB565_4 Depth=1
	v_mov_b32_e32 v18, 0
	s_and_saveexec_b32 s29, s1
	s_cbranch_execnz .LBB565_24
; %bb.16:                               ;   in Loop: Header=BB565_4 Depth=1
	s_or_b32 exec_lo, exec_lo, s29
	s_and_saveexec_b32 s29, s2
	s_cbranch_execnz .LBB565_51
.LBB565_17:                             ;   in Loop: Header=BB565_4 Depth=1
	s_or_b32 exec_lo, exec_lo, s29
	s_and_saveexec_b32 s29, s3
.LBB565_18:                             ;   in Loop: Header=BB565_4 Depth=1
	ds_store_b32 v1, v3
.LBB565_19:                             ;   in Loop: Header=BB565_4 Depth=1
	s_or_b32 exec_lo, exec_lo, s29
	ds_bpermute_b32 v12, v17, v18
	v_cmp_gt_u32_e32 vcc_lo, 24, v2
	s_wait_dscnt 0x0
	s_barrier_signal -1
	s_barrier_wait -1
	v_cndmask_b32_e64 v13, 0, 8, vcc_lo
	v_cmp_gt_u32_e32 vcc_lo, 28, v2
	s_delay_alu instid0(VALU_DEP_2)
	v_add_lshl_u32 v13, v13, v2, 2
	v_add_f32_e32 v14, v18, v12
	v_cndmask_b32_e64 v12, 0, 4, vcc_lo
	v_cmp_gt_u32_e32 vcc_lo, 30, v2
	ds_bpermute_b32 v13, v13, v14
	v_add_lshl_u32 v12, v12, v2, 2
	s_wait_dscnt 0x0
	v_add_f32_e32 v14, v14, v13
	v_cndmask_b32_e64 v13, 0, 2, vcc_lo
	v_cmp_ne_u32_e32 vcc_lo, 31, v2
	ds_bpermute_b32 v15, v12, v14
	v_add_lshl_u32 v13, v13, v2, 2
	v_add_co_ci_u32_e64 v18, null, 0, v2, vcc_lo
	s_wait_dscnt 0x0
	v_add_f32_e32 v14, v14, v15
	ds_bpermute_b32 v15, v13, v14
	s_wait_dscnt 0x0
	v_dual_add_f32 v15, v14, v15 :: v_dual_lshlrev_b32 v14, 2, v18
	ds_bpermute_b32 v18, v14, v15
	s_and_saveexec_b32 s29, s4
	s_cbranch_execz .LBB565_21
; %bb.20:                               ;   in Loop: Header=BB565_4 Depth=1
	s_wait_dscnt 0x0
	v_add_f32_e32 v15, v15, v18
	ds_store_b32 v16, v15
.LBB565_21:                             ;   in Loop: Header=BB565_4 Depth=1
	s_or_b32 exec_lo, exec_lo, s29
	v_mov_b32_e32 v15, 0
	s_wait_dscnt 0x0
	s_barrier_signal -1
	s_barrier_wait -1
	s_and_saveexec_b32 s29, s5
	s_cbranch_execnz .LBB565_30
; %bb.22:                               ;   in Loop: Header=BB565_4 Depth=1
	s_or_b32 exec_lo, exec_lo, s29
	s_and_saveexec_b32 s29, s3
	s_cbranch_execnz .LBB565_31
.LBB565_23:                             ;   in Loop: Header=BB565_4 Depth=1
	s_or_b32 exec_lo, exec_lo, s29
                                        ; implicit-def: $vgpr12
	s_and_saveexec_b32 s29, s0
	s_cbranch_execnz .LBB565_32
	s_branch .LBB565_49
.LBB565_24:                             ;   in Loop: Header=BB565_4 Depth=1
	v_mad_nc_u64_u32 v[12:13], s8, s6, v[8:9]
	s_wait_dscnt 0x0
	v_mad_nc_u64_u32 v[14:15], s12, s6, v[10:11]
	v_dual_mov_b32 v18, 0 :: v_dual_mov_b32 v19, v0
	s_mov_b32 s40, 0
	s_delay_alu instid0(VALU_DEP_3) | instskip(NEXT) | instid1(VALU_DEP_3)
	v_mad_u32 v13, s9, s6, v13
	v_mad_u32 v15, s13, s6, v15
	s_branch .LBB565_26
.LBB565_25:                             ;   in Loop: Header=BB565_26 Depth=2
	s_or_b32 exec_lo, exec_lo, s41
	s_delay_alu instid0(VALU_DEP_1) | instskip(SKIP_3) | instid1(VALU_DEP_4)
	v_and_b32_e32 v20, 0xffff0000, v21
	v_add_nc_u32_e32 v19, 0x100, v19
	v_add_nc_u64_e32 v[12:13], 0x200, v[12:13]
	v_add_nc_u64_e32 v[14:15], s[20:21], v[14:15]
	v_add_f32_e32 v18, v18, v20
	s_delay_alu instid0(VALU_DEP_4) | instskip(SKIP_1) | instid1(SALU_CYCLE_1)
	v_cmp_le_i32_e32 vcc_lo, s10, v19
	s_or_b32 s40, vcc_lo, s40
	s_and_not1_b32 exec_lo, exec_lo, s40
	s_cbranch_execz .LBB565_50
.LBB565_26:                             ;   Parent Loop BB565_4 Depth=1
                                        ; =>  This Inner Loop Header: Depth=2
	global_load_u16 v20, v[12:13], off
	global_load_u16 v21, v[14:15], off
	s_wait_loadcnt 0x0
	v_dual_lshlrev_b32 v20, 16, v20 :: v_dual_lshlrev_b32 v21, 16, v21
	s_delay_alu instid0(VALU_DEP_1) | instskip(NEXT) | instid1(VALU_DEP_1)
	v_mul_f32_e32 v20, v21, v20
	v_and_b32_e32 v21, 0x7f800000, v20
	s_delay_alu instid0(VALU_DEP_1) | instskip(SKIP_2) | instid1(SALU_CYCLE_1)
	v_cmp_ne_u32_e32 vcc_lo, 0x7f800000, v21
                                        ; implicit-def: $vgpr21
	s_wait_xcnt 0x0
	s_and_saveexec_b32 s41, vcc_lo
	s_xor_b32 s41, exec_lo, s41
; %bb.27:                               ;   in Loop: Header=BB565_26 Depth=2
	v_bfe_u32 v21, v20, 16, 1
	s_delay_alu instid0(VALU_DEP_1)
	v_add3_u32 v21, v20, v21, 0x7fff
                                        ; implicit-def: $vgpr20
; %bb.28:                               ;   in Loop: Header=BB565_26 Depth=2
	s_and_not1_saveexec_b32 s41, s41
	s_cbranch_execz .LBB565_25
; %bb.29:                               ;   in Loop: Header=BB565_26 Depth=2
	v_and_b32_e32 v21, 0xffff, v20
	v_or_b32_e32 v22, 0x10000, v20
	s_delay_alu instid0(VALU_DEP_2) | instskip(NEXT) | instid1(VALU_DEP_2)
	v_cmp_eq_u32_e32 vcc_lo, 0, v21
	v_cndmask_b32_e32 v21, v22, v20, vcc_lo
	s_branch .LBB565_25
.LBB565_30:                             ;   in Loop: Header=BB565_4 Depth=1
	ds_load_b32 v15, v1
	s_or_b32 exec_lo, exec_lo, s29
	s_and_saveexec_b32 s29, s3
	s_cbranch_execz .LBB565_23
.LBB565_31:                             ;   in Loop: Header=BB565_4 Depth=1
	s_wait_dscnt 0x0
	ds_bpermute_b32 v12, v12, v15
	s_wait_dscnt 0x0
	v_add_f32_e32 v12, v15, v12
	ds_bpermute_b32 v13, v13, v12
	s_wait_dscnt 0x0
	v_add_f32_e32 v12, v12, v13
	;; [unrolled: 3-line block ×3, first 2 shown]
	s_or_b32 exec_lo, exec_lo, s29
                                        ; implicit-def: $vgpr12
	s_and_saveexec_b32 s29, s0
	s_cbranch_execz .LBB565_49
.LBB565_32:                             ;   in Loop: Header=BB565_4 Depth=1
	s_wait_dscnt 0x0
	v_mul_f32_e32 v12, s34, v15
	s_and_b32 vcc_lo, exec_lo, s39
	s_mov_b32 s40, -1
                                        ; implicit-def: $vgpr13
	s_cbranch_vccz .LBB565_38
; %bb.33:                               ;   in Loop: Header=BB565_4 Depth=1
	s_delay_alu instid0(VALU_DEP_1) | instskip(NEXT) | instid1(VALU_DEP_1)
	v_and_b32_e32 v13, 0x7f800000, v12
	v_cmp_ne_u32_e32 vcc_lo, 0x7f800000, v13
                                        ; implicit-def: $vgpr13
	s_and_saveexec_b32 s40, vcc_lo
	s_delay_alu instid0(SALU_CYCLE_1)
	s_xor_b32 s40, exec_lo, s40
; %bb.34:                               ;   in Loop: Header=BB565_4 Depth=1
	v_bfe_u32 v13, v12, 16, 1
	s_delay_alu instid0(VALU_DEP_1)
	v_add3_u32 v13, v12, v13, 0x7fff
; %bb.35:                               ;   in Loop: Header=BB565_4 Depth=1
	s_and_not1_saveexec_b32 s40, s40
; %bb.36:                               ;   in Loop: Header=BB565_4 Depth=1
	v_and_b32_e32 v13, 0xffff, v12
	v_or_b32_e32 v14, 0x10000, v12
	s_delay_alu instid0(VALU_DEP_2) | instskip(NEXT) | instid1(VALU_DEP_2)
	v_cmp_eq_u32_e32 vcc_lo, 0, v13
	v_cndmask_b32_e32 v13, v14, v12, vcc_lo
; %bb.37:                               ;   in Loop: Header=BB565_4 Depth=1
	s_or_b32 exec_lo, exec_lo, s40
	s_mov_b32 s40, 0
.LBB565_38:                             ;   in Loop: Header=BB565_4 Depth=1
	s_delay_alu instid0(SALU_CYCLE_1)
	s_and_not1_b32 vcc_lo, exec_lo, s40
	s_cbranch_vccnz .LBB565_48
; %bb.39:                               ;   in Loop: Header=BB565_4 Depth=1
	s_add_nc_u64 s[40:41], s[26:27], s[24:25]
	s_mov_b32 s42, -1
	global_load_u16 v13, v3, s[40:41]
	s_wait_loadcnt 0x0
	s_wait_xcnt 0x0
	v_readfirstlane_b32 s40, v13
	s_lshl_b32 s40, s40, 16
	s_delay_alu instid0(SALU_CYCLE_1) | instskip(NEXT) | instid1(SALU_CYCLE_3)
	s_mul_f32 s40, s35, s40
	s_and_b32 s41, s40, 0x7f800000
	s_delay_alu instid0(SALU_CYCLE_1)
	s_cmp_eq_u32 s41, 0x7f800000
                                        ; implicit-def: $sgpr41
	s_cbranch_scc1 .LBB565_41
; %bb.40:                               ;   in Loop: Header=BB565_4 Depth=1
	s_bfe_u32 s41, s40, 0x10010
	s_mov_b32 s42, 0
	s_add_co_i32 s41, s40, s41
	s_delay_alu instid0(SALU_CYCLE_1)
	s_addk_co_i32 s41, 0x7fff
.LBB565_41:                             ;   in Loop: Header=BB565_4 Depth=1
	s_and_not1_b32 vcc_lo, exec_lo, s42
	s_cbranch_vccnz .LBB565_43
; %bb.42:                               ;   in Loop: Header=BB565_4 Depth=1
	s_and_b32 s41, s40, 0xffff
	s_or_b32 s42, s40, 0x10000
	s_cmp_eq_u32 s41, 0
	s_cselect_b32 s41, s40, s42
.LBB565_43:                             ;   in Loop: Header=BB565_4 Depth=1
	s_delay_alu instid0(SALU_CYCLE_1) | instskip(NEXT) | instid1(SALU_CYCLE_1)
	s_and_b32 s40, s41, 0xffff0000
	v_add_f32_e32 v12, s40, v12
	s_delay_alu instid0(VALU_DEP_1) | instskip(NEXT) | instid1(VALU_DEP_1)
	v_and_b32_e32 v13, 0x7f800000, v12
	v_cmp_ne_u32_e32 vcc_lo, 0x7f800000, v13
                                        ; implicit-def: $vgpr13
	s_and_saveexec_b32 s40, vcc_lo
	s_delay_alu instid0(SALU_CYCLE_1)
	s_xor_b32 s40, exec_lo, s40
; %bb.44:                               ;   in Loop: Header=BB565_4 Depth=1
	v_bfe_u32 v13, v12, 16, 1
	s_delay_alu instid0(VALU_DEP_1)
	v_add3_u32 v13, v12, v13, 0x7fff
                                        ; implicit-def: $vgpr12
; %bb.45:                               ;   in Loop: Header=BB565_4 Depth=1
	s_and_not1_saveexec_b32 s40, s40
; %bb.46:                               ;   in Loop: Header=BB565_4 Depth=1
	v_and_b32_e32 v13, 0xffff, v12
	v_or_b32_e32 v14, 0x10000, v12
	s_delay_alu instid0(VALU_DEP_2) | instskip(NEXT) | instid1(VALU_DEP_2)
	v_cmp_eq_u32_e32 vcc_lo, 0, v13
	v_cndmask_b32_e32 v13, v14, v12, vcc_lo
; %bb.47:                               ;   in Loop: Header=BB565_4 Depth=1
	s_or_b32 exec_lo, exec_lo, s40
.LBB565_48:                             ;   in Loop: Header=BB565_4 Depth=1
	s_delay_alu instid0(VALU_DEP_1)
	v_lshrrev_b32_e32 v12, 16, v13
	s_or_b32 s28, s28, exec_lo
.LBB565_49:                             ;   in Loop: Header=BB565_4 Depth=1
	s_or_b32 exec_lo, exec_lo, s29
	s_and_saveexec_b32 s29, s28
	s_cbranch_execz .LBB565_2
	s_branch .LBB565_58
.LBB565_50:                             ;   in Loop: Header=BB565_4 Depth=1
	s_or_b32 exec_lo, exec_lo, s40
	s_delay_alu instid0(SALU_CYCLE_1)
	s_or_b32 exec_lo, exec_lo, s29
	s_and_saveexec_b32 s29, s2
	s_cbranch_execz .LBB565_17
.LBB565_51:                             ;   in Loop: Header=BB565_4 Depth=1
	s_mul_u64 s[40:41], s[14:15], s[6:7]
	s_mul_u64 s[42:43], s[22:23], s[6:7]
	v_lshl_add_u64 v[12:13], s[40:41], 1, v[6:7]
	s_lshl_b64 s[40:41], s[42:43], 1
	s_delay_alu instid0(SALU_CYCLE_1)
	s_add_nc_u64 s[40:41], s[16:17], s[40:41]
	s_wait_dscnt 0x0
	v_lshl_add_u64 v[14:15], v[4:5], 1, s[40:41]
	v_lshl_add_u64 v[12:13], s[10:11], 1, v[12:13]
	global_load_u16 v19, v[12:13], off
	global_load_u16 v20, v[14:15], off
	s_wait_loadcnt 0x0
	s_wait_xcnt 0x1
	v_dual_lshlrev_b32 v12, 16, v19 :: v_dual_lshlrev_b32 v13, 16, v20
	s_delay_alu instid0(VALU_DEP_1) | instskip(NEXT) | instid1(VALU_DEP_1)
	v_mul_f32_e32 v12, v13, v12
	v_and_b32_e32 v13, 0x7f800000, v12
	s_delay_alu instid0(VALU_DEP_1) | instskip(SKIP_2) | instid1(SALU_CYCLE_1)
	v_cmp_ne_u32_e32 vcc_lo, 0x7f800000, v13
                                        ; implicit-def: $vgpr13
	s_wait_xcnt 0x0
	s_and_saveexec_b32 s40, vcc_lo
	s_xor_b32 s40, exec_lo, s40
; %bb.52:                               ;   in Loop: Header=BB565_4 Depth=1
	v_bfe_u32 v13, v12, 16, 1
	s_delay_alu instid0(VALU_DEP_1)
	v_add3_u32 v13, v12, v13, 0x7fff
                                        ; implicit-def: $vgpr12
; %bb.53:                               ;   in Loop: Header=BB565_4 Depth=1
	s_and_not1_saveexec_b32 s40, s40
; %bb.54:                               ;   in Loop: Header=BB565_4 Depth=1
	v_and_b32_e32 v13, 0xffff, v12
	v_or_b32_e32 v14, 0x10000, v12
	s_delay_alu instid0(VALU_DEP_2) | instskip(NEXT) | instid1(VALU_DEP_2)
	v_cmp_eq_u32_e32 vcc_lo, 0, v13
	v_cndmask_b32_e32 v13, v14, v12, vcc_lo
; %bb.55:                               ;   in Loop: Header=BB565_4 Depth=1
	s_or_b32 exec_lo, exec_lo, s40
	s_delay_alu instid0(VALU_DEP_1) | instskip(NEXT) | instid1(VALU_DEP_1)
	v_and_b32_e32 v12, 0xffff0000, v13
	v_add_f32_e32 v18, v18, v12
	s_or_b32 exec_lo, exec_lo, s29
	s_and_saveexec_b32 s29, s3
	s_cbranch_execnz .LBB565_18
	s_branch .LBB565_19
.LBB565_56:                             ;   in Loop: Header=BB565_4 Depth=1
	s_mov_b32 s41, 0
	s_mov_b32 s28, exec_lo
	s_or_b32 exec_lo, exec_lo, s40
	s_delay_alu instid0(SALU_CYCLE_1)
	s_and_b32 vcc_lo, exec_lo, s29
	s_cbranch_vccnz .LBB565_15
.LBB565_57:                             ;   in Loop: Header=BB565_4 Depth=1
	v_mov_b32_e32 v12, s41
	s_and_saveexec_b32 s29, s28
	s_cbranch_execz .LBB565_2
.LBB565_58:                             ;   in Loop: Header=BB565_4 Depth=1
	s_add_nc_u64 s[26:27], s[26:27], s[24:25]
	global_store_b16 v3, v12, s[26:27]
	s_branch .LBB565_2
.LBB565_59:
	s_endpgm
	.section	.rodata,"a",@progbits
	.p2align	6, 0x0
	.amdhsa_kernel _ZL32rocblas_gemvt_warp_reduce_kernelILb0ELi256El16rocblas_bfloat16fS0_EviiT3_lPKT2_lT1_lS4_lS5_lS1_lPT4_lS5_li
		.amdhsa_group_segment_fixed_size 128
		.amdhsa_private_segment_fixed_size 0
		.amdhsa_kernarg_size 140
		.amdhsa_user_sgpr_count 2
		.amdhsa_user_sgpr_dispatch_ptr 0
		.amdhsa_user_sgpr_queue_ptr 0
		.amdhsa_user_sgpr_kernarg_segment_ptr 1
		.amdhsa_user_sgpr_dispatch_id 0
		.amdhsa_user_sgpr_kernarg_preload_length 0
		.amdhsa_user_sgpr_kernarg_preload_offset 0
		.amdhsa_user_sgpr_private_segment_size 0
		.amdhsa_wavefront_size32 1
		.amdhsa_uses_dynamic_stack 0
		.amdhsa_enable_private_segment 0
		.amdhsa_system_sgpr_workgroup_id_x 1
		.amdhsa_system_sgpr_workgroup_id_y 0
		.amdhsa_system_sgpr_workgroup_id_z 1
		.amdhsa_system_sgpr_workgroup_info 0
		.amdhsa_system_vgpr_workitem_id 0
		.amdhsa_next_free_vgpr 23
		.amdhsa_next_free_sgpr 44
		.amdhsa_named_barrier_count 0
		.amdhsa_reserve_vcc 1
		.amdhsa_float_round_mode_32 0
		.amdhsa_float_round_mode_16_64 0
		.amdhsa_float_denorm_mode_32 3
		.amdhsa_float_denorm_mode_16_64 3
		.amdhsa_fp16_overflow 0
		.amdhsa_memory_ordered 1
		.amdhsa_forward_progress 1
		.amdhsa_inst_pref_size 16
		.amdhsa_round_robin_scheduling 0
		.amdhsa_exception_fp_ieee_invalid_op 0
		.amdhsa_exception_fp_denorm_src 0
		.amdhsa_exception_fp_ieee_div_zero 0
		.amdhsa_exception_fp_ieee_overflow 0
		.amdhsa_exception_fp_ieee_underflow 0
		.amdhsa_exception_fp_ieee_inexact 0
		.amdhsa_exception_int_div_zero 0
	.end_amdhsa_kernel
	.section	.text._ZL32rocblas_gemvt_warp_reduce_kernelILb0ELi256El16rocblas_bfloat16fS0_EviiT3_lPKT2_lT1_lS4_lS5_lS1_lPT4_lS5_li,"axG",@progbits,_ZL32rocblas_gemvt_warp_reduce_kernelILb0ELi256El16rocblas_bfloat16fS0_EviiT3_lPKT2_lT1_lS4_lS5_lS1_lPT4_lS5_li,comdat
.Lfunc_end565:
	.size	_ZL32rocblas_gemvt_warp_reduce_kernelILb0ELi256El16rocblas_bfloat16fS0_EviiT3_lPKT2_lT1_lS4_lS5_lS1_lPT4_lS5_li, .Lfunc_end565-_ZL32rocblas_gemvt_warp_reduce_kernelILb0ELi256El16rocblas_bfloat16fS0_EviiT3_lPKT2_lT1_lS4_lS5_lS1_lPT4_lS5_li
                                        ; -- End function
	.set _ZL32rocblas_gemvt_warp_reduce_kernelILb0ELi256El16rocblas_bfloat16fS0_EviiT3_lPKT2_lT1_lS4_lS5_lS1_lPT4_lS5_li.num_vgpr, 23
	.set _ZL32rocblas_gemvt_warp_reduce_kernelILb0ELi256El16rocblas_bfloat16fS0_EviiT3_lPKT2_lT1_lS4_lS5_lS1_lPT4_lS5_li.num_agpr, 0
	.set _ZL32rocblas_gemvt_warp_reduce_kernelILb0ELi256El16rocblas_bfloat16fS0_EviiT3_lPKT2_lT1_lS4_lS5_lS1_lPT4_lS5_li.numbered_sgpr, 44
	.set _ZL32rocblas_gemvt_warp_reduce_kernelILb0ELi256El16rocblas_bfloat16fS0_EviiT3_lPKT2_lT1_lS4_lS5_lS1_lPT4_lS5_li.num_named_barrier, 0
	.set _ZL32rocblas_gemvt_warp_reduce_kernelILb0ELi256El16rocblas_bfloat16fS0_EviiT3_lPKT2_lT1_lS4_lS5_lS1_lPT4_lS5_li.private_seg_size, 0
	.set _ZL32rocblas_gemvt_warp_reduce_kernelILb0ELi256El16rocblas_bfloat16fS0_EviiT3_lPKT2_lT1_lS4_lS5_lS1_lPT4_lS5_li.uses_vcc, 1
	.set _ZL32rocblas_gemvt_warp_reduce_kernelILb0ELi256El16rocblas_bfloat16fS0_EviiT3_lPKT2_lT1_lS4_lS5_lS1_lPT4_lS5_li.uses_flat_scratch, 0
	.set _ZL32rocblas_gemvt_warp_reduce_kernelILb0ELi256El16rocblas_bfloat16fS0_EviiT3_lPKT2_lT1_lS4_lS5_lS1_lPT4_lS5_li.has_dyn_sized_stack, 0
	.set _ZL32rocblas_gemvt_warp_reduce_kernelILb0ELi256El16rocblas_bfloat16fS0_EviiT3_lPKT2_lT1_lS4_lS5_lS1_lPT4_lS5_li.has_recursion, 0
	.set _ZL32rocblas_gemvt_warp_reduce_kernelILb0ELi256El16rocblas_bfloat16fS0_EviiT3_lPKT2_lT1_lS4_lS5_lS1_lPT4_lS5_li.has_indirect_call, 0
	.section	.AMDGPU.csdata,"",@progbits
; Kernel info:
; codeLenInByte = 2032
; TotalNumSgprs: 46
; NumVgprs: 23
; ScratchSize: 0
; MemoryBound: 0
; FloatMode: 240
; IeeeMode: 1
; LDSByteSize: 128 bytes/workgroup (compile time only)
; SGPRBlocks: 0
; VGPRBlocks: 1
; NumSGPRsForWavesPerEU: 46
; NumVGPRsForWavesPerEU: 23
; NamedBarCnt: 0
; Occupancy: 16
; WaveLimiterHint : 0
; COMPUTE_PGM_RSRC2:SCRATCH_EN: 0
; COMPUTE_PGM_RSRC2:USER_SGPR: 2
; COMPUTE_PGM_RSRC2:TRAP_HANDLER: 0
; COMPUTE_PGM_RSRC2:TGID_X_EN: 1
; COMPUTE_PGM_RSRC2:TGID_Y_EN: 0
; COMPUTE_PGM_RSRC2:TGID_Z_EN: 1
; COMPUTE_PGM_RSRC2:TIDIG_COMP_CNT: 0
	.section	.text._ZL20rocblas_gemvt_kernelILb0ELi256E16rocblas_bfloat16PKfS0_EviiT2_lPKT1_lilS6_lilS3_lPT3_lili,"axG",@progbits,_ZL20rocblas_gemvt_kernelILb0ELi256E16rocblas_bfloat16PKfS0_EviiT2_lPKT1_lilS6_lilS3_lPT3_lili,comdat
	.globl	_ZL20rocblas_gemvt_kernelILb0ELi256E16rocblas_bfloat16PKfS0_EviiT2_lPKT1_lilS6_lilS3_lPT3_lili ; -- Begin function _ZL20rocblas_gemvt_kernelILb0ELi256E16rocblas_bfloat16PKfS0_EviiT2_lPKT1_lilS6_lilS3_lPT3_lili
	.p2align	8
	.type	_ZL20rocblas_gemvt_kernelILb0ELi256E16rocblas_bfloat16PKfS0_EviiT2_lPKT1_lilS6_lilS3_lPT3_lili,@function
_ZL20rocblas_gemvt_kernelILb0ELi256E16rocblas_bfloat16PKfS0_EviiT2_lPKT1_lilS6_lilS3_lPT3_lili: ; @_ZL20rocblas_gemvt_kernelILb0ELi256E16rocblas_bfloat16PKfS0_EviiT2_lPKT1_lilS6_lilS3_lPT3_lili
; %bb.0:
	s_load_b32 s33, s[0:1], 0x88
	s_bfe_u32 s2, ttmp6, 0x40014
	s_lshr_b32 s3, ttmp7, 16
	s_add_co_i32 s2, s2, 1
	s_bfe_u32 s4, ttmp6, 0x40008
	s_mul_i32 s2, s3, s2
	s_getreg_b32 s7, hwreg(HW_REG_IB_STS2, 6, 4)
	s_add_co_i32 s4, s4, s2
	s_cmp_eq_u32 s7, 0
	s_mov_b32 s35, 0
	s_cselect_b32 s34, s3, s4
	s_wait_kmcnt 0x0
	s_cmp_ge_u32 s34, s33
	s_cbranch_scc1 .LBB566_65
; %bb.1:
	s_clause 0x4
	s_load_b32 s2, s[0:1], 0x28
	s_load_b96 s[4:6], s[0:1], 0x40
	s_load_b96 s[8:10], s[0:1], 0x70
	s_load_b256 s[12:19], s[0:1], 0x8
	s_load_b32 s46, s[0:1], 0x0
	s_bfe_u32 s3, ttmp6, 0x4000c
	s_and_b32 s11, ttmp6, 15
	s_add_co_i32 s3, s3, 1
	s_load_b128 s[28:31], s[0:1], 0x30
	s_mul_i32 s3, ttmp9, s3
	s_load_b64 s[36:37], s[0:1], 0x80
	s_add_co_i32 s11, s11, s3
	s_load_b256 s[20:27], s[0:1], 0x50
	v_lshlrev_b32_e32 v14, 2, v0
	s_wait_kmcnt 0x0
	s_ashr_i32 s3, s2, 31
	s_ashr_i32 s39, s6, 31
	;; [unrolled: 1-line block ×3, first 2 shown]
	s_lshl_b64 s[4:5], s[4:5], 1
	s_lshl_b64 s[8:9], s[8:9], 1
	;; [unrolled: 1-line block ×3, first 2 shown]
	s_cmp_eq_u32 s7, 0
	s_mov_b32 s38, s6
	s_cselect_b32 s44, ttmp9, s11
	s_ashr_i32 s7, s46, 31
	v_cmp_gt_i32_e32 vcc_lo, s46, v0
	s_lshr_b32 s0, s7, 24
	s_ashr_i32 s45, s44, 31
	s_add_co_i32 s0, s46, s0
	s_mul_u64 s[2:3], s[2:3], s[44:45]
	s_and_b32 s18, s0, 0xffffff00
	s_delay_alu instid0(SALU_CYCLE_1) | instskip(SKIP_3) | instid1(VALU_DEP_1)
	v_dual_mov_b32 v3, 0 :: v_dual_bitop2_b32 v8, s18, v0 bitop3:0x54
	s_add_nc_u64 s[0:1], s[16:17], s[42:43]
	s_add_nc_u64 s[26:27], s[26:27], s[8:9]
	s_lshl_b64 s[8:9], s[2:3], 1
	v_dual_mov_b32 v1, v3 :: v_dual_ashrrev_i32 v9, 31, v8
	s_mov_b32 s40, s10
	s_add_nc_u64 s[10:11], s[30:31], s[4:5]
	s_add_nc_u64 s[30:31], s[8:9], s[42:43]
	s_delay_alu instid0(VALU_DEP_1)
	v_mul_u64_e32 v[10:11], s[38:39], v[0:1]
	v_mul_u64_e32 v[4:5], s[38:39], v[8:9]
	v_cndmask_b32_e32 v1, 0, v0, vcc_lo
	s_add_nc_u64 s[16:17], s[16:17], s[30:31]
	v_cmp_gt_u32_e64 s2, 0x80, v0
	v_cmp_gt_u32_e64 s3, 64, v0
	;; [unrolled: 1-line block ×3, first 2 shown]
	v_lshlrev_b32_e32 v2, 1, v1
	v_cmp_gt_u32_e64 s5, 16, v0
	v_cmp_gt_u32_e64 s6, 8, v0
	;; [unrolled: 1-line block ×3, first 2 shown]
	s_mul_u64 s[40:41], s[40:41], s[44:45]
	v_add_nc_u64_e32 v[6:7], s[0:1], v[2:3]
	v_cmp_gt_i32_e64 s1, s46, v8
	v_add_nc_u64_e32 v[8:9], s[16:17], v[2:3]
	v_cmp_eq_u32_e64 s0, 0, v0
	s_cmp_gt_i32 s46, 0xff
	s_cselect_b32 s44, -1, 0
	v_add_nc_u64_e32 v[6:7], s[8:9], v[6:7]
	v_cmp_gt_u32_e64 s8, 2, v0
	s_ashr_i32 s19, s18, 31
	s_lshl_b64 s[16:17], s[20:21], 1
	s_lshl_b64 s[30:31], s[38:39], 9
	;; [unrolled: 1-line block ×4, first 2 shown]
	v_lshl_add_u64 v[0:1], v[10:11], 1, s[10:11]
	s_branch .LBB566_4
.LBB566_2:                              ;   in Loop: Header=BB566_4 Depth=1
	s_wait_xcnt 0x0
	s_or_b32 exec_lo, exec_lo, s45
.LBB566_3:                              ;   in Loop: Header=BB566_4 Depth=1
	s_add_co_i32 s34, s34, 0x10000
	s_delay_alu instid0(SALU_CYCLE_1)
	s_cmp_lt_u32 s34, s33
	s_cbranch_scc0 .LBB566_65
.LBB566_4:                              ; =>This Loop Header: Depth=1
                                        ;     Child Loop BB566_19 Depth 2
	s_mul_u64 s[42:43], s[14:15], s[34:35]
	s_mul_u64 s[46:47], s[24:25], s[34:35]
	s_lshl_b64 s[42:43], s[42:43], 2
	s_lshl_b64 s[46:47], s[46:47], 2
	s_add_nc_u64 s[42:43], s[12:13], s[42:43]
	s_add_nc_u64 s[46:47], s[22:23], s[46:47]
	s_clause 0x1
	global_load_b32 v2, v3, s[42:43]
	global_load_b32 v10, v3, s[46:47]
	s_wait_loadcnt 0x1
	v_cmp_eq_f32_e32 vcc_lo, 0, v2
	s_wait_loadcnt 0x0
	v_cmp_eq_f32_e64 s9, 1.0, v10
	s_wait_xcnt 0x0
	v_readfirstlane_b32 s46, v2
	v_readfirstlane_b32 s45, v10
	s_and_b32 s9, vcc_lo, s9
	s_delay_alu instid0(SALU_CYCLE_1)
	s_and_b32 vcc_lo, exec_lo, s9
	s_cbranch_vccnz .LBB566_3
; %bb.5:                                ;   in Loop: Header=BB566_4 Depth=1
	s_mul_u64 s[42:43], s[36:37], s[34:35]
	s_delay_alu instid0(SALU_CYCLE_1)
	s_lshl_b64 s[42:43], s[42:43], 1
	s_cmp_neq_f32 s46, 0
	s_add_nc_u64 s[42:43], s[26:27], s[42:43]
	s_cbranch_scc1 .LBB566_13
; %bb.6:                                ;   in Loop: Header=BB566_4 Depth=1
	s_mov_b32 s47, 0
	s_mov_b32 s9, 0
                                        ; implicit-def: $sgpr48
	s_and_saveexec_b32 s49, s0
	s_cbranch_execz .LBB566_14
; %bb.7:                                ;   in Loop: Header=BB566_4 Depth=1
	s_cmp_eq_f32 s45, 0
	s_cbranch_scc1 .LBB566_15
; %bb.8:                                ;   in Loop: Header=BB566_4 Depth=1
	s_add_nc_u64 s[50:51], s[42:43], s[40:41]
	global_load_u16 v2, v3, s[50:51]
	s_wait_xcnt 0x0
	s_mov_b32 s50, -1
	s_wait_loadcnt 0x0
	v_readfirstlane_b32 s9, v2
	s_lshl_b32 s9, s9, 16
	s_delay_alu instid0(SALU_CYCLE_1) | instskip(NEXT) | instid1(SALU_CYCLE_3)
	s_mul_f32 s9, s45, s9
	s_and_b32 s48, s9, 0x7f800000
	s_delay_alu instid0(SALU_CYCLE_1)
	s_cmp_eq_u32 s48, 0x7f800000
                                        ; implicit-def: $sgpr48
	s_cbranch_scc1 .LBB566_10
; %bb.9:                                ;   in Loop: Header=BB566_4 Depth=1
	s_bfe_u32 s48, s9, 0x10010
	s_mov_b32 s50, 0
	s_add_co_i32 s48, s9, s48
	s_delay_alu instid0(SALU_CYCLE_1)
	s_addk_co_i32 s48, 0x7fff
.LBB566_10:                             ;   in Loop: Header=BB566_4 Depth=1
	s_and_not1_b32 vcc_lo, exec_lo, s50
	s_cbranch_vccnz .LBB566_12
; %bb.11:                               ;   in Loop: Header=BB566_4 Depth=1
	s_and_b32 s48, s9, 0xffff
	s_or_b32 s50, s9, 0x10000
	s_cmp_eq_u32 s48, 0
	s_cselect_b32 s48, s9, s50
.LBB566_12:                             ;   in Loop: Header=BB566_4 Depth=1
	s_delay_alu instid0(SALU_CYCLE_1) | instskip(SKIP_2) | instid1(SALU_CYCLE_1)
	s_lshr_b32 s48, s48, 16
	s_mov_b32 s9, exec_lo
	s_or_b32 exec_lo, exec_lo, s49
	s_and_b32 vcc_lo, exec_lo, s47
	s_cbranch_vccnz .LBB566_16
	s_branch .LBB566_63
.LBB566_13:                             ;   in Loop: Header=BB566_4 Depth=1
	s_mov_b32 s9, 0
                                        ; implicit-def: $sgpr48
	s_cbranch_execnz .LBB566_16
	s_branch .LBB566_63
.LBB566_14:                             ;   in Loop: Header=BB566_4 Depth=1
	s_or_b32 exec_lo, exec_lo, s49
	s_delay_alu instid0(SALU_CYCLE_1)
	s_and_b32 vcc_lo, exec_lo, s47
	s_cbranch_vccnz .LBB566_16
	s_branch .LBB566_63
.LBB566_15:                             ;   in Loop: Header=BB566_4 Depth=1
	s_mov_b32 s48, 0
	s_mov_b32 s9, exec_lo
	s_or_b32 exec_lo, exec_lo, s49
	s_delay_alu instid0(SALU_CYCLE_1)
	s_and_b32 vcc_lo, exec_lo, s47
	s_cbranch_vccz .LBB566_63
.LBB566_16:                             ;   in Loop: Header=BB566_4 Depth=1
	v_mov_b32_e32 v2, 0
	s_and_not1_b32 vcc_lo, exec_lo, s44
	s_cbranch_vccnz .LBB566_23
; %bb.17:                               ;   in Loop: Header=BB566_4 Depth=1
	v_mad_nc_u64_u32 v[10:11], s16, s34, v[0:1]
	v_mad_nc_u64_u32 v[12:13], s38, s34, v[8:9]
	v_mov_b32_e32 v2, 0
	s_mov_b32 s47, 0
	s_delay_alu instid0(VALU_DEP_3) | instskip(NEXT) | instid1(VALU_DEP_3)
	v_mad_u32 v11, s17, s34, v11
	v_mad_u32 v13, s39, s34, v13
	s_branch .LBB566_19
.LBB566_18:                             ;   in Loop: Header=BB566_19 Depth=2
	s_or_b32 exec_lo, exec_lo, s48
	s_delay_alu instid0(VALU_DEP_1) | instskip(SKIP_3) | instid1(SALU_CYCLE_1)
	v_and_b32_e32 v15, 0xffff0000, v16
	v_add_nc_u64_e32 v[10:11], s[30:31], v[10:11]
	v_add_nc_u64_e32 v[12:13], 0x200, v[12:13]
	s_addk_co_i32 s47, 0x100
	s_cmp_ge_i32 s47, s18
	v_add_f32_e32 v2, v2, v15
	s_cbranch_scc1 .LBB566_23
.LBB566_19:                             ;   Parent Loop BB566_4 Depth=1
                                        ; =>  This Inner Loop Header: Depth=2
	global_load_u16 v15, v[12:13], off
	global_load_u16 v16, v[10:11], off
	s_wait_loadcnt 0x0
	v_dual_lshlrev_b32 v15, 16, v15 :: v_dual_lshlrev_b32 v16, 16, v16
	s_delay_alu instid0(VALU_DEP_1) | instskip(NEXT) | instid1(VALU_DEP_1)
	v_mul_f32_e32 v15, v16, v15
	v_and_b32_e32 v16, 0x7f800000, v15
	s_delay_alu instid0(VALU_DEP_1) | instskip(SKIP_2) | instid1(SALU_CYCLE_1)
	v_cmp_ne_u32_e32 vcc_lo, 0x7f800000, v16
                                        ; implicit-def: $vgpr16
	s_wait_xcnt 0x0
	s_and_saveexec_b32 s48, vcc_lo
	s_xor_b32 s48, exec_lo, s48
; %bb.20:                               ;   in Loop: Header=BB566_19 Depth=2
	v_bfe_u32 v16, v15, 16, 1
	s_delay_alu instid0(VALU_DEP_1)
	v_add3_u32 v16, v15, v16, 0x7fff
                                        ; implicit-def: $vgpr15
; %bb.21:                               ;   in Loop: Header=BB566_19 Depth=2
	s_and_not1_saveexec_b32 s48, s48
	s_cbranch_execz .LBB566_18
; %bb.22:                               ;   in Loop: Header=BB566_19 Depth=2
	v_and_b32_e32 v16, 0xffff, v15
	v_or_b32_e32 v17, 0x10000, v15
	s_delay_alu instid0(VALU_DEP_2) | instskip(NEXT) | instid1(VALU_DEP_2)
	v_cmp_eq_u32_e32 vcc_lo, 0, v16
	v_cndmask_b32_e32 v16, v17, v15, vcc_lo
	s_branch .LBB566_18
.LBB566_23:                             ;   in Loop: Header=BB566_4 Depth=1
	s_and_saveexec_b32 s47, s1
	s_cbranch_execz .LBB566_29
; %bb.24:                               ;   in Loop: Header=BB566_4 Depth=1
	s_mul_u64 s[48:49], s[28:29], s[34:35]
	s_mul_u64 s[50:51], s[20:21], s[34:35]
	v_lshl_add_u64 v[10:11], s[48:49], 1, v[6:7]
	s_lshl_b64 s[48:49], s[50:51], 1
	s_delay_alu instid0(SALU_CYCLE_1) | instskip(NEXT) | instid1(SALU_CYCLE_1)
	s_add_nc_u64 s[48:49], s[10:11], s[48:49]
	v_lshl_add_u64 v[12:13], v[4:5], 1, s[48:49]
	s_delay_alu instid0(VALU_DEP_2)
	v_lshl_add_u64 v[10:11], s[18:19], 1, v[10:11]
	global_load_u16 v15, v[10:11], off
	global_load_u16 v16, v[12:13], off
	s_wait_loadcnt 0x0
	s_wait_xcnt 0x1
	v_dual_lshlrev_b32 v10, 16, v15 :: v_dual_lshlrev_b32 v11, 16, v16
	s_delay_alu instid0(VALU_DEP_1) | instskip(NEXT) | instid1(VALU_DEP_1)
	v_mul_f32_e32 v10, v11, v10
	v_and_b32_e32 v11, 0x7f800000, v10
	s_delay_alu instid0(VALU_DEP_1) | instskip(SKIP_2) | instid1(SALU_CYCLE_1)
	v_cmp_ne_u32_e32 vcc_lo, 0x7f800000, v11
                                        ; implicit-def: $vgpr11
	s_wait_xcnt 0x0
	s_and_saveexec_b32 s48, vcc_lo
	s_xor_b32 s48, exec_lo, s48
; %bb.25:                               ;   in Loop: Header=BB566_4 Depth=1
	v_bfe_u32 v11, v10, 16, 1
	s_delay_alu instid0(VALU_DEP_1)
	v_add3_u32 v11, v10, v11, 0x7fff
                                        ; implicit-def: $vgpr10
; %bb.26:                               ;   in Loop: Header=BB566_4 Depth=1
	s_and_not1_saveexec_b32 s48, s48
; %bb.27:                               ;   in Loop: Header=BB566_4 Depth=1
	v_and_b32_e32 v11, 0xffff, v10
	v_or_b32_e32 v12, 0x10000, v10
	s_delay_alu instid0(VALU_DEP_2) | instskip(NEXT) | instid1(VALU_DEP_2)
	v_cmp_eq_u32_e32 vcc_lo, 0, v11
	v_cndmask_b32_e32 v11, v12, v10, vcc_lo
; %bb.28:                               ;   in Loop: Header=BB566_4 Depth=1
	s_or_b32 exec_lo, exec_lo, s48
	s_delay_alu instid0(VALU_DEP_1) | instskip(NEXT) | instid1(VALU_DEP_1)
	v_and_b32_e32 v10, 0xffff0000, v11
	v_add_f32_e32 v2, v2, v10
.LBB566_29:                             ;   in Loop: Header=BB566_4 Depth=1
	s_or_b32 exec_lo, exec_lo, s47
	ds_store_b32 v14, v2
	s_wait_dscnt 0x0
	s_barrier_signal -1
	s_barrier_wait -1
	s_and_saveexec_b32 s47, s2
	s_cbranch_execz .LBB566_31
; %bb.30:                               ;   in Loop: Header=BB566_4 Depth=1
	ds_load_2addr_stride64_b32 v[10:11], v14 offset1:2
	s_wait_dscnt 0x0
	v_add_f32_e32 v2, v11, v10
	ds_store_b32 v14, v2
.LBB566_31:                             ;   in Loop: Header=BB566_4 Depth=1
	s_or_b32 exec_lo, exec_lo, s47
	s_wait_dscnt 0x0
	s_barrier_signal -1
	s_barrier_wait -1
	s_and_saveexec_b32 s47, s3
	s_cbranch_execz .LBB566_33
; %bb.32:                               ;   in Loop: Header=BB566_4 Depth=1
	ds_load_2addr_stride64_b32 v[10:11], v14 offset1:1
	s_wait_dscnt 0x0
	v_add_f32_e32 v2, v11, v10
	ds_store_b32 v14, v2
.LBB566_33:                             ;   in Loop: Header=BB566_4 Depth=1
	s_or_b32 exec_lo, exec_lo, s47
	s_wait_dscnt 0x0
	s_barrier_signal -1
	s_barrier_wait -1
	s_and_saveexec_b32 s47, s4
	s_cbranch_execz .LBB566_35
; %bb.34:                               ;   in Loop: Header=BB566_4 Depth=1
	ds_load_2addr_b32 v[10:11], v14 offset1:32
	s_wait_dscnt 0x0
	v_add_f32_e32 v2, v11, v10
	ds_store_b32 v14, v2
.LBB566_35:                             ;   in Loop: Header=BB566_4 Depth=1
	s_or_b32 exec_lo, exec_lo, s47
	s_wait_dscnt 0x0
	s_barrier_signal -1
	s_barrier_wait -1
	s_and_saveexec_b32 s47, s5
	s_cbranch_execz .LBB566_37
; %bb.36:                               ;   in Loop: Header=BB566_4 Depth=1
	ds_load_2addr_b32 v[10:11], v14 offset1:16
	s_wait_dscnt 0x0
	v_add_f32_e32 v2, v11, v10
	ds_store_b32 v14, v2
.LBB566_37:                             ;   in Loop: Header=BB566_4 Depth=1
	;; [unrolled: 12-line block ×5, first 2 shown]
	s_or_b32 exec_lo, exec_lo, s47
	s_wait_dscnt 0x0
	s_barrier_signal -1
	s_barrier_wait -1
	s_and_saveexec_b32 s47, s0
	s_cbranch_execz .LBB566_45
; %bb.44:                               ;   in Loop: Header=BB566_4 Depth=1
	ds_load_b64 v[10:11], v3
	s_wait_dscnt 0x0
	v_add_f32_e32 v2, v11, v10
	ds_store_b32 v3, v2
.LBB566_45:                             ;   in Loop: Header=BB566_4 Depth=1
	s_or_b32 exec_lo, exec_lo, s47
	s_wait_dscnt 0x0
	s_barrier_signal -1
	s_barrier_wait -1
                                        ; implicit-def: $sgpr48
	s_and_saveexec_b32 s47, s0
	s_cbranch_execz .LBB566_62
; %bb.46:                               ;   in Loop: Header=BB566_4 Depth=1
	ds_load_b32 v2, v3
	s_cmp_eq_f32 s45, 0
	s_wait_dscnt 0x0
	v_readfirstlane_b32 s48, v2
	s_mul_f32 s46, s46, s48
	s_cbranch_scc0 .LBB566_52
; %bb.47:                               ;   in Loop: Header=BB566_4 Depth=1
	s_delay_alu instid0(SALU_CYCLE_2)
	s_and_b32 s48, s46, 0x7f800000
	s_mov_b32 s49, -1
	s_cmp_eq_u32 s48, 0x7f800000
                                        ; implicit-def: $sgpr48
	s_cbranch_scc1 .LBB566_49
; %bb.48:                               ;   in Loop: Header=BB566_4 Depth=1
	s_bfe_u32 s48, s46, 0x10010
	s_mov_b32 s49, 0
	s_add_co_i32 s48, s46, s48
	s_delay_alu instid0(SALU_CYCLE_1)
	s_addk_co_i32 s48, 0x7fff
.LBB566_49:                             ;   in Loop: Header=BB566_4 Depth=1
	s_and_not1_b32 vcc_lo, exec_lo, s49
	s_cbranch_vccnz .LBB566_51
; %bb.50:                               ;   in Loop: Header=BB566_4 Depth=1
	s_and_b32 s48, s46, 0xffff
	s_or_b32 s49, s46, 0x10000
	s_cmp_eq_u32 s48, 0
	s_cselect_b32 s48, s46, s49
.LBB566_51:                             ;   in Loop: Header=BB566_4 Depth=1
	s_cbranch_execz .LBB566_53
	s_branch .LBB566_61
.LBB566_52:                             ;   in Loop: Header=BB566_4 Depth=1
                                        ; implicit-def: $sgpr48
.LBB566_53:                             ;   in Loop: Header=BB566_4 Depth=1
	s_add_nc_u64 s[48:49], s[42:43], s[40:41]
	global_load_u16 v2, v3, s[48:49]
	s_wait_xcnt 0x0
	s_mov_b32 s49, -1
	s_wait_loadcnt 0x0
	v_readfirstlane_b32 s48, v2
	s_lshl_b32 s48, s48, 16
	s_delay_alu instid0(SALU_CYCLE_1) | instskip(NEXT) | instid1(SALU_CYCLE_3)
	s_mul_f32 s45, s45, s48
	s_and_b32 s48, s45, 0x7f800000
	s_delay_alu instid0(SALU_CYCLE_1)
	s_cmp_eq_u32 s48, 0x7f800000
                                        ; implicit-def: $sgpr48
	s_cbranch_scc1 .LBB566_55
; %bb.54:                               ;   in Loop: Header=BB566_4 Depth=1
	s_bfe_u32 s48, s45, 0x10010
	s_mov_b32 s49, 0
	s_add_co_i32 s48, s45, s48
	s_delay_alu instid0(SALU_CYCLE_1)
	s_addk_co_i32 s48, 0x7fff
.LBB566_55:                             ;   in Loop: Header=BB566_4 Depth=1
	s_and_not1_b32 vcc_lo, exec_lo, s49
	s_cbranch_vccnz .LBB566_57
; %bb.56:                               ;   in Loop: Header=BB566_4 Depth=1
	s_and_b32 s48, s45, 0xffff
	s_or_b32 s49, s45, 0x10000
	s_cmp_eq_u32 s48, 0
	s_cselect_b32 s48, s45, s49
.LBB566_57:                             ;   in Loop: Header=BB566_4 Depth=1
	s_delay_alu instid0(SALU_CYCLE_1) | instskip(NEXT) | instid1(SALU_CYCLE_1)
	s_and_b32 s45, s48, 0xffff0000
                                        ; implicit-def: $sgpr48
	s_add_f32 s45, s46, s45
	s_delay_alu instid0(SALU_CYCLE_3) | instskip(NEXT) | instid1(SALU_CYCLE_1)
	s_and_b32 s46, s45, 0x7f800000
	s_cmp_eq_u32 s46, 0x7f800000
	s_mov_b32 s46, -1
	s_cbranch_scc1 .LBB566_59
; %bb.58:                               ;   in Loop: Header=BB566_4 Depth=1
	s_bfe_u32 s46, s45, 0x10010
	s_delay_alu instid0(SALU_CYCLE_1) | instskip(NEXT) | instid1(SALU_CYCLE_1)
	s_add_co_i32 s46, s45, s46
	s_add_co_i32 s48, s46, 0x7fff
	s_mov_b32 s46, 0
.LBB566_59:                             ;   in Loop: Header=BB566_4 Depth=1
	s_delay_alu instid0(SALU_CYCLE_1)
	s_and_not1_b32 vcc_lo, exec_lo, s46
	s_cbranch_vccnz .LBB566_61
; %bb.60:                               ;   in Loop: Header=BB566_4 Depth=1
	s_and_b32 s46, s45, 0xffff
	s_or_b32 s48, s45, 0x10000
	s_cmp_eq_u32 s46, 0
	s_cselect_b32 s48, s45, s48
.LBB566_61:                             ;   in Loop: Header=BB566_4 Depth=1
	s_delay_alu instid0(SALU_CYCLE_1)
	s_lshr_b32 s48, s48, 16
	s_or_b32 s9, s9, exec_lo
.LBB566_62:                             ;   in Loop: Header=BB566_4 Depth=1
	s_or_b32 exec_lo, exec_lo, s47
.LBB566_63:                             ;   in Loop: Header=BB566_4 Depth=1
	s_and_saveexec_b32 s45, s9
	s_cbranch_execz .LBB566_2
; %bb.64:                               ;   in Loop: Header=BB566_4 Depth=1
	v_mov_b32_e32 v2, s48
	s_add_nc_u64 s[42:43], s[42:43], s[40:41]
	global_store_b16 v3, v2, s[42:43]
	s_branch .LBB566_2
.LBB566_65:
	s_endpgm
	.section	.rodata,"a",@progbits
	.p2align	6, 0x0
	.amdhsa_kernel _ZL20rocblas_gemvt_kernelILb0ELi256E16rocblas_bfloat16PKfS0_EviiT2_lPKT1_lilS6_lilS3_lPT3_lili
		.amdhsa_group_segment_fixed_size 1024
		.amdhsa_private_segment_fixed_size 0
		.amdhsa_kernarg_size 140
		.amdhsa_user_sgpr_count 2
		.amdhsa_user_sgpr_dispatch_ptr 0
		.amdhsa_user_sgpr_queue_ptr 0
		.amdhsa_user_sgpr_kernarg_segment_ptr 1
		.amdhsa_user_sgpr_dispatch_id 0
		.amdhsa_user_sgpr_kernarg_preload_length 0
		.amdhsa_user_sgpr_kernarg_preload_offset 0
		.amdhsa_user_sgpr_private_segment_size 0
		.amdhsa_wavefront_size32 1
		.amdhsa_uses_dynamic_stack 0
		.amdhsa_enable_private_segment 0
		.amdhsa_system_sgpr_workgroup_id_x 1
		.amdhsa_system_sgpr_workgroup_id_y 0
		.amdhsa_system_sgpr_workgroup_id_z 1
		.amdhsa_system_sgpr_workgroup_info 0
		.amdhsa_system_vgpr_workitem_id 0
		.amdhsa_next_free_vgpr 18
		.amdhsa_next_free_sgpr 52
		.amdhsa_named_barrier_count 0
		.amdhsa_reserve_vcc 1
		.amdhsa_float_round_mode_32 0
		.amdhsa_float_round_mode_16_64 0
		.amdhsa_float_denorm_mode_32 3
		.amdhsa_float_denorm_mode_16_64 3
		.amdhsa_fp16_overflow 0
		.amdhsa_memory_ordered 1
		.amdhsa_forward_progress 1
		.amdhsa_inst_pref_size 17
		.amdhsa_round_robin_scheduling 0
		.amdhsa_exception_fp_ieee_invalid_op 0
		.amdhsa_exception_fp_denorm_src 0
		.amdhsa_exception_fp_ieee_div_zero 0
		.amdhsa_exception_fp_ieee_overflow 0
		.amdhsa_exception_fp_ieee_underflow 0
		.amdhsa_exception_fp_ieee_inexact 0
		.amdhsa_exception_int_div_zero 0
	.end_amdhsa_kernel
	.section	.text._ZL20rocblas_gemvt_kernelILb0ELi256E16rocblas_bfloat16PKfS0_EviiT2_lPKT1_lilS6_lilS3_lPT3_lili,"axG",@progbits,_ZL20rocblas_gemvt_kernelILb0ELi256E16rocblas_bfloat16PKfS0_EviiT2_lPKT1_lilS6_lilS3_lPT3_lili,comdat
.Lfunc_end566:
	.size	_ZL20rocblas_gemvt_kernelILb0ELi256E16rocblas_bfloat16PKfS0_EviiT2_lPKT1_lilS6_lilS3_lPT3_lili, .Lfunc_end566-_ZL20rocblas_gemvt_kernelILb0ELi256E16rocblas_bfloat16PKfS0_EviiT2_lPKT1_lilS6_lilS3_lPT3_lili
                                        ; -- End function
	.set _ZL20rocblas_gemvt_kernelILb0ELi256E16rocblas_bfloat16PKfS0_EviiT2_lPKT1_lilS6_lilS3_lPT3_lili.num_vgpr, 18
	.set _ZL20rocblas_gemvt_kernelILb0ELi256E16rocblas_bfloat16PKfS0_EviiT2_lPKT1_lilS6_lilS3_lPT3_lili.num_agpr, 0
	.set _ZL20rocblas_gemvt_kernelILb0ELi256E16rocblas_bfloat16PKfS0_EviiT2_lPKT1_lilS6_lilS3_lPT3_lili.numbered_sgpr, 52
	.set _ZL20rocblas_gemvt_kernelILb0ELi256E16rocblas_bfloat16PKfS0_EviiT2_lPKT1_lilS6_lilS3_lPT3_lili.num_named_barrier, 0
	.set _ZL20rocblas_gemvt_kernelILb0ELi256E16rocblas_bfloat16PKfS0_EviiT2_lPKT1_lilS6_lilS3_lPT3_lili.private_seg_size, 0
	.set _ZL20rocblas_gemvt_kernelILb0ELi256E16rocblas_bfloat16PKfS0_EviiT2_lPKT1_lilS6_lilS3_lPT3_lili.uses_vcc, 1
	.set _ZL20rocblas_gemvt_kernelILb0ELi256E16rocblas_bfloat16PKfS0_EviiT2_lPKT1_lilS6_lilS3_lPT3_lili.uses_flat_scratch, 0
	.set _ZL20rocblas_gemvt_kernelILb0ELi256E16rocblas_bfloat16PKfS0_EviiT2_lPKT1_lilS6_lilS3_lPT3_lili.has_dyn_sized_stack, 0
	.set _ZL20rocblas_gemvt_kernelILb0ELi256E16rocblas_bfloat16PKfS0_EviiT2_lPKT1_lilS6_lilS3_lPT3_lili.has_recursion, 0
	.set _ZL20rocblas_gemvt_kernelILb0ELi256E16rocblas_bfloat16PKfS0_EviiT2_lPKT1_lilS6_lilS3_lPT3_lili.has_indirect_call, 0
	.section	.AMDGPU.csdata,"",@progbits
; Kernel info:
; codeLenInByte = 2116
; TotalNumSgprs: 54
; NumVgprs: 18
; ScratchSize: 0
; MemoryBound: 0
; FloatMode: 240
; IeeeMode: 1
; LDSByteSize: 1024 bytes/workgroup (compile time only)
; SGPRBlocks: 0
; VGPRBlocks: 1
; NumSGPRsForWavesPerEU: 54
; NumVGPRsForWavesPerEU: 18
; NamedBarCnt: 0
; Occupancy: 16
; WaveLimiterHint : 0
; COMPUTE_PGM_RSRC2:SCRATCH_EN: 0
; COMPUTE_PGM_RSRC2:USER_SGPR: 2
; COMPUTE_PGM_RSRC2:TRAP_HANDLER: 0
; COMPUTE_PGM_RSRC2:TGID_X_EN: 1
; COMPUTE_PGM_RSRC2:TGID_Y_EN: 0
; COMPUTE_PGM_RSRC2:TGID_Z_EN: 1
; COMPUTE_PGM_RSRC2:TIDIG_COMP_CNT: 0
	.section	.text._ZL20rocblas_gemvt_kernelILb0ELi256E16rocblas_bfloat16fS0_EviiT2_lPKT1_lilS4_lilS1_lPT3_lili,"axG",@progbits,_ZL20rocblas_gemvt_kernelILb0ELi256E16rocblas_bfloat16fS0_EviiT2_lPKT1_lilS4_lilS1_lPT3_lili,comdat
	.globl	_ZL20rocblas_gemvt_kernelILb0ELi256E16rocblas_bfloat16fS0_EviiT2_lPKT1_lilS4_lilS1_lPT3_lili ; -- Begin function _ZL20rocblas_gemvt_kernelILb0ELi256E16rocblas_bfloat16fS0_EviiT2_lPKT1_lilS4_lilS1_lPT3_lili
	.p2align	8
	.type	_ZL20rocblas_gemvt_kernelILb0ELi256E16rocblas_bfloat16fS0_EviiT2_lPKT1_lilS4_lilS1_lPT3_lili,@function
_ZL20rocblas_gemvt_kernelILb0ELi256E16rocblas_bfloat16fS0_EviiT2_lPKT1_lilS4_lilS1_lPT3_lili: ; @_ZL20rocblas_gemvt_kernelILb0ELi256E16rocblas_bfloat16fS0_EviiT2_lPKT1_lilS4_lilS1_lPT3_lili
; %bb.0:
	s_load_b32 s23, s[0:1], 0x88
	s_bfe_u32 s2, ttmp6, 0x40014
	s_lshr_b32 s3, ttmp7, 16
	s_add_co_i32 s2, s2, 1
	s_bfe_u32 s4, ttmp6, 0x40008
	s_mul_i32 s2, s3, s2
	s_getreg_b32 s11, hwreg(HW_REG_IB_STS2, 6, 4)
	s_add_co_i32 s4, s4, s2
	s_cmp_eq_u32 s11, 0
	s_mov_b32 s25, 0
	s_cselect_b32 s24, s3, s4
	s_wait_kmcnt 0x0
	s_cmp_ge_u32 s24, s23
	s_cbranch_scc1 .LBB567_65
; %bb.1:
	s_clause 0x8
	s_load_b32 s2, s[0:1], 0x28
	s_load_b96 s[8:10], s[0:1], 0x40
	s_load_b32 s34, s[0:1], 0x78
	s_load_b128 s[4:7], s[0:1], 0x68
	s_load_b128 s[16:19], s[0:1], 0x18
	s_load_b32 s33, s[0:1], 0x8
	s_load_b96 s[20:22], s[0:1], 0x50
	s_load_b64 s[26:27], s[0:1], 0x80
	s_load_b32 s44, s[0:1], 0x0
	v_lshlrev_b32_e32 v14, 2, v0
	s_wait_kmcnt 0x0
	s_ashr_i32 s3, s2, 31
	s_ashr_i32 s29, s10, 31
	;; [unrolled: 1-line block ×3, first 2 shown]
	s_lshl_b64 s[36:37], s[8:9], 1
	s_lshl_b64 s[6:7], s[6:7], 1
	;; [unrolled: 1-line block ×3, first 2 shown]
	s_cmp_eq_f32 s33, 0
	s_mov_b32 s28, s10
	s_cselect_b32 s9, -1, 0
	s_cmp_neq_f32 s33, 0
	s_cselect_b32 s8, -1, 0
	s_cmp_neq_f32 s22, 1.0
	s_cselect_b32 s12, -1, 0
	s_delay_alu instid0(SALU_CYCLE_1)
	s_or_b32 s38, s8, s12
	s_cmp_neq_f32 s22, 0
	s_load_b128 s[12:15], s[0:1], 0x30
	v_cmp_gt_i32_e32 vcc_lo, s44, v0
	v_mov_b32_e32 v3, 0
	s_cselect_b32 s39, -1, 0
	s_cmp_eq_f32 s22, 0
	s_cselect_b32 s40, -1, 0
	s_bfe_u32 s8, ttmp6, 0x4000c
	s_and_b32 s18, ttmp6, 15
	s_add_co_i32 s8, s8, 1
	s_delay_alu instid0(SALU_CYCLE_1) | instskip(NEXT) | instid1(SALU_CYCLE_1)
	s_mul_i32 s8, ttmp9, s8
	s_add_co_i32 s18, s18, s8
	s_cmp_eq_u32 s11, 0
	v_cmp_gt_u32_e64 s8, 2, v0
	s_cselect_b32 s42, ttmp9, s18
	s_wait_xcnt 0x0
	s_ashr_i32 s0, s44, 31
	s_ashr_i32 s43, s42, 31
	s_lshr_b32 s0, s0, 24
	s_mul_u64 s[2:3], s[2:3], s[42:43]
	s_add_co_i32 s0, s44, s0
	s_wait_kmcnt 0x0
	s_add_nc_u64 s[14:15], s[14:15], s[36:37]
	s_and_b32 s10, s0, 0xffffff00
	s_delay_alu instid0(SALU_CYCLE_1) | instskip(SKIP_3) | instid1(VALU_DEP_1)
	v_dual_mov_b32 v1, v3 :: v_dual_bitop2_b32 v10, s10, v0 bitop3:0x54
	s_add_nc_u64 s[0:1], s[16:17], s[30:31]
	s_lshl_b64 s[36:37], s[2:3], 1
	s_add_nc_u64 s[18:19], s[4:5], s[6:7]
	v_mul_u64_e32 v[8:9], s[28:29], v[0:1]
	v_dual_cndmask_b32 v1, 0, v0, vcc_lo :: v_dual_ashrrev_i32 v11, 31, v10
	s_add_nc_u64 s[30:31], s[36:37], s[30:31]
	v_cmp_gt_u32_e64 s2, 0x80, v0
	s_add_nc_u64 s[30:31], s[16:17], s[30:31]
	v_lshlrev_b32_e32 v2, 1, v1
	v_mul_u64_e32 v[4:5], s[28:29], v[10:11]
	v_cmp_gt_u32_e64 s3, 64, v0
	v_cmp_gt_u32_e64 s4, 32, v0
	;; [unrolled: 1-line block ×3, first 2 shown]
	v_add_nc_u64_e32 v[6:7], s[0:1], v[2:3]
	v_cmp_eq_u32_e64 s0, 0, v0
	v_cmp_gt_u32_e64 s6, 8, v0
	v_cmp_gt_u32_e64 s7, 4, v0
	v_cmp_gt_i32_e64 s1, s44, v10
	s_mul_u64 s[34:35], s[34:35], s[42:43]
	s_cmp_gt_i32 s44, 0xff
	v_add_nc_u64_e32 v[6:7], s[36:37], v[6:7]
	s_cselect_b32 s41, -1, 0
	s_ashr_i32 s11, s10, 31
	s_lshl_b64 s[16:17], s[20:21], 1
	s_lshl_b64 s[28:29], s[28:29], 9
	;; [unrolled: 1-line block ×3, first 2 shown]
	v_lshl_add_u64 v[0:1], v[8:9], 1, s[14:15]
	v_add_nc_u64_e32 v[8:9], s[30:31], v[2:3]
	s_lshl_b64 s[30:31], s[12:13], 1
	s_branch .LBB567_4
.LBB567_2:                              ;   in Loop: Header=BB567_4 Depth=1
	s_wait_xcnt 0x0
	s_or_b32 exec_lo, exec_lo, s43
.LBB567_3:                              ;   in Loop: Header=BB567_4 Depth=1
	s_add_co_i32 s24, s24, 0x10000
	s_delay_alu instid0(SALU_CYCLE_1)
	s_cmp_lt_u32 s24, s23
	s_cbranch_scc0 .LBB567_65
.LBB567_4:                              ; =>This Loop Header: Depth=1
                                        ;     Child Loop BB567_19 Depth 2
	s_and_not1_b32 vcc_lo, exec_lo, s38
	s_cbranch_vccnz .LBB567_3
; %bb.5:                                ;   in Loop: Header=BB567_4 Depth=1
	s_mul_u64 s[36:37], s[26:27], s[24:25]
	s_and_not1_b32 vcc_lo, exec_lo, s9
	s_lshl_b64 s[36:37], s[36:37], 1
	s_delay_alu instid0(SALU_CYCLE_1)
	s_add_nc_u64 s[36:37], s[18:19], s[36:37]
	s_cbranch_vccnz .LBB567_13
; %bb.6:                                ;   in Loop: Header=BB567_4 Depth=1
	s_mov_b32 s43, 0
	s_mov_b32 s42, 0
                                        ; implicit-def: $sgpr44
	s_and_saveexec_b32 s45, s0
	s_cbranch_execz .LBB567_14
; %bb.7:                                ;   in Loop: Header=BB567_4 Depth=1
	s_and_not1_b32 vcc_lo, exec_lo, s39
	s_cbranch_vccnz .LBB567_15
; %bb.8:                                ;   in Loop: Header=BB567_4 Depth=1
	s_add_nc_u64 s[46:47], s[36:37], s[34:35]
	global_load_u16 v2, v3, s[46:47]
	s_wait_xcnt 0x0
	s_mov_b32 s46, -1
	s_wait_loadcnt 0x0
	v_readfirstlane_b32 s42, v2
	s_lshl_b32 s42, s42, 16
	s_delay_alu instid0(SALU_CYCLE_1) | instskip(NEXT) | instid1(SALU_CYCLE_3)
	s_mul_f32 s42, s22, s42
	s_and_b32 s44, s42, 0x7f800000
	s_delay_alu instid0(SALU_CYCLE_1)
	s_cmp_eq_u32 s44, 0x7f800000
                                        ; implicit-def: $sgpr44
	s_cbranch_scc1 .LBB567_10
; %bb.9:                                ;   in Loop: Header=BB567_4 Depth=1
	s_bfe_u32 s44, s42, 0x10010
	s_mov_b32 s46, 0
	s_add_co_i32 s44, s42, s44
	s_delay_alu instid0(SALU_CYCLE_1)
	s_addk_co_i32 s44, 0x7fff
.LBB567_10:                             ;   in Loop: Header=BB567_4 Depth=1
	s_and_not1_b32 vcc_lo, exec_lo, s46
	s_cbranch_vccnz .LBB567_12
; %bb.11:                               ;   in Loop: Header=BB567_4 Depth=1
	s_and_b32 s44, s42, 0xffff
	s_or_b32 s46, s42, 0x10000
	s_cmp_eq_u32 s44, 0
	s_cselect_b32 s44, s42, s46
.LBB567_12:                             ;   in Loop: Header=BB567_4 Depth=1
	s_delay_alu instid0(SALU_CYCLE_1) | instskip(SKIP_2) | instid1(SALU_CYCLE_1)
	s_lshr_b32 s44, s44, 16
	s_mov_b32 s42, exec_lo
	s_or_b32 exec_lo, exec_lo, s45
	s_and_b32 vcc_lo, exec_lo, s43
	s_cbranch_vccnz .LBB567_16
	s_branch .LBB567_63
.LBB567_13:                             ;   in Loop: Header=BB567_4 Depth=1
	s_mov_b32 s42, 0
                                        ; implicit-def: $sgpr44
	s_cbranch_execnz .LBB567_16
	s_branch .LBB567_63
.LBB567_14:                             ;   in Loop: Header=BB567_4 Depth=1
	s_or_b32 exec_lo, exec_lo, s45
	s_delay_alu instid0(SALU_CYCLE_1)
	s_and_b32 vcc_lo, exec_lo, s43
	s_cbranch_vccnz .LBB567_16
	s_branch .LBB567_63
.LBB567_15:                             ;   in Loop: Header=BB567_4 Depth=1
	s_mov_b32 s44, 0
	s_mov_b32 s42, exec_lo
	s_or_b32 exec_lo, exec_lo, s45
	s_delay_alu instid0(SALU_CYCLE_1)
	s_and_b32 vcc_lo, exec_lo, s43
	s_cbranch_vccz .LBB567_63
.LBB567_16:                             ;   in Loop: Header=BB567_4 Depth=1
	v_mov_b32_e32 v2, 0
	s_and_not1_b32 vcc_lo, exec_lo, s41
	s_cbranch_vccnz .LBB567_23
; %bb.17:                               ;   in Loop: Header=BB567_4 Depth=1
	v_mad_nc_u64_u32 v[10:11], s16, s24, v[0:1]
	v_mad_nc_u64_u32 v[12:13], s30, s24, v[8:9]
	v_mov_b32_e32 v2, 0
	s_mov_b32 s43, 0
	s_delay_alu instid0(VALU_DEP_3) | instskip(NEXT) | instid1(VALU_DEP_3)
	v_mad_u32 v11, s17, s24, v11
	v_mad_u32 v13, s31, s24, v13
	s_branch .LBB567_19
.LBB567_18:                             ;   in Loop: Header=BB567_19 Depth=2
	s_or_b32 exec_lo, exec_lo, s44
	s_delay_alu instid0(VALU_DEP_1) | instskip(SKIP_3) | instid1(SALU_CYCLE_1)
	v_and_b32_e32 v15, 0xffff0000, v16
	v_add_nc_u64_e32 v[10:11], s[28:29], v[10:11]
	v_add_nc_u64_e32 v[12:13], 0x200, v[12:13]
	s_addk_co_i32 s43, 0x100
	s_cmp_ge_i32 s43, s10
	v_add_f32_e32 v2, v2, v15
	s_cbranch_scc1 .LBB567_23
.LBB567_19:                             ;   Parent Loop BB567_4 Depth=1
                                        ; =>  This Inner Loop Header: Depth=2
	global_load_u16 v15, v[12:13], off
	global_load_u16 v16, v[10:11], off
	s_wait_loadcnt 0x0
	v_dual_lshlrev_b32 v15, 16, v15 :: v_dual_lshlrev_b32 v16, 16, v16
	s_delay_alu instid0(VALU_DEP_1) | instskip(NEXT) | instid1(VALU_DEP_1)
	v_mul_f32_e32 v15, v16, v15
	v_and_b32_e32 v16, 0x7f800000, v15
	s_delay_alu instid0(VALU_DEP_1) | instskip(SKIP_2) | instid1(SALU_CYCLE_1)
	v_cmp_ne_u32_e32 vcc_lo, 0x7f800000, v16
                                        ; implicit-def: $vgpr16
	s_wait_xcnt 0x0
	s_and_saveexec_b32 s44, vcc_lo
	s_xor_b32 s44, exec_lo, s44
; %bb.20:                               ;   in Loop: Header=BB567_19 Depth=2
	v_bfe_u32 v16, v15, 16, 1
	s_delay_alu instid0(VALU_DEP_1)
	v_add3_u32 v16, v15, v16, 0x7fff
                                        ; implicit-def: $vgpr15
; %bb.21:                               ;   in Loop: Header=BB567_19 Depth=2
	s_and_not1_saveexec_b32 s44, s44
	s_cbranch_execz .LBB567_18
; %bb.22:                               ;   in Loop: Header=BB567_19 Depth=2
	v_and_b32_e32 v16, 0xffff, v15
	v_or_b32_e32 v17, 0x10000, v15
	s_delay_alu instid0(VALU_DEP_2) | instskip(NEXT) | instid1(VALU_DEP_2)
	v_cmp_eq_u32_e32 vcc_lo, 0, v16
	v_cndmask_b32_e32 v16, v17, v15, vcc_lo
	s_branch .LBB567_18
.LBB567_23:                             ;   in Loop: Header=BB567_4 Depth=1
	s_and_saveexec_b32 s43, s1
	s_cbranch_execz .LBB567_29
; %bb.24:                               ;   in Loop: Header=BB567_4 Depth=1
	s_mul_u64 s[44:45], s[12:13], s[24:25]
	s_mul_u64 s[46:47], s[20:21], s[24:25]
	v_lshl_add_u64 v[10:11], s[44:45], 1, v[6:7]
	s_lshl_b64 s[44:45], s[46:47], 1
	s_delay_alu instid0(SALU_CYCLE_1) | instskip(NEXT) | instid1(SALU_CYCLE_1)
	s_add_nc_u64 s[44:45], s[14:15], s[44:45]
	v_lshl_add_u64 v[12:13], v[4:5], 1, s[44:45]
	s_delay_alu instid0(VALU_DEP_2)
	v_lshl_add_u64 v[10:11], s[10:11], 1, v[10:11]
	global_load_u16 v15, v[10:11], off
	global_load_u16 v16, v[12:13], off
	s_wait_loadcnt 0x0
	s_wait_xcnt 0x1
	v_dual_lshlrev_b32 v10, 16, v15 :: v_dual_lshlrev_b32 v11, 16, v16
	s_delay_alu instid0(VALU_DEP_1) | instskip(NEXT) | instid1(VALU_DEP_1)
	v_mul_f32_e32 v10, v11, v10
	v_and_b32_e32 v11, 0x7f800000, v10
	s_delay_alu instid0(VALU_DEP_1) | instskip(SKIP_2) | instid1(SALU_CYCLE_1)
	v_cmp_ne_u32_e32 vcc_lo, 0x7f800000, v11
                                        ; implicit-def: $vgpr11
	s_wait_xcnt 0x0
	s_and_saveexec_b32 s44, vcc_lo
	s_xor_b32 s44, exec_lo, s44
; %bb.25:                               ;   in Loop: Header=BB567_4 Depth=1
	v_bfe_u32 v11, v10, 16, 1
	s_delay_alu instid0(VALU_DEP_1)
	v_add3_u32 v11, v10, v11, 0x7fff
                                        ; implicit-def: $vgpr10
; %bb.26:                               ;   in Loop: Header=BB567_4 Depth=1
	s_and_not1_saveexec_b32 s44, s44
; %bb.27:                               ;   in Loop: Header=BB567_4 Depth=1
	v_and_b32_e32 v11, 0xffff, v10
	v_or_b32_e32 v12, 0x10000, v10
	s_delay_alu instid0(VALU_DEP_2) | instskip(NEXT) | instid1(VALU_DEP_2)
	v_cmp_eq_u32_e32 vcc_lo, 0, v11
	v_cndmask_b32_e32 v11, v12, v10, vcc_lo
; %bb.28:                               ;   in Loop: Header=BB567_4 Depth=1
	s_or_b32 exec_lo, exec_lo, s44
	s_delay_alu instid0(VALU_DEP_1) | instskip(NEXT) | instid1(VALU_DEP_1)
	v_and_b32_e32 v10, 0xffff0000, v11
	v_add_f32_e32 v2, v2, v10
.LBB567_29:                             ;   in Loop: Header=BB567_4 Depth=1
	s_or_b32 exec_lo, exec_lo, s43
	ds_store_b32 v14, v2
	s_wait_dscnt 0x0
	s_barrier_signal -1
	s_barrier_wait -1
	s_and_saveexec_b32 s43, s2
	s_cbranch_execz .LBB567_31
; %bb.30:                               ;   in Loop: Header=BB567_4 Depth=1
	ds_load_2addr_stride64_b32 v[10:11], v14 offset1:2
	s_wait_dscnt 0x0
	v_add_f32_e32 v2, v11, v10
	ds_store_b32 v14, v2
.LBB567_31:                             ;   in Loop: Header=BB567_4 Depth=1
	s_or_b32 exec_lo, exec_lo, s43
	s_wait_dscnt 0x0
	s_barrier_signal -1
	s_barrier_wait -1
	s_and_saveexec_b32 s43, s3
	s_cbranch_execz .LBB567_33
; %bb.32:                               ;   in Loop: Header=BB567_4 Depth=1
	ds_load_2addr_stride64_b32 v[10:11], v14 offset1:1
	s_wait_dscnt 0x0
	v_add_f32_e32 v2, v11, v10
	ds_store_b32 v14, v2
.LBB567_33:                             ;   in Loop: Header=BB567_4 Depth=1
	s_or_b32 exec_lo, exec_lo, s43
	s_wait_dscnt 0x0
	s_barrier_signal -1
	s_barrier_wait -1
	s_and_saveexec_b32 s43, s4
	s_cbranch_execz .LBB567_35
; %bb.34:                               ;   in Loop: Header=BB567_4 Depth=1
	ds_load_2addr_b32 v[10:11], v14 offset1:32
	s_wait_dscnt 0x0
	v_add_f32_e32 v2, v11, v10
	ds_store_b32 v14, v2
.LBB567_35:                             ;   in Loop: Header=BB567_4 Depth=1
	s_or_b32 exec_lo, exec_lo, s43
	s_wait_dscnt 0x0
	s_barrier_signal -1
	s_barrier_wait -1
	s_and_saveexec_b32 s43, s5
	s_cbranch_execz .LBB567_37
; %bb.36:                               ;   in Loop: Header=BB567_4 Depth=1
	ds_load_2addr_b32 v[10:11], v14 offset1:16
	s_wait_dscnt 0x0
	v_add_f32_e32 v2, v11, v10
	ds_store_b32 v14, v2
.LBB567_37:                             ;   in Loop: Header=BB567_4 Depth=1
	;; [unrolled: 12-line block ×5, first 2 shown]
	s_or_b32 exec_lo, exec_lo, s43
	s_wait_dscnt 0x0
	s_barrier_signal -1
	s_barrier_wait -1
	s_and_saveexec_b32 s43, s0
	s_cbranch_execz .LBB567_45
; %bb.44:                               ;   in Loop: Header=BB567_4 Depth=1
	ds_load_b64 v[10:11], v3
	s_wait_dscnt 0x0
	v_add_f32_e32 v2, v11, v10
	ds_store_b32 v3, v2
.LBB567_45:                             ;   in Loop: Header=BB567_4 Depth=1
	s_or_b32 exec_lo, exec_lo, s43
	s_wait_dscnt 0x0
	s_barrier_signal -1
	s_barrier_wait -1
                                        ; implicit-def: $sgpr44
	s_and_saveexec_b32 s43, s0
	s_cbranch_execz .LBB567_62
; %bb.46:                               ;   in Loop: Header=BB567_4 Depth=1
	ds_load_b32 v2, v3
	s_and_b32 vcc_lo, exec_lo, s40
	s_mov_b32 s46, -1
                                        ; implicit-def: $sgpr45
	s_wait_dscnt 0x0
	v_readfirstlane_b32 s44, v2
	s_mul_f32 s44, s33, s44
	s_cbranch_vccz .LBB567_52
; %bb.47:                               ;   in Loop: Header=BB567_4 Depth=1
	s_delay_alu instid0(SALU_CYCLE_2) | instskip(NEXT) | instid1(SALU_CYCLE_1)
	s_and_b32 s45, s44, 0x7f800000
	s_cmp_eq_u32 s45, 0x7f800000
                                        ; implicit-def: $sgpr45
	s_cbranch_scc1 .LBB567_49
; %bb.48:                               ;   in Loop: Header=BB567_4 Depth=1
	s_bfe_u32 s45, s44, 0x10010
	s_mov_b32 s46, 0
	s_add_co_i32 s45, s44, s45
	s_delay_alu instid0(SALU_CYCLE_1)
	s_addk_co_i32 s45, 0x7fff
.LBB567_49:                             ;   in Loop: Header=BB567_4 Depth=1
	s_and_not1_b32 vcc_lo, exec_lo, s46
	s_cbranch_vccnz .LBB567_51
; %bb.50:                               ;   in Loop: Header=BB567_4 Depth=1
	s_and_b32 s45, s44, 0xffff
	s_or_b32 s46, s44, 0x10000
	s_cmp_eq_u32 s45, 0
	s_cselect_b32 s45, s44, s46
.LBB567_51:                             ;   in Loop: Header=BB567_4 Depth=1
	s_mov_b32 s46, 0
.LBB567_52:                             ;   in Loop: Header=BB567_4 Depth=1
	s_delay_alu instid0(SALU_CYCLE_1)
	s_and_not1_b32 vcc_lo, exec_lo, s46
	s_cbranch_vccnz .LBB567_61
; %bb.53:                               ;   in Loop: Header=BB567_4 Depth=1
	s_add_nc_u64 s[46:47], s[36:37], s[34:35]
	global_load_u16 v2, v3, s[46:47]
	s_wait_xcnt 0x0
	s_mov_b32 s47, -1
	s_wait_loadcnt 0x0
	v_readfirstlane_b32 s45, v2
	s_lshl_b32 s45, s45, 16
	s_delay_alu instid0(SALU_CYCLE_1) | instskip(NEXT) | instid1(SALU_CYCLE_3)
	s_mul_f32 s45, s22, s45
	s_and_b32 s46, s45, 0x7f800000
	s_delay_alu instid0(SALU_CYCLE_1)
	s_cmp_eq_u32 s46, 0x7f800000
                                        ; implicit-def: $sgpr46
	s_cbranch_scc1 .LBB567_55
; %bb.54:                               ;   in Loop: Header=BB567_4 Depth=1
	s_bfe_u32 s46, s45, 0x10010
	s_mov_b32 s47, 0
	s_add_co_i32 s46, s45, s46
	s_delay_alu instid0(SALU_CYCLE_1)
	s_addk_co_i32 s46, 0x7fff
.LBB567_55:                             ;   in Loop: Header=BB567_4 Depth=1
	s_and_not1_b32 vcc_lo, exec_lo, s47
	s_cbranch_vccnz .LBB567_57
; %bb.56:                               ;   in Loop: Header=BB567_4 Depth=1
	s_and_b32 s46, s45, 0xffff
	s_or_b32 s47, s45, 0x10000
	s_cmp_eq_u32 s46, 0
	s_cselect_b32 s46, s45, s47
.LBB567_57:                             ;   in Loop: Header=BB567_4 Depth=1
	s_delay_alu instid0(SALU_CYCLE_1) | instskip(SKIP_2) | instid1(SALU_CYCLE_3)
	s_and_b32 s45, s46, 0xffff0000
	s_mov_b32 s46, -1
	s_add_f32 s44, s44, s45
	s_and_b32 s45, s44, 0x7f800000
	s_delay_alu instid0(SALU_CYCLE_1)
	s_cmp_eq_u32 s45, 0x7f800000
                                        ; implicit-def: $sgpr45
	s_cbranch_scc1 .LBB567_59
; %bb.58:                               ;   in Loop: Header=BB567_4 Depth=1
	s_bfe_u32 s45, s44, 0x10010
	s_mov_b32 s46, 0
	s_add_co_i32 s45, s44, s45
	s_delay_alu instid0(SALU_CYCLE_1)
	s_addk_co_i32 s45, 0x7fff
.LBB567_59:                             ;   in Loop: Header=BB567_4 Depth=1
	s_and_not1_b32 vcc_lo, exec_lo, s46
	s_cbranch_vccnz .LBB567_61
; %bb.60:                               ;   in Loop: Header=BB567_4 Depth=1
	s_and_b32 s45, s44, 0xffff
	s_or_b32 s46, s44, 0x10000
	s_cmp_eq_u32 s45, 0
	s_cselect_b32 s45, s44, s46
.LBB567_61:                             ;   in Loop: Header=BB567_4 Depth=1
	s_delay_alu instid0(SALU_CYCLE_1)
	s_lshr_b32 s44, s45, 16
	s_or_b32 s42, s42, exec_lo
.LBB567_62:                             ;   in Loop: Header=BB567_4 Depth=1
	s_or_b32 exec_lo, exec_lo, s43
.LBB567_63:                             ;   in Loop: Header=BB567_4 Depth=1
	s_and_saveexec_b32 s43, s42
	s_cbranch_execz .LBB567_2
; %bb.64:                               ;   in Loop: Header=BB567_4 Depth=1
	v_mov_b32_e32 v2, s44
	s_add_nc_u64 s[36:37], s[36:37], s[34:35]
	global_store_b16 v3, v2, s[36:37]
	s_branch .LBB567_2
.LBB567_65:
	s_endpgm
	.section	.rodata,"a",@progbits
	.p2align	6, 0x0
	.amdhsa_kernel _ZL20rocblas_gemvt_kernelILb0ELi256E16rocblas_bfloat16fS0_EviiT2_lPKT1_lilS4_lilS1_lPT3_lili
		.amdhsa_group_segment_fixed_size 1024
		.amdhsa_private_segment_fixed_size 0
		.amdhsa_kernarg_size 140
		.amdhsa_user_sgpr_count 2
		.amdhsa_user_sgpr_dispatch_ptr 0
		.amdhsa_user_sgpr_queue_ptr 0
		.amdhsa_user_sgpr_kernarg_segment_ptr 1
		.amdhsa_user_sgpr_dispatch_id 0
		.amdhsa_user_sgpr_kernarg_preload_length 0
		.amdhsa_user_sgpr_kernarg_preload_offset 0
		.amdhsa_user_sgpr_private_segment_size 0
		.amdhsa_wavefront_size32 1
		.amdhsa_uses_dynamic_stack 0
		.amdhsa_enable_private_segment 0
		.amdhsa_system_sgpr_workgroup_id_x 1
		.amdhsa_system_sgpr_workgroup_id_y 0
		.amdhsa_system_sgpr_workgroup_id_z 1
		.amdhsa_system_sgpr_workgroup_info 0
		.amdhsa_system_vgpr_workitem_id 0
		.amdhsa_next_free_vgpr 18
		.amdhsa_next_free_sgpr 48
		.amdhsa_named_barrier_count 0
		.amdhsa_reserve_vcc 1
		.amdhsa_float_round_mode_32 0
		.amdhsa_float_round_mode_16_64 0
		.amdhsa_float_denorm_mode_32 3
		.amdhsa_float_denorm_mode_16_64 3
		.amdhsa_fp16_overflow 0
		.amdhsa_memory_ordered 1
		.amdhsa_forward_progress 1
		.amdhsa_inst_pref_size 17
		.amdhsa_round_robin_scheduling 0
		.amdhsa_exception_fp_ieee_invalid_op 0
		.amdhsa_exception_fp_denorm_src 0
		.amdhsa_exception_fp_ieee_div_zero 0
		.amdhsa_exception_fp_ieee_overflow 0
		.amdhsa_exception_fp_ieee_underflow 0
		.amdhsa_exception_fp_ieee_inexact 0
		.amdhsa_exception_int_div_zero 0
	.end_amdhsa_kernel
	.section	.text._ZL20rocblas_gemvt_kernelILb0ELi256E16rocblas_bfloat16fS0_EviiT2_lPKT1_lilS4_lilS1_lPT3_lili,"axG",@progbits,_ZL20rocblas_gemvt_kernelILb0ELi256E16rocblas_bfloat16fS0_EviiT2_lPKT1_lilS4_lilS1_lPT3_lili,comdat
.Lfunc_end567:
	.size	_ZL20rocblas_gemvt_kernelILb0ELi256E16rocblas_bfloat16fS0_EviiT2_lPKT1_lilS4_lilS1_lPT3_lili, .Lfunc_end567-_ZL20rocblas_gemvt_kernelILb0ELi256E16rocblas_bfloat16fS0_EviiT2_lPKT1_lilS4_lilS1_lPT3_lili
                                        ; -- End function
	.set _ZL20rocblas_gemvt_kernelILb0ELi256E16rocblas_bfloat16fS0_EviiT2_lPKT1_lilS4_lilS1_lPT3_lili.num_vgpr, 18
	.set _ZL20rocblas_gemvt_kernelILb0ELi256E16rocblas_bfloat16fS0_EviiT2_lPKT1_lilS4_lilS1_lPT3_lili.num_agpr, 0
	.set _ZL20rocblas_gemvt_kernelILb0ELi256E16rocblas_bfloat16fS0_EviiT2_lPKT1_lilS4_lilS1_lPT3_lili.numbered_sgpr, 48
	.set _ZL20rocblas_gemvt_kernelILb0ELi256E16rocblas_bfloat16fS0_EviiT2_lPKT1_lilS4_lilS1_lPT3_lili.num_named_barrier, 0
	.set _ZL20rocblas_gemvt_kernelILb0ELi256E16rocblas_bfloat16fS0_EviiT2_lPKT1_lilS4_lilS1_lPT3_lili.private_seg_size, 0
	.set _ZL20rocblas_gemvt_kernelILb0ELi256E16rocblas_bfloat16fS0_EviiT2_lPKT1_lilS4_lilS1_lPT3_lili.uses_vcc, 1
	.set _ZL20rocblas_gemvt_kernelILb0ELi256E16rocblas_bfloat16fS0_EviiT2_lPKT1_lilS4_lilS1_lPT3_lili.uses_flat_scratch, 0
	.set _ZL20rocblas_gemvt_kernelILb0ELi256E16rocblas_bfloat16fS0_EviiT2_lPKT1_lilS4_lilS1_lPT3_lili.has_dyn_sized_stack, 0
	.set _ZL20rocblas_gemvt_kernelILb0ELi256E16rocblas_bfloat16fS0_EviiT2_lPKT1_lilS4_lilS1_lPT3_lili.has_recursion, 0
	.set _ZL20rocblas_gemvt_kernelILb0ELi256E16rocblas_bfloat16fS0_EviiT2_lPKT1_lilS4_lilS1_lPT3_lili.has_indirect_call, 0
	.section	.AMDGPU.csdata,"",@progbits
; Kernel info:
; codeLenInByte = 2092
; TotalNumSgprs: 50
; NumVgprs: 18
; ScratchSize: 0
; MemoryBound: 0
; FloatMode: 240
; IeeeMode: 1
; LDSByteSize: 1024 bytes/workgroup (compile time only)
; SGPRBlocks: 0
; VGPRBlocks: 1
; NumSGPRsForWavesPerEU: 50
; NumVGPRsForWavesPerEU: 18
; NamedBarCnt: 0
; Occupancy: 16
; WaveLimiterHint : 0
; COMPUTE_PGM_RSRC2:SCRATCH_EN: 0
; COMPUTE_PGM_RSRC2:USER_SGPR: 2
; COMPUTE_PGM_RSRC2:TRAP_HANDLER: 0
; COMPUTE_PGM_RSRC2:TGID_X_EN: 1
; COMPUTE_PGM_RSRC2:TGID_Y_EN: 0
; COMPUTE_PGM_RSRC2:TGID_Z_EN: 1
; COMPUTE_PGM_RSRC2:TIDIG_COMP_CNT: 0
	.section	.text._ZL32rocblas_gemvt_warp_reduce_kernelILb0ELi1024Ei16rocblas_bfloat16PKfS0_EviiT3_lPKT2_lT1_lS6_lS7_lS3_lPT4_lS7_li,"axG",@progbits,_ZL32rocblas_gemvt_warp_reduce_kernelILb0ELi1024Ei16rocblas_bfloat16PKfS0_EviiT3_lPKT2_lT1_lS6_lS7_lS3_lPT4_lS7_li,comdat
	.globl	_ZL32rocblas_gemvt_warp_reduce_kernelILb0ELi1024Ei16rocblas_bfloat16PKfS0_EviiT3_lPKT2_lT1_lS6_lS7_lS3_lPT4_lS7_li ; -- Begin function _ZL32rocblas_gemvt_warp_reduce_kernelILb0ELi1024Ei16rocblas_bfloat16PKfS0_EviiT3_lPKT2_lT1_lS6_lS7_lS3_lPT4_lS7_li
	.p2align	8
	.type	_ZL32rocblas_gemvt_warp_reduce_kernelILb0ELi1024Ei16rocblas_bfloat16PKfS0_EviiT3_lPKT2_lT1_lS6_lS7_lS3_lPT4_lS7_li,@function
_ZL32rocblas_gemvt_warp_reduce_kernelILb0ELi1024Ei16rocblas_bfloat16PKfS0_EviiT3_lPKT2_lT1_lS6_lS7_lS3_lPT4_lS7_li: ; @_ZL32rocblas_gemvt_warp_reduce_kernelILb0ELi1024Ei16rocblas_bfloat16PKfS0_EviiT3_lPKT2_lT1_lS6_lS7_lS3_lPT4_lS7_li
; %bb.0:
	s_load_b32 s33, s[0:1], 0x88
	s_bfe_u32 s2, ttmp6, 0x40014
	s_lshr_b32 s3, ttmp7, 16
	s_add_co_i32 s2, s2, 1
	s_bfe_u32 s5, ttmp6, 0x40008
	s_mul_i32 s4, s3, s2
	s_getreg_b32 s2, hwreg(HW_REG_IB_STS2, 6, 4)
	s_add_co_i32 s5, s5, s4
	s_cmp_eq_u32 s2, 0
	s_mov_b32 s35, 0
	s_cselect_b32 s34, s3, s5
	s_wait_kmcnt 0x0
	s_cmp_ge_u32 s34, s33
	s_cbranch_scc1 .LBB568_59
; %bb.1:
	s_clause 0x7
	s_load_b96 s[4:6], s[0:1], 0x40
	s_load_b96 s[28:30], s[0:1], 0x70
	s_load_b256 s[8:15], s[0:1], 0x8
	s_load_b32 s7, s[0:1], 0x0
	s_load_b32 s31, s[0:1], 0x28
	s_load_b128 s[24:27], s[0:1], 0x30
	s_load_b256 s[16:23], s[0:1], 0x50
	s_load_b64 s[36:37], s[0:1], 0x80
	s_wait_xcnt 0x0
	s_bfe_u32 s1, ttmp6, 0x4000c
	s_and_b32 s3, ttmp6, 15
	s_add_co_i32 s1, s1, 1
	v_dual_mov_b32 v3, 0 :: v_dual_bitop2_b32 v8, 31, v0 bitop3:0x40
	s_mul_i32 s1, ttmp9, s1
	v_mbcnt_lo_u32_b32 v13, -1, 0
	s_add_co_i32 s3, s3, s1
	v_cmp_eq_u32_e64 s0, 0, v0
	v_cmp_gt_u32_e64 s1, 32, v0
	s_delay_alu instid0(VALU_DEP_3)
	v_lshl_or_b32 v14, v13, 2, 64
	s_wait_kmcnt 0x0
	s_lshl_b64 s[4:5], s[4:5], 1
	s_lshl_b64 s[28:29], s[28:29], 1
	;; [unrolled: 1-line block ×3, first 2 shown]
	v_cmp_gt_i32_e32 vcc_lo, s7, v0
	s_cmp_eq_u32 s2, 0
	v_lshrrev_b32_e32 v10, 3, v0
	s_cselect_b32 s15, ttmp9, s3
	s_ashr_i32 s2, s7, 31
	v_cndmask_b32_e32 v2, 0, v0, vcc_lo
	s_lshr_b32 s2, s2, 22
	v_lshlrev_b32_e32 v1, 2, v8
	s_add_co_i32 s2, s7, s2
	s_add_nc_u64 s[26:27], s[26:27], s[4:5]
	s_and_b32 s14, s2, 0xfffffc00
	s_delay_alu instid0(SALU_CYCLE_1) | instskip(SKIP_3) | instid1(VALU_DEP_2)
	v_dual_lshlrev_b32 v2, 1, v2 :: v_dual_bitop2_b32 v5, s14, v0 bitop3:0x54
	s_add_nc_u64 s[2:3], s[12:13], s[38:39]
	s_mul_i32 s4, s31, s15
	v_mul_lo_u32 v12, v0, s6
	v_add_nc_u64_e32 v[6:7], s[2:3], v[2:3]
	v_mul_lo_u32 v4, s6, v5
	s_ashr_i32 s5, s4, 31
	s_add_nc_u64 s[22:23], s[22:23], s[28:29]
	s_lshl_b64 s[4:5], s[4:5], 1
	s_mul_i32 s28, s30, s15
	v_cmp_gt_i32_e64 s2, s14, v0
	v_add_nc_u64_e32 v[6:7], s[4:5], v[6:7]
	s_add_nc_u64 s[4:5], s[38:39], s[4:5]
	v_cmp_gt_i32_e64 s3, s7, v5
	s_add_nc_u64 s[12:13], s[12:13], s[4:5]
	v_cmp_eq_u32_e64 s4, 0, v8
	v_add_nc_u64_e32 v[8:9], s[12:13], v[2:3]
	v_ashrrev_i32_e32 v5, 31, v4
	v_and_b32_e32 v2, 0x7c, v10
	s_ashr_i32 s29, s28, 31
	s_ashr_i32 s15, s14, 31
	s_lshl_b32 s38, s6, 10
	s_lshl_b64 s[6:7], s[24:25], 1
	s_lshl_b64 s[12:13], s[28:29], 1
	s_branch .LBB568_4
.LBB568_2:                              ;   in Loop: Header=BB568_4 Depth=1
	s_wait_xcnt 0x0
	s_or_b32 exec_lo, exec_lo, s30
.LBB568_3:                              ;   in Loop: Header=BB568_4 Depth=1
	s_add_co_i32 s34, s34, 0x10000
	s_delay_alu instid0(SALU_CYCLE_1)
	s_cmp_lt_u32 s34, s33
	s_cbranch_scc0 .LBB568_59
.LBB568_4:                              ; =>This Loop Header: Depth=1
                                        ;     Child Loop BB568_26 Depth 2
	s_wait_xcnt 0x1
	s_mul_u64 s[28:29], s[10:11], s[34:35]
	s_wait_xcnt 0x0
	s_mul_u64 s[30:31], s[20:21], s[34:35]
	s_lshl_b64 s[28:29], s[28:29], 2
	s_lshl_b64 s[30:31], s[30:31], 2
	s_add_nc_u64 s[28:29], s[8:9], s[28:29]
	s_add_nc_u64 s[30:31], s[18:19], s[30:31]
	s_clause 0x1
	global_load_b32 v15, v3, s[28:29]
	global_load_b32 v10, v3, s[30:31]
	s_wait_loadcnt 0x1
	v_cmp_eq_f32_e32 vcc_lo, 0, v15
	s_wait_loadcnt 0x0
	v_cmp_eq_f32_e64 s5, 1.0, v10
	v_readfirstlane_b32 s39, v10
	s_and_b32 s5, vcc_lo, s5
	s_delay_alu instid0(SALU_CYCLE_1)
	s_and_b32 vcc_lo, exec_lo, s5
	s_cbranch_vccnz .LBB568_3
; %bb.5:                                ;   in Loop: Header=BB568_4 Depth=1
	v_cmp_neq_f32_e32 vcc_lo, 0, v15
	s_wait_xcnt 0x1
	s_mul_u64 s[28:29], s[36:37], s[34:35]
	s_delay_alu instid0(SALU_CYCLE_1) | instskip(NEXT) | instid1(SALU_CYCLE_1)
	s_lshl_b64 s[28:29], s[28:29], 1
	s_add_nc_u64 s[28:29], s[22:23], s[28:29]
	s_cbranch_vccnz .LBB568_13
; %bb.6:                                ;   in Loop: Header=BB568_4 Depth=1
	s_wait_xcnt 0x0
	s_mov_b32 s30, 0
	s_mov_b32 s5, 0
                                        ; implicit-def: $sgpr40
	s_and_saveexec_b32 s31, s0
	s_cbranch_execz .LBB568_14
; %bb.7:                                ;   in Loop: Header=BB568_4 Depth=1
	s_cmp_eq_f32 s39, 0
	s_cbranch_scc1 .LBB568_44
; %bb.8:                                ;   in Loop: Header=BB568_4 Depth=1
	s_add_nc_u64 s[40:41], s[28:29], s[12:13]
	global_load_u16 v10, v3, s[40:41]
	s_wait_xcnt 0x0
	s_mov_b32 s41, -1
	s_wait_loadcnt 0x0
	v_readfirstlane_b32 s5, v10
	s_lshl_b32 s5, s5, 16
	s_delay_alu instid0(SALU_CYCLE_1) | instskip(NEXT) | instid1(SALU_CYCLE_3)
	s_mul_f32 s5, s39, s5
	s_and_b32 s40, s5, 0x7f800000
	s_delay_alu instid0(SALU_CYCLE_1)
	s_cmp_eq_u32 s40, 0x7f800000
                                        ; implicit-def: $sgpr40
	s_cbranch_scc1 .LBB568_10
; %bb.9:                                ;   in Loop: Header=BB568_4 Depth=1
	s_bfe_u32 s40, s5, 0x10010
	s_mov_b32 s41, 0
	s_add_co_i32 s40, s5, s40
	s_delay_alu instid0(SALU_CYCLE_1)
	s_addk_co_i32 s40, 0x7fff
.LBB568_10:                             ;   in Loop: Header=BB568_4 Depth=1
	s_and_not1_b32 vcc_lo, exec_lo, s41
	s_cbranch_vccnz .LBB568_12
; %bb.11:                               ;   in Loop: Header=BB568_4 Depth=1
	s_and_b32 s40, s5, 0xffff
	s_or_b32 s41, s5, 0x10000
	s_cmp_eq_u32 s40, 0
	s_cselect_b32 s40, s5, s41
.LBB568_12:                             ;   in Loop: Header=BB568_4 Depth=1
	s_delay_alu instid0(SALU_CYCLE_1) | instskip(SKIP_2) | instid1(SALU_CYCLE_1)
	s_lshr_b32 s40, s40, 16
	s_mov_b32 s5, exec_lo
	s_or_b32 exec_lo, exec_lo, s31
	s_and_b32 vcc_lo, exec_lo, s30
	s_cbranch_vccnz .LBB568_15
	s_branch .LBB568_45
.LBB568_13:                             ;   in Loop: Header=BB568_4 Depth=1
	s_wait_xcnt 0x0
	s_mov_b32 s5, 0
                                        ; implicit-def: $sgpr40
	s_cbranch_execnz .LBB568_15
	s_branch .LBB568_45
.LBB568_14:                             ;   in Loop: Header=BB568_4 Depth=1
	s_or_b32 exec_lo, exec_lo, s31
	s_delay_alu instid0(SALU_CYCLE_1)
	s_and_b32 vcc_lo, exec_lo, s30
	s_cbranch_vccz .LBB568_45
.LBB568_15:                             ;   in Loop: Header=BB568_4 Depth=1
	s_mul_u64 s[30:31], s[16:17], s[34:35]
	v_mov_b32_e32 v16, 0
	s_lshl_b64 s[30:31], s[30:31], 1
	s_delay_alu instid0(SALU_CYCLE_1)
	s_add_nc_u64 s[30:31], s[26:27], s[30:31]
	s_and_saveexec_b32 s40, s2
	s_cbranch_execnz .LBB568_24
; %bb.16:                               ;   in Loop: Header=BB568_4 Depth=1
	s_or_b32 exec_lo, exec_lo, s40
	s_and_saveexec_b32 s40, s3
	s_cbranch_execnz .LBB568_39
.LBB568_17:                             ;   in Loop: Header=BB568_4 Depth=1
	s_or_b32 exec_lo, exec_lo, s40
	s_and_saveexec_b32 s30, s1
.LBB568_18:                             ;   in Loop: Header=BB568_4 Depth=1
	ds_store_b32 v1, v3
.LBB568_19:                             ;   in Loop: Header=BB568_4 Depth=1
	s_or_b32 exec_lo, exec_lo, s30
	ds_bpermute_b32 v11, v14, v16
	v_cmp_gt_u32_e32 vcc_lo, 24, v13
	s_wait_dscnt 0x0
	s_barrier_signal -1
	s_barrier_wait -1
	v_cndmask_b32_e64 v10, 0, 8, vcc_lo
	v_cmp_gt_u32_e32 vcc_lo, 28, v13
	s_delay_alu instid0(VALU_DEP_2)
	v_add_lshl_u32 v10, v10, v13, 2
	v_add_f32_e32 v16, v16, v11
	v_cndmask_b32_e64 v11, 0, 4, vcc_lo
	v_cmp_gt_u32_e32 vcc_lo, 30, v13
	ds_bpermute_b32 v17, v10, v16
	v_add_lshl_u32 v11, v11, v13, 2
	s_wait_dscnt 0x0
	v_add_f32_e32 v17, v16, v17
	v_cndmask_b32_e64 v16, 0, 2, vcc_lo
	v_cmp_ne_u32_e32 vcc_lo, 31, v13
	ds_bpermute_b32 v18, v11, v17
	v_add_lshl_u32 v16, v16, v13, 2
	v_add_co_ci_u32_e64 v19, null, 0, v13, vcc_lo
	s_wait_dscnt 0x0
	v_add_f32_e32 v17, v17, v18
	ds_bpermute_b32 v18, v16, v17
	s_wait_dscnt 0x0
	v_dual_add_f32 v18, v17, v18 :: v_dual_lshlrev_b32 v17, 2, v19
	ds_bpermute_b32 v19, v17, v18
	s_and_saveexec_b32 s30, s4
	s_cbranch_execz .LBB568_21
; %bb.20:                               ;   in Loop: Header=BB568_4 Depth=1
	s_wait_dscnt 0x0
	v_add_f32_e32 v18, v18, v19
	ds_store_b32 v2, v18
.LBB568_21:                             ;   in Loop: Header=BB568_4 Depth=1
	s_or_b32 exec_lo, exec_lo, s30
	v_mov_b32_e32 v18, 0
	s_wait_dscnt 0x0
	s_barrier_signal -1
	s_barrier_wait -1
	s_and_saveexec_b32 s30, s1
	s_cbranch_execnz .LBB568_30
; %bb.22:                               ;   in Loop: Header=BB568_4 Depth=1
	s_or_b32 exec_lo, exec_lo, s30
	s_and_saveexec_b32 s30, s1
	s_cbranch_execnz .LBB568_31
.LBB568_23:                             ;   in Loop: Header=BB568_4 Depth=1
	s_or_b32 exec_lo, exec_lo, s30
                                        ; implicit-def: $vgpr10
	s_and_saveexec_b32 s30, s0
	s_cbranch_execnz .LBB568_32
	s_branch .LBB568_57
.LBB568_24:                             ;   in Loop: Header=BB568_4 Depth=1
	v_mad_nc_u64_u32 v[10:11], s6, s34, v[8:9]
	v_dual_mov_b32 v16, 0 :: v_dual_mov_b32 v17, v0
	s_wait_dscnt 0x0
	v_mov_b32_e32 v18, v12
	s_mov_b32 s41, 0
	s_delay_alu instid0(VALU_DEP_3)
	v_mad_u32 v11, s7, s34, v11
	s_branch .LBB568_26
.LBB568_25:                             ;   in Loop: Header=BB568_26 Depth=2
	s_or_b32 exec_lo, exec_lo, s42
	s_delay_alu instid0(VALU_DEP_1) | instskip(SKIP_2) | instid1(VALU_DEP_3)
	v_and_b32_e32 v19, 0xffff0000, v19
	v_add_nc_u32_e32 v17, 0x400, v17
	v_add_nc_u64_e32 v[10:11], 0x800, v[10:11]
	v_dual_add_nc_u32 v18, s38, v18 :: v_dual_add_f32 v16, v16, v19
	s_delay_alu instid0(VALU_DEP_3) | instskip(SKIP_1) | instid1(SALU_CYCLE_1)
	v_cmp_le_i32_e32 vcc_lo, s14, v17
	s_or_b32 s41, vcc_lo, s41
	s_and_not1_b32 exec_lo, exec_lo, s41
	s_cbranch_execz .LBB568_38
.LBB568_26:                             ;   Parent Loop BB568_4 Depth=1
                                        ; =>  This Inner Loop Header: Depth=2
	global_load_u16 v19, v[10:11], off
	global_load_u16 v20, v18, s[30:31] scale_offset
	s_wait_loadcnt 0x0
	v_dual_lshlrev_b32 v19, 16, v19 :: v_dual_lshlrev_b32 v20, 16, v20
	s_delay_alu instid0(VALU_DEP_1) | instskip(NEXT) | instid1(VALU_DEP_1)
	v_mul_f32_e32 v20, v20, v19
	v_and_b32_e32 v19, 0x7f800000, v20
	s_delay_alu instid0(VALU_DEP_1) | instskip(SKIP_2) | instid1(SALU_CYCLE_1)
	v_cmp_ne_u32_e32 vcc_lo, 0x7f800000, v19
                                        ; implicit-def: $vgpr19
	s_wait_xcnt 0x0
	s_and_saveexec_b32 s42, vcc_lo
	s_xor_b32 s42, exec_lo, s42
; %bb.27:                               ;   in Loop: Header=BB568_26 Depth=2
	v_bfe_u32 v19, v20, 16, 1
	s_delay_alu instid0(VALU_DEP_1)
	v_add3_u32 v19, v20, v19, 0x7fff
                                        ; implicit-def: $vgpr20
; %bb.28:                               ;   in Loop: Header=BB568_26 Depth=2
	s_and_not1_saveexec_b32 s42, s42
	s_cbranch_execz .LBB568_25
; %bb.29:                               ;   in Loop: Header=BB568_26 Depth=2
	v_and_b32_e32 v19, 0xffff, v20
	v_or_b32_e32 v21, 0x10000, v20
	s_delay_alu instid0(VALU_DEP_2) | instskip(NEXT) | instid1(VALU_DEP_2)
	v_cmp_eq_u32_e32 vcc_lo, 0, v19
	v_cndmask_b32_e32 v19, v21, v20, vcc_lo
	s_branch .LBB568_25
.LBB568_30:                             ;   in Loop: Header=BB568_4 Depth=1
	ds_load_b32 v18, v1
	s_or_b32 exec_lo, exec_lo, s30
	s_and_saveexec_b32 s30, s1
	s_cbranch_execz .LBB568_23
.LBB568_31:                             ;   in Loop: Header=BB568_4 Depth=1
	s_wait_dscnt 0x0
	ds_bpermute_b32 v19, v14, v18
	s_wait_dscnt 0x0
	v_add_f32_e32 v18, v18, v19
	ds_bpermute_b32 v10, v10, v18
	s_wait_dscnt 0x0
	v_add_f32_e32 v10, v18, v10
	;; [unrolled: 3-line block ×5, first 2 shown]
	s_or_b32 exec_lo, exec_lo, s30
                                        ; implicit-def: $vgpr10
	s_and_saveexec_b32 s30, s0
	s_cbranch_execz .LBB568_57
.LBB568_32:                             ;   in Loop: Header=BB568_4 Depth=1
	s_wait_dscnt 0x0
	v_mul_f32_e32 v10, v15, v18
	s_cmp_eq_f32 s39, 0
	s_cbranch_scc0 .LBB568_46
; %bb.33:                               ;   in Loop: Header=BB568_4 Depth=1
	s_delay_alu instid0(VALU_DEP_1) | instskip(NEXT) | instid1(VALU_DEP_1)
	v_and_b32_e32 v11, 0x7f800000, v10
	v_cmp_ne_u32_e32 vcc_lo, 0x7f800000, v11
                                        ; implicit-def: $vgpr11
	s_and_saveexec_b32 s31, vcc_lo
	s_delay_alu instid0(SALU_CYCLE_1)
	s_xor_b32 s31, exec_lo, s31
; %bb.34:                               ;   in Loop: Header=BB568_4 Depth=1
	v_bfe_u32 v11, v10, 16, 1
	s_delay_alu instid0(VALU_DEP_1)
	v_add3_u32 v11, v10, v11, 0x7fff
; %bb.35:                               ;   in Loop: Header=BB568_4 Depth=1
	s_and_not1_saveexec_b32 s31, s31
; %bb.36:                               ;   in Loop: Header=BB568_4 Depth=1
	v_and_b32_e32 v11, 0xffff, v10
	v_or_b32_e32 v15, 0x10000, v10
	s_delay_alu instid0(VALU_DEP_2) | instskip(NEXT) | instid1(VALU_DEP_2)
	v_cmp_eq_u32_e32 vcc_lo, 0, v11
	v_cndmask_b32_e32 v11, v15, v10, vcc_lo
; %bb.37:                               ;   in Loop: Header=BB568_4 Depth=1
	s_or_b32 exec_lo, exec_lo, s31
	s_cbranch_execz .LBB568_47
	s_branch .LBB568_56
.LBB568_38:                             ;   in Loop: Header=BB568_4 Depth=1
	s_or_b32 exec_lo, exec_lo, s41
	s_delay_alu instid0(SALU_CYCLE_1)
	s_or_b32 exec_lo, exec_lo, s40
	s_and_saveexec_b32 s40, s3
	s_cbranch_execz .LBB568_17
.LBB568_39:                             ;   in Loop: Header=BB568_4 Depth=1
	s_mul_u64 s[42:43], s[24:25], s[34:35]
	s_wait_dscnt 0x0
	v_lshl_add_u64 v[18:19], v[4:5], 1, s[30:31]
	v_lshl_add_u64 v[10:11], s[42:43], 1, v[6:7]
	s_delay_alu instid0(VALU_DEP_1)
	v_lshl_add_u64 v[10:11], s[14:15], 1, v[10:11]
	global_load_u16 v17, v[18:19], off
	global_load_u16 v20, v[10:11], off
	s_wait_loadcnt 0x0
	s_wait_xcnt 0x0
	v_dual_lshlrev_b32 v10, 16, v17 :: v_dual_lshlrev_b32 v11, 16, v20
	s_delay_alu instid0(VALU_DEP_1) | instskip(NEXT) | instid1(VALU_DEP_1)
	v_mul_f32_e32 v10, v10, v11
	v_and_b32_e32 v11, 0x7f800000, v10
	s_delay_alu instid0(VALU_DEP_1) | instskip(SKIP_1) | instid1(SALU_CYCLE_1)
	v_cmp_ne_u32_e32 vcc_lo, 0x7f800000, v11
                                        ; implicit-def: $vgpr11
	s_and_saveexec_b32 s30, vcc_lo
	s_xor_b32 s30, exec_lo, s30
; %bb.40:                               ;   in Loop: Header=BB568_4 Depth=1
	v_bfe_u32 v11, v10, 16, 1
	s_delay_alu instid0(VALU_DEP_1)
	v_add3_u32 v11, v10, v11, 0x7fff
                                        ; implicit-def: $vgpr10
; %bb.41:                               ;   in Loop: Header=BB568_4 Depth=1
	s_and_not1_saveexec_b32 s30, s30
; %bb.42:                               ;   in Loop: Header=BB568_4 Depth=1
	v_and_b32_e32 v11, 0xffff, v10
	v_or_b32_e32 v17, 0x10000, v10
	s_delay_alu instid0(VALU_DEP_2) | instskip(NEXT) | instid1(VALU_DEP_2)
	v_cmp_eq_u32_e32 vcc_lo, 0, v11
	v_cndmask_b32_e32 v11, v17, v10, vcc_lo
; %bb.43:                               ;   in Loop: Header=BB568_4 Depth=1
	s_or_b32 exec_lo, exec_lo, s30
	s_delay_alu instid0(VALU_DEP_1) | instskip(NEXT) | instid1(VALU_DEP_1)
	v_and_b32_e32 v10, 0xffff0000, v11
	v_add_f32_e32 v16, v16, v10
	s_or_b32 exec_lo, exec_lo, s40
	s_and_saveexec_b32 s30, s1
	s_cbranch_execnz .LBB568_18
	s_branch .LBB568_19
.LBB568_44:                             ;   in Loop: Header=BB568_4 Depth=1
	s_mov_b32 s40, 0
	s_mov_b32 s5, exec_lo
	s_or_b32 exec_lo, exec_lo, s31
	s_delay_alu instid0(SALU_CYCLE_1)
	s_and_b32 vcc_lo, exec_lo, s30
	s_cbranch_vccnz .LBB568_15
.LBB568_45:                             ;   in Loop: Header=BB568_4 Depth=1
	v_mov_b32_e32 v10, s40
	s_and_saveexec_b32 s30, s5
	s_cbranch_execz .LBB568_2
	s_branch .LBB568_58
.LBB568_46:                             ;   in Loop: Header=BB568_4 Depth=1
                                        ; implicit-def: $vgpr11
.LBB568_47:                             ;   in Loop: Header=BB568_4 Depth=1
	s_add_nc_u64 s[40:41], s[28:29], s[12:13]
	global_load_u16 v11, v3, s[40:41]
	s_wait_xcnt 0x0
	s_mov_b32 s40, -1
	s_wait_loadcnt 0x0
	v_readfirstlane_b32 s31, v11
	s_lshl_b32 s31, s31, 16
	s_delay_alu instid0(SALU_CYCLE_1) | instskip(NEXT) | instid1(SALU_CYCLE_3)
	s_mul_f32 s31, s39, s31
	s_and_b32 s39, s31, 0x7f800000
	s_delay_alu instid0(SALU_CYCLE_1)
	s_cmp_eq_u32 s39, 0x7f800000
                                        ; implicit-def: $sgpr39
	s_cbranch_scc1 .LBB568_49
; %bb.48:                               ;   in Loop: Header=BB568_4 Depth=1
	s_bfe_u32 s39, s31, 0x10010
	s_mov_b32 s40, 0
	s_add_co_i32 s39, s31, s39
	s_delay_alu instid0(SALU_CYCLE_1)
	s_addk_co_i32 s39, 0x7fff
.LBB568_49:                             ;   in Loop: Header=BB568_4 Depth=1
	s_and_not1_b32 vcc_lo, exec_lo, s40
	s_cbranch_vccnz .LBB568_51
; %bb.50:                               ;   in Loop: Header=BB568_4 Depth=1
	s_and_b32 s39, s31, 0xffff
	s_or_b32 s40, s31, 0x10000
	s_cmp_eq_u32 s39, 0
	s_cselect_b32 s39, s31, s40
.LBB568_51:                             ;   in Loop: Header=BB568_4 Depth=1
	s_delay_alu instid0(SALU_CYCLE_1) | instskip(NEXT) | instid1(SALU_CYCLE_1)
	s_and_b32 s31, s39, 0xffff0000
	v_add_f32_e32 v10, s31, v10
	s_delay_alu instid0(VALU_DEP_1) | instskip(NEXT) | instid1(VALU_DEP_1)
	v_and_b32_e32 v11, 0x7f800000, v10
	v_cmp_ne_u32_e32 vcc_lo, 0x7f800000, v11
                                        ; implicit-def: $vgpr11
	s_and_saveexec_b32 s31, vcc_lo
	s_delay_alu instid0(SALU_CYCLE_1)
	s_xor_b32 s31, exec_lo, s31
; %bb.52:                               ;   in Loop: Header=BB568_4 Depth=1
	v_bfe_u32 v11, v10, 16, 1
	s_delay_alu instid0(VALU_DEP_1)
	v_add3_u32 v11, v10, v11, 0x7fff
                                        ; implicit-def: $vgpr10
; %bb.53:                               ;   in Loop: Header=BB568_4 Depth=1
	s_and_not1_saveexec_b32 s31, s31
; %bb.54:                               ;   in Loop: Header=BB568_4 Depth=1
	v_and_b32_e32 v11, 0xffff, v10
	v_or_b32_e32 v15, 0x10000, v10
	s_delay_alu instid0(VALU_DEP_2) | instskip(NEXT) | instid1(VALU_DEP_2)
	v_cmp_eq_u32_e32 vcc_lo, 0, v11
	v_cndmask_b32_e32 v11, v15, v10, vcc_lo
; %bb.55:                               ;   in Loop: Header=BB568_4 Depth=1
	s_or_b32 exec_lo, exec_lo, s31
.LBB568_56:                             ;   in Loop: Header=BB568_4 Depth=1
	s_delay_alu instid0(VALU_DEP_1)
	v_lshrrev_b32_e32 v10, 16, v11
	s_or_b32 s5, s5, exec_lo
.LBB568_57:                             ;   in Loop: Header=BB568_4 Depth=1
	s_or_b32 exec_lo, exec_lo, s30
	s_and_saveexec_b32 s30, s5
	s_cbranch_execz .LBB568_2
.LBB568_58:                             ;   in Loop: Header=BB568_4 Depth=1
	s_add_nc_u64 s[28:29], s[28:29], s[12:13]
	global_store_b16 v3, v10, s[28:29]
	s_branch .LBB568_2
.LBB568_59:
	s_endpgm
	.section	.rodata,"a",@progbits
	.p2align	6, 0x0
	.amdhsa_kernel _ZL32rocblas_gemvt_warp_reduce_kernelILb0ELi1024Ei16rocblas_bfloat16PKfS0_EviiT3_lPKT2_lT1_lS6_lS7_lS3_lPT4_lS7_li
		.amdhsa_group_segment_fixed_size 128
		.amdhsa_private_segment_fixed_size 0
		.amdhsa_kernarg_size 140
		.amdhsa_user_sgpr_count 2
		.amdhsa_user_sgpr_dispatch_ptr 0
		.amdhsa_user_sgpr_queue_ptr 0
		.amdhsa_user_sgpr_kernarg_segment_ptr 1
		.amdhsa_user_sgpr_dispatch_id 0
		.amdhsa_user_sgpr_kernarg_preload_length 0
		.amdhsa_user_sgpr_kernarg_preload_offset 0
		.amdhsa_user_sgpr_private_segment_size 0
		.amdhsa_wavefront_size32 1
		.amdhsa_uses_dynamic_stack 0
		.amdhsa_enable_private_segment 0
		.amdhsa_system_sgpr_workgroup_id_x 1
		.amdhsa_system_sgpr_workgroup_id_y 0
		.amdhsa_system_sgpr_workgroup_id_z 1
		.amdhsa_system_sgpr_workgroup_info 0
		.amdhsa_system_vgpr_workitem_id 0
		.amdhsa_next_free_vgpr 22
		.amdhsa_next_free_sgpr 44
		.amdhsa_named_barrier_count 0
		.amdhsa_reserve_vcc 1
		.amdhsa_float_round_mode_32 0
		.amdhsa_float_round_mode_16_64 0
		.amdhsa_float_denorm_mode_32 3
		.amdhsa_float_denorm_mode_16_64 3
		.amdhsa_fp16_overflow 0
		.amdhsa_memory_ordered 1
		.amdhsa_forward_progress 1
		.amdhsa_inst_pref_size 17
		.amdhsa_round_robin_scheduling 0
		.amdhsa_exception_fp_ieee_invalid_op 0
		.amdhsa_exception_fp_denorm_src 0
		.amdhsa_exception_fp_ieee_div_zero 0
		.amdhsa_exception_fp_ieee_overflow 0
		.amdhsa_exception_fp_ieee_underflow 0
		.amdhsa_exception_fp_ieee_inexact 0
		.amdhsa_exception_int_div_zero 0
	.end_amdhsa_kernel
	.section	.text._ZL32rocblas_gemvt_warp_reduce_kernelILb0ELi1024Ei16rocblas_bfloat16PKfS0_EviiT3_lPKT2_lT1_lS6_lS7_lS3_lPT4_lS7_li,"axG",@progbits,_ZL32rocblas_gemvt_warp_reduce_kernelILb0ELi1024Ei16rocblas_bfloat16PKfS0_EviiT3_lPKT2_lT1_lS6_lS7_lS3_lPT4_lS7_li,comdat
.Lfunc_end568:
	.size	_ZL32rocblas_gemvt_warp_reduce_kernelILb0ELi1024Ei16rocblas_bfloat16PKfS0_EviiT3_lPKT2_lT1_lS6_lS7_lS3_lPT4_lS7_li, .Lfunc_end568-_ZL32rocblas_gemvt_warp_reduce_kernelILb0ELi1024Ei16rocblas_bfloat16PKfS0_EviiT3_lPKT2_lT1_lS6_lS7_lS3_lPT4_lS7_li
                                        ; -- End function
	.set _ZL32rocblas_gemvt_warp_reduce_kernelILb0ELi1024Ei16rocblas_bfloat16PKfS0_EviiT3_lPKT2_lT1_lS6_lS7_lS3_lPT4_lS7_li.num_vgpr, 22
	.set _ZL32rocblas_gemvt_warp_reduce_kernelILb0ELi1024Ei16rocblas_bfloat16PKfS0_EviiT3_lPKT2_lT1_lS6_lS7_lS3_lPT4_lS7_li.num_agpr, 0
	.set _ZL32rocblas_gemvt_warp_reduce_kernelILb0ELi1024Ei16rocblas_bfloat16PKfS0_EviiT3_lPKT2_lT1_lS6_lS7_lS3_lPT4_lS7_li.numbered_sgpr, 44
	.set _ZL32rocblas_gemvt_warp_reduce_kernelILb0ELi1024Ei16rocblas_bfloat16PKfS0_EviiT3_lPKT2_lT1_lS6_lS7_lS3_lPT4_lS7_li.num_named_barrier, 0
	.set _ZL32rocblas_gemvt_warp_reduce_kernelILb0ELi1024Ei16rocblas_bfloat16PKfS0_EviiT3_lPKT2_lT1_lS6_lS7_lS3_lPT4_lS7_li.private_seg_size, 0
	.set _ZL32rocblas_gemvt_warp_reduce_kernelILb0ELi1024Ei16rocblas_bfloat16PKfS0_EviiT3_lPKT2_lT1_lS6_lS7_lS3_lPT4_lS7_li.uses_vcc, 1
	.set _ZL32rocblas_gemvt_warp_reduce_kernelILb0ELi1024Ei16rocblas_bfloat16PKfS0_EviiT3_lPKT2_lT1_lS6_lS7_lS3_lPT4_lS7_li.uses_flat_scratch, 0
	.set _ZL32rocblas_gemvt_warp_reduce_kernelILb0ELi1024Ei16rocblas_bfloat16PKfS0_EviiT3_lPKT2_lT1_lS6_lS7_lS3_lPT4_lS7_li.has_dyn_sized_stack, 0
	.set _ZL32rocblas_gemvt_warp_reduce_kernelILb0ELi1024Ei16rocblas_bfloat16PKfS0_EviiT3_lPKT2_lT1_lS6_lS7_lS3_lPT4_lS7_li.has_recursion, 0
	.set _ZL32rocblas_gemvt_warp_reduce_kernelILb0ELi1024Ei16rocblas_bfloat16PKfS0_EviiT3_lPKT2_lT1_lS6_lS7_lS3_lPT4_lS7_li.has_indirect_call, 0
	.section	.AMDGPU.csdata,"",@progbits
; Kernel info:
; codeLenInByte = 2112
; TotalNumSgprs: 46
; NumVgprs: 22
; ScratchSize: 0
; MemoryBound: 0
; FloatMode: 240
; IeeeMode: 1
; LDSByteSize: 128 bytes/workgroup (compile time only)
; SGPRBlocks: 0
; VGPRBlocks: 1
; NumSGPRsForWavesPerEU: 46
; NumVGPRsForWavesPerEU: 22
; NamedBarCnt: 0
; Occupancy: 16
; WaveLimiterHint : 0
; COMPUTE_PGM_RSRC2:SCRATCH_EN: 0
; COMPUTE_PGM_RSRC2:USER_SGPR: 2
; COMPUTE_PGM_RSRC2:TRAP_HANDLER: 0
; COMPUTE_PGM_RSRC2:TGID_X_EN: 1
; COMPUTE_PGM_RSRC2:TGID_Y_EN: 0
; COMPUTE_PGM_RSRC2:TGID_Z_EN: 1
; COMPUTE_PGM_RSRC2:TIDIG_COMP_CNT: 0
	.section	.text._ZL32rocblas_gemvt_warp_reduce_kernelILb0ELi1024El16rocblas_bfloat16PKfS0_EviiT3_lPKT2_lT1_lS6_lS7_lS3_lPT4_lS7_li,"axG",@progbits,_ZL32rocblas_gemvt_warp_reduce_kernelILb0ELi1024El16rocblas_bfloat16PKfS0_EviiT3_lPKT2_lT1_lS6_lS7_lS3_lPT4_lS7_li,comdat
	.globl	_ZL32rocblas_gemvt_warp_reduce_kernelILb0ELi1024El16rocblas_bfloat16PKfS0_EviiT3_lPKT2_lT1_lS6_lS7_lS3_lPT4_lS7_li ; -- Begin function _ZL32rocblas_gemvt_warp_reduce_kernelILb0ELi1024El16rocblas_bfloat16PKfS0_EviiT3_lPKT2_lT1_lS6_lS7_lS3_lPT4_lS7_li
	.p2align	8
	.type	_ZL32rocblas_gemvt_warp_reduce_kernelILb0ELi1024El16rocblas_bfloat16PKfS0_EviiT3_lPKT2_lT1_lS6_lS7_lS3_lPT4_lS7_li,@function
_ZL32rocblas_gemvt_warp_reduce_kernelILb0ELi1024El16rocblas_bfloat16PKfS0_EviiT3_lPKT2_lT1_lS6_lS7_lS3_lPT4_lS7_li: ; @_ZL32rocblas_gemvt_warp_reduce_kernelILb0ELi1024El16rocblas_bfloat16PKfS0_EviiT3_lPKT2_lT1_lS6_lS7_lS3_lPT4_lS7_li
; %bb.0:
	s_load_b32 s30, s[0:1], 0x88
	s_bfe_u32 s2, ttmp6, 0x40014
	s_lshr_b32 s3, ttmp7, 16
	s_add_co_i32 s2, s2, 1
	s_bfe_u32 s5, ttmp6, 0x40008
	s_mul_i32 s4, s3, s2
	s_getreg_b32 s2, hwreg(HW_REG_IB_STS2, 6, 4)
	s_add_co_i32 s5, s5, s4
	s_cmp_eq_u32 s2, 0
	s_mov_b32 s7, 0
	s_cselect_b32 s6, s3, s5
	s_wait_kmcnt 0x0
	s_cmp_ge_u32 s6, s30
	s_cbranch_scc1 .LBB569_59
; %bb.1:
	s_clause 0x2
	s_load_b512 s[8:23], s[0:1], 0x8
	s_load_b512 s[36:51], s[0:1], 0x48
	s_load_b32 s28, s[0:1], 0x0
	s_wait_xcnt 0x0
	s_bfe_u32 s0, ttmp6, 0x4000c
	s_and_b32 s1, ttmp6, 15
	s_add_co_i32 s0, s0, 1
	v_mbcnt_lo_u32_b32 v16, -1, 0
	s_mul_i32 s0, ttmp9, s0
	s_delay_alu instid0(SALU_CYCLE_1)
	s_add_co_i32 s3, s1, s0
	s_wait_kmcnt 0x0
	s_lshl_b64 s[0:1], s[22:23], 1
	s_lshl_b64 s[4:5], s[46:47], 1
	;; [unrolled: 1-line block ×3, first 2 shown]
	s_cmp_eq_u32 s2, 0
	v_cmp_gt_i32_e32 vcc_lo, s28, v0
	s_cselect_b32 s2, ttmp9, s3
	s_ashr_i32 s3, s28, 31
	s_add_nc_u64 s[22:23], s[12:13], s[24:25]
	s_lshr_b32 s3, s3, 22
	s_add_nc_u64 s[20:21], s[20:21], s[0:1]
	s_add_co_i32 s3, s28, s3
	v_cmp_eq_u32_e64 s0, 0, v0
	s_and_b32 s14, s3, 0xfffffc00
	s_delay_alu instid0(SALU_CYCLE_1) | instskip(SKIP_3) | instid1(VALU_DEP_3)
	v_dual_mov_b32 v3, 0 :: v_dual_bitop2_b32 v8, s14, v0 bitop3:0x54
	v_cndmask_b32_e32 v2, 0, v0, vcc_lo
	s_ashr_i32 s3, s2, 31
	v_cmp_gt_i32_e64 s1, s14, v0
	v_dual_mov_b32 v1, v3 :: v_dual_ashrrev_i32 v9, 31, v8
	s_delay_alu instid0(VALU_DEP_3) | instskip(SKIP_2) | instid1(VALU_DEP_2)
	v_lshlrev_b32_e32 v2, 1, v2
	s_mul_u64 s[26:27], s[48:49], s[2:3]
	s_ashr_i32 s15, s14, 31
	v_mul_u64_e32 v[10:11], s[36:37], v[0:1]
	v_mul_u64_e32 v[4:5], s[36:37], v[8:9]
	v_add_nc_u64_e32 v[6:7], s[22:23], v[2:3]
	s_add_nc_u64 s[22:23], s[44:45], s[4:5]
	s_mul_u64 s[4:5], s[16:17], s[2:3]
	v_and_b32_e32 v9, 31, v0
	s_lshl_b64 s[4:5], s[4:5], 1
	v_cmp_gt_i32_e64 s2, s28, v8
	v_lshrrev_b32_e32 v8, 3, v0
	s_add_nc_u64 s[16:17], s[4:5], s[24:25]
	v_add_nc_u64_e32 v[6:7], s[4:5], v[6:7]
	s_add_nc_u64 s[12:13], s[12:13], s[16:17]
	v_lshlrev_b32_e32 v1, 2, v9
	v_cmp_eq_u32_e64 s4, 0, v9
	v_and_b32_e32 v17, 0x7c, v8
	v_add_nc_u64_e32 v[8:9], s[12:13], v[2:3]
	v_cmp_gt_u32_e64 s3, 32, v0
	v_lshl_or_b32 v2, v16, 2, 64
	s_lshl_b64 s[12:13], s[18:19], 1
	s_lshl_b64 s[16:17], s[38:39], 1
	;; [unrolled: 1-line block ×4, first 2 shown]
	v_lshl_add_u64 v[10:11], v[10:11], 1, s[20:21]
	s_branch .LBB569_4
.LBB569_2:                              ;   in Loop: Header=BB569_4 Depth=1
	s_wait_xcnt 0x0
	s_or_b32 exec_lo, exec_lo, s31
.LBB569_3:                              ;   in Loop: Header=BB569_4 Depth=1
	s_add_co_i32 s6, s6, 0x10000
	s_delay_alu instid0(SALU_CYCLE_1)
	s_cmp_lt_u32 s6, s30
	s_cbranch_scc0 .LBB569_59
.LBB569_4:                              ; =>This Loop Header: Depth=1
                                        ;     Child Loop BB569_26 Depth 2
	s_wait_xcnt 0x1
	s_mul_u64 s[28:29], s[10:11], s[6:7]
	s_wait_xcnt 0x0
	s_mul_u64 s[34:35], s[42:43], s[6:7]
	s_lshl_b64 s[28:29], s[28:29], 2
	s_lshl_b64 s[34:35], s[34:35], 2
	s_add_nc_u64 s[28:29], s[8:9], s[28:29]
	s_add_nc_u64 s[34:35], s[40:41], s[34:35]
	s_clause 0x1
	global_load_b32 v18, v3, s[28:29]
	global_load_b32 v12, v3, s[34:35]
	s_wait_loadcnt 0x1
	v_cmp_eq_f32_e32 vcc_lo, 0, v18
	s_wait_loadcnt 0x0
	v_cmp_eq_f32_e64 s5, 1.0, v12
	v_readfirstlane_b32 s31, v12
	s_and_b32 s5, vcc_lo, s5
	s_delay_alu instid0(SALU_CYCLE_1)
	s_and_b32 vcc_lo, exec_lo, s5
	s_cbranch_vccnz .LBB569_3
; %bb.5:                                ;   in Loop: Header=BB569_4 Depth=1
	v_cmp_neq_f32_e32 vcc_lo, 0, v18
	s_wait_xcnt 0x1
	s_mul_u64 s[28:29], s[50:51], s[6:7]
	s_delay_alu instid0(SALU_CYCLE_1) | instskip(NEXT) | instid1(SALU_CYCLE_1)
	s_lshl_b64 s[28:29], s[28:29], 1
	s_add_nc_u64 s[28:29], s[22:23], s[28:29]
	s_cbranch_vccnz .LBB569_13
; %bb.6:                                ;   in Loop: Header=BB569_4 Depth=1
	s_mov_b32 s33, 0
	s_mov_b32 s5, 0
                                        ; implicit-def: $sgpr35
	s_wait_xcnt 0x0
	s_and_saveexec_b32 s34, s0
	s_cbranch_execz .LBB569_14
; %bb.7:                                ;   in Loop: Header=BB569_4 Depth=1
	s_cmp_eq_f32 s31, 0
	s_cbranch_scc1 .LBB569_44
; %bb.8:                                ;   in Loop: Header=BB569_4 Depth=1
	s_add_nc_u64 s[36:37], s[28:29], s[26:27]
	global_load_u16 v12, v3, s[36:37]
	s_wait_xcnt 0x0
	s_mov_b32 s36, -1
	s_wait_loadcnt 0x0
	v_readfirstlane_b32 s5, v12
	s_lshl_b32 s5, s5, 16
	s_delay_alu instid0(SALU_CYCLE_1) | instskip(NEXT) | instid1(SALU_CYCLE_3)
	s_mul_f32 s5, s31, s5
	s_and_b32 s35, s5, 0x7f800000
	s_delay_alu instid0(SALU_CYCLE_1)
	s_cmp_eq_u32 s35, 0x7f800000
                                        ; implicit-def: $sgpr35
	s_cbranch_scc1 .LBB569_10
; %bb.9:                                ;   in Loop: Header=BB569_4 Depth=1
	s_bfe_u32 s35, s5, 0x10010
	s_mov_b32 s36, 0
	s_add_co_i32 s35, s5, s35
	s_delay_alu instid0(SALU_CYCLE_1)
	s_addk_co_i32 s35, 0x7fff
.LBB569_10:                             ;   in Loop: Header=BB569_4 Depth=1
	s_and_not1_b32 vcc_lo, exec_lo, s36
	s_cbranch_vccnz .LBB569_12
; %bb.11:                               ;   in Loop: Header=BB569_4 Depth=1
	s_and_b32 s35, s5, 0xffff
	s_or_b32 s36, s5, 0x10000
	s_cmp_eq_u32 s35, 0
	s_cselect_b32 s35, s5, s36
.LBB569_12:                             ;   in Loop: Header=BB569_4 Depth=1
	s_delay_alu instid0(SALU_CYCLE_1) | instskip(SKIP_2) | instid1(SALU_CYCLE_1)
	s_lshr_b32 s35, s35, 16
	s_mov_b32 s5, exec_lo
	s_or_b32 exec_lo, exec_lo, s34
	s_and_b32 vcc_lo, exec_lo, s33
	s_cbranch_vccnz .LBB569_15
	s_branch .LBB569_45
.LBB569_13:                             ;   in Loop: Header=BB569_4 Depth=1
	s_mov_b32 s5, 0
                                        ; implicit-def: $sgpr35
	s_cbranch_execnz .LBB569_15
	s_branch .LBB569_45
.LBB569_14:                             ;   in Loop: Header=BB569_4 Depth=1
	s_or_b32 exec_lo, exec_lo, s34
	s_delay_alu instid0(SALU_CYCLE_1)
	s_and_b32 vcc_lo, exec_lo, s33
	s_cbranch_vccz .LBB569_45
.LBB569_15:                             ;   in Loop: Header=BB569_4 Depth=1
	s_wait_dscnt 0x0
	v_mov_b32_e32 v19, 0
	s_wait_xcnt 0x0
	s_and_saveexec_b32 s33, s1
	s_cbranch_execnz .LBB569_24
; %bb.16:                               ;   in Loop: Header=BB569_4 Depth=1
	s_or_b32 exec_lo, exec_lo, s33
	s_and_saveexec_b32 s33, s2
	s_cbranch_execnz .LBB569_39
.LBB569_17:                             ;   in Loop: Header=BB569_4 Depth=1
	s_or_b32 exec_lo, exec_lo, s33
	s_and_saveexec_b32 s33, s3
.LBB569_18:                             ;   in Loop: Header=BB569_4 Depth=1
	ds_store_b32 v1, v3
.LBB569_19:                             ;   in Loop: Header=BB569_4 Depth=1
	s_or_b32 exec_lo, exec_lo, s33
	ds_bpermute_b32 v13, v2, v19
	v_cmp_gt_u32_e32 vcc_lo, 24, v16
	s_wait_dscnt 0x0
	s_barrier_signal -1
	s_barrier_wait -1
	v_cndmask_b32_e64 v12, 0, 8, vcc_lo
	v_cmp_gt_u32_e32 vcc_lo, 28, v16
	s_delay_alu instid0(VALU_DEP_2)
	v_add_lshl_u32 v12, v12, v16, 2
	v_add_f32_e32 v14, v19, v13
	v_cndmask_b32_e64 v13, 0, 4, vcc_lo
	v_cmp_gt_u32_e32 vcc_lo, 30, v16
	ds_bpermute_b32 v15, v12, v14
	v_add_lshl_u32 v13, v13, v16, 2
	s_wait_dscnt 0x0
	v_add_f32_e32 v15, v14, v15
	v_cndmask_b32_e64 v14, 0, 2, vcc_lo
	v_cmp_ne_u32_e32 vcc_lo, 31, v16
	ds_bpermute_b32 v19, v13, v15
	v_add_lshl_u32 v14, v14, v16, 2
	v_add_co_ci_u32_e64 v20, null, 0, v16, vcc_lo
	s_wait_dscnt 0x0
	v_add_f32_e32 v15, v15, v19
	ds_bpermute_b32 v19, v14, v15
	s_wait_dscnt 0x0
	v_dual_add_f32 v19, v15, v19 :: v_dual_lshlrev_b32 v15, 2, v20
	ds_bpermute_b32 v20, v15, v19
	s_and_saveexec_b32 s33, s4
	s_cbranch_execz .LBB569_21
; %bb.20:                               ;   in Loop: Header=BB569_4 Depth=1
	s_wait_dscnt 0x0
	v_add_f32_e32 v19, v19, v20
	ds_store_b32 v17, v19
.LBB569_21:                             ;   in Loop: Header=BB569_4 Depth=1
	s_or_b32 exec_lo, exec_lo, s33
	v_mov_b32_e32 v19, 0
	s_wait_dscnt 0x0
	s_barrier_signal -1
	s_barrier_wait -1
	s_and_saveexec_b32 s33, s3
	s_cbranch_execnz .LBB569_30
; %bb.22:                               ;   in Loop: Header=BB569_4 Depth=1
	s_or_b32 exec_lo, exec_lo, s33
	s_and_saveexec_b32 s33, s3
	s_cbranch_execnz .LBB569_31
.LBB569_23:                             ;   in Loop: Header=BB569_4 Depth=1
	s_or_b32 exec_lo, exec_lo, s33
                                        ; implicit-def: $vgpr12
	s_and_saveexec_b32 s33, s0
	s_cbranch_execnz .LBB569_32
	s_branch .LBB569_57
.LBB569_24:                             ;   in Loop: Header=BB569_4 Depth=1
	v_mad_nc_u64_u32 v[12:13], s12, s6, v[8:9]
	v_mad_nc_u64_u32 v[14:15], s16, s6, v[10:11]
	v_dual_mov_b32 v19, 0 :: v_dual_mov_b32 v20, v0
	s_mov_b32 s34, 0
	s_delay_alu instid0(VALU_DEP_3) | instskip(NEXT) | instid1(VALU_DEP_3)
	v_mad_u32 v13, s13, s6, v13
	v_mad_u32 v15, s17, s6, v15
	s_branch .LBB569_26
.LBB569_25:                             ;   in Loop: Header=BB569_26 Depth=2
	s_or_b32 exec_lo, exec_lo, s35
	s_delay_alu instid0(VALU_DEP_1) | instskip(SKIP_3) | instid1(VALU_DEP_4)
	v_and_b32_e32 v21, 0xffff0000, v22
	v_add_nc_u32_e32 v20, 0x400, v20
	v_add_nc_u64_e32 v[12:13], 0x800, v[12:13]
	v_add_nc_u64_e32 v[14:15], s[24:25], v[14:15]
	v_add_f32_e32 v19, v19, v21
	s_delay_alu instid0(VALU_DEP_4) | instskip(SKIP_1) | instid1(SALU_CYCLE_1)
	v_cmp_le_i32_e32 vcc_lo, s14, v20
	s_or_b32 s34, vcc_lo, s34
	s_and_not1_b32 exec_lo, exec_lo, s34
	s_cbranch_execz .LBB569_38
.LBB569_26:                             ;   Parent Loop BB569_4 Depth=1
                                        ; =>  This Inner Loop Header: Depth=2
	global_load_u16 v21, v[12:13], off
	global_load_u16 v22, v[14:15], off
	s_wait_loadcnt 0x0
	v_dual_lshlrev_b32 v21, 16, v21 :: v_dual_lshlrev_b32 v22, 16, v22
	s_delay_alu instid0(VALU_DEP_1) | instskip(NEXT) | instid1(VALU_DEP_1)
	v_mul_f32_e32 v21, v22, v21
	v_and_b32_e32 v22, 0x7f800000, v21
	s_delay_alu instid0(VALU_DEP_1) | instskip(SKIP_2) | instid1(SALU_CYCLE_1)
	v_cmp_ne_u32_e32 vcc_lo, 0x7f800000, v22
                                        ; implicit-def: $vgpr22
	s_wait_xcnt 0x0
	s_and_saveexec_b32 s35, vcc_lo
	s_xor_b32 s35, exec_lo, s35
; %bb.27:                               ;   in Loop: Header=BB569_26 Depth=2
	v_bfe_u32 v22, v21, 16, 1
	s_delay_alu instid0(VALU_DEP_1)
	v_add3_u32 v22, v21, v22, 0x7fff
                                        ; implicit-def: $vgpr21
; %bb.28:                               ;   in Loop: Header=BB569_26 Depth=2
	s_and_not1_saveexec_b32 s35, s35
	s_cbranch_execz .LBB569_25
; %bb.29:                               ;   in Loop: Header=BB569_26 Depth=2
	v_and_b32_e32 v22, 0xffff, v21
	v_or_b32_e32 v23, 0x10000, v21
	s_delay_alu instid0(VALU_DEP_2) | instskip(NEXT) | instid1(VALU_DEP_2)
	v_cmp_eq_u32_e32 vcc_lo, 0, v22
	v_cndmask_b32_e32 v22, v23, v21, vcc_lo
	s_branch .LBB569_25
.LBB569_30:                             ;   in Loop: Header=BB569_4 Depth=1
	ds_load_b32 v19, v1
	s_or_b32 exec_lo, exec_lo, s33
	s_and_saveexec_b32 s33, s3
	s_cbranch_execz .LBB569_23
.LBB569_31:                             ;   in Loop: Header=BB569_4 Depth=1
	s_wait_dscnt 0x0
	ds_bpermute_b32 v20, v2, v19
	s_wait_dscnt 0x0
	v_add_f32_e32 v19, v19, v20
	ds_bpermute_b32 v12, v12, v19
	s_wait_dscnt 0x0
	v_add_f32_e32 v12, v19, v12
	ds_bpermute_b32 v13, v13, v12
	s_wait_dscnt 0x0
	v_add_f32_e32 v12, v12, v13
	ds_bpermute_b32 v13, v14, v12
	s_wait_dscnt 0x0
	v_add_f32_e32 v12, v12, v13
	ds_bpermute_b32 v13, v15, v12
	s_wait_dscnt 0x0
	v_add_f32_e32 v19, v12, v13
	s_or_b32 exec_lo, exec_lo, s33
                                        ; implicit-def: $vgpr12
	s_and_saveexec_b32 s33, s0
	s_cbranch_execz .LBB569_57
.LBB569_32:                             ;   in Loop: Header=BB569_4 Depth=1
	s_wait_dscnt 0x0
	v_mul_f32_e32 v12, v18, v19
	s_cmp_eq_f32 s31, 0
	s_cbranch_scc0 .LBB569_46
; %bb.33:                               ;   in Loop: Header=BB569_4 Depth=1
	s_delay_alu instid0(VALU_DEP_1) | instskip(NEXT) | instid1(VALU_DEP_1)
	v_and_b32_e32 v13, 0x7f800000, v12
	v_cmp_ne_u32_e32 vcc_lo, 0x7f800000, v13
                                        ; implicit-def: $vgpr13
	s_and_saveexec_b32 s34, vcc_lo
	s_delay_alu instid0(SALU_CYCLE_1)
	s_xor_b32 s34, exec_lo, s34
; %bb.34:                               ;   in Loop: Header=BB569_4 Depth=1
	v_bfe_u32 v13, v12, 16, 1
	s_delay_alu instid0(VALU_DEP_1)
	v_add3_u32 v13, v12, v13, 0x7fff
; %bb.35:                               ;   in Loop: Header=BB569_4 Depth=1
	s_and_not1_saveexec_b32 s34, s34
; %bb.36:                               ;   in Loop: Header=BB569_4 Depth=1
	v_and_b32_e32 v13, 0xffff, v12
	v_or_b32_e32 v14, 0x10000, v12
	s_delay_alu instid0(VALU_DEP_2) | instskip(NEXT) | instid1(VALU_DEP_2)
	v_cmp_eq_u32_e32 vcc_lo, 0, v13
	v_cndmask_b32_e32 v13, v14, v12, vcc_lo
; %bb.37:                               ;   in Loop: Header=BB569_4 Depth=1
	s_or_b32 exec_lo, exec_lo, s34
	s_cbranch_execz .LBB569_47
	s_branch .LBB569_56
.LBB569_38:                             ;   in Loop: Header=BB569_4 Depth=1
	s_or_b32 exec_lo, exec_lo, s34
	s_delay_alu instid0(SALU_CYCLE_1)
	s_or_b32 exec_lo, exec_lo, s33
	s_and_saveexec_b32 s33, s2
	s_cbranch_execz .LBB569_17
.LBB569_39:                             ;   in Loop: Header=BB569_4 Depth=1
	s_mul_u64 s[34:35], s[18:19], s[6:7]
	s_mul_u64 s[36:37], s[38:39], s[6:7]
	v_lshl_add_u64 v[12:13], s[34:35], 1, v[6:7]
	s_lshl_b64 s[34:35], s[36:37], 1
	s_delay_alu instid0(SALU_CYCLE_1) | instskip(NEXT) | instid1(SALU_CYCLE_1)
	s_add_nc_u64 s[34:35], s[20:21], s[34:35]
	v_lshl_add_u64 v[14:15], v[4:5], 1, s[34:35]
	s_delay_alu instid0(VALU_DEP_2)
	v_lshl_add_u64 v[12:13], s[14:15], 1, v[12:13]
	global_load_u16 v20, v[12:13], off
	global_load_u16 v21, v[14:15], off
	s_wait_loadcnt 0x0
	s_wait_xcnt 0x1
	v_dual_lshlrev_b32 v12, 16, v20 :: v_dual_lshlrev_b32 v13, 16, v21
	s_delay_alu instid0(VALU_DEP_1) | instskip(NEXT) | instid1(VALU_DEP_1)
	v_mul_f32_e32 v12, v13, v12
	v_and_b32_e32 v13, 0x7f800000, v12
	s_delay_alu instid0(VALU_DEP_1) | instskip(SKIP_2) | instid1(SALU_CYCLE_1)
	v_cmp_ne_u32_e32 vcc_lo, 0x7f800000, v13
                                        ; implicit-def: $vgpr13
	s_wait_xcnt 0x0
	s_and_saveexec_b32 s34, vcc_lo
	s_xor_b32 s34, exec_lo, s34
; %bb.40:                               ;   in Loop: Header=BB569_4 Depth=1
	v_bfe_u32 v13, v12, 16, 1
	s_delay_alu instid0(VALU_DEP_1)
	v_add3_u32 v13, v12, v13, 0x7fff
                                        ; implicit-def: $vgpr12
; %bb.41:                               ;   in Loop: Header=BB569_4 Depth=1
	s_and_not1_saveexec_b32 s34, s34
; %bb.42:                               ;   in Loop: Header=BB569_4 Depth=1
	v_and_b32_e32 v13, 0xffff, v12
	v_or_b32_e32 v14, 0x10000, v12
	s_delay_alu instid0(VALU_DEP_2) | instskip(NEXT) | instid1(VALU_DEP_2)
	v_cmp_eq_u32_e32 vcc_lo, 0, v13
	v_cndmask_b32_e32 v13, v14, v12, vcc_lo
; %bb.43:                               ;   in Loop: Header=BB569_4 Depth=1
	s_or_b32 exec_lo, exec_lo, s34
	s_delay_alu instid0(VALU_DEP_1) | instskip(NEXT) | instid1(VALU_DEP_1)
	v_and_b32_e32 v12, 0xffff0000, v13
	v_add_f32_e32 v19, v19, v12
	s_or_b32 exec_lo, exec_lo, s33
	s_and_saveexec_b32 s33, s3
	s_cbranch_execnz .LBB569_18
	s_branch .LBB569_19
.LBB569_44:                             ;   in Loop: Header=BB569_4 Depth=1
	s_mov_b32 s35, 0
	s_mov_b32 s5, exec_lo
	s_or_b32 exec_lo, exec_lo, s34
	s_delay_alu instid0(SALU_CYCLE_1)
	s_and_b32 vcc_lo, exec_lo, s33
	s_cbranch_vccnz .LBB569_15
.LBB569_45:                             ;   in Loop: Header=BB569_4 Depth=1
	v_mov_b32_e32 v12, s35
	s_wait_xcnt 0x0
	s_and_saveexec_b32 s31, s5
	s_cbranch_execz .LBB569_2
	s_branch .LBB569_58
.LBB569_46:                             ;   in Loop: Header=BB569_4 Depth=1
                                        ; implicit-def: $vgpr13
.LBB569_47:                             ;   in Loop: Header=BB569_4 Depth=1
	s_add_nc_u64 s[34:35], s[28:29], s[26:27]
	global_load_u16 v13, v3, s[34:35]
	s_wait_xcnt 0x0
	s_mov_b32 s35, -1
	s_wait_loadcnt 0x0
	v_readfirstlane_b32 s34, v13
	s_lshl_b32 s34, s34, 16
	s_delay_alu instid0(SALU_CYCLE_1) | instskip(NEXT) | instid1(SALU_CYCLE_3)
	s_mul_f32 s31, s31, s34
	s_and_b32 s34, s31, 0x7f800000
	s_delay_alu instid0(SALU_CYCLE_1)
	s_cmp_eq_u32 s34, 0x7f800000
                                        ; implicit-def: $sgpr34
	s_cbranch_scc1 .LBB569_49
; %bb.48:                               ;   in Loop: Header=BB569_4 Depth=1
	s_bfe_u32 s34, s31, 0x10010
	s_mov_b32 s35, 0
	s_add_co_i32 s34, s31, s34
	s_delay_alu instid0(SALU_CYCLE_1)
	s_addk_co_i32 s34, 0x7fff
.LBB569_49:                             ;   in Loop: Header=BB569_4 Depth=1
	s_and_not1_b32 vcc_lo, exec_lo, s35
	s_cbranch_vccnz .LBB569_51
; %bb.50:                               ;   in Loop: Header=BB569_4 Depth=1
	s_and_b32 s34, s31, 0xffff
	s_or_b32 s35, s31, 0x10000
	s_cmp_eq_u32 s34, 0
	s_cselect_b32 s34, s31, s35
.LBB569_51:                             ;   in Loop: Header=BB569_4 Depth=1
	s_delay_alu instid0(SALU_CYCLE_1) | instskip(NEXT) | instid1(SALU_CYCLE_1)
	s_and_b32 s31, s34, 0xffff0000
	v_add_f32_e32 v12, s31, v12
	s_delay_alu instid0(VALU_DEP_1) | instskip(NEXT) | instid1(VALU_DEP_1)
	v_and_b32_e32 v13, 0x7f800000, v12
	v_cmp_ne_u32_e32 vcc_lo, 0x7f800000, v13
                                        ; implicit-def: $vgpr13
	s_and_saveexec_b32 s31, vcc_lo
	s_delay_alu instid0(SALU_CYCLE_1)
	s_xor_b32 s31, exec_lo, s31
; %bb.52:                               ;   in Loop: Header=BB569_4 Depth=1
	v_bfe_u32 v13, v12, 16, 1
	s_delay_alu instid0(VALU_DEP_1)
	v_add3_u32 v13, v12, v13, 0x7fff
                                        ; implicit-def: $vgpr12
; %bb.53:                               ;   in Loop: Header=BB569_4 Depth=1
	s_and_not1_saveexec_b32 s31, s31
; %bb.54:                               ;   in Loop: Header=BB569_4 Depth=1
	v_and_b32_e32 v13, 0xffff, v12
	v_or_b32_e32 v14, 0x10000, v12
	s_delay_alu instid0(VALU_DEP_2) | instskip(NEXT) | instid1(VALU_DEP_2)
	v_cmp_eq_u32_e32 vcc_lo, 0, v13
	v_cndmask_b32_e32 v13, v14, v12, vcc_lo
; %bb.55:                               ;   in Loop: Header=BB569_4 Depth=1
	s_or_b32 exec_lo, exec_lo, s31
.LBB569_56:                             ;   in Loop: Header=BB569_4 Depth=1
	s_delay_alu instid0(VALU_DEP_1)
	v_lshrrev_b32_e32 v12, 16, v13
	s_or_b32 s5, s5, exec_lo
.LBB569_57:                             ;   in Loop: Header=BB569_4 Depth=1
	s_or_b32 exec_lo, exec_lo, s33
	s_and_saveexec_b32 s31, s5
	s_cbranch_execz .LBB569_2
.LBB569_58:                             ;   in Loop: Header=BB569_4 Depth=1
	s_add_nc_u64 s[28:29], s[28:29], s[26:27]
	global_store_b16 v3, v12, s[28:29]
	s_branch .LBB569_2
.LBB569_59:
	s_endpgm
	.section	.rodata,"a",@progbits
	.p2align	6, 0x0
	.amdhsa_kernel _ZL32rocblas_gemvt_warp_reduce_kernelILb0ELi1024El16rocblas_bfloat16PKfS0_EviiT3_lPKT2_lT1_lS6_lS7_lS3_lPT4_lS7_li
		.amdhsa_group_segment_fixed_size 128
		.amdhsa_private_segment_fixed_size 0
		.amdhsa_kernarg_size 140
		.amdhsa_user_sgpr_count 2
		.amdhsa_user_sgpr_dispatch_ptr 0
		.amdhsa_user_sgpr_queue_ptr 0
		.amdhsa_user_sgpr_kernarg_segment_ptr 1
		.amdhsa_user_sgpr_dispatch_id 0
		.amdhsa_user_sgpr_kernarg_preload_length 0
		.amdhsa_user_sgpr_kernarg_preload_offset 0
		.amdhsa_user_sgpr_private_segment_size 0
		.amdhsa_wavefront_size32 1
		.amdhsa_uses_dynamic_stack 0
		.amdhsa_enable_private_segment 0
		.amdhsa_system_sgpr_workgroup_id_x 1
		.amdhsa_system_sgpr_workgroup_id_y 0
		.amdhsa_system_sgpr_workgroup_id_z 1
		.amdhsa_system_sgpr_workgroup_info 0
		.amdhsa_system_vgpr_workitem_id 0
		.amdhsa_next_free_vgpr 24
		.amdhsa_next_free_sgpr 52
		.amdhsa_named_barrier_count 0
		.amdhsa_reserve_vcc 1
		.amdhsa_float_round_mode_32 0
		.amdhsa_float_round_mode_16_64 0
		.amdhsa_float_denorm_mode_32 3
		.amdhsa_float_denorm_mode_16_64 3
		.amdhsa_fp16_overflow 0
		.amdhsa_memory_ordered 1
		.amdhsa_forward_progress 1
		.amdhsa_inst_pref_size 17
		.amdhsa_round_robin_scheduling 0
		.amdhsa_exception_fp_ieee_invalid_op 0
		.amdhsa_exception_fp_denorm_src 0
		.amdhsa_exception_fp_ieee_div_zero 0
		.amdhsa_exception_fp_ieee_overflow 0
		.amdhsa_exception_fp_ieee_underflow 0
		.amdhsa_exception_fp_ieee_inexact 0
		.amdhsa_exception_int_div_zero 0
	.end_amdhsa_kernel
	.section	.text._ZL32rocblas_gemvt_warp_reduce_kernelILb0ELi1024El16rocblas_bfloat16PKfS0_EviiT3_lPKT2_lT1_lS6_lS7_lS3_lPT4_lS7_li,"axG",@progbits,_ZL32rocblas_gemvt_warp_reduce_kernelILb0ELi1024El16rocblas_bfloat16PKfS0_EviiT3_lPKT2_lT1_lS6_lS7_lS3_lPT4_lS7_li,comdat
.Lfunc_end569:
	.size	_ZL32rocblas_gemvt_warp_reduce_kernelILb0ELi1024El16rocblas_bfloat16PKfS0_EviiT3_lPKT2_lT1_lS6_lS7_lS3_lPT4_lS7_li, .Lfunc_end569-_ZL32rocblas_gemvt_warp_reduce_kernelILb0ELi1024El16rocblas_bfloat16PKfS0_EviiT3_lPKT2_lT1_lS6_lS7_lS3_lPT4_lS7_li
                                        ; -- End function
	.set _ZL32rocblas_gemvt_warp_reduce_kernelILb0ELi1024El16rocblas_bfloat16PKfS0_EviiT3_lPKT2_lT1_lS6_lS7_lS3_lPT4_lS7_li.num_vgpr, 24
	.set _ZL32rocblas_gemvt_warp_reduce_kernelILb0ELi1024El16rocblas_bfloat16PKfS0_EviiT3_lPKT2_lT1_lS6_lS7_lS3_lPT4_lS7_li.num_agpr, 0
	.set _ZL32rocblas_gemvt_warp_reduce_kernelILb0ELi1024El16rocblas_bfloat16PKfS0_EviiT3_lPKT2_lT1_lS6_lS7_lS3_lPT4_lS7_li.numbered_sgpr, 52
	.set _ZL32rocblas_gemvt_warp_reduce_kernelILb0ELi1024El16rocblas_bfloat16PKfS0_EviiT3_lPKT2_lT1_lS6_lS7_lS3_lPT4_lS7_li.num_named_barrier, 0
	.set _ZL32rocblas_gemvt_warp_reduce_kernelILb0ELi1024El16rocblas_bfloat16PKfS0_EviiT3_lPKT2_lT1_lS6_lS7_lS3_lPT4_lS7_li.private_seg_size, 0
	.set _ZL32rocblas_gemvt_warp_reduce_kernelILb0ELi1024El16rocblas_bfloat16PKfS0_EviiT3_lPKT2_lT1_lS6_lS7_lS3_lPT4_lS7_li.uses_vcc, 1
	.set _ZL32rocblas_gemvt_warp_reduce_kernelILb0ELi1024El16rocblas_bfloat16PKfS0_EviiT3_lPKT2_lT1_lS6_lS7_lS3_lPT4_lS7_li.uses_flat_scratch, 0
	.set _ZL32rocblas_gemvt_warp_reduce_kernelILb0ELi1024El16rocblas_bfloat16PKfS0_EviiT3_lPKT2_lT1_lS6_lS7_lS3_lPT4_lS7_li.has_dyn_sized_stack, 0
	.set _ZL32rocblas_gemvt_warp_reduce_kernelILb0ELi1024El16rocblas_bfloat16PKfS0_EviiT3_lPKT2_lT1_lS6_lS7_lS3_lPT4_lS7_li.has_recursion, 0
	.set _ZL32rocblas_gemvt_warp_reduce_kernelILb0ELi1024El16rocblas_bfloat16PKfS0_EviiT3_lPKT2_lT1_lS6_lS7_lS3_lPT4_lS7_li.has_indirect_call, 0
	.section	.AMDGPU.csdata,"",@progbits
; Kernel info:
; codeLenInByte = 2096
; TotalNumSgprs: 54
; NumVgprs: 24
; ScratchSize: 0
; MemoryBound: 0
; FloatMode: 240
; IeeeMode: 1
; LDSByteSize: 128 bytes/workgroup (compile time only)
; SGPRBlocks: 0
; VGPRBlocks: 1
; NumSGPRsForWavesPerEU: 54
; NumVGPRsForWavesPerEU: 24
; NamedBarCnt: 0
; Occupancy: 16
; WaveLimiterHint : 0
; COMPUTE_PGM_RSRC2:SCRATCH_EN: 0
; COMPUTE_PGM_RSRC2:USER_SGPR: 2
; COMPUTE_PGM_RSRC2:TRAP_HANDLER: 0
; COMPUTE_PGM_RSRC2:TGID_X_EN: 1
; COMPUTE_PGM_RSRC2:TGID_Y_EN: 0
; COMPUTE_PGM_RSRC2:TGID_Z_EN: 1
; COMPUTE_PGM_RSRC2:TIDIG_COMP_CNT: 0
	.section	.text._ZL32rocblas_gemvt_warp_reduce_kernelILb0ELi1024Ei16rocblas_bfloat16fS0_EviiT3_lPKT2_lT1_lS4_lS5_lS1_lPT4_lS5_li,"axG",@progbits,_ZL32rocblas_gemvt_warp_reduce_kernelILb0ELi1024Ei16rocblas_bfloat16fS0_EviiT3_lPKT2_lT1_lS4_lS5_lS1_lPT4_lS5_li,comdat
	.globl	_ZL32rocblas_gemvt_warp_reduce_kernelILb0ELi1024Ei16rocblas_bfloat16fS0_EviiT3_lPKT2_lT1_lS4_lS5_lS1_lPT4_lS5_li ; -- Begin function _ZL32rocblas_gemvt_warp_reduce_kernelILb0ELi1024Ei16rocblas_bfloat16fS0_EviiT3_lPKT2_lT1_lS4_lS5_lS1_lPT4_lS5_li
	.p2align	8
	.type	_ZL32rocblas_gemvt_warp_reduce_kernelILb0ELi1024Ei16rocblas_bfloat16fS0_EviiT3_lPKT2_lT1_lS4_lS5_lS1_lPT4_lS5_li,@function
_ZL32rocblas_gemvt_warp_reduce_kernelILb0ELi1024Ei16rocblas_bfloat16fS0_EviiT3_lPKT2_lT1_lS4_lS5_lS1_lPT4_lS5_li: ; @_ZL32rocblas_gemvt_warp_reduce_kernelILb0ELi1024Ei16rocblas_bfloat16fS0_EviiT3_lPKT2_lT1_lS4_lS5_lS1_lPT4_lS5_li
; %bb.0:
	s_load_b32 s19, s[0:1], 0x88
	s_bfe_u32 s2, ttmp6, 0x40014
	s_lshr_b32 s4, ttmp7, 16
	s_add_co_i32 s2, s2, 1
	s_bfe_u32 s5, ttmp6, 0x40008
	s_mul_i32 s2, s4, s2
	s_getreg_b32 s3, hwreg(HW_REG_IB_STS2, 6, 4)
	s_add_co_i32 s5, s5, s2
	s_cmp_eq_u32 s3, 0
	s_mov_b32 s25, 0
	s_cselect_b32 s24, s4, s5
	s_wait_kmcnt 0x0
	s_cmp_ge_u32 s24, s19
	s_cbranch_scc1 .LBB570_59
; %bb.1:
	s_clause 0x7
	s_load_b96 s[20:22], s[0:1], 0x40
	s_load_b128 s[12:15], s[0:1], 0x68
	s_load_b128 s[4:7], s[0:1], 0x18
	s_load_b32 s30, s[0:1], 0x8
	s_load_b96 s[16:18], s[0:1], 0x50
	s_load_b32 s23, s[0:1], 0x28
	s_load_b32 s36, s[0:1], 0x0
	s_load_b128 s[8:11], s[0:1], 0x30
	v_dual_mov_b32 v3, 0 :: v_dual_bitop2_b32 v2, 31, v0 bitop3:0x40
	v_lshrrev_b32_e32 v4, 3, v0
	v_mbcnt_lo_u32_b32 v1, -1, 0
	s_delay_alu instid0(VALU_DEP_3) | instskip(NEXT) | instid1(VALU_DEP_3)
	v_lshlrev_b32_e32 v12, 2, v2
	v_and_b32_e32 v13, 0x7c, v4
	s_wait_kmcnt 0x0
	s_lshl_b64 s[26:27], s[20:21], 1
	s_lshl_b64 s[14:15], s[14:15], 1
	;; [unrolled: 1-line block ×3, first 2 shown]
	s_cmp_eq_f32 s30, 0
	s_add_nc_u64 s[12:13], s[12:13], s[14:15]
	v_cmp_gt_i32_e32 vcc_lo, s36, v0
	s_clause 0x1
	s_load_b32 s28, s[0:1], 0x78
	s_load_b64 s[6:7], s[0:1], 0x80
	s_cselect_b32 s31, -1, 0
	s_cmp_neq_f32 s30, 0
	s_add_nc_u64 s[10:11], s[10:11], s[26:27]
	s_add_nc_u64 s[26:27], s[4:5], s[20:21]
	v_mul_lo_u32 v14, v0, s22
	s_cselect_b32 s2, -1, 0
	s_cmp_neq_f32 s18, 1.0
	s_wait_xcnt 0x0
	v_cmp_eq_u32_e64 s0, 0, v0
	v_cmp_gt_u32_e64 s1, 32, v0
	s_cselect_b32 s29, -1, 0
	s_delay_alu instid0(SALU_CYCLE_1)
	s_or_b32 s33, s2, s29
	s_cmp_neq_f32 s18, 0
	v_cmp_eq_u32_e64 s2, 0, v2
	s_cselect_b32 s34, -1, 0
	s_cmp_eq_f32 s18, 0
	s_cselect_b32 s35, -1, 0
	s_bfe_u32 s29, ttmp6, 0x4000c
	s_and_b32 s37, ttmp6, 15
	s_add_co_i32 s29, s29, 1
	s_delay_alu instid0(SALU_CYCLE_1) | instskip(NEXT) | instid1(SALU_CYCLE_1)
	s_mul_i32 s29, ttmp9, s29
	s_add_co_i32 s37, s37, s29
	s_cmp_eq_u32 s3, 0
	s_cselect_b32 s3, ttmp9, s37
	s_ashr_i32 s14, s36, 31
	s_wait_kmcnt 0x0
	s_mul_i32 s28, s28, s3
	s_lshr_b32 s14, s14, 22
	s_ashr_i32 s29, s28, 31
	s_add_co_i32 s14, s36, s14
	s_delay_alu instid0(SALU_CYCLE_1) | instskip(NEXT) | instid1(SALU_CYCLE_1)
	s_and_b32 s14, s14, 0xfffffc00
	v_dual_cndmask_b32 v2, 0, v0, vcc_lo :: v_dual_bitop2_b32 v5, s14, v0 bitop3:0x54
	s_ashr_i32 s15, s14, 31
	s_delay_alu instid0(VALU_DEP_1) | instskip(NEXT) | instid1(VALU_DEP_2)
	v_mul_lo_u32 v4, s22, v5
	v_lshlrev_b32_e32 v2, 1, v2
	s_delay_alu instid0(VALU_DEP_1) | instskip(SKIP_3) | instid1(SALU_CYCLE_1)
	v_add_nc_u64_e32 v[6:7], s[26:27], v[2:3]
	s_mul_i32 s26, s23, s3
	v_cmp_gt_i32_e64 s3, s14, v0
	s_ashr_i32 s27, s26, 31
	s_lshl_b64 s[26:27], s[26:27], 1
	s_delay_alu instid0(SALU_CYCLE_1)
	s_add_nc_u64 s[20:21], s[20:21], s[26:27]
	v_add_nc_u64_e32 v[6:7], s[26:27], v[6:7]
	s_add_nc_u64 s[4:5], s[4:5], s[20:21]
	s_lshl_b64 s[20:21], s[8:9], 1
	v_add_nc_u64_e32 v[8:9], s[4:5], v[2:3]
	v_cmp_gt_i32_e64 s4, s36, v5
	v_ashrrev_i32_e32 v5, 31, v4
	v_lshl_or_b32 v2, v1, 2, 64
	s_lshl_b32 s5, s22, 10
	s_lshl_b64 s[22:23], s[28:29], 1
	s_branch .LBB570_4
.LBB570_2:                              ;   in Loop: Header=BB570_4 Depth=1
	s_wait_xcnt 0x0
	s_or_b32 exec_lo, exec_lo, s28
.LBB570_3:                              ;   in Loop: Header=BB570_4 Depth=1
	s_add_co_i32 s24, s24, 0x10000
	s_delay_alu instid0(SALU_CYCLE_1)
	s_cmp_lt_u32 s24, s19
	s_cbranch_scc0 .LBB570_59
.LBB570_4:                              ; =>This Loop Header: Depth=1
                                        ;     Child Loop BB570_26 Depth 2
	s_and_not1_b32 vcc_lo, exec_lo, s33
	s_cbranch_vccnz .LBB570_3
; %bb.5:                                ;   in Loop: Header=BB570_4 Depth=1
	s_mul_u64 s[26:27], s[6:7], s[24:25]
	s_and_not1_b32 vcc_lo, exec_lo, s31
	s_lshl_b64 s[26:27], s[26:27], 1
	s_delay_alu instid0(SALU_CYCLE_1)
	s_add_nc_u64 s[26:27], s[12:13], s[26:27]
	s_cbranch_vccnz .LBB570_13
; %bb.6:                                ;   in Loop: Header=BB570_4 Depth=1
	s_mov_b32 s28, 0
	s_mov_b32 s36, 0
                                        ; implicit-def: $sgpr37
	s_and_saveexec_b32 s29, s0
	s_cbranch_execz .LBB570_14
; %bb.7:                                ;   in Loop: Header=BB570_4 Depth=1
	s_and_not1_b32 vcc_lo, exec_lo, s34
	s_cbranch_vccnz .LBB570_56
; %bb.8:                                ;   in Loop: Header=BB570_4 Depth=1
	s_add_nc_u64 s[36:37], s[26:27], s[22:23]
	s_mov_b32 s38, -1
	global_load_u16 v10, v3, s[36:37]
	s_wait_loadcnt 0x0
	s_wait_xcnt 0x0
	v_readfirstlane_b32 s36, v10
	s_lshl_b32 s36, s36, 16
	s_delay_alu instid0(SALU_CYCLE_1) | instskip(NEXT) | instid1(SALU_CYCLE_3)
	s_mul_f32 s36, s18, s36
	s_and_b32 s37, s36, 0x7f800000
	s_delay_alu instid0(SALU_CYCLE_1)
	s_cmp_eq_u32 s37, 0x7f800000
                                        ; implicit-def: $sgpr37
	s_cbranch_scc1 .LBB570_10
; %bb.9:                                ;   in Loop: Header=BB570_4 Depth=1
	s_bfe_u32 s37, s36, 0x10010
	s_mov_b32 s38, 0
	s_add_co_i32 s37, s36, s37
	s_delay_alu instid0(SALU_CYCLE_1)
	s_addk_co_i32 s37, 0x7fff
.LBB570_10:                             ;   in Loop: Header=BB570_4 Depth=1
	s_and_not1_b32 vcc_lo, exec_lo, s38
	s_cbranch_vccnz .LBB570_12
; %bb.11:                               ;   in Loop: Header=BB570_4 Depth=1
	s_and_b32 s37, s36, 0xffff
	s_or_b32 s38, s36, 0x10000
	s_cmp_eq_u32 s37, 0
	s_cselect_b32 s37, s36, s38
.LBB570_12:                             ;   in Loop: Header=BB570_4 Depth=1
	s_delay_alu instid0(SALU_CYCLE_1) | instskip(SKIP_2) | instid1(SALU_CYCLE_1)
	s_lshr_b32 s37, s37, 16
	s_mov_b32 s36, exec_lo
	s_or_b32 exec_lo, exec_lo, s29
	s_and_b32 vcc_lo, exec_lo, s28
	s_cbranch_vccnz .LBB570_15
	s_branch .LBB570_57
.LBB570_13:                             ;   in Loop: Header=BB570_4 Depth=1
	s_mov_b32 s36, 0
                                        ; implicit-def: $sgpr37
	s_cbranch_execnz .LBB570_15
	s_branch .LBB570_57
.LBB570_14:                             ;   in Loop: Header=BB570_4 Depth=1
	s_or_b32 exec_lo, exec_lo, s29
	s_delay_alu instid0(SALU_CYCLE_1)
	s_and_b32 vcc_lo, exec_lo, s28
	s_cbranch_vccz .LBB570_57
.LBB570_15:                             ;   in Loop: Header=BB570_4 Depth=1
	s_mul_u64 s[28:29], s[16:17], s[24:25]
	v_mov_b32_e32 v15, 0
	s_lshl_b64 s[28:29], s[28:29], 1
	s_delay_alu instid0(SALU_CYCLE_1)
	s_add_nc_u64 s[28:29], s[10:11], s[28:29]
	s_and_saveexec_b32 s37, s3
	s_cbranch_execnz .LBB570_24
; %bb.16:                               ;   in Loop: Header=BB570_4 Depth=1
	s_or_b32 exec_lo, exec_lo, s37
	s_and_saveexec_b32 s37, s4
	s_cbranch_execnz .LBB570_51
.LBB570_17:                             ;   in Loop: Header=BB570_4 Depth=1
	s_or_b32 exec_lo, exec_lo, s37
	s_and_saveexec_b32 s28, s1
.LBB570_18:                             ;   in Loop: Header=BB570_4 Depth=1
	ds_store_b32 v12, v3
.LBB570_19:                             ;   in Loop: Header=BB570_4 Depth=1
	s_or_b32 exec_lo, exec_lo, s28
	ds_bpermute_b32 v11, v2, v15
	v_cmp_gt_u32_e32 vcc_lo, 24, v1
	s_wait_dscnt 0x0
	s_barrier_signal -1
	s_barrier_wait -1
	v_cndmask_b32_e64 v10, 0, 8, vcc_lo
	v_cmp_gt_u32_e32 vcc_lo, 28, v1
	s_delay_alu instid0(VALU_DEP_2)
	v_add_lshl_u32 v10, v10, v1, 2
	v_add_f32_e32 v15, v15, v11
	v_cndmask_b32_e64 v11, 0, 4, vcc_lo
	v_cmp_gt_u32_e32 vcc_lo, 30, v1
	ds_bpermute_b32 v16, v10, v15
	v_add_lshl_u32 v11, v11, v1, 2
	s_wait_dscnt 0x0
	v_add_f32_e32 v16, v15, v16
	v_cndmask_b32_e64 v15, 0, 2, vcc_lo
	v_cmp_ne_u32_e32 vcc_lo, 31, v1
	ds_bpermute_b32 v17, v11, v16
	v_add_lshl_u32 v15, v15, v1, 2
	v_add_co_ci_u32_e64 v18, null, 0, v1, vcc_lo
	s_wait_dscnt 0x0
	v_add_f32_e32 v16, v16, v17
	ds_bpermute_b32 v17, v15, v16
	s_wait_dscnt 0x0
	v_dual_add_f32 v17, v16, v17 :: v_dual_lshlrev_b32 v16, 2, v18
	ds_bpermute_b32 v18, v16, v17
	s_and_saveexec_b32 s28, s2
	s_cbranch_execz .LBB570_21
; %bb.20:                               ;   in Loop: Header=BB570_4 Depth=1
	s_wait_dscnt 0x0
	v_add_f32_e32 v17, v17, v18
	ds_store_b32 v13, v17
.LBB570_21:                             ;   in Loop: Header=BB570_4 Depth=1
	s_or_b32 exec_lo, exec_lo, s28
	v_mov_b32_e32 v17, 0
	s_wait_dscnt 0x0
	s_barrier_signal -1
	s_barrier_wait -1
	s_and_saveexec_b32 s28, s1
	s_cbranch_execnz .LBB570_30
; %bb.22:                               ;   in Loop: Header=BB570_4 Depth=1
	s_or_b32 exec_lo, exec_lo, s28
	s_and_saveexec_b32 s28, s1
	s_cbranch_execnz .LBB570_31
.LBB570_23:                             ;   in Loop: Header=BB570_4 Depth=1
	s_or_b32 exec_lo, exec_lo, s28
                                        ; implicit-def: $vgpr10
	s_and_saveexec_b32 s28, s0
	s_cbranch_execnz .LBB570_32
	s_branch .LBB570_49
.LBB570_24:                             ;   in Loop: Header=BB570_4 Depth=1
	v_mad_nc_u64_u32 v[10:11], s20, s24, v[8:9]
	v_dual_mov_b32 v15, 0 :: v_dual_mov_b32 v16, v0
	s_wait_dscnt 0x0
	v_mov_b32_e32 v17, v14
	s_mov_b32 s38, 0
	s_delay_alu instid0(VALU_DEP_3)
	v_mad_u32 v11, s21, s24, v11
	s_branch .LBB570_26
.LBB570_25:                             ;   in Loop: Header=BB570_26 Depth=2
	s_or_b32 exec_lo, exec_lo, s39
	s_delay_alu instid0(VALU_DEP_1) | instskip(SKIP_2) | instid1(VALU_DEP_3)
	v_and_b32_e32 v18, 0xffff0000, v18
	v_add_nc_u32_e32 v16, 0x400, v16
	v_add_nc_u64_e32 v[10:11], 0x800, v[10:11]
	v_dual_add_nc_u32 v17, s5, v17 :: v_dual_add_f32 v15, v15, v18
	s_delay_alu instid0(VALU_DEP_3) | instskip(SKIP_1) | instid1(SALU_CYCLE_1)
	v_cmp_le_i32_e32 vcc_lo, s14, v16
	s_or_b32 s38, vcc_lo, s38
	s_and_not1_b32 exec_lo, exec_lo, s38
	s_cbranch_execz .LBB570_50
.LBB570_26:                             ;   Parent Loop BB570_4 Depth=1
                                        ; =>  This Inner Loop Header: Depth=2
	global_load_u16 v18, v[10:11], off
	global_load_u16 v19, v17, s[28:29] scale_offset
	s_wait_loadcnt 0x0
	v_dual_lshlrev_b32 v18, 16, v18 :: v_dual_lshlrev_b32 v19, 16, v19
	s_delay_alu instid0(VALU_DEP_1) | instskip(NEXT) | instid1(VALU_DEP_1)
	v_mul_f32_e32 v19, v19, v18
	v_and_b32_e32 v18, 0x7f800000, v19
	s_delay_alu instid0(VALU_DEP_1) | instskip(SKIP_2) | instid1(SALU_CYCLE_1)
	v_cmp_ne_u32_e32 vcc_lo, 0x7f800000, v18
                                        ; implicit-def: $vgpr18
	s_wait_xcnt 0x0
	s_and_saveexec_b32 s39, vcc_lo
	s_xor_b32 s39, exec_lo, s39
; %bb.27:                               ;   in Loop: Header=BB570_26 Depth=2
	v_bfe_u32 v18, v19, 16, 1
	s_delay_alu instid0(VALU_DEP_1)
	v_add3_u32 v18, v19, v18, 0x7fff
                                        ; implicit-def: $vgpr19
; %bb.28:                               ;   in Loop: Header=BB570_26 Depth=2
	s_and_not1_saveexec_b32 s39, s39
	s_cbranch_execz .LBB570_25
; %bb.29:                               ;   in Loop: Header=BB570_26 Depth=2
	v_and_b32_e32 v18, 0xffff, v19
	v_or_b32_e32 v20, 0x10000, v19
	s_delay_alu instid0(VALU_DEP_2) | instskip(NEXT) | instid1(VALU_DEP_2)
	v_cmp_eq_u32_e32 vcc_lo, 0, v18
	v_cndmask_b32_e32 v18, v20, v19, vcc_lo
	s_branch .LBB570_25
.LBB570_30:                             ;   in Loop: Header=BB570_4 Depth=1
	ds_load_b32 v17, v12
	s_or_b32 exec_lo, exec_lo, s28
	s_and_saveexec_b32 s28, s1
	s_cbranch_execz .LBB570_23
.LBB570_31:                             ;   in Loop: Header=BB570_4 Depth=1
	s_wait_dscnt 0x0
	ds_bpermute_b32 v18, v2, v17
	s_wait_dscnt 0x0
	v_add_f32_e32 v17, v17, v18
	ds_bpermute_b32 v10, v10, v17
	s_wait_dscnt 0x0
	v_add_f32_e32 v10, v17, v10
	;; [unrolled: 3-line block ×5, first 2 shown]
	s_or_b32 exec_lo, exec_lo, s28
                                        ; implicit-def: $vgpr10
	s_and_saveexec_b32 s28, s0
	s_cbranch_execz .LBB570_49
.LBB570_32:                             ;   in Loop: Header=BB570_4 Depth=1
	s_wait_dscnt 0x0
	v_mul_f32_e32 v10, s30, v17
	s_and_b32 vcc_lo, exec_lo, s35
	s_mov_b32 s29, -1
                                        ; implicit-def: $vgpr11
	s_cbranch_vccz .LBB570_38
; %bb.33:                               ;   in Loop: Header=BB570_4 Depth=1
	s_delay_alu instid0(VALU_DEP_1) | instskip(NEXT) | instid1(VALU_DEP_1)
	v_and_b32_e32 v11, 0x7f800000, v10
	v_cmp_ne_u32_e32 vcc_lo, 0x7f800000, v11
                                        ; implicit-def: $vgpr11
	s_and_saveexec_b32 s29, vcc_lo
	s_delay_alu instid0(SALU_CYCLE_1)
	s_xor_b32 s29, exec_lo, s29
; %bb.34:                               ;   in Loop: Header=BB570_4 Depth=1
	v_bfe_u32 v11, v10, 16, 1
	s_delay_alu instid0(VALU_DEP_1)
	v_add3_u32 v11, v10, v11, 0x7fff
; %bb.35:                               ;   in Loop: Header=BB570_4 Depth=1
	s_and_not1_saveexec_b32 s29, s29
; %bb.36:                               ;   in Loop: Header=BB570_4 Depth=1
	v_and_b32_e32 v11, 0xffff, v10
	v_or_b32_e32 v15, 0x10000, v10
	s_delay_alu instid0(VALU_DEP_2) | instskip(NEXT) | instid1(VALU_DEP_2)
	v_cmp_eq_u32_e32 vcc_lo, 0, v11
	v_cndmask_b32_e32 v11, v15, v10, vcc_lo
; %bb.37:                               ;   in Loop: Header=BB570_4 Depth=1
	s_or_b32 exec_lo, exec_lo, s29
	s_mov_b32 s29, 0
.LBB570_38:                             ;   in Loop: Header=BB570_4 Depth=1
	s_delay_alu instid0(SALU_CYCLE_1)
	s_and_not1_b32 vcc_lo, exec_lo, s29
	s_cbranch_vccnz .LBB570_48
; %bb.39:                               ;   in Loop: Header=BB570_4 Depth=1
	s_add_nc_u64 s[38:39], s[26:27], s[22:23]
	global_load_u16 v11, v3, s[38:39]
	s_wait_xcnt 0x0
	s_mov_b32 s38, -1
	s_wait_loadcnt 0x0
	v_readfirstlane_b32 s29, v11
	s_lshl_b32 s29, s29, 16
	s_delay_alu instid0(SALU_CYCLE_1) | instskip(NEXT) | instid1(SALU_CYCLE_3)
	s_mul_f32 s29, s18, s29
	s_and_b32 s37, s29, 0x7f800000
	s_delay_alu instid0(SALU_CYCLE_1)
	s_cmp_eq_u32 s37, 0x7f800000
                                        ; implicit-def: $sgpr37
	s_cbranch_scc1 .LBB570_41
; %bb.40:                               ;   in Loop: Header=BB570_4 Depth=1
	s_bfe_u32 s37, s29, 0x10010
	s_mov_b32 s38, 0
	s_add_co_i32 s37, s29, s37
	s_delay_alu instid0(SALU_CYCLE_1)
	s_addk_co_i32 s37, 0x7fff
.LBB570_41:                             ;   in Loop: Header=BB570_4 Depth=1
	s_and_not1_b32 vcc_lo, exec_lo, s38
	s_cbranch_vccnz .LBB570_43
; %bb.42:                               ;   in Loop: Header=BB570_4 Depth=1
	s_and_b32 s37, s29, 0xffff
	s_or_b32 s38, s29, 0x10000
	s_cmp_eq_u32 s37, 0
	s_cselect_b32 s37, s29, s38
.LBB570_43:                             ;   in Loop: Header=BB570_4 Depth=1
	s_delay_alu instid0(SALU_CYCLE_1) | instskip(NEXT) | instid1(SALU_CYCLE_1)
	s_and_b32 s29, s37, 0xffff0000
	v_add_f32_e32 v10, s29, v10
	s_delay_alu instid0(VALU_DEP_1) | instskip(NEXT) | instid1(VALU_DEP_1)
	v_and_b32_e32 v11, 0x7f800000, v10
	v_cmp_ne_u32_e32 vcc_lo, 0x7f800000, v11
                                        ; implicit-def: $vgpr11
	s_and_saveexec_b32 s29, vcc_lo
	s_delay_alu instid0(SALU_CYCLE_1)
	s_xor_b32 s29, exec_lo, s29
; %bb.44:                               ;   in Loop: Header=BB570_4 Depth=1
	v_bfe_u32 v11, v10, 16, 1
	s_delay_alu instid0(VALU_DEP_1)
	v_add3_u32 v11, v10, v11, 0x7fff
                                        ; implicit-def: $vgpr10
; %bb.45:                               ;   in Loop: Header=BB570_4 Depth=1
	s_and_not1_saveexec_b32 s29, s29
; %bb.46:                               ;   in Loop: Header=BB570_4 Depth=1
	v_and_b32_e32 v11, 0xffff, v10
	v_or_b32_e32 v15, 0x10000, v10
	s_delay_alu instid0(VALU_DEP_2) | instskip(NEXT) | instid1(VALU_DEP_2)
	v_cmp_eq_u32_e32 vcc_lo, 0, v11
	v_cndmask_b32_e32 v11, v15, v10, vcc_lo
; %bb.47:                               ;   in Loop: Header=BB570_4 Depth=1
	s_or_b32 exec_lo, exec_lo, s29
.LBB570_48:                             ;   in Loop: Header=BB570_4 Depth=1
	s_delay_alu instid0(VALU_DEP_1)
	v_lshrrev_b32_e32 v10, 16, v11
	s_or_b32 s36, s36, exec_lo
.LBB570_49:                             ;   in Loop: Header=BB570_4 Depth=1
	s_or_b32 exec_lo, exec_lo, s28
	s_and_saveexec_b32 s28, s36
	s_cbranch_execz .LBB570_2
	s_branch .LBB570_58
.LBB570_50:                             ;   in Loop: Header=BB570_4 Depth=1
	s_or_b32 exec_lo, exec_lo, s38
	s_delay_alu instid0(SALU_CYCLE_1)
	s_or_b32 exec_lo, exec_lo, s37
	s_and_saveexec_b32 s37, s4
	s_cbranch_execz .LBB570_17
.LBB570_51:                             ;   in Loop: Header=BB570_4 Depth=1
	s_mul_u64 s[38:39], s[8:9], s[24:25]
	s_wait_dscnt 0x0
	v_lshl_add_u64 v[16:17], v[4:5], 1, s[28:29]
	v_lshl_add_u64 v[10:11], s[38:39], 1, v[6:7]
	s_delay_alu instid0(VALU_DEP_1)
	v_lshl_add_u64 v[10:11], s[14:15], 1, v[10:11]
	global_load_u16 v18, v[16:17], off
	global_load_u16 v19, v[10:11], off
	s_wait_loadcnt 0x0
	s_wait_xcnt 0x0
	v_dual_lshlrev_b32 v10, 16, v18 :: v_dual_lshlrev_b32 v11, 16, v19
	s_delay_alu instid0(VALU_DEP_1) | instskip(NEXT) | instid1(VALU_DEP_1)
	v_mul_f32_e32 v10, v10, v11
	v_and_b32_e32 v11, 0x7f800000, v10
	s_delay_alu instid0(VALU_DEP_1) | instskip(SKIP_1) | instid1(SALU_CYCLE_1)
	v_cmp_ne_u32_e32 vcc_lo, 0x7f800000, v11
                                        ; implicit-def: $vgpr11
	s_and_saveexec_b32 s28, vcc_lo
	s_xor_b32 s28, exec_lo, s28
; %bb.52:                               ;   in Loop: Header=BB570_4 Depth=1
	v_bfe_u32 v11, v10, 16, 1
	s_delay_alu instid0(VALU_DEP_1)
	v_add3_u32 v11, v10, v11, 0x7fff
                                        ; implicit-def: $vgpr10
; %bb.53:                               ;   in Loop: Header=BB570_4 Depth=1
	s_and_not1_saveexec_b32 s28, s28
; %bb.54:                               ;   in Loop: Header=BB570_4 Depth=1
	v_and_b32_e32 v11, 0xffff, v10
	v_or_b32_e32 v16, 0x10000, v10
	s_delay_alu instid0(VALU_DEP_2) | instskip(NEXT) | instid1(VALU_DEP_2)
	v_cmp_eq_u32_e32 vcc_lo, 0, v11
	v_cndmask_b32_e32 v11, v16, v10, vcc_lo
; %bb.55:                               ;   in Loop: Header=BB570_4 Depth=1
	s_or_b32 exec_lo, exec_lo, s28
	s_delay_alu instid0(VALU_DEP_1) | instskip(NEXT) | instid1(VALU_DEP_1)
	v_and_b32_e32 v10, 0xffff0000, v11
	v_add_f32_e32 v15, v15, v10
	s_or_b32 exec_lo, exec_lo, s37
	s_and_saveexec_b32 s28, s1
	s_cbranch_execnz .LBB570_18
	s_branch .LBB570_19
.LBB570_56:                             ;   in Loop: Header=BB570_4 Depth=1
	s_mov_b32 s37, 0
	s_mov_b32 s36, exec_lo
	s_or_b32 exec_lo, exec_lo, s29
	s_delay_alu instid0(SALU_CYCLE_1)
	s_and_b32 vcc_lo, exec_lo, s28
	s_cbranch_vccnz .LBB570_15
.LBB570_57:                             ;   in Loop: Header=BB570_4 Depth=1
	v_mov_b32_e32 v10, s37
	s_and_saveexec_b32 s28, s36
	s_cbranch_execz .LBB570_2
.LBB570_58:                             ;   in Loop: Header=BB570_4 Depth=1
	s_add_nc_u64 s[26:27], s[26:27], s[22:23]
	global_store_b16 v3, v10, s[26:27]
	s_branch .LBB570_2
.LBB570_59:
	s_endpgm
	.section	.rodata,"a",@progbits
	.p2align	6, 0x0
	.amdhsa_kernel _ZL32rocblas_gemvt_warp_reduce_kernelILb0ELi1024Ei16rocblas_bfloat16fS0_EviiT3_lPKT2_lT1_lS4_lS5_lS1_lPT4_lS5_li
		.amdhsa_group_segment_fixed_size 128
		.amdhsa_private_segment_fixed_size 0
		.amdhsa_kernarg_size 140
		.amdhsa_user_sgpr_count 2
		.amdhsa_user_sgpr_dispatch_ptr 0
		.amdhsa_user_sgpr_queue_ptr 0
		.amdhsa_user_sgpr_kernarg_segment_ptr 1
		.amdhsa_user_sgpr_dispatch_id 0
		.amdhsa_user_sgpr_kernarg_preload_length 0
		.amdhsa_user_sgpr_kernarg_preload_offset 0
		.amdhsa_user_sgpr_private_segment_size 0
		.amdhsa_wavefront_size32 1
		.amdhsa_uses_dynamic_stack 0
		.amdhsa_enable_private_segment 0
		.amdhsa_system_sgpr_workgroup_id_x 1
		.amdhsa_system_sgpr_workgroup_id_y 0
		.amdhsa_system_sgpr_workgroup_id_z 1
		.amdhsa_system_sgpr_workgroup_info 0
		.amdhsa_system_vgpr_workitem_id 0
		.amdhsa_next_free_vgpr 21
		.amdhsa_next_free_sgpr 40
		.amdhsa_named_barrier_count 0
		.amdhsa_reserve_vcc 1
		.amdhsa_float_round_mode_32 0
		.amdhsa_float_round_mode_16_64 0
		.amdhsa_float_denorm_mode_32 3
		.amdhsa_float_denorm_mode_16_64 3
		.amdhsa_fp16_overflow 0
		.amdhsa_memory_ordered 1
		.amdhsa_forward_progress 1
		.amdhsa_inst_pref_size 17
		.amdhsa_round_robin_scheduling 0
		.amdhsa_exception_fp_ieee_invalid_op 0
		.amdhsa_exception_fp_denorm_src 0
		.amdhsa_exception_fp_ieee_div_zero 0
		.amdhsa_exception_fp_ieee_overflow 0
		.amdhsa_exception_fp_ieee_underflow 0
		.amdhsa_exception_fp_ieee_inexact 0
		.amdhsa_exception_int_div_zero 0
	.end_amdhsa_kernel
	.section	.text._ZL32rocblas_gemvt_warp_reduce_kernelILb0ELi1024Ei16rocblas_bfloat16fS0_EviiT3_lPKT2_lT1_lS4_lS5_lS1_lPT4_lS5_li,"axG",@progbits,_ZL32rocblas_gemvt_warp_reduce_kernelILb0ELi1024Ei16rocblas_bfloat16fS0_EviiT3_lPKT2_lT1_lS4_lS5_lS1_lPT4_lS5_li,comdat
.Lfunc_end570:
	.size	_ZL32rocblas_gemvt_warp_reduce_kernelILb0ELi1024Ei16rocblas_bfloat16fS0_EviiT3_lPKT2_lT1_lS4_lS5_lS1_lPT4_lS5_li, .Lfunc_end570-_ZL32rocblas_gemvt_warp_reduce_kernelILb0ELi1024Ei16rocblas_bfloat16fS0_EviiT3_lPKT2_lT1_lS4_lS5_lS1_lPT4_lS5_li
                                        ; -- End function
	.set _ZL32rocblas_gemvt_warp_reduce_kernelILb0ELi1024Ei16rocblas_bfloat16fS0_EviiT3_lPKT2_lT1_lS4_lS5_lS1_lPT4_lS5_li.num_vgpr, 21
	.set _ZL32rocblas_gemvt_warp_reduce_kernelILb0ELi1024Ei16rocblas_bfloat16fS0_EviiT3_lPKT2_lT1_lS4_lS5_lS1_lPT4_lS5_li.num_agpr, 0
	.set _ZL32rocblas_gemvt_warp_reduce_kernelILb0ELi1024Ei16rocblas_bfloat16fS0_EviiT3_lPKT2_lT1_lS4_lS5_lS1_lPT4_lS5_li.numbered_sgpr, 40
	.set _ZL32rocblas_gemvt_warp_reduce_kernelILb0ELi1024Ei16rocblas_bfloat16fS0_EviiT3_lPKT2_lT1_lS4_lS5_lS1_lPT4_lS5_li.num_named_barrier, 0
	.set _ZL32rocblas_gemvt_warp_reduce_kernelILb0ELi1024Ei16rocblas_bfloat16fS0_EviiT3_lPKT2_lT1_lS4_lS5_lS1_lPT4_lS5_li.private_seg_size, 0
	.set _ZL32rocblas_gemvt_warp_reduce_kernelILb0ELi1024Ei16rocblas_bfloat16fS0_EviiT3_lPKT2_lT1_lS4_lS5_lS1_lPT4_lS5_li.uses_vcc, 1
	.set _ZL32rocblas_gemvt_warp_reduce_kernelILb0ELi1024Ei16rocblas_bfloat16fS0_EviiT3_lPKT2_lT1_lS4_lS5_lS1_lPT4_lS5_li.uses_flat_scratch, 0
	.set _ZL32rocblas_gemvt_warp_reduce_kernelILb0ELi1024Ei16rocblas_bfloat16fS0_EviiT3_lPKT2_lT1_lS4_lS5_lS1_lPT4_lS5_li.has_dyn_sized_stack, 0
	.set _ZL32rocblas_gemvt_warp_reduce_kernelILb0ELi1024Ei16rocblas_bfloat16fS0_EviiT3_lPKT2_lT1_lS4_lS5_lS1_lPT4_lS5_li.has_recursion, 0
	.set _ZL32rocblas_gemvt_warp_reduce_kernelILb0ELi1024Ei16rocblas_bfloat16fS0_EviiT3_lPKT2_lT1_lS4_lS5_lS1_lPT4_lS5_li.has_indirect_call, 0
	.section	.AMDGPU.csdata,"",@progbits
; Kernel info:
; codeLenInByte = 2108
; TotalNumSgprs: 42
; NumVgprs: 21
; ScratchSize: 0
; MemoryBound: 0
; FloatMode: 240
; IeeeMode: 1
; LDSByteSize: 128 bytes/workgroup (compile time only)
; SGPRBlocks: 0
; VGPRBlocks: 1
; NumSGPRsForWavesPerEU: 42
; NumVGPRsForWavesPerEU: 21
; NamedBarCnt: 0
; Occupancy: 16
; WaveLimiterHint : 0
; COMPUTE_PGM_RSRC2:SCRATCH_EN: 0
; COMPUTE_PGM_RSRC2:USER_SGPR: 2
; COMPUTE_PGM_RSRC2:TRAP_HANDLER: 0
; COMPUTE_PGM_RSRC2:TGID_X_EN: 1
; COMPUTE_PGM_RSRC2:TGID_Y_EN: 0
; COMPUTE_PGM_RSRC2:TGID_Z_EN: 1
; COMPUTE_PGM_RSRC2:TIDIG_COMP_CNT: 0
	.section	.text._ZL32rocblas_gemvt_warp_reduce_kernelILb0ELi1024El16rocblas_bfloat16fS0_EviiT3_lPKT2_lT1_lS4_lS5_lS1_lPT4_lS5_li,"axG",@progbits,_ZL32rocblas_gemvt_warp_reduce_kernelILb0ELi1024El16rocblas_bfloat16fS0_EviiT3_lPKT2_lT1_lS4_lS5_lS1_lPT4_lS5_li,comdat
	.globl	_ZL32rocblas_gemvt_warp_reduce_kernelILb0ELi1024El16rocblas_bfloat16fS0_EviiT3_lPKT2_lT1_lS4_lS5_lS1_lPT4_lS5_li ; -- Begin function _ZL32rocblas_gemvt_warp_reduce_kernelILb0ELi1024El16rocblas_bfloat16fS0_EviiT3_lPKT2_lT1_lS4_lS5_lS1_lPT4_lS5_li
	.p2align	8
	.type	_ZL32rocblas_gemvt_warp_reduce_kernelILb0ELi1024El16rocblas_bfloat16fS0_EviiT3_lPKT2_lT1_lS4_lS5_lS1_lPT4_lS5_li,@function
_ZL32rocblas_gemvt_warp_reduce_kernelILb0ELi1024El16rocblas_bfloat16fS0_EviiT3_lPKT2_lT1_lS4_lS5_lS1_lPT4_lS5_li: ; @_ZL32rocblas_gemvt_warp_reduce_kernelILb0ELi1024El16rocblas_bfloat16fS0_EviiT3_lPKT2_lT1_lS4_lS5_lS1_lPT4_lS5_li
; %bb.0:
	s_load_b32 s5, s[0:1], 0x88
	s_bfe_u32 s2, ttmp6, 0x40014
	s_lshr_b32 s3, ttmp7, 16
	s_add_co_i32 s2, s2, 1
	s_bfe_u32 s6, ttmp6, 0x40008
	s_mul_i32 s4, s3, s2
	s_getreg_b32 s2, hwreg(HW_REG_IB_STS2, 6, 4)
	s_add_co_i32 s6, s6, s4
	s_cmp_eq_u32 s2, 0
	s_mov_b32 s7, 0
	s_cselect_b32 s6, s3, s6
	s_wait_kmcnt 0x0
	s_cmp_ge_u32 s6, s5
	s_cbranch_scc1 .LBB571_59
; %bb.1:
	s_clause 0x3
	s_load_b512 s[8:23], s[0:1], 0x18
	s_load_b256 s[24:31], s[0:1], 0x68
	s_load_b32 s33, s[0:1], 0x8
	s_load_b32 s34, s[0:1], 0x58
	s_wait_kmcnt 0x0
	s_lshl_b64 s[18:19], s[18:19], 1
	s_lshl_b64 s[26:27], s[26:27], 1
	;; [unrolled: 1-line block ×3, first 2 shown]
	s_cmp_eq_f32 s33, 0
	s_load_b32 s11, s[0:1], 0x0
	s_add_nc_u64 s[16:17], s[16:17], s[18:19]
	s_add_nc_u64 s[18:19], s[24:25], s[26:27]
	s_cselect_b32 s35, -1, 0
	s_cmp_neq_f32 s33, 0
	s_cselect_b32 s3, -1, 0
	s_cmp_neq_f32 s34, 1.0
	s_cselect_b32 s4, -1, 0
	s_delay_alu instid0(SALU_CYCLE_1)
	s_or_b32 s36, s3, s4
	s_cmp_neq_f32 s34, 0
	s_cselect_b32 s37, -1, 0
	s_cmp_eq_f32 s34, 0
	s_wait_kmcnt 0x0
	v_cmp_gt_i32_e32 vcc_lo, s11, v0
	v_mov_b32_e32 v3, 0
	s_cselect_b32 s38, -1, 0
	s_bfe_u32 s0, ttmp6, 0x4000c
	s_and_b32 s1, ttmp6, 15
	s_add_co_i32 s0, s0, 1
	v_cndmask_b32_e32 v2, 0, v0, vcc_lo
	s_mul_i32 s0, ttmp9, s0
	s_delay_alu instid0(SALU_CYCLE_1) | instskip(SKIP_1) | instid1(VALU_DEP_1)
	s_add_co_i32 s1, s1, s0
	s_cmp_eq_u32 s2, 0
	v_lshlrev_b32_e32 v2, 1, v2
	s_cselect_b32 s2, ttmp9, s1
	s_ashr_i32 s0, s11, 31
	s_ashr_i32 s3, s2, 31
	s_lshr_b32 s0, s0, 22
	s_mul_u64 s[12:13], s[12:13], s[2:3]
	s_add_co_i32 s0, s11, s0
	s_lshl_b64 s[12:13], s[12:13], 1
	s_and_b32 s10, s0, 0xfffffc00
	s_delay_alu instid0(SALU_CYCLE_1) | instskip(SKIP_3) | instid1(VALU_DEP_2)
	v_dual_mov_b32 v1, v3 :: v_dual_bitop2_b32 v8, s10, v0 bitop3:0x54
	s_add_nc_u64 s[0:1], s[8:9], s[40:41]
	s_mul_u64 s[24:25], s[28:29], s[2:3]
	v_cmp_gt_u32_e64 s3, 32, v0
	v_mul_u64_e32 v[10:11], s[20:21], v[0:1]
	v_ashrrev_i32_e32 v9, 31, v8
	v_add_nc_u64_e32 v[6:7], s[0:1], v[2:3]
	v_cmp_gt_i32_e64 s2, s11, v8
	v_cmp_eq_u32_e64 s0, 0, v0
	v_cmp_gt_i32_e64 s1, s10, v0
	v_mul_u64_e32 v[4:5], s[20:21], v[8:9]
	v_dual_lshrrev_b32 v8, 3, v0 :: v_dual_bitop2_b32 v9, 31, v0 bitop3:0x40
	v_add_nc_u64_e32 v[6:7], s[12:13], v[6:7]
	s_add_nc_u64 s[12:13], s[12:13], s[40:41]
	s_ashr_i32 s11, s10, 31
	s_add_nc_u64 s[8:9], s[8:9], s[12:13]
	v_lshlrev_b32_e32 v1, 2, v9
	v_cmp_eq_u32_e64 s4, 0, v9
	v_and_b32_e32 v16, 0x7c, v8
	v_add_nc_u64_e32 v[8:9], s[8:9], v[2:3]
	v_mbcnt_lo_u32_b32 v2, -1, 0
	s_lshl_b64 s[8:9], s[14:15], 1
	s_lshl_b64 s[12:13], s[22:23], 1
	;; [unrolled: 1-line block ×4, first 2 shown]
	v_lshl_or_b32 v17, v2, 2, 64
	v_lshl_add_u64 v[10:11], v[10:11], 1, s[16:17]
	s_branch .LBB571_4
.LBB571_2:                              ;   in Loop: Header=BB571_4 Depth=1
	s_wait_xcnt 0x0
	s_or_b32 exec_lo, exec_lo, s29
.LBB571_3:                              ;   in Loop: Header=BB571_4 Depth=1
	s_add_co_i32 s6, s6, 0x10000
	s_delay_alu instid0(SALU_CYCLE_1)
	s_cmp_lt_u32 s6, s5
	s_cbranch_scc0 .LBB571_59
.LBB571_4:                              ; =>This Loop Header: Depth=1
                                        ;     Child Loop BB571_26 Depth 2
	s_and_not1_b32 vcc_lo, exec_lo, s36
	s_cbranch_vccnz .LBB571_3
; %bb.5:                                ;   in Loop: Header=BB571_4 Depth=1
	s_mul_u64 s[26:27], s[30:31], s[6:7]
	s_and_not1_b32 vcc_lo, exec_lo, s35
	s_lshl_b64 s[26:27], s[26:27], 1
	s_delay_alu instid0(SALU_CYCLE_1)
	s_add_nc_u64 s[26:27], s[18:19], s[26:27]
	s_cbranch_vccnz .LBB571_13
; %bb.6:                                ;   in Loop: Header=BB571_4 Depth=1
	s_mov_b32 s29, 0
	s_mov_b32 s28, 0
                                        ; implicit-def: $sgpr40
	s_and_saveexec_b32 s39, s0
	s_cbranch_execz .LBB571_14
; %bb.7:                                ;   in Loop: Header=BB571_4 Depth=1
	s_and_not1_b32 vcc_lo, exec_lo, s37
	s_cbranch_vccnz .LBB571_56
; %bb.8:                                ;   in Loop: Header=BB571_4 Depth=1
	s_add_nc_u64 s[40:41], s[26:27], s[24:25]
	global_load_u16 v12, v3, s[40:41]
	s_wait_xcnt 0x0
	s_mov_b32 s41, -1
	s_wait_loadcnt 0x0
	v_readfirstlane_b32 s28, v12
	s_lshl_b32 s28, s28, 16
	s_delay_alu instid0(SALU_CYCLE_1) | instskip(NEXT) | instid1(SALU_CYCLE_3)
	s_mul_f32 s28, s34, s28
	s_and_b32 s40, s28, 0x7f800000
	s_delay_alu instid0(SALU_CYCLE_1)
	s_cmp_eq_u32 s40, 0x7f800000
                                        ; implicit-def: $sgpr40
	s_cbranch_scc1 .LBB571_10
; %bb.9:                                ;   in Loop: Header=BB571_4 Depth=1
	s_bfe_u32 s40, s28, 0x10010
	s_mov_b32 s41, 0
	s_add_co_i32 s40, s28, s40
	s_delay_alu instid0(SALU_CYCLE_1)
	s_addk_co_i32 s40, 0x7fff
.LBB571_10:                             ;   in Loop: Header=BB571_4 Depth=1
	s_and_not1_b32 vcc_lo, exec_lo, s41
	s_cbranch_vccnz .LBB571_12
; %bb.11:                               ;   in Loop: Header=BB571_4 Depth=1
	s_and_b32 s40, s28, 0xffff
	s_or_b32 s41, s28, 0x10000
	s_cmp_eq_u32 s40, 0
	s_cselect_b32 s40, s28, s41
.LBB571_12:                             ;   in Loop: Header=BB571_4 Depth=1
	s_delay_alu instid0(SALU_CYCLE_1) | instskip(SKIP_2) | instid1(SALU_CYCLE_1)
	s_lshr_b32 s40, s40, 16
	s_mov_b32 s28, exec_lo
	s_or_b32 exec_lo, exec_lo, s39
	s_and_b32 vcc_lo, exec_lo, s29
	s_cbranch_vccnz .LBB571_15
	s_branch .LBB571_57
.LBB571_13:                             ;   in Loop: Header=BB571_4 Depth=1
	s_mov_b32 s28, 0
                                        ; implicit-def: $sgpr40
	s_cbranch_execnz .LBB571_15
	s_branch .LBB571_57
.LBB571_14:                             ;   in Loop: Header=BB571_4 Depth=1
	s_or_b32 exec_lo, exec_lo, s39
	s_delay_alu instid0(SALU_CYCLE_1)
	s_and_b32 vcc_lo, exec_lo, s29
	s_cbranch_vccz .LBB571_57
.LBB571_15:                             ;   in Loop: Header=BB571_4 Depth=1
	s_wait_dscnt 0x0
	v_mov_b32_e32 v18, 0
	s_and_saveexec_b32 s29, s1
	s_cbranch_execnz .LBB571_24
; %bb.16:                               ;   in Loop: Header=BB571_4 Depth=1
	s_or_b32 exec_lo, exec_lo, s29
	s_and_saveexec_b32 s29, s2
	s_cbranch_execnz .LBB571_51
.LBB571_17:                             ;   in Loop: Header=BB571_4 Depth=1
	s_or_b32 exec_lo, exec_lo, s29
	s_and_saveexec_b32 s29, s3
.LBB571_18:                             ;   in Loop: Header=BB571_4 Depth=1
	ds_store_b32 v1, v3
.LBB571_19:                             ;   in Loop: Header=BB571_4 Depth=1
	s_or_b32 exec_lo, exec_lo, s29
	ds_bpermute_b32 v13, v17, v18
	v_cmp_gt_u32_e32 vcc_lo, 24, v2
	s_wait_dscnt 0x0
	s_barrier_signal -1
	s_barrier_wait -1
	v_cndmask_b32_e64 v12, 0, 8, vcc_lo
	v_cmp_gt_u32_e32 vcc_lo, 28, v2
	s_delay_alu instid0(VALU_DEP_2)
	v_add_lshl_u32 v12, v12, v2, 2
	v_add_f32_e32 v14, v18, v13
	v_cndmask_b32_e64 v13, 0, 4, vcc_lo
	v_cmp_gt_u32_e32 vcc_lo, 30, v2
	ds_bpermute_b32 v15, v12, v14
	v_add_lshl_u32 v13, v13, v2, 2
	s_wait_dscnt 0x0
	v_add_f32_e32 v15, v14, v15
	v_cndmask_b32_e64 v14, 0, 2, vcc_lo
	v_cmp_ne_u32_e32 vcc_lo, 31, v2
	ds_bpermute_b32 v18, v13, v15
	v_add_lshl_u32 v14, v14, v2, 2
	v_add_co_ci_u32_e64 v19, null, 0, v2, vcc_lo
	s_wait_dscnt 0x0
	v_add_f32_e32 v15, v15, v18
	ds_bpermute_b32 v18, v14, v15
	s_wait_dscnt 0x0
	v_dual_add_f32 v18, v15, v18 :: v_dual_lshlrev_b32 v15, 2, v19
	ds_bpermute_b32 v19, v15, v18
	s_and_saveexec_b32 s29, s4
	s_cbranch_execz .LBB571_21
; %bb.20:                               ;   in Loop: Header=BB571_4 Depth=1
	s_wait_dscnt 0x0
	v_add_f32_e32 v18, v18, v19
	ds_store_b32 v16, v18
.LBB571_21:                             ;   in Loop: Header=BB571_4 Depth=1
	s_or_b32 exec_lo, exec_lo, s29
	v_mov_b32_e32 v18, 0
	s_wait_dscnt 0x0
	s_barrier_signal -1
	s_barrier_wait -1
	s_and_saveexec_b32 s29, s3
	s_cbranch_execnz .LBB571_30
; %bb.22:                               ;   in Loop: Header=BB571_4 Depth=1
	s_or_b32 exec_lo, exec_lo, s29
	s_and_saveexec_b32 s29, s3
	s_cbranch_execnz .LBB571_31
.LBB571_23:                             ;   in Loop: Header=BB571_4 Depth=1
	s_or_b32 exec_lo, exec_lo, s29
                                        ; implicit-def: $vgpr12
	s_and_saveexec_b32 s29, s0
	s_cbranch_execnz .LBB571_32
	s_branch .LBB571_49
.LBB571_24:                             ;   in Loop: Header=BB571_4 Depth=1
	v_mad_nc_u64_u32 v[12:13], s8, s6, v[8:9]
	v_mad_nc_u64_u32 v[14:15], s12, s6, v[10:11]
	v_dual_mov_b32 v18, 0 :: v_dual_mov_b32 v19, v0
	s_mov_b32 s39, 0
	s_delay_alu instid0(VALU_DEP_3) | instskip(NEXT) | instid1(VALU_DEP_3)
	v_mad_u32 v13, s9, s6, v13
	v_mad_u32 v15, s13, s6, v15
	s_branch .LBB571_26
.LBB571_25:                             ;   in Loop: Header=BB571_26 Depth=2
	s_or_b32 exec_lo, exec_lo, s40
	s_delay_alu instid0(VALU_DEP_1) | instskip(SKIP_3) | instid1(VALU_DEP_4)
	v_and_b32_e32 v20, 0xffff0000, v21
	v_add_nc_u32_e32 v19, 0x400, v19
	v_add_nc_u64_e32 v[12:13], 0x800, v[12:13]
	v_add_nc_u64_e32 v[14:15], s[20:21], v[14:15]
	v_add_f32_e32 v18, v18, v20
	s_delay_alu instid0(VALU_DEP_4) | instskip(SKIP_1) | instid1(SALU_CYCLE_1)
	v_cmp_le_i32_e32 vcc_lo, s10, v19
	s_or_b32 s39, vcc_lo, s39
	s_and_not1_b32 exec_lo, exec_lo, s39
	s_cbranch_execz .LBB571_50
.LBB571_26:                             ;   Parent Loop BB571_4 Depth=1
                                        ; =>  This Inner Loop Header: Depth=2
	global_load_u16 v20, v[12:13], off
	global_load_u16 v21, v[14:15], off
	s_wait_loadcnt 0x0
	v_dual_lshlrev_b32 v20, 16, v20 :: v_dual_lshlrev_b32 v21, 16, v21
	s_delay_alu instid0(VALU_DEP_1) | instskip(NEXT) | instid1(VALU_DEP_1)
	v_mul_f32_e32 v20, v21, v20
	v_and_b32_e32 v21, 0x7f800000, v20
	s_delay_alu instid0(VALU_DEP_1) | instskip(SKIP_2) | instid1(SALU_CYCLE_1)
	v_cmp_ne_u32_e32 vcc_lo, 0x7f800000, v21
                                        ; implicit-def: $vgpr21
	s_wait_xcnt 0x0
	s_and_saveexec_b32 s40, vcc_lo
	s_xor_b32 s40, exec_lo, s40
; %bb.27:                               ;   in Loop: Header=BB571_26 Depth=2
	v_bfe_u32 v21, v20, 16, 1
	s_delay_alu instid0(VALU_DEP_1)
	v_add3_u32 v21, v20, v21, 0x7fff
                                        ; implicit-def: $vgpr20
; %bb.28:                               ;   in Loop: Header=BB571_26 Depth=2
	s_and_not1_saveexec_b32 s40, s40
	s_cbranch_execz .LBB571_25
; %bb.29:                               ;   in Loop: Header=BB571_26 Depth=2
	v_and_b32_e32 v21, 0xffff, v20
	v_or_b32_e32 v22, 0x10000, v20
	s_delay_alu instid0(VALU_DEP_2) | instskip(NEXT) | instid1(VALU_DEP_2)
	v_cmp_eq_u32_e32 vcc_lo, 0, v21
	v_cndmask_b32_e32 v21, v22, v20, vcc_lo
	s_branch .LBB571_25
.LBB571_30:                             ;   in Loop: Header=BB571_4 Depth=1
	ds_load_b32 v18, v1
	s_or_b32 exec_lo, exec_lo, s29
	s_and_saveexec_b32 s29, s3
	s_cbranch_execz .LBB571_23
.LBB571_31:                             ;   in Loop: Header=BB571_4 Depth=1
	s_wait_dscnt 0x0
	ds_bpermute_b32 v19, v17, v18
	s_wait_dscnt 0x0
	v_add_f32_e32 v18, v18, v19
	ds_bpermute_b32 v12, v12, v18
	s_wait_dscnt 0x0
	v_add_f32_e32 v12, v18, v12
	;; [unrolled: 3-line block ×5, first 2 shown]
	s_or_b32 exec_lo, exec_lo, s29
                                        ; implicit-def: $vgpr12
	s_and_saveexec_b32 s29, s0
	s_cbranch_execz .LBB571_49
.LBB571_32:                             ;   in Loop: Header=BB571_4 Depth=1
	s_wait_dscnt 0x0
	v_mul_f32_e32 v12, s33, v18
	s_and_b32 vcc_lo, exec_lo, s38
	s_mov_b32 s39, -1
                                        ; implicit-def: $vgpr13
	s_cbranch_vccz .LBB571_38
; %bb.33:                               ;   in Loop: Header=BB571_4 Depth=1
	s_delay_alu instid0(VALU_DEP_1) | instskip(NEXT) | instid1(VALU_DEP_1)
	v_and_b32_e32 v13, 0x7f800000, v12
	v_cmp_ne_u32_e32 vcc_lo, 0x7f800000, v13
                                        ; implicit-def: $vgpr13
	s_and_saveexec_b32 s39, vcc_lo
	s_delay_alu instid0(SALU_CYCLE_1)
	s_xor_b32 s39, exec_lo, s39
; %bb.34:                               ;   in Loop: Header=BB571_4 Depth=1
	v_bfe_u32 v13, v12, 16, 1
	s_delay_alu instid0(VALU_DEP_1)
	v_add3_u32 v13, v12, v13, 0x7fff
; %bb.35:                               ;   in Loop: Header=BB571_4 Depth=1
	s_and_not1_saveexec_b32 s39, s39
; %bb.36:                               ;   in Loop: Header=BB571_4 Depth=1
	v_and_b32_e32 v13, 0xffff, v12
	v_or_b32_e32 v14, 0x10000, v12
	s_delay_alu instid0(VALU_DEP_2) | instskip(NEXT) | instid1(VALU_DEP_2)
	v_cmp_eq_u32_e32 vcc_lo, 0, v13
	v_cndmask_b32_e32 v13, v14, v12, vcc_lo
; %bb.37:                               ;   in Loop: Header=BB571_4 Depth=1
	s_or_b32 exec_lo, exec_lo, s39
	s_mov_b32 s39, 0
.LBB571_38:                             ;   in Loop: Header=BB571_4 Depth=1
	s_delay_alu instid0(SALU_CYCLE_1)
	s_and_not1_b32 vcc_lo, exec_lo, s39
	s_cbranch_vccnz .LBB571_48
; %bb.39:                               ;   in Loop: Header=BB571_4 Depth=1
	s_add_nc_u64 s[40:41], s[26:27], s[24:25]
	global_load_u16 v13, v3, s[40:41]
	s_wait_xcnt 0x0
	s_mov_b32 s41, -1
	s_wait_loadcnt 0x0
	v_readfirstlane_b32 s39, v13
	s_lshl_b32 s39, s39, 16
	s_delay_alu instid0(SALU_CYCLE_1) | instskip(NEXT) | instid1(SALU_CYCLE_3)
	s_mul_f32 s39, s34, s39
	s_and_b32 s40, s39, 0x7f800000
	s_delay_alu instid0(SALU_CYCLE_1)
	s_cmp_eq_u32 s40, 0x7f800000
                                        ; implicit-def: $sgpr40
	s_cbranch_scc1 .LBB571_41
; %bb.40:                               ;   in Loop: Header=BB571_4 Depth=1
	s_bfe_u32 s40, s39, 0x10010
	s_mov_b32 s41, 0
	s_add_co_i32 s40, s39, s40
	s_delay_alu instid0(SALU_CYCLE_1)
	s_addk_co_i32 s40, 0x7fff
.LBB571_41:                             ;   in Loop: Header=BB571_4 Depth=1
	s_and_not1_b32 vcc_lo, exec_lo, s41
	s_cbranch_vccnz .LBB571_43
; %bb.42:                               ;   in Loop: Header=BB571_4 Depth=1
	s_and_b32 s40, s39, 0xffff
	s_or_b32 s41, s39, 0x10000
	s_cmp_eq_u32 s40, 0
	s_cselect_b32 s40, s39, s41
.LBB571_43:                             ;   in Loop: Header=BB571_4 Depth=1
	s_delay_alu instid0(SALU_CYCLE_1) | instskip(NEXT) | instid1(SALU_CYCLE_1)
	s_and_b32 s39, s40, 0xffff0000
	v_add_f32_e32 v12, s39, v12
	s_delay_alu instid0(VALU_DEP_1) | instskip(NEXT) | instid1(VALU_DEP_1)
	v_and_b32_e32 v13, 0x7f800000, v12
	v_cmp_ne_u32_e32 vcc_lo, 0x7f800000, v13
                                        ; implicit-def: $vgpr13
	s_and_saveexec_b32 s39, vcc_lo
	s_delay_alu instid0(SALU_CYCLE_1)
	s_xor_b32 s39, exec_lo, s39
; %bb.44:                               ;   in Loop: Header=BB571_4 Depth=1
	v_bfe_u32 v13, v12, 16, 1
	s_delay_alu instid0(VALU_DEP_1)
	v_add3_u32 v13, v12, v13, 0x7fff
                                        ; implicit-def: $vgpr12
; %bb.45:                               ;   in Loop: Header=BB571_4 Depth=1
	s_and_not1_saveexec_b32 s39, s39
; %bb.46:                               ;   in Loop: Header=BB571_4 Depth=1
	v_and_b32_e32 v13, 0xffff, v12
	v_or_b32_e32 v14, 0x10000, v12
	s_delay_alu instid0(VALU_DEP_2) | instskip(NEXT) | instid1(VALU_DEP_2)
	v_cmp_eq_u32_e32 vcc_lo, 0, v13
	v_cndmask_b32_e32 v13, v14, v12, vcc_lo
; %bb.47:                               ;   in Loop: Header=BB571_4 Depth=1
	s_or_b32 exec_lo, exec_lo, s39
.LBB571_48:                             ;   in Loop: Header=BB571_4 Depth=1
	s_delay_alu instid0(VALU_DEP_1)
	v_lshrrev_b32_e32 v12, 16, v13
	s_or_b32 s28, s28, exec_lo
.LBB571_49:                             ;   in Loop: Header=BB571_4 Depth=1
	s_or_b32 exec_lo, exec_lo, s29
	s_and_saveexec_b32 s29, s28
	s_cbranch_execz .LBB571_2
	s_branch .LBB571_58
.LBB571_50:                             ;   in Loop: Header=BB571_4 Depth=1
	s_or_b32 exec_lo, exec_lo, s39
	s_delay_alu instid0(SALU_CYCLE_1)
	s_or_b32 exec_lo, exec_lo, s29
	s_and_saveexec_b32 s29, s2
	s_cbranch_execz .LBB571_17
.LBB571_51:                             ;   in Loop: Header=BB571_4 Depth=1
	s_mul_u64 s[40:41], s[14:15], s[6:7]
	s_mul_u64 s[42:43], s[22:23], s[6:7]
	v_lshl_add_u64 v[12:13], s[40:41], 1, v[6:7]
	s_lshl_b64 s[40:41], s[42:43], 1
	s_delay_alu instid0(SALU_CYCLE_1) | instskip(NEXT) | instid1(SALU_CYCLE_1)
	s_add_nc_u64 s[40:41], s[16:17], s[40:41]
	v_lshl_add_u64 v[14:15], v[4:5], 1, s[40:41]
	s_delay_alu instid0(VALU_DEP_2)
	v_lshl_add_u64 v[12:13], s[10:11], 1, v[12:13]
	global_load_u16 v19, v[12:13], off
	global_load_u16 v20, v[14:15], off
	s_wait_loadcnt 0x0
	s_wait_xcnt 0x1
	v_dual_lshlrev_b32 v12, 16, v19 :: v_dual_lshlrev_b32 v13, 16, v20
	s_delay_alu instid0(VALU_DEP_1) | instskip(NEXT) | instid1(VALU_DEP_1)
	v_mul_f32_e32 v12, v13, v12
	v_and_b32_e32 v13, 0x7f800000, v12
	s_delay_alu instid0(VALU_DEP_1) | instskip(SKIP_2) | instid1(SALU_CYCLE_1)
	v_cmp_ne_u32_e32 vcc_lo, 0x7f800000, v13
                                        ; implicit-def: $vgpr13
	s_wait_xcnt 0x0
	s_and_saveexec_b32 s39, vcc_lo
	s_xor_b32 s39, exec_lo, s39
; %bb.52:                               ;   in Loop: Header=BB571_4 Depth=1
	v_bfe_u32 v13, v12, 16, 1
	s_delay_alu instid0(VALU_DEP_1)
	v_add3_u32 v13, v12, v13, 0x7fff
                                        ; implicit-def: $vgpr12
; %bb.53:                               ;   in Loop: Header=BB571_4 Depth=1
	s_and_not1_saveexec_b32 s39, s39
; %bb.54:                               ;   in Loop: Header=BB571_4 Depth=1
	v_and_b32_e32 v13, 0xffff, v12
	v_or_b32_e32 v14, 0x10000, v12
	s_delay_alu instid0(VALU_DEP_2) | instskip(NEXT) | instid1(VALU_DEP_2)
	v_cmp_eq_u32_e32 vcc_lo, 0, v13
	v_cndmask_b32_e32 v13, v14, v12, vcc_lo
; %bb.55:                               ;   in Loop: Header=BB571_4 Depth=1
	s_or_b32 exec_lo, exec_lo, s39
	s_delay_alu instid0(VALU_DEP_1) | instskip(NEXT) | instid1(VALU_DEP_1)
	v_and_b32_e32 v12, 0xffff0000, v13
	v_add_f32_e32 v18, v18, v12
	s_or_b32 exec_lo, exec_lo, s29
	s_and_saveexec_b32 s29, s3
	s_cbranch_execnz .LBB571_18
	s_branch .LBB571_19
.LBB571_56:                             ;   in Loop: Header=BB571_4 Depth=1
	s_mov_b32 s40, 0
	s_mov_b32 s28, exec_lo
	s_or_b32 exec_lo, exec_lo, s39
	s_delay_alu instid0(SALU_CYCLE_1)
	s_and_b32 vcc_lo, exec_lo, s29
	s_cbranch_vccnz .LBB571_15
.LBB571_57:                             ;   in Loop: Header=BB571_4 Depth=1
	v_mov_b32_e32 v12, s40
	s_and_saveexec_b32 s29, s28
	s_cbranch_execz .LBB571_2
.LBB571_58:                             ;   in Loop: Header=BB571_4 Depth=1
	s_add_nc_u64 s[26:27], s[26:27], s[24:25]
	global_store_b16 v3, v12, s[26:27]
	s_branch .LBB571_2
.LBB571_59:
	s_endpgm
	.section	.rodata,"a",@progbits
	.p2align	6, 0x0
	.amdhsa_kernel _ZL32rocblas_gemvt_warp_reduce_kernelILb0ELi1024El16rocblas_bfloat16fS0_EviiT3_lPKT2_lT1_lS4_lS5_lS1_lPT4_lS5_li
		.amdhsa_group_segment_fixed_size 128
		.amdhsa_private_segment_fixed_size 0
		.amdhsa_kernarg_size 140
		.amdhsa_user_sgpr_count 2
		.amdhsa_user_sgpr_dispatch_ptr 0
		.amdhsa_user_sgpr_queue_ptr 0
		.amdhsa_user_sgpr_kernarg_segment_ptr 1
		.amdhsa_user_sgpr_dispatch_id 0
		.amdhsa_user_sgpr_kernarg_preload_length 0
		.amdhsa_user_sgpr_kernarg_preload_offset 0
		.amdhsa_user_sgpr_private_segment_size 0
		.amdhsa_wavefront_size32 1
		.amdhsa_uses_dynamic_stack 0
		.amdhsa_enable_private_segment 0
		.amdhsa_system_sgpr_workgroup_id_x 1
		.amdhsa_system_sgpr_workgroup_id_y 0
		.amdhsa_system_sgpr_workgroup_id_z 1
		.amdhsa_system_sgpr_workgroup_info 0
		.amdhsa_system_vgpr_workitem_id 0
		.amdhsa_next_free_vgpr 23
		.amdhsa_next_free_sgpr 44
		.amdhsa_named_barrier_count 0
		.amdhsa_reserve_vcc 1
		.amdhsa_float_round_mode_32 0
		.amdhsa_float_round_mode_16_64 0
		.amdhsa_float_denorm_mode_32 3
		.amdhsa_float_denorm_mode_16_64 3
		.amdhsa_fp16_overflow 0
		.amdhsa_memory_ordered 1
		.amdhsa_forward_progress 1
		.amdhsa_inst_pref_size 17
		.amdhsa_round_robin_scheduling 0
		.amdhsa_exception_fp_ieee_invalid_op 0
		.amdhsa_exception_fp_denorm_src 0
		.amdhsa_exception_fp_ieee_div_zero 0
		.amdhsa_exception_fp_ieee_overflow 0
		.amdhsa_exception_fp_ieee_underflow 0
		.amdhsa_exception_fp_ieee_inexact 0
		.amdhsa_exception_int_div_zero 0
	.end_amdhsa_kernel
	.section	.text._ZL32rocblas_gemvt_warp_reduce_kernelILb0ELi1024El16rocblas_bfloat16fS0_EviiT3_lPKT2_lT1_lS4_lS5_lS1_lPT4_lS5_li,"axG",@progbits,_ZL32rocblas_gemvt_warp_reduce_kernelILb0ELi1024El16rocblas_bfloat16fS0_EviiT3_lPKT2_lT1_lS4_lS5_lS1_lPT4_lS5_li,comdat
.Lfunc_end571:
	.size	_ZL32rocblas_gemvt_warp_reduce_kernelILb0ELi1024El16rocblas_bfloat16fS0_EviiT3_lPKT2_lT1_lS4_lS5_lS1_lPT4_lS5_li, .Lfunc_end571-_ZL32rocblas_gemvt_warp_reduce_kernelILb0ELi1024El16rocblas_bfloat16fS0_EviiT3_lPKT2_lT1_lS4_lS5_lS1_lPT4_lS5_li
                                        ; -- End function
	.set _ZL32rocblas_gemvt_warp_reduce_kernelILb0ELi1024El16rocblas_bfloat16fS0_EviiT3_lPKT2_lT1_lS4_lS5_lS1_lPT4_lS5_li.num_vgpr, 23
	.set _ZL32rocblas_gemvt_warp_reduce_kernelILb0ELi1024El16rocblas_bfloat16fS0_EviiT3_lPKT2_lT1_lS4_lS5_lS1_lPT4_lS5_li.num_agpr, 0
	.set _ZL32rocblas_gemvt_warp_reduce_kernelILb0ELi1024El16rocblas_bfloat16fS0_EviiT3_lPKT2_lT1_lS4_lS5_lS1_lPT4_lS5_li.numbered_sgpr, 44
	.set _ZL32rocblas_gemvt_warp_reduce_kernelILb0ELi1024El16rocblas_bfloat16fS0_EviiT3_lPKT2_lT1_lS4_lS5_lS1_lPT4_lS5_li.num_named_barrier, 0
	.set _ZL32rocblas_gemvt_warp_reduce_kernelILb0ELi1024El16rocblas_bfloat16fS0_EviiT3_lPKT2_lT1_lS4_lS5_lS1_lPT4_lS5_li.private_seg_size, 0
	.set _ZL32rocblas_gemvt_warp_reduce_kernelILb0ELi1024El16rocblas_bfloat16fS0_EviiT3_lPKT2_lT1_lS4_lS5_lS1_lPT4_lS5_li.uses_vcc, 1
	.set _ZL32rocblas_gemvt_warp_reduce_kernelILb0ELi1024El16rocblas_bfloat16fS0_EviiT3_lPKT2_lT1_lS4_lS5_lS1_lPT4_lS5_li.uses_flat_scratch, 0
	.set _ZL32rocblas_gemvt_warp_reduce_kernelILb0ELi1024El16rocblas_bfloat16fS0_EviiT3_lPKT2_lT1_lS4_lS5_lS1_lPT4_lS5_li.has_dyn_sized_stack, 0
	.set _ZL32rocblas_gemvt_warp_reduce_kernelILb0ELi1024El16rocblas_bfloat16fS0_EviiT3_lPKT2_lT1_lS4_lS5_lS1_lPT4_lS5_li.has_recursion, 0
	.set _ZL32rocblas_gemvt_warp_reduce_kernelILb0ELi1024El16rocblas_bfloat16fS0_EviiT3_lPKT2_lT1_lS4_lS5_lS1_lPT4_lS5_li.has_indirect_call, 0
	.section	.AMDGPU.csdata,"",@progbits
; Kernel info:
; codeLenInByte = 2056
; TotalNumSgprs: 46
; NumVgprs: 23
; ScratchSize: 0
; MemoryBound: 0
; FloatMode: 240
; IeeeMode: 1
; LDSByteSize: 128 bytes/workgroup (compile time only)
; SGPRBlocks: 0
; VGPRBlocks: 1
; NumSGPRsForWavesPerEU: 46
; NumVGPRsForWavesPerEU: 23
; NamedBarCnt: 0
; Occupancy: 16
; WaveLimiterHint : 0
; COMPUTE_PGM_RSRC2:SCRATCH_EN: 0
; COMPUTE_PGM_RSRC2:USER_SGPR: 2
; COMPUTE_PGM_RSRC2:TRAP_HANDLER: 0
; COMPUTE_PGM_RSRC2:TGID_X_EN: 1
; COMPUTE_PGM_RSRC2:TGID_Y_EN: 0
; COMPUTE_PGM_RSRC2:TGID_Z_EN: 1
; COMPUTE_PGM_RSRC2:TIDIG_COMP_CNT: 0
	.section	.text._ZL22rocblas_gemvtsm_kernelILb1ELi256E16rocblas_bfloat16PKfS0_EviiT2_lPKT1_lilS6_lilS3_lPT3_lil,"axG",@progbits,_ZL22rocblas_gemvtsm_kernelILb1ELi256E16rocblas_bfloat16PKfS0_EviiT2_lPKT1_lilS6_lilS3_lPT3_lil,comdat
	.globl	_ZL22rocblas_gemvtsm_kernelILb1ELi256E16rocblas_bfloat16PKfS0_EviiT2_lPKT1_lilS6_lilS3_lPT3_lil ; -- Begin function _ZL22rocblas_gemvtsm_kernelILb1ELi256E16rocblas_bfloat16PKfS0_EviiT2_lPKT1_lilS6_lilS3_lPT3_lil
	.p2align	8
	.type	_ZL22rocblas_gemvtsm_kernelILb1ELi256E16rocblas_bfloat16PKfS0_EviiT2_lPKT1_lilS6_lilS3_lPT3_lil,@function
_ZL22rocblas_gemvtsm_kernelILb1ELi256E16rocblas_bfloat16PKfS0_EviiT2_lPKT1_lilS6_lilS3_lPT3_lil: ; @_ZL22rocblas_gemvtsm_kernelILb1ELi256E16rocblas_bfloat16PKfS0_EviiT2_lPKT1_lilS6_lilS3_lPT3_lil
; %bb.0:
	s_clause 0x1
	s_load_b256 s[4:11], s[0:1], 0x8
	s_load_b256 s[12:19], s[0:1], 0x50
	s_bfe_u32 s2, ttmp6, 0x4000c
	s_and_b32 s3, ttmp6, 15
	s_add_co_i32 s2, s2, 1
	s_getreg_b32 s20, hwreg(HW_REG_IB_STS2, 6, 4)
	s_mul_i32 s2, ttmp9, s2
	s_mov_b32 s25, 0
	s_add_co_i32 s3, s3, s2
	s_cmp_eq_u32 s20, 0
	s_cselect_b32 s24, ttmp9, s3
	s_wait_kmcnt 0x0
	s_mul_u64 s[2:3], s[6:7], s[24:25]
	s_delay_alu instid0(SALU_CYCLE_1) | instskip(NEXT) | instid1(SALU_CYCLE_1)
	s_lshl_b64 s[2:3], s[2:3], 2
	s_add_nc_u64 s[2:3], s[4:5], s[2:3]
	s_mul_u64 s[4:5], s[16:17], s[24:25]
	s_load_b32 s26, s[2:3], 0x0
	s_wait_xcnt 0x0
	s_lshl_b64 s[2:3], s[4:5], 2
	s_delay_alu instid0(SALU_CYCLE_1)
	s_add_nc_u64 s[2:3], s[14:15], s[2:3]
	s_load_b32 s23, s[2:3], 0x0
	s_wait_kmcnt 0x0
	s_cmp_eq_f32 s26, 0
	s_cselect_b32 s2, -1, 0
	s_cmp_eq_f32 s23, 1.0
	s_cselect_b32 s3, -1, 0
	s_delay_alu instid0(SALU_CYCLE_1) | instskip(NEXT) | instid1(SALU_CYCLE_1)
	s_and_b32 s2, s2, s3
	s_and_b32 vcc_lo, exec_lo, s2
	s_cbranch_vccnz .LBB572_70
; %bb.1:
	s_clause 0x2
	s_load_b64 s[4:5], s[0:1], 0x80
	s_load_b96 s[20:22], s[0:1], 0x70
	s_load_b64 s[2:3], s[0:1], 0x0
	s_cmp_neq_f32 s26, 0
	s_wait_kmcnt 0x0
	s_mul_u64 s[14:15], s[4:5], s[24:25]
	s_cbranch_scc1 .LBB572_9
; %bb.2:
	s_cmp_gt_i32 s3, 0
	s_cselect_b32 s6, -1, 0
	s_cmp_neq_f32 s23, 0
	v_cndmask_b32_e64 v1, 0, 1, s6
	s_delay_alu instid0(VALU_DEP_1)
	v_cmp_ne_u32_e32 vcc_lo, 1, v1
	s_cbranch_scc1 .LBB572_10
; %bb.3:
	s_and_b32 vcc_lo, exec_lo, vcc_lo
	s_cbranch_vccnz .LBB572_8
; %bb.4:
	v_mov_b32_e32 v1, 0
	s_ashr_i32 s5, s22, 31
	s_mov_b32 s4, s22
	s_lshl_b64 s[16:17], s[20:21], 1
	s_lshl_b64 s[28:29], s[14:15], 1
	v_mul_u64_e32 v[2:3], s[4:5], v[0:1]
	s_add_nc_u64 s[16:17], s[18:19], s[16:17]
	s_lshl_b64 s[4:5], s[4:5], 9
	s_add_nc_u64 s[16:17], s[16:17], s[28:29]
	s_mov_b32 s7, 0
	s_delay_alu instid0(VALU_DEP_1)
	v_lshl_add_u64 v[2:3], v[2:3], 1, s[16:17]
	s_branch .LBB572_6
.LBB572_5:                              ;   in Loop: Header=BB572_6 Depth=1
	s_wait_xcnt 0x0
	s_or_b32 exec_lo, exec_lo, s16
	v_add_nc_u64_e32 v[2:3], s[4:5], v[2:3]
	s_addk_co_i32 s7, 0x100
	s_delay_alu instid0(SALU_CYCLE_1)
	s_cmp_ge_i32 s7, s3
	s_cbranch_scc1 .LBB572_8
.LBB572_6:                              ; =>This Inner Loop Header: Depth=1
	v_add_nc_u32_e32 v4, s7, v0
	s_mov_b32 s16, exec_lo
	s_delay_alu instid0(VALU_DEP_1)
	v_cmpx_gt_i32_e64 s3, v4
	s_cbranch_execz .LBB572_5
; %bb.7:                                ;   in Loop: Header=BB572_6 Depth=1
	global_store_b16 v[2:3], v1, off
	s_branch .LBB572_5
.LBB572_8:
	s_cbranch_execz .LBB572_11
	s_branch .LBB572_20
.LBB572_9:
	s_branch .LBB572_21
.LBB572_10:
.LBB572_11:
	s_and_not1_b32 vcc_lo, exec_lo, s6
	s_cbranch_vccnz .LBB572_20
; %bb.12:
	v_mov_b32_e32 v1, 0
	s_ashr_i32 s5, s22, 31
	s_mov_b32 s4, s22
	s_lshl_b64 s[6:7], s[20:21], 1
	s_lshl_b64 s[16:17], s[14:15], 1
	v_mul_u64_e32 v[2:3], s[4:5], v[0:1]
	s_add_nc_u64 s[6:7], s[18:19], s[6:7]
	s_lshl_b64 s[4:5], s[4:5], 9
	s_add_nc_u64 s[6:7], s[6:7], s[16:17]
	s_delay_alu instid0(VALU_DEP_1) | instid1(SALU_CYCLE_1)
	v_lshl_add_u64 v[2:3], v[2:3], 1, s[6:7]
	s_mov_b32 s6, 0
	s_branch .LBB572_15
.LBB572_13:                             ;   in Loop: Header=BB572_15 Depth=1
	s_or_b32 exec_lo, exec_lo, s16
	global_store_d16_hi_b16 v[2:3], v4, off
.LBB572_14:                             ;   in Loop: Header=BB572_15 Depth=1
	s_wait_xcnt 0x0
	s_or_b32 exec_lo, exec_lo, s7
	v_add_nc_u64_e32 v[2:3], s[4:5], v[2:3]
	s_addk_co_i32 s6, 0x100
	s_delay_alu instid0(SALU_CYCLE_1)
	s_cmp_ge_i32 s6, s3
	s_cbranch_scc1 .LBB572_20
.LBB572_15:                             ; =>This Inner Loop Header: Depth=1
	v_add_nc_u32_e32 v1, s6, v0
	s_mov_b32 s7, exec_lo
	s_delay_alu instid0(VALU_DEP_1)
	v_cmpx_gt_i32_e64 s3, v1
	s_cbranch_execz .LBB572_14
; %bb.16:                               ;   in Loop: Header=BB572_15 Depth=1
	global_load_u16 v1, v[2:3], off
	s_wait_loadcnt 0x0
	v_lshlrev_b32_e32 v1, 16, v1
	s_delay_alu instid0(VALU_DEP_1) | instskip(NEXT) | instid1(VALU_DEP_1)
	v_mul_f32_e32 v1, s23, v1
	v_and_b32_e32 v4, 0x7f800000, v1
	s_delay_alu instid0(VALU_DEP_1) | instskip(SKIP_2) | instid1(SALU_CYCLE_1)
	v_cmp_ne_u32_e32 vcc_lo, 0x7f800000, v4
                                        ; implicit-def: $vgpr4
	s_wait_xcnt 0x0
	s_and_saveexec_b32 s16, vcc_lo
	s_xor_b32 s16, exec_lo, s16
; %bb.17:                               ;   in Loop: Header=BB572_15 Depth=1
	v_bfe_u32 v4, v1, 16, 1
	s_delay_alu instid0(VALU_DEP_1)
	v_add3_u32 v4, v1, v4, 0x7fff
                                        ; implicit-def: $vgpr1
; %bb.18:                               ;   in Loop: Header=BB572_15 Depth=1
	s_and_not1_saveexec_b32 s16, s16
	s_cbranch_execz .LBB572_13
; %bb.19:                               ;   in Loop: Header=BB572_15 Depth=1
	v_and_b32_e32 v4, 0xffff, v1
	v_or_b32_e32 v5, 0x10000, v1
	s_delay_alu instid0(VALU_DEP_2) | instskip(NEXT) | instid1(VALU_DEP_2)
	v_cmp_eq_u32_e32 vcc_lo, 0, v4
	v_cndmask_b32_e32 v4, v5, v1, vcc_lo
	s_branch .LBB572_13
.LBB572_20:
	s_cbranch_execnz .LBB572_70
.LBB572_21:
	s_clause 0x1
	s_load_b128 s[4:7], s[0:1], 0x30
	s_load_b64 s[16:17], s[0:1], 0x40
	s_mov_b32 s27, exec_lo
	v_cmpx_gt_i32_e64 s2, v0
	s_cbranch_execz .LBB572_27
; %bb.22:
	s_load_b32 s28, s[0:1], 0x48
	v_mov_b32_e32 v1, 0
	s_mul_u64 s[12:13], s[12:13], s[24:25]
	s_delay_alu instid0(SALU_CYCLE_1) | instskip(SKIP_3) | instid1(SALU_CYCLE_1)
	s_lshl_b64 s[12:13], s[12:13], 1
	s_wait_kmcnt 0x0
	s_add_nc_u64 s[6:7], s[6:7], s[12:13]
	s_lshl_b64 s[12:13], s[16:17], 1
	s_add_nc_u64 s[6:7], s[6:7], s[12:13]
	s_ashr_i32 s29, s28, 31
	s_delay_alu instid0(SALU_CYCLE_1) | instskip(NEXT) | instid1(VALU_DEP_1)
	v_mul_u64_e32 v[2:3], s[28:29], v[0:1]
	v_lshl_add_u64 v[2:3], v[2:3], 1, s[6:7]
	global_load_u16 v1, v[2:3], off
	s_wait_loadcnt 0x0
	v_lshlrev_b32_e32 v1, 16, v1
	s_delay_alu instid0(VALU_DEP_1) | instskip(SKIP_1) | instid1(VALU_DEP_1)
	v_mul_f32_e32 v1, s26, v1
	s_wait_xcnt 0x0
	v_and_b32_e32 v2, 0x7f800000, v1
	s_delay_alu instid0(VALU_DEP_1) | instskip(SKIP_1) | instid1(SALU_CYCLE_1)
	v_cmp_ne_u32_e32 vcc_lo, 0x7f800000, v2
                                        ; implicit-def: $vgpr2
	s_and_saveexec_b32 s6, vcc_lo
	s_xor_b32 s6, exec_lo, s6
; %bb.23:
	v_bfe_u32 v2, v1, 16, 1
	s_delay_alu instid0(VALU_DEP_1)
	v_add3_u32 v2, v1, v2, 0x7fff
                                        ; implicit-def: $vgpr1
; %bb.24:
	s_and_not1_saveexec_b32 s6, s6
; %bb.25:
	v_and_b32_e32 v2, 0xffff, v1
	v_or_b32_e32 v3, 0x10000, v1
	s_delay_alu instid0(VALU_DEP_2) | instskip(NEXT) | instid1(VALU_DEP_2)
	v_cmp_eq_u32_e32 vcc_lo, 0, v2
	v_cndmask_b32_e32 v2, v3, v1, vcc_lo
; %bb.26:
	s_or_b32 exec_lo, exec_lo, s6
	s_delay_alu instid0(VALU_DEP_1)
	v_and_b32_e32 v1, 0xffff0000, v2
	v_lshlrev_b32_e32 v2, 2, v0
	ds_store_b32 v2, v1
.LBB572_27:
	s_or_b32 exec_lo, exec_lo, s27
	s_cmp_lt_i32 s3, 1
	s_wait_storecnt_dscnt 0x0
	s_barrier_signal -1
	s_barrier_wait -1
	s_cbranch_scc1 .LBB572_70
; %bb.28:
	s_load_b32 s26, s[0:1], 0x28
	v_mov_b32_e32 v3, 0
	s_wait_kmcnt 0x0
	s_lshl_b64 s[6:7], s[14:15], 1
	s_lshl_b64 s[20:21], s[20:21], 1
	s_ashr_i32 s1, s22, 31
	s_mul_u64 s[4:5], s[4:5], s[24:25]
	v_mov_b32_e32 v1, v3
	s_mov_b32 s0, s22
	s_ashr_i32 s27, s26, 31
	s_cmp_neq_f32 s23, 0
	s_delay_alu instid0(VALU_DEP_1)
	v_mul_u64_e32 v[4:5], s[26:27], v[0:1]
	s_cselect_b32 s12, -1, 0
	s_cmp_gt_i32 s2, 0
	s_cselect_b32 s13, -1, 0
	s_and_b32 s14, s2, 3
	s_cmp_gt_u32 s2, 3
	s_cselect_b32 s15, -1, 0
	s_and_b32 s2, s2, 0x7ffffffc
	s_cmp_lg_u32 s14, 0
	s_cselect_b32 s16, -1, 0
	s_lshl_b64 s[10:11], s[10:11], 1
	s_lshl_b64 s[4:5], s[4:5], 1
	s_add_nc_u64 s[8:9], s[8:9], s[10:11]
	s_mov_b32 s10, 0
	s_add_nc_u64 s[4:5], s[8:9], s[4:5]
	s_lshl_b64 s[8:9], s[26:27], 9
	s_delay_alu instid0(VALU_DEP_1) | instskip(SKIP_3) | instid1(VALU_DEP_1)
	v_lshl_add_u64 v[4:5], v[4:5], 1, s[4:5]
	s_add_nc_u64 s[4:5], s[18:19], s[6:7]
	s_mov_b32 s7, 0
	s_add_nc_u64 s[4:5], s[4:5], s[20:21]
	v_add_nc_u64_e32 v[6:7], 4, v[4:5]
	s_branch .LBB572_31
.LBB572_29:                             ;   in Loop: Header=BB572_31 Depth=1
	s_or_b32 exec_lo, exec_lo, s6
	global_store_d16_hi_b16 v[8:9], v2, off
.LBB572_30:                             ;   in Loop: Header=BB572_31 Depth=1
	s_wait_xcnt 0x0
	s_or_b32 exec_lo, exec_lo, s11
	v_add_nc_u64_e32 v[6:7], s[8:9], v[6:7]
	v_add_nc_u64_e32 v[4:5], s[8:9], v[4:5]
	s_addk_co_i32 s10, 0x100
	s_delay_alu instid0(SALU_CYCLE_1)
	s_cmp_ge_i32 s10, s3
	s_cbranch_scc1 .LBB572_70
.LBB572_31:                             ; =>This Loop Header: Depth=1
                                        ;     Child Loop BB572_42 Depth 2
                                        ;     Child Loop BB572_62 Depth 2
	v_add_nc_u32_e32 v2, s10, v0
	s_mov_b32 s11, exec_lo
	s_delay_alu instid0(VALU_DEP_1)
	v_cmpx_gt_i32_e64 s3, v2
	s_cbranch_execz .LBB572_30
; %bb.32:                               ;   in Loop: Header=BB572_31 Depth=1
	v_mul_u64_e32 v[8:9], s[0:1], v[2:3]
	s_and_not1_b32 vcc_lo, exec_lo, s12
	s_delay_alu instid0(VALU_DEP_1)
	v_lshl_add_u64 v[8:9], v[8:9], 1, s[4:5]
	s_cbranch_vccnz .LBB572_38
; %bb.33:                               ;   in Loop: Header=BB572_31 Depth=1
	global_load_u16 v1, v[8:9], off
	s_wait_loadcnt 0x0
	v_lshlrev_b32_e32 v1, 16, v1
	s_delay_alu instid0(VALU_DEP_1) | instskip(NEXT) | instid1(VALU_DEP_1)
	v_mul_f32_e32 v1, s23, v1
	v_and_b32_e32 v2, 0x7f800000, v1
	s_delay_alu instid0(VALU_DEP_1) | instskip(SKIP_2) | instid1(SALU_CYCLE_1)
	v_cmp_ne_u32_e32 vcc_lo, 0x7f800000, v2
                                        ; implicit-def: $vgpr2
	s_wait_xcnt 0x0
	s_and_saveexec_b32 s6, vcc_lo
	s_xor_b32 s6, exec_lo, s6
; %bb.34:                               ;   in Loop: Header=BB572_31 Depth=1
	v_bfe_u32 v2, v1, 16, 1
	s_delay_alu instid0(VALU_DEP_1)
	v_add3_u32 v2, v1, v2, 0x7fff
                                        ; implicit-def: $vgpr1
; %bb.35:                               ;   in Loop: Header=BB572_31 Depth=1
	s_and_not1_saveexec_b32 s6, s6
; %bb.36:                               ;   in Loop: Header=BB572_31 Depth=1
	v_and_b32_e32 v2, 0xffff, v1
	v_or_b32_e32 v10, 0x10000, v1
	s_delay_alu instid0(VALU_DEP_2) | instskip(NEXT) | instid1(VALU_DEP_2)
	v_cmp_eq_u32_e32 vcc_lo, 0, v2
	v_cndmask_b32_e32 v2, v10, v1, vcc_lo
; %bb.37:                               ;   in Loop: Header=BB572_31 Depth=1
	s_or_b32 exec_lo, exec_lo, s6
	s_delay_alu instid0(VALU_DEP_1) | instskip(NEXT) | instid1(VALU_DEP_1)
	v_and_b32_e32 v1, 0xffff0000, v2
	v_cvt_i32_f32_e32 v1, v1
	s_delay_alu instid0(VALU_DEP_1)
	v_cvt_f32_i32_e32 v1, v1
	s_and_not1_b32 vcc_lo, exec_lo, s13
	s_cbranch_vccz .LBB572_39
	s_branch .LBB572_66
.LBB572_38:                             ;   in Loop: Header=BB572_31 Depth=1
	v_mov_b32_e32 v1, 0
	s_and_not1_b32 vcc_lo, exec_lo, s13
	s_cbranch_vccnz .LBB572_66
.LBB572_39:                             ;   in Loop: Header=BB572_31 Depth=1
	s_and_not1_b32 vcc_lo, exec_lo, s15
	s_mov_b32 s17, 0
	s_cbranch_vccnz .LBB572_59
; %bb.40:                               ;   in Loop: Header=BB572_31 Depth=1
	v_mov_b64_e32 v[10:11], v[6:7]
	s_mov_b32 s6, 0
	s_branch .LBB572_42
.LBB572_41:                             ;   in Loop: Header=BB572_42 Depth=2
	s_or_b32 exec_lo, exec_lo, s18
	v_and_b32_e32 v2, 0xffff0000, v2
	v_and_b32_e32 v12, 0xffff0000, v12
	v_add_nc_u64_e32 v[10:11], 8, v[10:11]
	s_add_co_i32 s17, s17, 4
	s_add_co_i32 s6, s6, 16
	v_add_f32_e32 v1, v1, v2
	v_and_b32_e32 v2, 0xffff0000, v13
	s_cmp_eq_u32 s2, s17
	s_delay_alu instid0(VALU_DEP_2) | instskip(SKIP_1) | instid1(VALU_DEP_2)
	v_add_f32_e32 v1, v1, v12
	v_and_b32_e32 v12, 0xffff0000, v14
	v_add_f32_e32 v1, v1, v2
	s_delay_alu instid0(VALU_DEP_1)
	v_add_f32_e32 v1, v1, v12
	s_cbranch_scc1 .LBB572_58
.LBB572_42:                             ;   Parent Loop BB572_31 Depth=1
                                        ; =>  This Inner Loop Header: Depth=2
	global_load_u16 v2, v[10:11], off offset:-4
	s_wait_loadcnt 0x0
	v_dual_mov_b32 v12, s6 :: v_dual_lshlrev_b32 v2, 16, v2
	ds_load_b32 v12, v12
	s_wait_dscnt 0x0
	v_mul_f32_e32 v12, v12, v2
	s_delay_alu instid0(VALU_DEP_1) | instskip(NEXT) | instid1(VALU_DEP_1)
	v_and_b32_e32 v2, 0x7f800000, v12
	v_cmp_ne_u32_e32 vcc_lo, 0x7f800000, v2
                                        ; implicit-def: $vgpr2
	s_wait_xcnt 0x0
	s_and_saveexec_b32 s18, vcc_lo
	s_delay_alu instid0(SALU_CYCLE_1)
	s_xor_b32 s18, exec_lo, s18
; %bb.43:                               ;   in Loop: Header=BB572_42 Depth=2
	v_bfe_u32 v2, v12, 16, 1
	s_delay_alu instid0(VALU_DEP_1)
	v_add3_u32 v2, v12, v2, 0x7fff
                                        ; implicit-def: $vgpr12
; %bb.44:                               ;   in Loop: Header=BB572_42 Depth=2
	s_and_not1_saveexec_b32 s18, s18
; %bb.45:                               ;   in Loop: Header=BB572_42 Depth=2
	v_and_b32_e32 v2, 0xffff, v12
	v_or_b32_e32 v13, 0x10000, v12
	s_delay_alu instid0(VALU_DEP_2) | instskip(NEXT) | instid1(VALU_DEP_2)
	v_cmp_eq_u32_e32 vcc_lo, 0, v2
	v_cndmask_b32_e32 v2, v13, v12, vcc_lo
; %bb.46:                               ;   in Loop: Header=BB572_42 Depth=2
	s_or_b32 exec_lo, exec_lo, s18
	global_load_u16 v12, v[10:11], off offset:-2
	s_wait_loadcnt 0x0
	v_dual_mov_b32 v13, s6 :: v_dual_lshlrev_b32 v12, 16, v12
	ds_load_b32 v13, v13 offset:4
	s_wait_dscnt 0x0
	v_mul_f32_e32 v13, v13, v12
	s_delay_alu instid0(VALU_DEP_1) | instskip(NEXT) | instid1(VALU_DEP_1)
	v_and_b32_e32 v12, 0x7f800000, v13
	v_cmp_ne_u32_e32 vcc_lo, 0x7f800000, v12
                                        ; implicit-def: $vgpr12
	s_wait_xcnt 0x0
	s_and_saveexec_b32 s18, vcc_lo
	s_delay_alu instid0(SALU_CYCLE_1)
	s_xor_b32 s18, exec_lo, s18
; %bb.47:                               ;   in Loop: Header=BB572_42 Depth=2
	v_bfe_u32 v12, v13, 16, 1
	s_delay_alu instid0(VALU_DEP_1)
	v_add3_u32 v12, v13, v12, 0x7fff
                                        ; implicit-def: $vgpr13
; %bb.48:                               ;   in Loop: Header=BB572_42 Depth=2
	s_and_not1_saveexec_b32 s18, s18
; %bb.49:                               ;   in Loop: Header=BB572_42 Depth=2
	v_and_b32_e32 v12, 0xffff, v13
	v_or_b32_e32 v14, 0x10000, v13
	s_delay_alu instid0(VALU_DEP_2) | instskip(NEXT) | instid1(VALU_DEP_2)
	v_cmp_eq_u32_e32 vcc_lo, 0, v12
	v_cndmask_b32_e32 v12, v14, v13, vcc_lo
; %bb.50:                               ;   in Loop: Header=BB572_42 Depth=2
	s_or_b32 exec_lo, exec_lo, s18
	global_load_u16 v13, v[10:11], off
	s_wait_loadcnt 0x0
	v_dual_mov_b32 v14, s6 :: v_dual_lshlrev_b32 v13, 16, v13
	ds_load_b32 v14, v14 offset:8
	s_wait_dscnt 0x0
	v_mul_f32_e32 v14, v14, v13
	s_delay_alu instid0(VALU_DEP_1) | instskip(NEXT) | instid1(VALU_DEP_1)
	v_and_b32_e32 v13, 0x7f800000, v14
	v_cmp_ne_u32_e32 vcc_lo, 0x7f800000, v13
                                        ; implicit-def: $vgpr13
	s_wait_xcnt 0x0
	s_and_saveexec_b32 s18, vcc_lo
	s_delay_alu instid0(SALU_CYCLE_1)
	s_xor_b32 s18, exec_lo, s18
; %bb.51:                               ;   in Loop: Header=BB572_42 Depth=2
	v_bfe_u32 v13, v14, 16, 1
	s_delay_alu instid0(VALU_DEP_1)
	v_add3_u32 v13, v14, v13, 0x7fff
                                        ; implicit-def: $vgpr14
; %bb.52:                               ;   in Loop: Header=BB572_42 Depth=2
	s_and_not1_saveexec_b32 s18, s18
; %bb.53:                               ;   in Loop: Header=BB572_42 Depth=2
	v_and_b32_e32 v13, 0xffff, v14
	v_or_b32_e32 v15, 0x10000, v14
	s_delay_alu instid0(VALU_DEP_2) | instskip(NEXT) | instid1(VALU_DEP_2)
	v_cmp_eq_u32_e32 vcc_lo, 0, v13
	v_cndmask_b32_e32 v13, v15, v14, vcc_lo
; %bb.54:                               ;   in Loop: Header=BB572_42 Depth=2
	s_or_b32 exec_lo, exec_lo, s18
	global_load_u16 v14, v[10:11], off offset:2
	s_wait_loadcnt 0x0
	v_dual_mov_b32 v15, s6 :: v_dual_lshlrev_b32 v14, 16, v14
	ds_load_b32 v15, v15 offset:12
	s_wait_dscnt 0x0
	v_mul_f32_e32 v15, v15, v14
	s_delay_alu instid0(VALU_DEP_1) | instskip(NEXT) | instid1(VALU_DEP_1)
	v_and_b32_e32 v14, 0x7f800000, v15
	v_cmp_ne_u32_e32 vcc_lo, 0x7f800000, v14
                                        ; implicit-def: $vgpr14
	s_wait_xcnt 0x0
	s_and_saveexec_b32 s18, vcc_lo
	s_delay_alu instid0(SALU_CYCLE_1)
	s_xor_b32 s18, exec_lo, s18
; %bb.55:                               ;   in Loop: Header=BB572_42 Depth=2
	v_bfe_u32 v14, v15, 16, 1
	s_delay_alu instid0(VALU_DEP_1)
	v_add3_u32 v14, v15, v14, 0x7fff
                                        ; implicit-def: $vgpr15
; %bb.56:                               ;   in Loop: Header=BB572_42 Depth=2
	s_and_not1_saveexec_b32 s18, s18
	s_cbranch_execz .LBB572_41
; %bb.57:                               ;   in Loop: Header=BB572_42 Depth=2
	v_and_b32_e32 v14, 0xffff, v15
	v_or_b32_e32 v16, 0x10000, v15
	s_delay_alu instid0(VALU_DEP_2) | instskip(NEXT) | instid1(VALU_DEP_2)
	v_cmp_eq_u32_e32 vcc_lo, 0, v14
	v_cndmask_b32_e32 v14, v16, v15, vcc_lo
	s_branch .LBB572_41
.LBB572_58:                             ;   in Loop: Header=BB572_31 Depth=1
	s_mov_b32 s17, s2
.LBB572_59:                             ;   in Loop: Header=BB572_31 Depth=1
	s_and_not1_b32 vcc_lo, exec_lo, s16
	s_cbranch_vccnz .LBB572_66
; %bb.60:                               ;   in Loop: Header=BB572_31 Depth=1
	s_lshl_b32 s6, s17, 1
	s_delay_alu instid0(SALU_CYCLE_1)
	v_add_nc_u64_e32 v[10:11], s[6:7], v[4:5]
	s_lshl_b32 s6, s17, 2
	s_mov_b32 s17, s14
	s_branch .LBB572_62
.LBB572_61:                             ;   in Loop: Header=BB572_62 Depth=2
	s_or_b32 exec_lo, exec_lo, s18
	s_delay_alu instid0(VALU_DEP_1)
	v_and_b32_e32 v2, 0xffff0000, v12
	v_add_nc_u64_e32 v[10:11], 2, v[10:11]
	s_add_co_i32 s17, s17, -1
	s_add_co_i32 s6, s6, 4
	s_cmp_lg_u32 s17, 0
	v_add_f32_e32 v1, v1, v2
	s_cbranch_scc0 .LBB572_66
.LBB572_62:                             ;   Parent Loop BB572_31 Depth=1
                                        ; =>  This Inner Loop Header: Depth=2
	global_load_u16 v2, v[10:11], off
	s_wait_loadcnt 0x0
	v_dual_mov_b32 v12, s6 :: v_dual_lshlrev_b32 v2, 16, v2
	ds_load_b32 v12, v12
	s_wait_dscnt 0x0
	v_mul_f32_e32 v2, v12, v2
	s_delay_alu instid0(VALU_DEP_1) | instskip(NEXT) | instid1(VALU_DEP_1)
	v_and_b32_e32 v12, 0x7f800000, v2
	v_cmp_ne_u32_e32 vcc_lo, 0x7f800000, v12
                                        ; implicit-def: $vgpr12
	s_wait_xcnt 0x0
	s_and_saveexec_b32 s18, vcc_lo
	s_delay_alu instid0(SALU_CYCLE_1)
	s_xor_b32 s18, exec_lo, s18
; %bb.63:                               ;   in Loop: Header=BB572_62 Depth=2
	v_bfe_u32 v12, v2, 16, 1
	s_delay_alu instid0(VALU_DEP_1)
	v_add3_u32 v12, v2, v12, 0x7fff
                                        ; implicit-def: $vgpr2
; %bb.64:                               ;   in Loop: Header=BB572_62 Depth=2
	s_and_not1_saveexec_b32 s18, s18
	s_cbranch_execz .LBB572_61
; %bb.65:                               ;   in Loop: Header=BB572_62 Depth=2
	v_and_b32_e32 v12, 0xffff, v2
	v_or_b32_e32 v13, 0x10000, v2
	s_delay_alu instid0(VALU_DEP_2) | instskip(NEXT) | instid1(VALU_DEP_2)
	v_cmp_eq_u32_e32 vcc_lo, 0, v12
	v_cndmask_b32_e32 v12, v13, v2, vcc_lo
	s_branch .LBB572_61
.LBB572_66:                             ;   in Loop: Header=BB572_31 Depth=1
	s_delay_alu instid0(VALU_DEP_1) | instskip(NEXT) | instid1(VALU_DEP_1)
	v_and_b32_e32 v2, 0x7f800000, v1
	v_cmp_ne_u32_e32 vcc_lo, 0x7f800000, v2
                                        ; implicit-def: $vgpr2
	s_and_saveexec_b32 s6, vcc_lo
	s_delay_alu instid0(SALU_CYCLE_1)
	s_xor_b32 s6, exec_lo, s6
; %bb.67:                               ;   in Loop: Header=BB572_31 Depth=1
	v_bfe_u32 v2, v1, 16, 1
	s_delay_alu instid0(VALU_DEP_1)
	v_add3_u32 v2, v1, v2, 0x7fff
                                        ; implicit-def: $vgpr1
; %bb.68:                               ;   in Loop: Header=BB572_31 Depth=1
	s_and_not1_saveexec_b32 s6, s6
	s_cbranch_execz .LBB572_29
; %bb.69:                               ;   in Loop: Header=BB572_31 Depth=1
	v_and_b32_e32 v2, 0xffff, v1
	v_or_b32_e32 v10, 0x10000, v1
	s_delay_alu instid0(VALU_DEP_2) | instskip(NEXT) | instid1(VALU_DEP_2)
	v_cmp_eq_u32_e32 vcc_lo, 0, v2
	v_cndmask_b32_e32 v2, v10, v1, vcc_lo
	s_branch .LBB572_29
.LBB572_70:
	s_endpgm
	.section	.rodata,"a",@progbits
	.p2align	6, 0x0
	.amdhsa_kernel _ZL22rocblas_gemvtsm_kernelILb1ELi256E16rocblas_bfloat16PKfS0_EviiT2_lPKT1_lilS6_lilS3_lPT3_lil
		.amdhsa_group_segment_fixed_size 256
		.amdhsa_private_segment_fixed_size 0
		.amdhsa_kernarg_size 136
		.amdhsa_user_sgpr_count 2
		.amdhsa_user_sgpr_dispatch_ptr 0
		.amdhsa_user_sgpr_queue_ptr 0
		.amdhsa_user_sgpr_kernarg_segment_ptr 1
		.amdhsa_user_sgpr_dispatch_id 0
		.amdhsa_user_sgpr_kernarg_preload_length 0
		.amdhsa_user_sgpr_kernarg_preload_offset 0
		.amdhsa_user_sgpr_private_segment_size 0
		.amdhsa_wavefront_size32 1
		.amdhsa_uses_dynamic_stack 0
		.amdhsa_enable_private_segment 0
		.amdhsa_system_sgpr_workgroup_id_x 1
		.amdhsa_system_sgpr_workgroup_id_y 0
		.amdhsa_system_sgpr_workgroup_id_z 0
		.amdhsa_system_sgpr_workgroup_info 0
		.amdhsa_system_vgpr_workitem_id 0
		.amdhsa_next_free_vgpr 17
		.amdhsa_next_free_sgpr 30
		.amdhsa_named_barrier_count 0
		.amdhsa_reserve_vcc 1
		.amdhsa_float_round_mode_32 0
		.amdhsa_float_round_mode_16_64 0
		.amdhsa_float_denorm_mode_32 3
		.amdhsa_float_denorm_mode_16_64 3
		.amdhsa_fp16_overflow 0
		.amdhsa_memory_ordered 1
		.amdhsa_forward_progress 1
		.amdhsa_inst_pref_size 18
		.amdhsa_round_robin_scheduling 0
		.amdhsa_exception_fp_ieee_invalid_op 0
		.amdhsa_exception_fp_denorm_src 0
		.amdhsa_exception_fp_ieee_div_zero 0
		.amdhsa_exception_fp_ieee_overflow 0
		.amdhsa_exception_fp_ieee_underflow 0
		.amdhsa_exception_fp_ieee_inexact 0
		.amdhsa_exception_int_div_zero 0
	.end_amdhsa_kernel
	.section	.text._ZL22rocblas_gemvtsm_kernelILb1ELi256E16rocblas_bfloat16PKfS0_EviiT2_lPKT1_lilS6_lilS3_lPT3_lil,"axG",@progbits,_ZL22rocblas_gemvtsm_kernelILb1ELi256E16rocblas_bfloat16PKfS0_EviiT2_lPKT1_lilS6_lilS3_lPT3_lil,comdat
.Lfunc_end572:
	.size	_ZL22rocblas_gemvtsm_kernelILb1ELi256E16rocblas_bfloat16PKfS0_EviiT2_lPKT1_lilS6_lilS3_lPT3_lil, .Lfunc_end572-_ZL22rocblas_gemvtsm_kernelILb1ELi256E16rocblas_bfloat16PKfS0_EviiT2_lPKT1_lilS6_lilS3_lPT3_lil
                                        ; -- End function
	.set _ZL22rocblas_gemvtsm_kernelILb1ELi256E16rocblas_bfloat16PKfS0_EviiT2_lPKT1_lilS6_lilS3_lPT3_lil.num_vgpr, 17
	.set _ZL22rocblas_gemvtsm_kernelILb1ELi256E16rocblas_bfloat16PKfS0_EviiT2_lPKT1_lilS6_lilS3_lPT3_lil.num_agpr, 0
	.set _ZL22rocblas_gemvtsm_kernelILb1ELi256E16rocblas_bfloat16PKfS0_EviiT2_lPKT1_lilS6_lilS3_lPT3_lil.numbered_sgpr, 30
	.set _ZL22rocblas_gemvtsm_kernelILb1ELi256E16rocblas_bfloat16PKfS0_EviiT2_lPKT1_lilS6_lilS3_lPT3_lil.num_named_barrier, 0
	.set _ZL22rocblas_gemvtsm_kernelILb1ELi256E16rocblas_bfloat16PKfS0_EviiT2_lPKT1_lilS6_lilS3_lPT3_lil.private_seg_size, 0
	.set _ZL22rocblas_gemvtsm_kernelILb1ELi256E16rocblas_bfloat16PKfS0_EviiT2_lPKT1_lilS6_lilS3_lPT3_lil.uses_vcc, 1
	.set _ZL22rocblas_gemvtsm_kernelILb1ELi256E16rocblas_bfloat16PKfS0_EviiT2_lPKT1_lilS6_lilS3_lPT3_lil.uses_flat_scratch, 0
	.set _ZL22rocblas_gemvtsm_kernelILb1ELi256E16rocblas_bfloat16PKfS0_EviiT2_lPKT1_lilS6_lilS3_lPT3_lil.has_dyn_sized_stack, 0
	.set _ZL22rocblas_gemvtsm_kernelILb1ELi256E16rocblas_bfloat16PKfS0_EviiT2_lPKT1_lilS6_lilS3_lPT3_lil.has_recursion, 0
	.set _ZL22rocblas_gemvtsm_kernelILb1ELi256E16rocblas_bfloat16PKfS0_EviiT2_lPKT1_lilS6_lilS3_lPT3_lil.has_indirect_call, 0
	.section	.AMDGPU.csdata,"",@progbits
; Kernel info:
; codeLenInByte = 2288
; TotalNumSgprs: 32
; NumVgprs: 17
; ScratchSize: 0
; MemoryBound: 0
; FloatMode: 240
; IeeeMode: 1
; LDSByteSize: 256 bytes/workgroup (compile time only)
; SGPRBlocks: 0
; VGPRBlocks: 1
; NumSGPRsForWavesPerEU: 32
; NumVGPRsForWavesPerEU: 17
; NamedBarCnt: 0
; Occupancy: 16
; WaveLimiterHint : 1
; COMPUTE_PGM_RSRC2:SCRATCH_EN: 0
; COMPUTE_PGM_RSRC2:USER_SGPR: 2
; COMPUTE_PGM_RSRC2:TRAP_HANDLER: 0
; COMPUTE_PGM_RSRC2:TGID_X_EN: 1
; COMPUTE_PGM_RSRC2:TGID_Y_EN: 0
; COMPUTE_PGM_RSRC2:TGID_Z_EN: 0
; COMPUTE_PGM_RSRC2:TIDIG_COMP_CNT: 0
	.section	.text._ZL22rocblas_gemvtsm_kernelILb1ELi256E16rocblas_bfloat16fS0_EviiT2_lPKT1_lilS4_lilS1_lPT3_lil,"axG",@progbits,_ZL22rocblas_gemvtsm_kernelILb1ELi256E16rocblas_bfloat16fS0_EviiT2_lPKT1_lilS4_lilS1_lPT3_lil,comdat
	.globl	_ZL22rocblas_gemvtsm_kernelILb1ELi256E16rocblas_bfloat16fS0_EviiT2_lPKT1_lilS4_lilS1_lPT3_lil ; -- Begin function _ZL22rocblas_gemvtsm_kernelILb1ELi256E16rocblas_bfloat16fS0_EviiT2_lPKT1_lilS4_lilS1_lPT3_lil
	.p2align	8
	.type	_ZL22rocblas_gemvtsm_kernelILb1ELi256E16rocblas_bfloat16fS0_EviiT2_lPKT1_lilS4_lilS1_lPT3_lil,@function
_ZL22rocblas_gemvtsm_kernelILb1ELi256E16rocblas_bfloat16fS0_EviiT2_lPKT1_lilS4_lilS1_lPT3_lil: ; @_ZL22rocblas_gemvtsm_kernelILb1ELi256E16rocblas_bfloat16fS0_EviiT2_lPKT1_lilS4_lilS1_lPT3_lil
; %bb.0:
	s_clause 0x1
	s_load_b96 s[12:14], s[0:1], 0x0
	s_load_b32 s15, s[0:1], 0x58
	s_mov_b32 s17, 0
	s_wait_kmcnt 0x0
	s_cmp_eq_f32 s14, 0
	s_cselect_b32 s2, -1, 0
	s_cmp_eq_f32 s15, 1.0
	s_cselect_b32 s3, -1, 0
	s_delay_alu instid0(SALU_CYCLE_1) | instskip(NEXT) | instid1(SALU_CYCLE_1)
	s_and_b32 s2, s2, s3
	s_and_b32 vcc_lo, exec_lo, s2
	s_cbranch_vccnz .LBB573_70
; %bb.1:
	s_clause 0x2
	s_load_b64 s[8:9], s[0:1], 0x80
	s_load_b128 s[4:7], s[0:1], 0x68
	s_load_b32 s2, s[0:1], 0x78
	s_bfe_u32 s3, ttmp6, 0x4000c
	s_and_b32 s10, ttmp6, 15
	s_add_co_i32 s3, s3, 1
	s_getreg_b32 s11, hwreg(HW_REG_IB_STS2, 6, 4)
	s_mul_i32 s3, ttmp9, s3
	s_delay_alu instid0(SALU_CYCLE_1)
	s_add_co_i32 s10, s10, s3
	s_cmp_eq_u32 s11, 0
	s_cselect_b32 s16, ttmp9, s10
	s_cmp_neq_f32 s14, 0
	s_wait_kmcnt 0x0
	s_mul_u64 s[18:19], s[8:9], s[16:17]
	s_cbranch_scc1 .LBB573_9
; %bb.2:
	s_cmp_gt_i32 s13, 0
	s_cselect_b32 s10, -1, 0
	s_cmp_neq_f32 s15, 0
	v_cndmask_b32_e64 v1, 0, 1, s10
	s_delay_alu instid0(VALU_DEP_1)
	v_cmp_ne_u32_e32 vcc_lo, 1, v1
	s_cbranch_scc1 .LBB573_10
; %bb.3:
	s_and_b32 vcc_lo, exec_lo, vcc_lo
	s_cbranch_vccnz .LBB573_8
; %bb.4:
	v_mov_b32_e32 v1, 0
	s_ashr_i32 s3, s2, 31
	s_lshl_b64 s[8:9], s[6:7], 1
	s_lshl_b64 s[20:21], s[18:19], 1
	s_add_nc_u64 s[8:9], s[4:5], s[8:9]
	v_mul_u64_e32 v[2:3], s[2:3], v[0:1]
	s_add_nc_u64 s[8:9], s[8:9], s[20:21]
	s_delay_alu instid0(VALU_DEP_1) | instid1(SALU_CYCLE_1)
	v_lshl_add_u64 v[2:3], v[2:3], 1, s[8:9]
	s_lshl_b64 s[8:9], s[2:3], 9
	s_mov_b32 s3, 0
	s_branch .LBB573_6
.LBB573_5:                              ;   in Loop: Header=BB573_6 Depth=1
	s_wait_xcnt 0x0
	s_or_b32 exec_lo, exec_lo, s11
	v_add_nc_u64_e32 v[2:3], s[8:9], v[2:3]
	s_addk_co_i32 s3, 0x100
	s_delay_alu instid0(SALU_CYCLE_1)
	s_cmp_ge_i32 s3, s13
	s_cbranch_scc1 .LBB573_8
.LBB573_6:                              ; =>This Inner Loop Header: Depth=1
	v_add_nc_u32_e32 v4, s3, v0
	s_mov_b32 s11, exec_lo
	s_delay_alu instid0(VALU_DEP_1)
	v_cmpx_gt_i32_e64 s13, v4
	s_cbranch_execz .LBB573_5
; %bb.7:                                ;   in Loop: Header=BB573_6 Depth=1
	global_store_b16 v[2:3], v1, off
	s_branch .LBB573_5
.LBB573_8:
	s_cbranch_execz .LBB573_11
	s_branch .LBB573_20
.LBB573_9:
	s_branch .LBB573_21
.LBB573_10:
.LBB573_11:
	s_and_not1_b32 vcc_lo, exec_lo, s10
	s_cbranch_vccnz .LBB573_20
; %bb.12:
	v_mov_b32_e32 v1, 0
	s_ashr_i32 s3, s2, 31
	s_lshl_b64 s[8:9], s[6:7], 1
	s_lshl_b64 s[10:11], s[18:19], 1
	s_add_nc_u64 s[8:9], s[4:5], s[8:9]
	v_mul_u64_e32 v[2:3], s[2:3], v[0:1]
	s_add_nc_u64 s[8:9], s[8:9], s[10:11]
	s_delay_alu instid0(VALU_DEP_1) | instid1(SALU_CYCLE_1)
	v_lshl_add_u64 v[2:3], v[2:3], 1, s[8:9]
	s_lshl_b64 s[8:9], s[2:3], 9
	s_mov_b32 s3, 0
	s_branch .LBB573_15
.LBB573_13:                             ;   in Loop: Header=BB573_15 Depth=1
	s_or_b32 exec_lo, exec_lo, s11
	global_store_d16_hi_b16 v[2:3], v4, off
.LBB573_14:                             ;   in Loop: Header=BB573_15 Depth=1
	s_wait_xcnt 0x0
	s_or_b32 exec_lo, exec_lo, s10
	v_add_nc_u64_e32 v[2:3], s[8:9], v[2:3]
	s_addk_co_i32 s3, 0x100
	s_delay_alu instid0(SALU_CYCLE_1)
	s_cmp_ge_i32 s3, s13
	s_cbranch_scc1 .LBB573_20
.LBB573_15:                             ; =>This Inner Loop Header: Depth=1
	v_add_nc_u32_e32 v1, s3, v0
	s_mov_b32 s10, exec_lo
	s_delay_alu instid0(VALU_DEP_1)
	v_cmpx_gt_i32_e64 s13, v1
	s_cbranch_execz .LBB573_14
; %bb.16:                               ;   in Loop: Header=BB573_15 Depth=1
	global_load_u16 v1, v[2:3], off
	s_wait_loadcnt 0x0
	v_lshlrev_b32_e32 v1, 16, v1
	s_delay_alu instid0(VALU_DEP_1) | instskip(NEXT) | instid1(VALU_DEP_1)
	v_mul_f32_e32 v1, s15, v1
	v_and_b32_e32 v4, 0x7f800000, v1
	s_delay_alu instid0(VALU_DEP_1) | instskip(SKIP_2) | instid1(SALU_CYCLE_1)
	v_cmp_ne_u32_e32 vcc_lo, 0x7f800000, v4
                                        ; implicit-def: $vgpr4
	s_wait_xcnt 0x0
	s_and_saveexec_b32 s11, vcc_lo
	s_xor_b32 s11, exec_lo, s11
; %bb.17:                               ;   in Loop: Header=BB573_15 Depth=1
	v_bfe_u32 v4, v1, 16, 1
	s_delay_alu instid0(VALU_DEP_1)
	v_add3_u32 v4, v1, v4, 0x7fff
                                        ; implicit-def: $vgpr1
; %bb.18:                               ;   in Loop: Header=BB573_15 Depth=1
	s_and_not1_saveexec_b32 s11, s11
	s_cbranch_execz .LBB573_13
; %bb.19:                               ;   in Loop: Header=BB573_15 Depth=1
	v_and_b32_e32 v4, 0xffff, v1
	v_or_b32_e32 v5, 0x10000, v1
	s_delay_alu instid0(VALU_DEP_2) | instskip(NEXT) | instid1(VALU_DEP_2)
	v_cmp_eq_u32_e32 vcc_lo, 0, v4
	v_cndmask_b32_e32 v4, v5, v1, vcc_lo
	s_branch .LBB573_13
.LBB573_20:
	s_cbranch_execnz .LBB573_70
.LBB573_21:
	s_clause 0x1
	s_load_b128 s[8:11], s[0:1], 0x30
	s_load_b64 s[20:21], s[0:1], 0x40
	s_mov_b32 s3, exec_lo
	v_cmpx_gt_i32_e64 s12, v0
	s_cbranch_execz .LBB573_27
; %bb.22:
	s_clause 0x1
	s_load_b32 s22, s[0:1], 0x48
	s_load_b64 s[24:25], s[0:1], 0x50
	v_mov_b32_e32 v1, 0
	s_wait_kmcnt 0x0
	s_lshl_b64 s[20:21], s[20:21], 1
	s_ashr_i32 s23, s22, 31
	s_delay_alu instid0(VALU_DEP_1) | instid1(SALU_CYCLE_1)
	v_mul_u64_e32 v[2:3], s[22:23], v[0:1]
	s_mul_u64 s[22:23], s[24:25], s[16:17]
	s_delay_alu instid0(SALU_CYCLE_1) | instskip(NEXT) | instid1(SALU_CYCLE_1)
	s_lshl_b64 s[22:23], s[22:23], 1
	s_add_nc_u64 s[10:11], s[10:11], s[22:23]
	s_delay_alu instid0(SALU_CYCLE_1)
	s_add_nc_u64 s[10:11], s[10:11], s[20:21]
	s_delay_alu instid0(VALU_DEP_1) | instid1(SALU_CYCLE_1)
	v_lshl_add_u64 v[2:3], v[2:3], 1, s[10:11]
	global_load_u16 v1, v[2:3], off
	s_wait_loadcnt 0x0
	v_lshlrev_b32_e32 v1, 16, v1
	s_delay_alu instid0(VALU_DEP_1) | instskip(SKIP_1) | instid1(VALU_DEP_1)
	v_mul_f32_e32 v1, s14, v1
	s_wait_xcnt 0x0
	v_and_b32_e32 v2, 0x7f800000, v1
	s_delay_alu instid0(VALU_DEP_1) | instskip(SKIP_1) | instid1(SALU_CYCLE_1)
	v_cmp_ne_u32_e32 vcc_lo, 0x7f800000, v2
                                        ; implicit-def: $vgpr2
	s_and_saveexec_b32 s10, vcc_lo
	s_xor_b32 s10, exec_lo, s10
; %bb.23:
	v_bfe_u32 v2, v1, 16, 1
	s_delay_alu instid0(VALU_DEP_1)
	v_add3_u32 v2, v1, v2, 0x7fff
                                        ; implicit-def: $vgpr1
; %bb.24:
	s_and_not1_saveexec_b32 s10, s10
; %bb.25:
	v_and_b32_e32 v2, 0xffff, v1
	v_or_b32_e32 v3, 0x10000, v1
	s_delay_alu instid0(VALU_DEP_2) | instskip(NEXT) | instid1(VALU_DEP_2)
	v_cmp_eq_u32_e32 vcc_lo, 0, v2
	v_cndmask_b32_e32 v2, v3, v1, vcc_lo
; %bb.26:
	s_or_b32 exec_lo, exec_lo, s10
	s_delay_alu instid0(VALU_DEP_1)
	v_and_b32_e32 v1, 0xffff0000, v2
	v_lshlrev_b32_e32 v2, 2, v0
	ds_store_b32 v2, v1
.LBB573_27:
	s_or_b32 exec_lo, exec_lo, s3
	s_cmp_lt_i32 s13, 1
	s_wait_storecnt_dscnt 0x0
	s_barrier_signal -1
	s_barrier_wait -1
	s_cbranch_scc1 .LBB573_70
; %bb.28:
	s_load_b32 s24, s[0:1], 0x28
	s_wait_kmcnt 0x0
	s_load_b128 s[20:23], s[0:1], 0x18
	v_mov_b32_e32 v3, 0
	s_wait_xcnt 0x0
	s_lshl_b64 s[0:1], s[18:19], 1
	s_lshl_b64 s[6:7], s[6:7], 1
	s_ashr_i32 s3, s2, 31
	s_mul_u64 s[16:17], s[8:9], s[16:17]
	v_mov_b32_e32 v1, v3
	s_add_nc_u64 s[0:1], s[4:5], s[0:1]
	s_mov_b32 s5, 0
	s_add_nc_u64 s[0:1], s[0:1], s[6:7]
	s_mov_b32 s9, 0
	s_ashr_i32 s25, s24, 31
	s_cmp_neq_f32 s15, 0
	v_mul_u64_e32 v[4:5], s[24:25], v[0:1]
	s_cselect_b32 s10, -1, 0
	s_cmp_gt_i32 s12, 0
	s_cselect_b32 s11, -1, 0
	s_and_b32 s14, s12, 3
	s_cmp_gt_u32 s12, 3
	s_cselect_b32 s18, -1, 0
	s_and_b32 s12, s12, 0x7ffffffc
	s_cmp_lg_u32 s14, 0
	s_cselect_b32 s8, -1, 0
	s_wait_kmcnt 0x0
	s_lshl_b64 s[22:23], s[22:23], 1
	s_lshl_b64 s[16:17], s[16:17], 1
	s_add_nc_u64 s[20:21], s[20:21], s[22:23]
	s_lshl_b64 s[6:7], s[24:25], 9
	s_add_nc_u64 s[16:17], s[20:21], s[16:17]
	s_delay_alu instid0(VALU_DEP_1) | instid1(SALU_CYCLE_1)
	v_lshl_add_u64 v[4:5], v[4:5], 1, s[16:17]
	s_delay_alu instid0(VALU_DEP_1)
	v_add_nc_u64_e32 v[6:7], 4, v[4:5]
	s_branch .LBB573_31
.LBB573_29:                             ;   in Loop: Header=BB573_31 Depth=1
	s_or_b32 exec_lo, exec_lo, s4
	global_store_d16_hi_b16 v[8:9], v2, off
.LBB573_30:                             ;   in Loop: Header=BB573_31 Depth=1
	s_wait_xcnt 0x0
	s_or_b32 exec_lo, exec_lo, s16
	v_add_nc_u64_e32 v[6:7], s[6:7], v[6:7]
	v_add_nc_u64_e32 v[4:5], s[6:7], v[4:5]
	s_addk_co_i32 s9, 0x100
	s_delay_alu instid0(SALU_CYCLE_1)
	s_cmp_ge_i32 s9, s13
	s_cbranch_scc1 .LBB573_70
.LBB573_31:                             ; =>This Loop Header: Depth=1
                                        ;     Child Loop BB573_42 Depth 2
                                        ;     Child Loop BB573_62 Depth 2
	v_add_nc_u32_e32 v2, s9, v0
	s_mov_b32 s16, exec_lo
	s_delay_alu instid0(VALU_DEP_1)
	v_cmpx_gt_i32_e64 s13, v2
	s_cbranch_execz .LBB573_30
; %bb.32:                               ;   in Loop: Header=BB573_31 Depth=1
	v_mul_u64_e32 v[8:9], s[2:3], v[2:3]
	s_and_not1_b32 vcc_lo, exec_lo, s10
	s_delay_alu instid0(VALU_DEP_1)
	v_lshl_add_u64 v[8:9], v[8:9], 1, s[0:1]
	s_cbranch_vccnz .LBB573_38
; %bb.33:                               ;   in Loop: Header=BB573_31 Depth=1
	global_load_u16 v1, v[8:9], off
	s_wait_loadcnt 0x0
	v_lshlrev_b32_e32 v1, 16, v1
	s_delay_alu instid0(VALU_DEP_1) | instskip(NEXT) | instid1(VALU_DEP_1)
	v_mul_f32_e32 v1, s15, v1
	v_and_b32_e32 v2, 0x7f800000, v1
	s_delay_alu instid0(VALU_DEP_1) | instskip(SKIP_2) | instid1(SALU_CYCLE_1)
	v_cmp_ne_u32_e32 vcc_lo, 0x7f800000, v2
                                        ; implicit-def: $vgpr2
	s_wait_xcnt 0x0
	s_and_saveexec_b32 s4, vcc_lo
	s_xor_b32 s4, exec_lo, s4
; %bb.34:                               ;   in Loop: Header=BB573_31 Depth=1
	v_bfe_u32 v2, v1, 16, 1
	s_delay_alu instid0(VALU_DEP_1)
	v_add3_u32 v2, v1, v2, 0x7fff
                                        ; implicit-def: $vgpr1
; %bb.35:                               ;   in Loop: Header=BB573_31 Depth=1
	s_and_not1_saveexec_b32 s4, s4
; %bb.36:                               ;   in Loop: Header=BB573_31 Depth=1
	v_and_b32_e32 v2, 0xffff, v1
	v_or_b32_e32 v10, 0x10000, v1
	s_delay_alu instid0(VALU_DEP_2) | instskip(NEXT) | instid1(VALU_DEP_2)
	v_cmp_eq_u32_e32 vcc_lo, 0, v2
	v_cndmask_b32_e32 v2, v10, v1, vcc_lo
; %bb.37:                               ;   in Loop: Header=BB573_31 Depth=1
	s_or_b32 exec_lo, exec_lo, s4
	s_delay_alu instid0(VALU_DEP_1) | instskip(NEXT) | instid1(VALU_DEP_1)
	v_and_b32_e32 v1, 0xffff0000, v2
	v_cvt_i32_f32_e32 v1, v1
	s_delay_alu instid0(VALU_DEP_1)
	v_cvt_f32_i32_e32 v1, v1
	s_and_not1_b32 vcc_lo, exec_lo, s11
	s_cbranch_vccz .LBB573_39
	s_branch .LBB573_66
.LBB573_38:                             ;   in Loop: Header=BB573_31 Depth=1
	v_mov_b32_e32 v1, 0
	s_and_not1_b32 vcc_lo, exec_lo, s11
	s_cbranch_vccnz .LBB573_66
.LBB573_39:                             ;   in Loop: Header=BB573_31 Depth=1
	s_and_not1_b32 vcc_lo, exec_lo, s18
	s_mov_b32 s17, 0
	s_cbranch_vccnz .LBB573_59
; %bb.40:                               ;   in Loop: Header=BB573_31 Depth=1
	v_mov_b64_e32 v[10:11], v[6:7]
	s_mov_b32 s4, 0
	s_branch .LBB573_42
.LBB573_41:                             ;   in Loop: Header=BB573_42 Depth=2
	s_or_b32 exec_lo, exec_lo, s19
	v_and_b32_e32 v2, 0xffff0000, v2
	v_and_b32_e32 v12, 0xffff0000, v12
	v_add_nc_u64_e32 v[10:11], 8, v[10:11]
	s_add_co_i32 s17, s17, 4
	s_add_co_i32 s4, s4, 16
	v_add_f32_e32 v1, v1, v2
	v_and_b32_e32 v2, 0xffff0000, v13
	s_cmp_eq_u32 s12, s17
	s_delay_alu instid0(VALU_DEP_2) | instskip(SKIP_1) | instid1(VALU_DEP_2)
	v_add_f32_e32 v1, v1, v12
	v_and_b32_e32 v12, 0xffff0000, v14
	v_add_f32_e32 v1, v1, v2
	s_delay_alu instid0(VALU_DEP_1)
	v_add_f32_e32 v1, v1, v12
	s_cbranch_scc1 .LBB573_58
.LBB573_42:                             ;   Parent Loop BB573_31 Depth=1
                                        ; =>  This Inner Loop Header: Depth=2
	global_load_u16 v2, v[10:11], off offset:-4
	s_wait_loadcnt 0x0
	v_dual_mov_b32 v12, s4 :: v_dual_lshlrev_b32 v2, 16, v2
	ds_load_b32 v12, v12
	s_wait_dscnt 0x0
	v_mul_f32_e32 v12, v12, v2
	s_delay_alu instid0(VALU_DEP_1) | instskip(NEXT) | instid1(VALU_DEP_1)
	v_and_b32_e32 v2, 0x7f800000, v12
	v_cmp_ne_u32_e32 vcc_lo, 0x7f800000, v2
                                        ; implicit-def: $vgpr2
	s_wait_xcnt 0x0
	s_and_saveexec_b32 s19, vcc_lo
	s_delay_alu instid0(SALU_CYCLE_1)
	s_xor_b32 s19, exec_lo, s19
; %bb.43:                               ;   in Loop: Header=BB573_42 Depth=2
	v_bfe_u32 v2, v12, 16, 1
	s_delay_alu instid0(VALU_DEP_1)
	v_add3_u32 v2, v12, v2, 0x7fff
                                        ; implicit-def: $vgpr12
; %bb.44:                               ;   in Loop: Header=BB573_42 Depth=2
	s_and_not1_saveexec_b32 s19, s19
; %bb.45:                               ;   in Loop: Header=BB573_42 Depth=2
	v_and_b32_e32 v2, 0xffff, v12
	v_or_b32_e32 v13, 0x10000, v12
	s_delay_alu instid0(VALU_DEP_2) | instskip(NEXT) | instid1(VALU_DEP_2)
	v_cmp_eq_u32_e32 vcc_lo, 0, v2
	v_cndmask_b32_e32 v2, v13, v12, vcc_lo
; %bb.46:                               ;   in Loop: Header=BB573_42 Depth=2
	s_or_b32 exec_lo, exec_lo, s19
	global_load_u16 v12, v[10:11], off offset:-2
	s_wait_loadcnt 0x0
	v_dual_mov_b32 v13, s4 :: v_dual_lshlrev_b32 v12, 16, v12
	ds_load_b32 v13, v13 offset:4
	s_wait_dscnt 0x0
	v_mul_f32_e32 v13, v13, v12
	s_delay_alu instid0(VALU_DEP_1) | instskip(NEXT) | instid1(VALU_DEP_1)
	v_and_b32_e32 v12, 0x7f800000, v13
	v_cmp_ne_u32_e32 vcc_lo, 0x7f800000, v12
                                        ; implicit-def: $vgpr12
	s_wait_xcnt 0x0
	s_and_saveexec_b32 s19, vcc_lo
	s_delay_alu instid0(SALU_CYCLE_1)
	s_xor_b32 s19, exec_lo, s19
; %bb.47:                               ;   in Loop: Header=BB573_42 Depth=2
	v_bfe_u32 v12, v13, 16, 1
	s_delay_alu instid0(VALU_DEP_1)
	v_add3_u32 v12, v13, v12, 0x7fff
                                        ; implicit-def: $vgpr13
; %bb.48:                               ;   in Loop: Header=BB573_42 Depth=2
	s_and_not1_saveexec_b32 s19, s19
; %bb.49:                               ;   in Loop: Header=BB573_42 Depth=2
	v_and_b32_e32 v12, 0xffff, v13
	v_or_b32_e32 v14, 0x10000, v13
	s_delay_alu instid0(VALU_DEP_2) | instskip(NEXT) | instid1(VALU_DEP_2)
	v_cmp_eq_u32_e32 vcc_lo, 0, v12
	v_cndmask_b32_e32 v12, v14, v13, vcc_lo
; %bb.50:                               ;   in Loop: Header=BB573_42 Depth=2
	s_or_b32 exec_lo, exec_lo, s19
	global_load_u16 v13, v[10:11], off
	s_wait_loadcnt 0x0
	v_dual_mov_b32 v14, s4 :: v_dual_lshlrev_b32 v13, 16, v13
	ds_load_b32 v14, v14 offset:8
	s_wait_dscnt 0x0
	v_mul_f32_e32 v14, v14, v13
	s_delay_alu instid0(VALU_DEP_1) | instskip(NEXT) | instid1(VALU_DEP_1)
	v_and_b32_e32 v13, 0x7f800000, v14
	v_cmp_ne_u32_e32 vcc_lo, 0x7f800000, v13
                                        ; implicit-def: $vgpr13
	s_wait_xcnt 0x0
	s_and_saveexec_b32 s19, vcc_lo
	s_delay_alu instid0(SALU_CYCLE_1)
	s_xor_b32 s19, exec_lo, s19
; %bb.51:                               ;   in Loop: Header=BB573_42 Depth=2
	v_bfe_u32 v13, v14, 16, 1
	s_delay_alu instid0(VALU_DEP_1)
	v_add3_u32 v13, v14, v13, 0x7fff
                                        ; implicit-def: $vgpr14
; %bb.52:                               ;   in Loop: Header=BB573_42 Depth=2
	s_and_not1_saveexec_b32 s19, s19
; %bb.53:                               ;   in Loop: Header=BB573_42 Depth=2
	v_and_b32_e32 v13, 0xffff, v14
	v_or_b32_e32 v15, 0x10000, v14
	s_delay_alu instid0(VALU_DEP_2) | instskip(NEXT) | instid1(VALU_DEP_2)
	v_cmp_eq_u32_e32 vcc_lo, 0, v13
	v_cndmask_b32_e32 v13, v15, v14, vcc_lo
; %bb.54:                               ;   in Loop: Header=BB573_42 Depth=2
	s_or_b32 exec_lo, exec_lo, s19
	global_load_u16 v14, v[10:11], off offset:2
	s_wait_loadcnt 0x0
	v_dual_mov_b32 v15, s4 :: v_dual_lshlrev_b32 v14, 16, v14
	ds_load_b32 v15, v15 offset:12
	s_wait_dscnt 0x0
	v_mul_f32_e32 v15, v15, v14
	s_delay_alu instid0(VALU_DEP_1) | instskip(NEXT) | instid1(VALU_DEP_1)
	v_and_b32_e32 v14, 0x7f800000, v15
	v_cmp_ne_u32_e32 vcc_lo, 0x7f800000, v14
                                        ; implicit-def: $vgpr14
	s_wait_xcnt 0x0
	s_and_saveexec_b32 s19, vcc_lo
	s_delay_alu instid0(SALU_CYCLE_1)
	s_xor_b32 s19, exec_lo, s19
; %bb.55:                               ;   in Loop: Header=BB573_42 Depth=2
	v_bfe_u32 v14, v15, 16, 1
	s_delay_alu instid0(VALU_DEP_1)
	v_add3_u32 v14, v15, v14, 0x7fff
                                        ; implicit-def: $vgpr15
; %bb.56:                               ;   in Loop: Header=BB573_42 Depth=2
	s_and_not1_saveexec_b32 s19, s19
	s_cbranch_execz .LBB573_41
; %bb.57:                               ;   in Loop: Header=BB573_42 Depth=2
	v_and_b32_e32 v14, 0xffff, v15
	v_or_b32_e32 v16, 0x10000, v15
	s_delay_alu instid0(VALU_DEP_2) | instskip(NEXT) | instid1(VALU_DEP_2)
	v_cmp_eq_u32_e32 vcc_lo, 0, v14
	v_cndmask_b32_e32 v14, v16, v15, vcc_lo
	s_branch .LBB573_41
.LBB573_58:                             ;   in Loop: Header=BB573_31 Depth=1
	s_mov_b32 s17, s12
.LBB573_59:                             ;   in Loop: Header=BB573_31 Depth=1
	s_and_not1_b32 vcc_lo, exec_lo, s8
	s_cbranch_vccnz .LBB573_66
; %bb.60:                               ;   in Loop: Header=BB573_31 Depth=1
	s_lshl_b32 s4, s17, 1
	s_delay_alu instid0(SALU_CYCLE_1)
	v_add_nc_u64_e32 v[10:11], s[4:5], v[4:5]
	s_lshl_b32 s4, s17, 2
	s_mov_b32 s17, s14
	s_branch .LBB573_62
.LBB573_61:                             ;   in Loop: Header=BB573_62 Depth=2
	s_or_b32 exec_lo, exec_lo, s19
	s_delay_alu instid0(VALU_DEP_1)
	v_and_b32_e32 v2, 0xffff0000, v12
	v_add_nc_u64_e32 v[10:11], 2, v[10:11]
	s_add_co_i32 s17, s17, -1
	s_add_co_i32 s4, s4, 4
	s_cmp_lg_u32 s17, 0
	v_add_f32_e32 v1, v1, v2
	s_cbranch_scc0 .LBB573_66
.LBB573_62:                             ;   Parent Loop BB573_31 Depth=1
                                        ; =>  This Inner Loop Header: Depth=2
	global_load_u16 v2, v[10:11], off
	s_wait_loadcnt 0x0
	v_dual_mov_b32 v12, s4 :: v_dual_lshlrev_b32 v2, 16, v2
	ds_load_b32 v12, v12
	s_wait_dscnt 0x0
	v_mul_f32_e32 v2, v12, v2
	s_delay_alu instid0(VALU_DEP_1) | instskip(NEXT) | instid1(VALU_DEP_1)
	v_and_b32_e32 v12, 0x7f800000, v2
	v_cmp_ne_u32_e32 vcc_lo, 0x7f800000, v12
                                        ; implicit-def: $vgpr12
	s_wait_xcnt 0x0
	s_and_saveexec_b32 s19, vcc_lo
	s_delay_alu instid0(SALU_CYCLE_1)
	s_xor_b32 s19, exec_lo, s19
; %bb.63:                               ;   in Loop: Header=BB573_62 Depth=2
	v_bfe_u32 v12, v2, 16, 1
	s_delay_alu instid0(VALU_DEP_1)
	v_add3_u32 v12, v2, v12, 0x7fff
                                        ; implicit-def: $vgpr2
; %bb.64:                               ;   in Loop: Header=BB573_62 Depth=2
	s_and_not1_saveexec_b32 s19, s19
	s_cbranch_execz .LBB573_61
; %bb.65:                               ;   in Loop: Header=BB573_62 Depth=2
	v_and_b32_e32 v12, 0xffff, v2
	v_or_b32_e32 v13, 0x10000, v2
	s_delay_alu instid0(VALU_DEP_2) | instskip(NEXT) | instid1(VALU_DEP_2)
	v_cmp_eq_u32_e32 vcc_lo, 0, v12
	v_cndmask_b32_e32 v12, v13, v2, vcc_lo
	s_branch .LBB573_61
.LBB573_66:                             ;   in Loop: Header=BB573_31 Depth=1
	s_delay_alu instid0(VALU_DEP_1) | instskip(NEXT) | instid1(VALU_DEP_1)
	v_and_b32_e32 v2, 0x7f800000, v1
	v_cmp_ne_u32_e32 vcc_lo, 0x7f800000, v2
                                        ; implicit-def: $vgpr2
	s_and_saveexec_b32 s4, vcc_lo
	s_delay_alu instid0(SALU_CYCLE_1)
	s_xor_b32 s4, exec_lo, s4
; %bb.67:                               ;   in Loop: Header=BB573_31 Depth=1
	v_bfe_u32 v2, v1, 16, 1
	s_delay_alu instid0(VALU_DEP_1)
	v_add3_u32 v2, v1, v2, 0x7fff
                                        ; implicit-def: $vgpr1
; %bb.68:                               ;   in Loop: Header=BB573_31 Depth=1
	s_and_not1_saveexec_b32 s4, s4
	s_cbranch_execz .LBB573_29
; %bb.69:                               ;   in Loop: Header=BB573_31 Depth=1
	v_and_b32_e32 v2, 0xffff, v1
	v_or_b32_e32 v10, 0x10000, v1
	s_delay_alu instid0(VALU_DEP_2) | instskip(NEXT) | instid1(VALU_DEP_2)
	v_cmp_eq_u32_e32 vcc_lo, 0, v2
	v_cndmask_b32_e32 v2, v10, v1, vcc_lo
	s_branch .LBB573_29
.LBB573_70:
	s_endpgm
	.section	.rodata,"a",@progbits
	.p2align	6, 0x0
	.amdhsa_kernel _ZL22rocblas_gemvtsm_kernelILb1ELi256E16rocblas_bfloat16fS0_EviiT2_lPKT1_lilS4_lilS1_lPT3_lil
		.amdhsa_group_segment_fixed_size 256
		.amdhsa_private_segment_fixed_size 0
		.amdhsa_kernarg_size 136
		.amdhsa_user_sgpr_count 2
		.amdhsa_user_sgpr_dispatch_ptr 0
		.amdhsa_user_sgpr_queue_ptr 0
		.amdhsa_user_sgpr_kernarg_segment_ptr 1
		.amdhsa_user_sgpr_dispatch_id 0
		.amdhsa_user_sgpr_kernarg_preload_length 0
		.amdhsa_user_sgpr_kernarg_preload_offset 0
		.amdhsa_user_sgpr_private_segment_size 0
		.amdhsa_wavefront_size32 1
		.amdhsa_uses_dynamic_stack 0
		.amdhsa_enable_private_segment 0
		.amdhsa_system_sgpr_workgroup_id_x 1
		.amdhsa_system_sgpr_workgroup_id_y 0
		.amdhsa_system_sgpr_workgroup_id_z 0
		.amdhsa_system_sgpr_workgroup_info 0
		.amdhsa_system_vgpr_workitem_id 0
		.amdhsa_next_free_vgpr 17
		.amdhsa_next_free_sgpr 26
		.amdhsa_named_barrier_count 0
		.amdhsa_reserve_vcc 1
		.amdhsa_float_round_mode_32 0
		.amdhsa_float_round_mode_16_64 0
		.amdhsa_float_denorm_mode_32 3
		.amdhsa_float_denorm_mode_16_64 3
		.amdhsa_fp16_overflow 0
		.amdhsa_memory_ordered 1
		.amdhsa_forward_progress 1
		.amdhsa_inst_pref_size 18
		.amdhsa_round_robin_scheduling 0
		.amdhsa_exception_fp_ieee_invalid_op 0
		.amdhsa_exception_fp_denorm_src 0
		.amdhsa_exception_fp_ieee_div_zero 0
		.amdhsa_exception_fp_ieee_overflow 0
		.amdhsa_exception_fp_ieee_underflow 0
		.amdhsa_exception_fp_ieee_inexact 0
		.amdhsa_exception_int_div_zero 0
	.end_amdhsa_kernel
	.section	.text._ZL22rocblas_gemvtsm_kernelILb1ELi256E16rocblas_bfloat16fS0_EviiT2_lPKT1_lilS4_lilS1_lPT3_lil,"axG",@progbits,_ZL22rocblas_gemvtsm_kernelILb1ELi256E16rocblas_bfloat16fS0_EviiT2_lPKT1_lilS4_lilS1_lPT3_lil,comdat
.Lfunc_end573:
	.size	_ZL22rocblas_gemvtsm_kernelILb1ELi256E16rocblas_bfloat16fS0_EviiT2_lPKT1_lilS4_lilS1_lPT3_lil, .Lfunc_end573-_ZL22rocblas_gemvtsm_kernelILb1ELi256E16rocblas_bfloat16fS0_EviiT2_lPKT1_lilS4_lilS1_lPT3_lil
                                        ; -- End function
	.set _ZL22rocblas_gemvtsm_kernelILb1ELi256E16rocblas_bfloat16fS0_EviiT2_lPKT1_lilS4_lilS1_lPT3_lil.num_vgpr, 17
	.set _ZL22rocblas_gemvtsm_kernelILb1ELi256E16rocblas_bfloat16fS0_EviiT2_lPKT1_lilS4_lilS1_lPT3_lil.num_agpr, 0
	.set _ZL22rocblas_gemvtsm_kernelILb1ELi256E16rocblas_bfloat16fS0_EviiT2_lPKT1_lilS4_lilS1_lPT3_lil.numbered_sgpr, 26
	.set _ZL22rocblas_gemvtsm_kernelILb1ELi256E16rocblas_bfloat16fS0_EviiT2_lPKT1_lilS4_lilS1_lPT3_lil.num_named_barrier, 0
	.set _ZL22rocblas_gemvtsm_kernelILb1ELi256E16rocblas_bfloat16fS0_EviiT2_lPKT1_lilS4_lilS1_lPT3_lil.private_seg_size, 0
	.set _ZL22rocblas_gemvtsm_kernelILb1ELi256E16rocblas_bfloat16fS0_EviiT2_lPKT1_lilS4_lilS1_lPT3_lil.uses_vcc, 1
	.set _ZL22rocblas_gemvtsm_kernelILb1ELi256E16rocblas_bfloat16fS0_EviiT2_lPKT1_lilS4_lilS1_lPT3_lil.uses_flat_scratch, 0
	.set _ZL22rocblas_gemvtsm_kernelILb1ELi256E16rocblas_bfloat16fS0_EviiT2_lPKT1_lilS4_lilS1_lPT3_lil.has_dyn_sized_stack, 0
	.set _ZL22rocblas_gemvtsm_kernelILb1ELi256E16rocblas_bfloat16fS0_EviiT2_lPKT1_lilS4_lilS1_lPT3_lil.has_recursion, 0
	.set _ZL22rocblas_gemvtsm_kernelILb1ELi256E16rocblas_bfloat16fS0_EviiT2_lPKT1_lilS4_lilS1_lPT3_lil.has_indirect_call, 0
	.section	.AMDGPU.csdata,"",@progbits
; Kernel info:
; codeLenInByte = 2260
; TotalNumSgprs: 28
; NumVgprs: 17
; ScratchSize: 0
; MemoryBound: 0
; FloatMode: 240
; IeeeMode: 1
; LDSByteSize: 256 bytes/workgroup (compile time only)
; SGPRBlocks: 0
; VGPRBlocks: 1
; NumSGPRsForWavesPerEU: 28
; NumVGPRsForWavesPerEU: 17
; NamedBarCnt: 0
; Occupancy: 16
; WaveLimiterHint : 1
; COMPUTE_PGM_RSRC2:SCRATCH_EN: 0
; COMPUTE_PGM_RSRC2:USER_SGPR: 2
; COMPUTE_PGM_RSRC2:TRAP_HANDLER: 0
; COMPUTE_PGM_RSRC2:TGID_X_EN: 1
; COMPUTE_PGM_RSRC2:TGID_Y_EN: 0
; COMPUTE_PGM_RSRC2:TGID_Z_EN: 0
; COMPUTE_PGM_RSRC2:TIDIG_COMP_CNT: 0
	.section	.text._ZL23rocblas_gemvt_sn_kernelILb1ELi256ELi4Ei16rocblas_bfloat16PKffEviiT4_lPKT3_lilS6_lilPT5_i,"axG",@progbits,_ZL23rocblas_gemvt_sn_kernelILb1ELi256ELi4Ei16rocblas_bfloat16PKffEviiT4_lPKT3_lilS6_lilPT5_i,comdat
	.globl	_ZL23rocblas_gemvt_sn_kernelILb1ELi256ELi4Ei16rocblas_bfloat16PKffEviiT4_lPKT3_lilS6_lilPT5_i ; -- Begin function _ZL23rocblas_gemvt_sn_kernelILb1ELi256ELi4Ei16rocblas_bfloat16PKffEviiT4_lPKT3_lilS6_lilPT5_i
	.p2align	8
	.type	_ZL23rocblas_gemvt_sn_kernelILb1ELi256ELi4Ei16rocblas_bfloat16PKffEviiT4_lPKT3_lilS6_lilPT5_i,@function
_ZL23rocblas_gemvt_sn_kernelILb1ELi256ELi4Ei16rocblas_bfloat16PKffEviiT4_lPKT3_lilS6_lilPT5_i: ; @_ZL23rocblas_gemvt_sn_kernelILb1ELi256ELi4Ei16rocblas_bfloat16PKffEviiT4_lPKT3_lilS6_lilPT5_i
; %bb.0:
	s_load_b32 s11, s[0:1], 0x60
	s_bfe_u32 s2, ttmp6, 0x40014
	s_lshr_b32 s3, ttmp7, 16
	s_add_co_i32 s2, s2, 1
	s_bfe_u32 s5, ttmp6, 0x40008
	s_mul_i32 s2, s3, s2
	s_getreg_b32 s4, hwreg(HW_REG_IB_STS2, 6, 4)
	s_add_co_i32 s5, s5, s2
	s_cmp_eq_u32 s4, 0
	s_mov_b32 s31, 0
	s_cselect_b32 s28, s3, s5
	s_wait_kmcnt 0x0
	s_cmp_ge_u32 s28, s11
	s_cbranch_scc1 .LBB574_88
; %bb.1:
	s_clause 0x6
	s_load_b96 s[8:10], s[0:1], 0x40
	s_load_b256 s[12:19], s[0:1], 0x8
	s_load_b64 s[34:35], s[0:1], 0x0
	s_load_b32 s36, s[0:1], 0x28
	s_load_b128 s[20:23], s[0:1], 0x30
	s_load_b128 s[24:27], s[0:1], 0x50
	s_load_b32 s38, s[0:1], 0x68
	s_wait_xcnt 0x0
	v_cmp_eq_u32_e64 s0, 0, v0
	v_dual_lshrrev_b32 v2, 3, v0 :: v_dual_bitop2_b32 v1, 31, v0 bitop3:0x40
	v_cmp_gt_u32_e64 s1, 32, v0
	v_cmp_gt_u32_e64 s2, 8, v0
	v_mbcnt_lo_u32_b32 v38, -1, 0
	s_delay_alu instid0(VALU_DEP_4)
	v_cmp_eq_u32_e64 s3, 0, v1
	v_dual_lshlrev_b32 v36, 2, v1 :: v_dual_bitop2_b32 v37, 28, v2 bitop3:0x40
	v_mov_b64_e32 v[18:19], 0
	s_mov_b32 s39, s31
	s_mov_b32 s41, s31
	v_lshl_or_b32 v39, v38, 2, 64
	s_wait_kmcnt 0x0
	s_lshl_b64 s[6:7], s[8:9], 1
	s_lshl_b64 s[8:9], s[18:19], 1
	s_ashr_i32 s47, s35, 31
	s_cmp_gt_i32 s35, 0
	s_add_nc_u64 s[18:19], s[22:23], s[6:7]
	s_cselect_b32 s5, -1, 0
	s_bfe_u32 s29, ttmp6, 0x4000c
	s_and_b32 s6, ttmp6, 15
	s_add_co_i32 s29, s29, 1
	s_and_b32 s33, s0, s5
	s_mul_i32 s7, ttmp9, s29
	s_mov_b32 s46, s35
	s_add_co_i32 s6, s6, s7
	s_cmp_eq_u32 s4, 0
	s_add_nc_u64 s[4:5], s[16:17], s[8:9]
	s_cselect_b32 s40, ttmp9, s6
	s_ashr_i32 s7, s34, 31
	s_lshl_b32 s6, s40, 10
	s_lshr_b32 s7, s7, 30
	v_lshl_or_b32 v0, v0, 2, s6
	s_lshr_b32 s6, s47, 30
	s_add_co_i32 s7, s34, s7
	s_add_co_i32 s6, s35, s6
	s_and_b32 s7, s7, -4
	v_mul_lo_u32 v8, s10, v0
	s_and_b32 s70, s6, -4
	s_sub_co_i32 s71, s34, s7
	s_cmp_gt_i32 s70, 0
	v_dual_ashrrev_i32 v1, 31, v0 :: v_dual_add_nc_u32 v2, 4, v0
	s_cselect_b32 s72, -1, 0
	s_cmp_gt_i32 s71, 0
	s_mul_u64 s[16:17], s[46:47], s[38:39]
	s_cselect_b32 s73, -1, 0
	s_cmp_gt_u32 s35, 1
	s_delay_alu instid0(VALU_DEP_2) | instskip(SKIP_3) | instid1(VALU_DEP_2)
	v_dual_add_nc_u32 v10, s10, v8 :: v_dual_ashrrev_i32 v9, 31, v8
	v_add_nc_u32_e32 v3, s71, v0
	s_cselect_b32 s6, -1, 0
	s_cmp_eq_u32 s38, 1
	v_add_nc_u32_e32 v14, s10, v10
	s_cselect_b32 s7, -1, 0
	v_lshl_add_u64 v[12:13], v[0:1], 1, s[4:5]
	v_cmp_ge_i32_e64 s4, s34, v2
	v_cmp_ge_i32_e64 s5, s34, v3
	v_dual_add_nc_u32 v16, s10, v14 :: v_dual_ashrrev_i32 v15, 31, v14
	s_and_b32 s34, s35, 0x7ffffffe
	s_and_b32 s74, s6, s7
	s_cmp_lg_u32 s35, s34
	s_delay_alu instid0(VALU_DEP_1)
	v_dual_ashrrev_i32 v11, 31, v10 :: v_dual_ashrrev_i32 v17, 31, v16
	s_cselect_b32 s75, -1, 0
	s_lshl_b32 s30, s36, 1
	v_mov_b32_e32 v0, 0
	s_lshl_b64 s[22:23], s[40:41], 2
	s_mov_b64 s[52:53], s[30:31]
	s_mul_i32 s30, s36, 3
	s_add_nc_u64 s[42:43], s[26:27], s[22:23]
	s_lshl_b64 s[44:45], s[16:17], 2
	s_lshl_b64 s[46:47], s[46:47], 2
	;; [unrolled: 1-line block ×3, first 2 shown]
	s_mov_b32 s37, s31
	s_lshl_b32 s50, s36, 2
	s_mov_b32 s51, s31
	s_mov_b64 s[54:55], s[30:31]
	s_lshl_b64 s[56:57], s[20:21], 1
	s_branch .LBB574_3
.LBB574_2:                              ;   in Loop: Header=BB574_3 Depth=1
	s_add_co_i32 s28, s28, 0x10000
	s_delay_alu instid0(SALU_CYCLE_1)
	s_cmp_lt_u32 s28, s11
	s_cbranch_scc0 .LBB574_88
.LBB574_3:                              ; =>This Loop Header: Depth=1
                                        ;     Child Loop BB574_7 Depth 2
                                        ;     Child Loop BB574_11 Depth 2
	;; [unrolled: 1-line block ×3, first 2 shown]
                                        ;       Child Loop BB574_48 Depth 3
                                        ;       Child Loop BB574_51 Depth 3
                                        ;     Child Loop BB574_67 Depth 2
                                        ;       Child Loop BB574_80 Depth 3
                                        ;       Child Loop BB574_83 Depth 3
	s_mov_b32 s29, s31
	s_delay_alu instid0(SALU_CYCLE_1) | instskip(NEXT) | instid1(SALU_CYCLE_1)
	s_mul_u64 s[6:7], s[14:15], s[28:29]
	s_lshl_b64 s[6:7], s[6:7], 2
	s_delay_alu instid0(SALU_CYCLE_1)
	s_add_nc_u64 s[6:7], s[12:13], s[6:7]
	global_load_b32 v40, v0, s[6:7]
	s_wait_xcnt 0x0
	s_mov_b32 s6, -1
	s_wait_loadcnt 0x0
	v_cmp_neq_f32_e32 vcc_lo, 0, v40
	s_cbranch_vccnz .LBB574_13
; %bb.4:                                ;   in Loop: Header=BB574_3 Depth=1
	s_and_saveexec_b32 s8, s33
	s_cbranch_execz .LBB574_12
; %bb.5:                                ;   in Loop: Header=BB574_3 Depth=1
	s_and_not1_b32 vcc_lo, exec_lo, s74
	s_cbranch_vccnz .LBB574_9
; %bb.6:                                ;   in Loop: Header=BB574_3 Depth=1
	s_mul_u64 s[6:7], s[44:45], s[28:29]
	s_mov_b32 s9, s34
	s_add_nc_u64 s[6:7], s[42:43], s[6:7]
.LBB574_7:                              ;   Parent Loop BB574_3 Depth=1
                                        ; =>  This Inner Loop Header: Depth=2
	s_add_co_i32 s9, s9, -2
	global_store_b64 v0, v[18:19], s[6:7]
	s_wait_xcnt 0x0
	s_add_nc_u64 s[6:7], s[6:7], 8
	s_mov_b32 s30, s34
	s_cmp_lg_u32 s9, 0
	s_mov_b32 s41, s75
	s_cbranch_scc1 .LBB574_7
; %bb.8:                                ;   in Loop: Header=BB574_3 Depth=1
	s_and_b32 vcc_lo, exec_lo, s41
	s_cbranch_vccnz .LBB574_10
	s_branch .LBB574_12
.LBB574_9:                              ;   in Loop: Header=BB574_3 Depth=1
	s_mov_b32 s30, 0
	s_cbranch_execz .LBB574_12
.LBB574_10:                             ;   in Loop: Header=BB574_3 Depth=1
	s_mul_u64 s[6:7], s[46:47], s[28:29]
	s_lshl_b64 s[58:59], s[30:31], 2
	s_sub_co_i32 s9, s35, s30
	s_add_nc_u64 s[6:7], s[6:7], s[58:59]
	s_delay_alu instid0(SALU_CYCLE_1) | instskip(NEXT) | instid1(SALU_CYCLE_1)
	s_mul_u64 s[6:7], s[38:39], s[6:7]
	s_add_nc_u64 s[6:7], s[42:43], s[6:7]
.LBB574_11:                             ;   Parent Loop BB574_3 Depth=1
                                        ; =>  This Inner Loop Header: Depth=2
	s_add_co_i32 s9, s9, -1
	global_store_b32 v0, v0, s[6:7]
	s_cmp_eq_u32 s9, 0
	s_wait_xcnt 0x0
	s_add_nc_u64 s[6:7], s[6:7], s[48:49]
	s_cbranch_scc0 .LBB574_11
.LBB574_12:                             ;   in Loop: Header=BB574_3 Depth=1
	s_or_b32 exec_lo, exec_lo, s8
	s_mov_b32 s6, 0
.LBB574_13:                             ;   in Loop: Header=BB574_3 Depth=1
	s_delay_alu instid0(SALU_CYCLE_1)
	s_and_not1_b32 vcc_lo, exec_lo, s6
	s_cbranch_vccnz .LBB574_2
; %bb.14:                               ;   in Loop: Header=BB574_3 Depth=1
	s_mul_u64 s[6:7], s[24:25], s[28:29]
	s_mul_u64 s[8:9], s[56:57], s[28:29]
	s_lshl_b64 s[6:7], s[6:7], 1
	s_mul_u64 s[60:61], s[20:21], s[28:29]
	s_add_nc_u64 s[58:59], s[18:19], s[6:7]
	v_add_nc_u64_e32 v[30:31], s[8:9], v[12:13]
	s_mul_u64 s[62:63], s[16:17], s[28:29]
	v_lshl_add_u64 v[20:21], s[60:61], 1, v[12:13]
	v_lshl_add_u64 v[22:23], v[8:9], 1, s[58:59]
	;; [unrolled: 1-line block ×5, first 2 shown]
	v_cmp_gt_u32_e64 s9, 24, v38
	v_cmp_gt_u32_e64 s8, 28, v38
	;; [unrolled: 1-line block ×3, first 2 shown]
	v_cmp_ne_u32_e64 s6, 31, v38
	s_lshl_b64 s[60:61], s[62:63], 2
	s_and_not1_b32 vcc_lo, exec_lo, s72
	s_add_nc_u64 s[60:61], s[26:27], s[60:61]
	s_cbranch_vccnz .LBB574_63
; %bb.15:                               ;   in Loop: Header=BB574_3 Depth=1
	v_cndmask_b32_e64 v1, 0, 8, s9
	v_cndmask_b32_e64 v4, 0, 4, s8
	v_cndmask_b32_e64 v5, 0, 2, s7
	s_wait_dscnt 0x0
	v_add_co_ci_u32_e64 v6, null, 0, v38, s6
	v_add_lshl_u32 v41, v1, v38, 2
	v_dual_mov_b32 v1, v0 :: v_dual_mov_b32 v2, v0
	s_delay_alu instid0(VALU_DEP_3) | instskip(SKIP_3) | instid1(VALU_DEP_3)
	v_dual_mov_b32 v3, v0 :: v_dual_lshlrev_b32 v44, 2, v6
	v_add_lshl_u32 v42, v4, v38, 2
	v_add_lshl_u32 v43, v5, v38, 2
	s_mov_b32 s62, 0
	v_mov_b64_e32 v[4:5], v[2:3]
	v_mov_b64_e32 v[2:3], v[0:1]
	s_mov_b64 s[8:9], s[54:55]
	s_mov_b64 s[64:65], s[52:53]
	;; [unrolled: 1-line block ×3, first 2 shown]
	s_mov_b32 s30, s62
	s_branch .LBB574_17
.LBB574_16:                             ;   in Loop: Header=BB574_17 Depth=2
	s_wait_xcnt 0x0
	s_or_b32 exec_lo, exec_lo, s6
	s_add_co_i32 s30, s30, 4
	s_add_co_i32 s62, s62, s50
	s_add_nc_u64 s[66:67], s[66:67], s[50:51]
	s_add_nc_u64 s[64:65], s[64:65], s[50:51]
	s_cmp_ge_i32 s30, s70
	s_add_nc_u64 s[8:9], s[8:9], s[50:51]
	s_cbranch_scc1 .LBB574_64
.LBB574_17:                             ;   Parent Loop BB574_3 Depth=1
                                        ; =>  This Loop Header: Depth=2
                                        ;       Child Loop BB574_48 Depth 3
                                        ;       Child Loop BB574_51 Depth 3
                                        ; implicit-def: $vgpr7
                                        ; implicit-def: $vgpr33
	s_and_saveexec_b32 s6, s4
	s_delay_alu instid0(SALU_CYCLE_1)
	s_xor_b32 s6, exec_lo, s6
	s_cbranch_execnz .LBB574_44
; %bb.18:                               ;   in Loop: Header=BB574_17 Depth=2
	s_and_not1_saveexec_b32 s29, s6
	s_cbranch_execnz .LBB574_45
.LBB574_19:                             ;   in Loop: Header=BB574_17 Depth=2
	s_or_b32 exec_lo, exec_lo, s29
	s_and_saveexec_b32 s6, s1
.LBB574_20:                             ;   in Loop: Header=BB574_17 Depth=2
	ds_store_b32 v36, v0
.LBB574_21:                             ;   in Loop: Header=BB574_17 Depth=2
	s_or_b32 exec_lo, exec_lo, s6
	ds_bpermute_b32 v1, v39, v32
	s_wait_storecnt_dscnt 0x0
	s_barrier_signal -1
	s_barrier_wait -1
	v_add_f32_e32 v1, v32, v1
	ds_bpermute_b32 v32, v41, v1
	s_wait_dscnt 0x0
	v_add_f32_e32 v1, v1, v32
	ds_bpermute_b32 v32, v42, v1
	s_wait_dscnt 0x0
	;; [unrolled: 3-line block ×3, first 2 shown]
	v_add_f32_e32 v1, v1, v32
	ds_bpermute_b32 v32, v44, v1
	s_and_saveexec_b32 s6, s3
	s_cbranch_execz .LBB574_23
; %bb.22:                               ;   in Loop: Header=BB574_17 Depth=2
	s_wait_dscnt 0x0
	v_add_f32_e32 v1, v1, v32
	ds_store_b32 v37, v1
.LBB574_23:                             ;   in Loop: Header=BB574_17 Depth=2
	s_or_b32 exec_lo, exec_lo, s6
	v_mov_b32_e32 v1, 0
	s_wait_dscnt 0x0
	s_barrier_signal -1
	s_barrier_wait -1
	s_and_saveexec_b32 s6, s2
	s_cbranch_execnz .LBB574_52
; %bb.24:                               ;   in Loop: Header=BB574_17 Depth=2
	s_or_b32 exec_lo, exec_lo, s6
	s_and_saveexec_b32 s6, s1
	s_cbranch_execnz .LBB574_53
.LBB574_25:                             ;   in Loop: Header=BB574_17 Depth=2
	s_or_b32 exec_lo, exec_lo, s6
	s_and_saveexec_b32 s6, s1
.LBB574_26:                             ;   in Loop: Header=BB574_17 Depth=2
	ds_store_b32 v36, v0
.LBB574_27:                             ;   in Loop: Header=BB574_17 Depth=2
	s_or_b32 exec_lo, exec_lo, s6
	ds_bpermute_b32 v32, v39, v33
	s_wait_dscnt 0x0
	s_barrier_signal -1
	s_barrier_wait -1
	v_add_f32_e32 v32, v33, v32
	ds_bpermute_b32 v33, v41, v32
	s_wait_dscnt 0x0
	v_add_f32_e32 v32, v32, v33
	ds_bpermute_b32 v33, v42, v32
	s_wait_dscnt 0x0
	v_add_f32_e32 v32, v32, v33
	ds_bpermute_b32 v33, v43, v32
	s_wait_dscnt 0x0
	v_add_f32_e32 v32, v32, v33
	ds_bpermute_b32 v33, v44, v32
	s_and_saveexec_b32 s6, s3
	s_cbranch_execz .LBB574_29
; %bb.28:                               ;   in Loop: Header=BB574_17 Depth=2
	s_wait_dscnt 0x0
	v_add_f32_e32 v32, v32, v33
	ds_store_b32 v37, v32
.LBB574_29:                             ;   in Loop: Header=BB574_17 Depth=2
	s_or_b32 exec_lo, exec_lo, s6
	v_mov_b32_e32 v32, 0
	s_wait_dscnt 0x0
	s_barrier_signal -1
	s_barrier_wait -1
	s_and_saveexec_b32 s6, s2
	s_cbranch_execnz .LBB574_54
; %bb.30:                               ;   in Loop: Header=BB574_17 Depth=2
	s_or_b32 exec_lo, exec_lo, s6
	s_and_saveexec_b32 s6, s1
	s_cbranch_execnz .LBB574_55
.LBB574_31:                             ;   in Loop: Header=BB574_17 Depth=2
	s_or_b32 exec_lo, exec_lo, s6
	s_and_saveexec_b32 s6, s1
.LBB574_32:                             ;   in Loop: Header=BB574_17 Depth=2
	ds_store_b32 v36, v0
.LBB574_33:                             ;   in Loop: Header=BB574_17 Depth=2
	s_or_b32 exec_lo, exec_lo, s6
	ds_bpermute_b32 v33, v39, v6
	s_wait_dscnt 0x0
	s_barrier_signal -1
	s_barrier_wait -1
	v_add_f32_e32 v6, v6, v33
	ds_bpermute_b32 v33, v41, v6
	s_wait_dscnt 0x0
	v_add_f32_e32 v6, v6, v33
	ds_bpermute_b32 v33, v42, v6
	s_wait_dscnt 0x0
	v_add_f32_e32 v6, v6, v33
	ds_bpermute_b32 v33, v43, v6
	s_wait_dscnt 0x0
	v_add_f32_e32 v6, v6, v33
	ds_bpermute_b32 v33, v44, v6
	s_and_saveexec_b32 s6, s3
	s_cbranch_execz .LBB574_35
; %bb.34:                               ;   in Loop: Header=BB574_17 Depth=2
	s_wait_dscnt 0x0
	v_add_f32_e32 v6, v6, v33
	ds_store_b32 v37, v6
.LBB574_35:                             ;   in Loop: Header=BB574_17 Depth=2
	s_or_b32 exec_lo, exec_lo, s6
	v_mov_b32_e32 v6, 0
	s_wait_dscnt 0x0
	s_barrier_signal -1
	s_barrier_wait -1
	s_and_saveexec_b32 s6, s2
	s_cbranch_execnz .LBB574_56
; %bb.36:                               ;   in Loop: Header=BB574_17 Depth=2
	s_or_b32 exec_lo, exec_lo, s6
	s_and_saveexec_b32 s6, s1
	s_cbranch_execnz .LBB574_57
.LBB574_37:                             ;   in Loop: Header=BB574_17 Depth=2
	s_or_b32 exec_lo, exec_lo, s6
	s_and_saveexec_b32 s6, s1
.LBB574_38:                             ;   in Loop: Header=BB574_17 Depth=2
	ds_store_b32 v36, v0
.LBB574_39:                             ;   in Loop: Header=BB574_17 Depth=2
	s_or_b32 exec_lo, exec_lo, s6
	ds_bpermute_b32 v33, v39, v7
	s_wait_dscnt 0x0
	s_barrier_signal -1
	s_barrier_wait -1
	v_add_f32_e32 v7, v7, v33
	ds_bpermute_b32 v33, v41, v7
	s_wait_dscnt 0x0
	v_add_f32_e32 v7, v7, v33
	ds_bpermute_b32 v33, v42, v7
	s_wait_dscnt 0x0
	;; [unrolled: 3-line block ×3, first 2 shown]
	v_add_f32_e32 v7, v7, v33
	ds_bpermute_b32 v33, v44, v7
	s_and_saveexec_b32 s6, s3
	s_cbranch_execz .LBB574_41
; %bb.40:                               ;   in Loop: Header=BB574_17 Depth=2
	s_wait_dscnt 0x0
	v_add_f32_e32 v7, v7, v33
	ds_store_b32 v37, v7
.LBB574_41:                             ;   in Loop: Header=BB574_17 Depth=2
	s_or_b32 exec_lo, exec_lo, s6
	v_mov_b32_e32 v7, 0
	s_wait_dscnt 0x0
	s_barrier_signal -1
	s_barrier_wait -1
	s_and_saveexec_b32 s6, s2
	s_cbranch_execnz .LBB574_58
; %bb.42:                               ;   in Loop: Header=BB574_17 Depth=2
	s_or_b32 exec_lo, exec_lo, s6
	s_and_saveexec_b32 s6, s1
	s_cbranch_execnz .LBB574_59
.LBB574_43:                             ;   in Loop: Header=BB574_17 Depth=2
	s_or_b32 exec_lo, exec_lo, s6
	s_and_saveexec_b32 s6, s0
	s_cbranch_execz .LBB574_16
	s_branch .LBB574_60
.LBB574_44:                             ;   in Loop: Header=BB574_17 Depth=2
	s_mul_i32 s68, s30, s36
	s_clause 0x3
	global_load_u16 v1, v[22:23], off
	global_load_u16 v45, v[24:25], off
	;; [unrolled: 1-line block ×4, first 2 shown]
	s_ashr_i32 s69, s68, 31
	s_add_co_i32 s76, s68, s36
	v_lshl_add_u64 v[2:3], s[68:69], 1, v[20:21]
	s_add_co_i32 s68, s76, s36
	s_ashr_i32 s77, s76, 31
	s_add_co_i32 s78, s68, s36
	s_ashr_i32 s69, s68, 31
	s_ashr_i32 s79, s78, 31
	v_lshl_add_u64 v[4:5], s[68:69], 1, v[20:21]
	s_wait_dscnt 0x0
	v_lshl_add_u64 v[6:7], s[78:79], 1, v[20:21]
	s_clause 0x2
	global_load_b64 v[32:33], v[2:3], off
	global_load_b64 v[4:5], v[4:5], off
	;; [unrolled: 1-line block ×3, first 2 shown]
	s_wait_xcnt 0x2
	v_lshl_add_u64 v[2:3], s[76:77], 1, v[20:21]
	global_load_b64 v[34:35], v[2:3], off
	s_wait_loadcnt 0x7
	s_wait_xcnt 0x0
	v_lshlrev_b32_e32 v2, 16, v1
	s_wait_loadcnt 0x5
	v_dual_lshlrev_b32 v47, 16, v45 :: v_dual_lshlrev_b32 v50, 16, v46
	s_wait_loadcnt 0x4
	s_delay_alu instid0(VALU_DEP_1) | instskip(SKIP_1) | instid1(VALU_DEP_1)
	v_dual_mov_b32 v52, v47 :: v_dual_lshlrev_b32 v49, 16, v48
	s_wait_loadcnt 0x3
	v_dual_mov_b32 v54, v49 :: v_dual_lshlrev_b32 v56, 16, v32
	s_wait_loadcnt 0x2
	v_dual_lshlrev_b32 v58, 16, v33 :: v_dual_lshlrev_b32 v1, 16, v4
	s_wait_loadcnt 0x1
	v_lshlrev_b32_e32 v46, 16, v6
	v_and_b32_e32 v3, 0xffff0000, v6
	v_and_b32_e32 v45, 0xffff0000, v4
	v_dual_lshlrev_b32 v53, 16, v5 :: v_dual_lshlrev_b32 v48, 16, v7
	v_and_b32_e32 v55, 0xffff0000, v5
	s_delay_alu instid0(VALU_DEP_4) | instskip(SKIP_3) | instid1(VALU_DEP_3)
	v_pk_mul_f32 v[4:5], v[46:47], v[2:3]
	v_and_b32_e32 v51, 0xffff0000, v7
	s_wait_loadcnt 0x0
	v_dual_mul_f32 v6, v2, v1 :: v_dual_lshlrev_b32 v57, 16, v34
	v_dual_mov_b32 v3, v47 :: v_dual_mov_b32 v7, v4
	v_and_b32_e32 v32, 0xffff0000, v32
	v_and_b32_e32 v60, 0xffff0000, v33
	;; [unrolled: 1-line block ×3, first 2 shown]
	v_dual_mul_f32 v4, v47, v45 :: v_dual_lshlrev_b32 v59, 16, v35
	v_pk_mul_f32 v[46:47], v[48:49], v[50:51]
	v_pk_add_f32 v[6:7], v[6:7], 0 op_sel_hi:[1,0]
	v_pk_fma_f32 v[56:57], v[2:3], v[56:57], 0 op_sel_hi:[0,1,0]
	v_mul_f32_e32 v62, v50, v53
	v_and_b32_e32 v61, 0xffff0000, v35
	v_mov_b32_e32 v63, v46
	v_pk_add_f32 v[4:5], v[6:7], v[4:5]
	v_pk_fma_f32 v[6:7], v[52:53], v[32:33], v[56:57] op_sel_hi:[0,1,1]
	v_mul_f32_e32 v46, v49, v55
	s_delay_alu instid0(VALU_DEP_3) | instskip(NEXT) | instid1(VALU_DEP_3)
	v_pk_add_f32 v[32:33], v[4:5], v[62:63]
	v_pk_fma_f32 v[34:35], v[50:51], v[58:59], v[6:7] op_sel_hi:[0,1,1]
	v_dual_mov_b32 v4, v50 :: v_dual_mov_b32 v5, v49
	s_delay_alu instid0(VALU_DEP_3) | instskip(NEXT) | instid1(VALU_DEP_3)
	v_pk_add_f32 v[6:7], v[32:33], v[46:47]
	v_pk_fma_f32 v[32:33], v[54:55], v[60:61], v[34:35] op_sel_hi:[0,1,1]
	s_and_not1_saveexec_b32 s29, s6
	s_cbranch_execz .LBB574_19
.LBB574_45:                             ;   in Loop: Header=BB574_17 Depth=2
	s_wait_dscnt 0x0
	v_dual_mov_b32 v7, 0 :: v_dual_mov_b32 v6, 0
	v_dual_mov_b32 v33, 0 :: v_dual_mov_b32 v32, 0
	s_and_saveexec_b32 s41, s5
	s_cbranch_execz .LBB574_62
; %bb.46:                               ;   in Loop: Header=BB574_17 Depth=2
	s_and_not1_b32 vcc_lo, exec_lo, s73
	s_cbranch_vccnz .LBB574_49
; %bb.47:                               ;   in Loop: Header=BB574_17 Depth=2
	v_mov_b32_e32 v1, v8
	s_mov_b64 s[68:69], 0
.LBB574_48:                             ;   Parent Loop BB574_3 Depth=1
                                        ;     Parent Loop BB574_17 Depth=2
                                        ; =>    This Inner Loop Header: Depth=3
	global_load_u16 v6, v1, s[58:59] scale_offset
	s_cmp_eq_u32 s68, 3
	s_wait_xcnt 0x0
	v_add_nc_u32_e32 v1, s10, v1
	s_cselect_b32 vcc_lo, -1, 0
	s_cmp_eq_u32 s68, 2
	s_cselect_b32 s6, -1, 0
	s_cmp_eq_u32 s68, 1
	s_cselect_b32 s7, -1, 0
	s_cmp_eq_u32 s68, 0
	s_add_nc_u64 s[68:69], s[68:69], 1
	s_wait_loadcnt 0x0
	v_lshlrev_b32_e32 v6, 16, v6
	s_delay_alu instid0(VALU_DEP_1) | instskip(SKIP_1) | instid1(SALU_CYCLE_1)
	v_dual_cndmask_b32 v5, v5, v6, vcc_lo :: v_dual_cndmask_b32 v4, v4, v6, s6
	s_cselect_b32 vcc_lo, -1, 0
	v_dual_cndmask_b32 v3, v3, v6, s7 :: v_dual_cndmask_b32 v2, v2, v6, vcc_lo
	s_cmp_eq_u32 s71, s68
	s_cbranch_scc0 .LBB574_48
.LBB574_49:                             ;   in Loop: Header=BB574_17 Depth=2
	s_and_not1_b32 vcc_lo, exec_lo, s73
	s_cbranch_vccnz .LBB574_61
; %bb.50:                               ;   in Loop: Header=BB574_17 Depth=2
	v_mov_b32_e32 v32, 0
	s_ashr_i32 s63, s62, 31
	s_mov_b64 s[6:7], 0
	v_lshl_add_u64 v[34:35], s[62:63], 1, v[30:31]
	s_delay_alu instid0(VALU_DEP_2)
	v_dual_mov_b32 v33, v32 :: v_dual_mov_b32 v6, v32
	v_mov_b32_e32 v7, v32
.LBB574_51:                             ;   Parent Loop BB574_3 Depth=1
                                        ;     Parent Loop BB574_17 Depth=2
                                        ; =>    This Inner Loop Header: Depth=3
	s_cmp_eq_u32 s6, 1
	s_cselect_b32 vcc_lo, -1, 0
	s_cmp_eq_u32 s6, 2
	v_cndmask_b32_e32 v1, v2, v3, vcc_lo
	s_cselect_b32 vcc_lo, -1, 0
	s_cmp_eq_u32 s6, 3
	s_delay_alu instid0(VALU_DEP_1)
	v_cndmask_b32_e32 v1, v1, v4, vcc_lo
	s_cselect_b32 vcc_lo, -1, 0
	s_add_co_i32 s68, s66, s6
	s_add_co_i32 s78, s8, s6
	;; [unrolled: 1-line block ×3, first 2 shown]
	s_ashr_i32 s69, s68, 31
	s_ashr_i32 s79, s78, 31
	;; [unrolled: 1-line block ×3, first 2 shown]
	v_lshl_add_u64 v[46:47], s[68:69], 1, v[20:21]
	v_lshl_add_u64 v[48:49], s[78:79], 1, v[20:21]
	;; [unrolled: 1-line block ×3, first 2 shown]
	global_load_u16 v45, v[34:35], off
	s_clause 0x2
	global_load_u16 v47, v[46:47], off
	global_load_u16 v52, v[48:49], off
	;; [unrolled: 1-line block ×3, first 2 shown]
	s_wait_xcnt 0x3
	v_add_nc_u64_e32 v[34:35], 2, v[34:35]
	s_add_nc_u64 s[6:7], s[6:7], 1
	s_delay_alu instid0(SALU_CYCLE_1)
	s_cmp_lg_u32 s71, s6
	s_wait_loadcnt 0x2
	s_wait_xcnt 0x1
	v_dual_lshlrev_b32 v48, 16, v45 :: v_dual_lshlrev_b32 v49, 16, v47
	s_wait_loadcnt 0x1
	s_wait_xcnt 0x0
	v_dual_cndmask_b32 v46, v1, v5 :: v_dual_lshlrev_b32 v51, 16, v52
	s_wait_loadcnt 0x0
	v_lshlrev_b32_e32 v50, 16, v50
	s_delay_alu instid0(VALU_DEP_2) | instskip(NEXT) | instid1(VALU_DEP_2)
	v_pk_fma_f32 v[32:33], v[46:47], v[48:49], v[32:33] op_sel_hi:[0,1,1]
	v_pk_fma_f32 v[6:7], v[46:47], v[50:51], v[6:7] op_sel_hi:[0,1,1]
	s_cbranch_scc1 .LBB574_51
	s_branch .LBB574_62
.LBB574_52:                             ;   in Loop: Header=BB574_17 Depth=2
	ds_load_b32 v1, v36
	s_or_b32 exec_lo, exec_lo, s6
	s_and_saveexec_b32 s6, s1
	s_cbranch_execz .LBB574_25
.LBB574_53:                             ;   in Loop: Header=BB574_17 Depth=2
	s_wait_dscnt 0x0
	ds_bpermute_b32 v32, v42, v1
	s_wait_dscnt 0x0
	v_add_f32_e32 v1, v1, v32
	ds_bpermute_b32 v32, v43, v1
	s_wait_dscnt 0x0
	v_add_f32_e32 v1, v1, v32
	;; [unrolled: 3-line block ×3, first 2 shown]
	s_or_b32 exec_lo, exec_lo, s6
	s_and_saveexec_b32 s6, s1
	s_cbranch_execnz .LBB574_26
	s_branch .LBB574_27
.LBB574_54:                             ;   in Loop: Header=BB574_17 Depth=2
	ds_load_b32 v32, v36
	s_or_b32 exec_lo, exec_lo, s6
	s_and_saveexec_b32 s6, s1
	s_cbranch_execz .LBB574_31
.LBB574_55:                             ;   in Loop: Header=BB574_17 Depth=2
	s_wait_dscnt 0x0
	ds_bpermute_b32 v33, v42, v32
	s_wait_dscnt 0x0
	v_add_f32_e32 v32, v32, v33
	ds_bpermute_b32 v33, v43, v32
	s_wait_dscnt 0x0
	v_add_f32_e32 v32, v32, v33
	;; [unrolled: 3-line block ×3, first 2 shown]
	s_or_b32 exec_lo, exec_lo, s6
	s_and_saveexec_b32 s6, s1
	s_cbranch_execnz .LBB574_32
	s_branch .LBB574_33
.LBB574_56:                             ;   in Loop: Header=BB574_17 Depth=2
	ds_load_b32 v6, v36
	s_or_b32 exec_lo, exec_lo, s6
	s_and_saveexec_b32 s6, s1
	s_cbranch_execz .LBB574_37
.LBB574_57:                             ;   in Loop: Header=BB574_17 Depth=2
	s_wait_dscnt 0x0
	ds_bpermute_b32 v33, v42, v6
	s_wait_dscnt 0x0
	v_add_f32_e32 v6, v6, v33
	ds_bpermute_b32 v33, v43, v6
	s_wait_dscnt 0x0
	v_add_f32_e32 v6, v6, v33
	;; [unrolled: 3-line block ×3, first 2 shown]
	s_or_b32 exec_lo, exec_lo, s6
	s_and_saveexec_b32 s6, s1
	s_cbranch_execnz .LBB574_38
	s_branch .LBB574_39
.LBB574_58:                             ;   in Loop: Header=BB574_17 Depth=2
	ds_load_b32 v7, v36
	s_or_b32 exec_lo, exec_lo, s6
	s_and_saveexec_b32 s6, s1
	s_cbranch_execz .LBB574_43
.LBB574_59:                             ;   in Loop: Header=BB574_17 Depth=2
	s_wait_dscnt 0x0
	ds_bpermute_b32 v33, v42, v7
	s_wait_dscnt 0x0
	v_add_f32_e32 v7, v7, v33
	ds_bpermute_b32 v33, v43, v7
	s_wait_dscnt 0x0
	v_add_f32_e32 v7, v7, v33
	;; [unrolled: 3-line block ×3, first 2 shown]
	s_or_b32 exec_lo, exec_lo, s6
	s_and_saveexec_b32 s6, s0
	s_cbranch_execz .LBB574_16
.LBB574_60:                             ;   in Loop: Header=BB574_17 Depth=2
	s_mul_i32 s7, s30, s38
	v_dual_mul_f32 v1, v40, v1 :: v_dual_mul_f32 v32, v40, v32
	s_add_co_i32 s7, s7, s40
	s_delay_alu instid0(SALU_CYCLE_1) | instskip(NEXT) | instid1(SALU_CYCLE_1)
	s_add_co_i32 s29, s7, s38
	v_dual_mov_b32 v33, s7 :: v_dual_mov_b32 v34, s29
	s_add_co_i32 s7, s29, s38
	s_delay_alu instid0(SALU_CYCLE_1)
	v_dual_mul_f32 v6, v40, v6 :: v_dual_mov_b32 v35, s7
	s_add_co_i32 s7, s7, s38
	s_wait_dscnt 0x0
	v_dual_mul_f32 v7, v40, v7 :: v_dual_mov_b32 v45, s7
	s_clause 0x3
	global_store_b32 v33, v1, s[60:61] scale_offset
	global_store_b32 v34, v32, s[60:61] scale_offset
	;; [unrolled: 1-line block ×4, first 2 shown]
	s_branch .LBB574_16
.LBB574_61:                             ;   in Loop: Header=BB574_17 Depth=2
	v_mov_b32_e32 v7, 0
	s_delay_alu instid0(VALU_DEP_1)
	v_dual_mov_b32 v6, v7 :: v_dual_mov_b32 v33, v7
	v_mov_b32_e32 v32, v7
.LBB574_62:                             ;   in Loop: Header=BB574_17 Depth=2
	s_or_b32 exec_lo, exec_lo, s41
	s_delay_alu instid0(SALU_CYCLE_1)
	s_or_b32 exec_lo, exec_lo, s29
	s_and_saveexec_b32 s6, s1
	s_cbranch_execnz .LBB574_20
	s_branch .LBB574_21
.LBB574_63:                             ;   in Loop: Header=BB574_3 Depth=1
	v_dual_mov_b32 v1, v0 :: v_dual_mov_b32 v2, v0
	v_mov_b32_e32 v3, v0
	s_mov_b32 s30, 0
	s_delay_alu instid0(VALU_DEP_1) | instskip(NEXT) | instid1(VALU_DEP_3)
	v_mov_b64_e32 v[4:5], v[2:3]
	v_mov_b64_e32 v[2:3], v[0:1]
.LBB574_64:                             ;   in Loop: Header=BB574_3 Depth=1
	s_cmp_ge_i32 s30, s35
	s_cbranch_scc1 .LBB574_2
; %bb.65:                               ;   in Loop: Header=BB574_3 Depth=1
	v_cmp_gt_u32_e32 vcc_lo, 24, v38
	s_add_nc_u64 s[8:9], s[60:61], s[22:23]
	s_mul_i32 s60, s36, s30
	v_cndmask_b32_e64 v1, 0, 8, vcc_lo
	v_cmp_gt_u32_e32 vcc_lo, 28, v38
	s_delay_alu instid0(VALU_DEP_2) | instskip(SKIP_4) | instid1(VALU_DEP_2)
	v_add_lshl_u32 v1, v1, v38, 2
	s_wait_dscnt 0x0
	v_cndmask_b32_e64 v6, 0, 4, vcc_lo
	v_cmp_gt_u32_e32 vcc_lo, 30, v38
	s_wait_dscnt 0x0
	v_add_lshl_u32 v7, v6, v38, 2
	v_cndmask_b32_e64 v32, 0, 2, vcc_lo
	v_cmp_ne_u32_e32 vcc_lo, 31, v38
	s_delay_alu instid0(VALU_DEP_2) | instskip(SKIP_1) | instid1(VALU_DEP_1)
	v_add_lshl_u32 v34, v32, v38, 2
	v_add_co_ci_u32_e64 v33, null, 0, v38, vcc_lo
	v_lshlrev_b32_e32 v35, 2, v33
	s_branch .LBB574_67
.LBB574_66:                             ;   in Loop: Header=BB574_67 Depth=2
	s_wait_xcnt 0x0
	s_or_b32 exec_lo, exec_lo, s6
	s_add_co_i32 s30, s30, 1
	s_add_co_i32 s60, s60, s36
	s_cmp_ge_i32 s30, s35
	s_cbranch_scc1 .LBB574_2
.LBB574_67:                             ;   Parent Loop BB574_3 Depth=1
                                        ; =>  This Loop Header: Depth=2
                                        ;       Child Loop BB574_80 Depth 3
                                        ;       Child Loop BB574_83 Depth 3
	s_wait_dscnt 0x0
	v_mov_b32_e32 v6, s31
	s_and_saveexec_b32 s6, s4
	s_delay_alu instid0(SALU_CYCLE_1)
	s_xor_b32 s6, exec_lo, s6
	s_cbranch_execnz .LBB574_76
; %bb.68:                               ;   in Loop: Header=BB574_67 Depth=2
	s_and_not1_saveexec_b32 s29, s6
	s_cbranch_execnz .LBB574_77
.LBB574_69:                             ;   in Loop: Header=BB574_67 Depth=2
	s_or_b32 exec_lo, exec_lo, s29
	s_and_saveexec_b32 s6, s1
.LBB574_70:                             ;   in Loop: Header=BB574_67 Depth=2
	ds_store_b32 v36, v0
.LBB574_71:                             ;   in Loop: Header=BB574_67 Depth=2
	s_or_b32 exec_lo, exec_lo, s6
	ds_bpermute_b32 v32, v39, v6
	s_wait_storecnt_dscnt 0x0
	s_barrier_signal -1
	s_barrier_wait -1
	v_add_f32_e32 v6, v6, v32
	ds_bpermute_b32 v32, v1, v6
	s_wait_dscnt 0x0
	v_add_f32_e32 v6, v6, v32
	ds_bpermute_b32 v32, v7, v6
	s_wait_dscnt 0x0
	v_add_f32_e32 v6, v6, v32
	ds_bpermute_b32 v32, v34, v6
	s_wait_dscnt 0x0
	v_add_f32_e32 v6, v6, v32
	ds_bpermute_b32 v32, v35, v6
	s_and_saveexec_b32 s6, s3
	s_cbranch_execz .LBB574_73
; %bb.72:                               ;   in Loop: Header=BB574_67 Depth=2
	s_wait_dscnt 0x0
	v_add_f32_e32 v6, v6, v32
	ds_store_b32 v37, v6
.LBB574_73:                             ;   in Loop: Header=BB574_67 Depth=2
	s_or_b32 exec_lo, exec_lo, s6
	v_mov_b32_e32 v6, 0
	s_wait_dscnt 0x0
	s_barrier_signal -1
	s_barrier_wait -1
	s_and_saveexec_b32 s6, s2
	s_cbranch_execnz .LBB574_85
; %bb.74:                               ;   in Loop: Header=BB574_67 Depth=2
	s_or_b32 exec_lo, exec_lo, s6
	s_and_saveexec_b32 s6, s1
	s_cbranch_execnz .LBB574_86
.LBB574_75:                             ;   in Loop: Header=BB574_67 Depth=2
	s_or_b32 exec_lo, exec_lo, s6
	s_and_saveexec_b32 s6, s0
	s_cbranch_execz .LBB574_66
	s_branch .LBB574_87
.LBB574_76:                             ;   in Loop: Header=BB574_67 Depth=2
	s_mul_i32 s62, s30, s36
	s_delay_alu instid0(SALU_CYCLE_1) | instskip(NEXT) | instid1(SALU_CYCLE_1)
	s_ashr_i32 s63, s62, 31
	v_lshl_add_u64 v[2:3], s[62:63], 1, v[20:21]
	s_clause 0x1
	global_load_u16 v4, v[24:25], off
	global_load_u16 v5, v[22:23], off
	global_load_b64 v[32:33], v[2:3], off
	s_clause 0x1
	global_load_u16 v6, v[28:29], off
	global_load_u16 v41, v[26:27], off
	s_wait_loadcnt 0x3
	s_wait_xcnt 0x2
	v_dual_lshlrev_b32 v3, 16, v4 :: v_dual_lshlrev_b32 v2, 16, v5
	s_wait_loadcnt 0x2
	v_and_b32_e32 v5, 0xffff0000, v32
	v_lshlrev_b32_e32 v4, 16, v32
	v_and_b32_e32 v45, 0xffff0000, v33
	s_delay_alu instid0(VALU_DEP_2) | instskip(SKIP_2) | instid1(VALU_DEP_2)
	v_pk_mul_f32 v[42:43], v[2:3], v[4:5]
	s_wait_loadcnt 0x0
	v_dual_lshlrev_b32 v5, 16, v6 :: v_dual_lshlrev_b32 v4, 16, v41
	v_dual_add_f32 v6, 0, v42 :: v_dual_lshlrev_b32 v44, 16, v33
	s_delay_alu instid0(VALU_DEP_1) | instskip(NEXT) | instid1(VALU_DEP_2)
	v_add_f32_e32 v6, v6, v43
	v_pk_mul_f32 v[32:33], v[4:5], v[44:45]
	s_delay_alu instid0(VALU_DEP_1) | instskip(NEXT) | instid1(VALU_DEP_1)
	v_add_f32_e32 v6, v6, v32
	v_add_f32_e32 v6, v6, v33
	s_wait_xcnt 0x0
	s_and_not1_saveexec_b32 s29, s6
	s_cbranch_execz .LBB574_69
.LBB574_77:                             ;   in Loop: Header=BB574_67 Depth=2
	s_and_saveexec_b32 s41, s5
	s_cbranch_execz .LBB574_84
; %bb.78:                               ;   in Loop: Header=BB574_67 Depth=2
	s_and_not1_b32 vcc_lo, exec_lo, s73
	s_cbranch_vccnz .LBB574_81
; %bb.79:                               ;   in Loop: Header=BB574_67 Depth=2
	v_mov_b32_e32 v32, v8
	s_mov_b64 s[62:63], 0
.LBB574_80:                             ;   Parent Loop BB574_3 Depth=1
                                        ;     Parent Loop BB574_67 Depth=2
                                        ; =>    This Inner Loop Header: Depth=3
	global_load_u16 v33, v32, s[58:59] scale_offset
	s_cmp_eq_u32 s62, 3
	s_wait_xcnt 0x0
	v_add_nc_u32_e32 v32, s10, v32
	s_cselect_b32 vcc_lo, -1, 0
	s_cmp_eq_u32 s62, 2
	s_cselect_b32 s6, -1, 0
	s_cmp_eq_u32 s62, 1
	s_cselect_b32 s7, -1, 0
	s_cmp_eq_u32 s62, 0
	s_add_nc_u64 s[62:63], s[62:63], 1
	s_wait_loadcnt 0x0
	v_lshlrev_b32_e32 v33, 16, v33
	s_delay_alu instid0(VALU_DEP_1) | instskip(SKIP_1) | instid1(SALU_CYCLE_1)
	v_dual_cndmask_b32 v5, v5, v33, vcc_lo :: v_dual_cndmask_b32 v4, v4, v33, s6
	s_cselect_b32 vcc_lo, -1, 0
	v_dual_cndmask_b32 v3, v3, v33, s7 :: v_dual_cndmask_b32 v2, v2, v33, vcc_lo
	s_cmp_eq_u32 s71, s62
	s_cbranch_scc0 .LBB574_80
.LBB574_81:                             ;   in Loop: Header=BB574_67 Depth=2
	s_and_not1_b32 vcc_lo, exec_lo, s73
	s_cbranch_vccnz .LBB574_84
; %bb.82:                               ;   in Loop: Header=BB574_67 Depth=2
	s_ashr_i32 s61, s60, 31
	s_mov_b64 s[6:7], 0
	v_lshl_add_u64 v[32:33], s[60:61], 1, v[30:31]
.LBB574_83:                             ;   Parent Loop BB574_3 Depth=1
                                        ;     Parent Loop BB574_67 Depth=2
                                        ; =>    This Inner Loop Header: Depth=3
	global_load_u16 v41, v[32:33], off
	s_cmp_eq_u32 s6, 1
	s_wait_xcnt 0x0
	v_add_nc_u64_e32 v[32:33], 2, v[32:33]
	s_cselect_b32 vcc_lo, -1, 0
	s_cmp_eq_u32 s6, 2
	v_cndmask_b32_e32 v42, v2, v3, vcc_lo
	s_cselect_b32 vcc_lo, -1, 0
	s_cmp_eq_u32 s6, 3
	s_add_nc_u64 s[6:7], s[6:7], 1
	s_delay_alu instid0(VALU_DEP_1) | instskip(SKIP_2) | instid1(VALU_DEP_1)
	v_cndmask_b32_e32 v42, v42, v4, vcc_lo
	s_cselect_b32 vcc_lo, -1, 0
	s_cmp_lg_u32 s71, s6
	v_cndmask_b32_e32 v42, v42, v5, vcc_lo
	s_wait_loadcnt 0x0
	s_delay_alu instid0(VALU_DEP_1)
	v_fma_mix_f32_bf16 v6, v42, v41, v6 op_sel_hi:[0,1,0]
	s_cbranch_scc1 .LBB574_83
.LBB574_84:                             ;   in Loop: Header=BB574_67 Depth=2
	s_or_b32 exec_lo, exec_lo, s41
	s_delay_alu instid0(SALU_CYCLE_1)
	s_or_b32 exec_lo, exec_lo, s29
	s_and_saveexec_b32 s6, s1
	s_cbranch_execnz .LBB574_70
	s_branch .LBB574_71
.LBB574_85:                             ;   in Loop: Header=BB574_67 Depth=2
	ds_load_b32 v6, v36
	s_or_b32 exec_lo, exec_lo, s6
	s_and_saveexec_b32 s6, s1
	s_cbranch_execz .LBB574_75
.LBB574_86:                             ;   in Loop: Header=BB574_67 Depth=2
	s_wait_dscnt 0x0
	ds_bpermute_b32 v32, v7, v6
	s_wait_dscnt 0x0
	v_add_f32_e32 v6, v6, v32
	ds_bpermute_b32 v32, v34, v6
	s_wait_dscnt 0x0
	v_add_f32_e32 v6, v6, v32
	;; [unrolled: 3-line block ×3, first 2 shown]
	s_or_b32 exec_lo, exec_lo, s6
	s_and_saveexec_b32 s6, s0
	s_cbranch_execz .LBB574_66
.LBB574_87:                             ;   in Loop: Header=BB574_67 Depth=2
	s_mul_u64 s[62:63], s[30:31], s[38:39]
	s_wait_dscnt 0x0
	v_mul_f32_e32 v6, v40, v6
	s_lshl_b64 s[62:63], s[62:63], 2
	s_delay_alu instid0(SALU_CYCLE_1)
	s_add_nc_u64 s[62:63], s[8:9], s[62:63]
	global_store_b32 v0, v6, s[62:63]
	s_branch .LBB574_66
.LBB574_88:
	s_endpgm
	.section	.rodata,"a",@progbits
	.p2align	6, 0x0
	.amdhsa_kernel _ZL23rocblas_gemvt_sn_kernelILb1ELi256ELi4Ei16rocblas_bfloat16PKffEviiT4_lPKT3_lilS6_lilPT5_i
		.amdhsa_group_segment_fixed_size 128
		.amdhsa_private_segment_fixed_size 0
		.amdhsa_kernarg_size 360
		.amdhsa_user_sgpr_count 2
		.amdhsa_user_sgpr_dispatch_ptr 0
		.amdhsa_user_sgpr_queue_ptr 0
		.amdhsa_user_sgpr_kernarg_segment_ptr 1
		.amdhsa_user_sgpr_dispatch_id 0
		.amdhsa_user_sgpr_kernarg_preload_length 0
		.amdhsa_user_sgpr_kernarg_preload_offset 0
		.amdhsa_user_sgpr_private_segment_size 0
		.amdhsa_wavefront_size32 1
		.amdhsa_uses_dynamic_stack 0
		.amdhsa_enable_private_segment 0
		.amdhsa_system_sgpr_workgroup_id_x 1
		.amdhsa_system_sgpr_workgroup_id_y 0
		.amdhsa_system_sgpr_workgroup_id_z 1
		.amdhsa_system_sgpr_workgroup_info 0
		.amdhsa_system_vgpr_workitem_id 0
		.amdhsa_next_free_vgpr 64
		.amdhsa_next_free_sgpr 80
		.amdhsa_named_barrier_count 0
		.amdhsa_reserve_vcc 1
		.amdhsa_float_round_mode_32 0
		.amdhsa_float_round_mode_16_64 0
		.amdhsa_float_denorm_mode_32 3
		.amdhsa_float_denorm_mode_16_64 3
		.amdhsa_fp16_overflow 0
		.amdhsa_memory_ordered 1
		.amdhsa_forward_progress 1
		.amdhsa_inst_pref_size 33
		.amdhsa_round_robin_scheduling 0
		.amdhsa_exception_fp_ieee_invalid_op 0
		.amdhsa_exception_fp_denorm_src 0
		.amdhsa_exception_fp_ieee_div_zero 0
		.amdhsa_exception_fp_ieee_overflow 0
		.amdhsa_exception_fp_ieee_underflow 0
		.amdhsa_exception_fp_ieee_inexact 0
		.amdhsa_exception_int_div_zero 0
	.end_amdhsa_kernel
	.section	.text._ZL23rocblas_gemvt_sn_kernelILb1ELi256ELi4Ei16rocblas_bfloat16PKffEviiT4_lPKT3_lilS6_lilPT5_i,"axG",@progbits,_ZL23rocblas_gemvt_sn_kernelILb1ELi256ELi4Ei16rocblas_bfloat16PKffEviiT4_lPKT3_lilS6_lilPT5_i,comdat
.Lfunc_end574:
	.size	_ZL23rocblas_gemvt_sn_kernelILb1ELi256ELi4Ei16rocblas_bfloat16PKffEviiT4_lPKT3_lilS6_lilPT5_i, .Lfunc_end574-_ZL23rocblas_gemvt_sn_kernelILb1ELi256ELi4Ei16rocblas_bfloat16PKffEviiT4_lPKT3_lilS6_lilPT5_i
                                        ; -- End function
	.set _ZL23rocblas_gemvt_sn_kernelILb1ELi256ELi4Ei16rocblas_bfloat16PKffEviiT4_lPKT3_lilS6_lilPT5_i.num_vgpr, 64
	.set _ZL23rocblas_gemvt_sn_kernelILb1ELi256ELi4Ei16rocblas_bfloat16PKffEviiT4_lPKT3_lilS6_lilPT5_i.num_agpr, 0
	.set _ZL23rocblas_gemvt_sn_kernelILb1ELi256ELi4Ei16rocblas_bfloat16PKffEviiT4_lPKT3_lilS6_lilPT5_i.numbered_sgpr, 80
	.set _ZL23rocblas_gemvt_sn_kernelILb1ELi256ELi4Ei16rocblas_bfloat16PKffEviiT4_lPKT3_lilS6_lilPT5_i.num_named_barrier, 0
	.set _ZL23rocblas_gemvt_sn_kernelILb1ELi256ELi4Ei16rocblas_bfloat16PKffEviiT4_lPKT3_lilS6_lilPT5_i.private_seg_size, 0
	.set _ZL23rocblas_gemvt_sn_kernelILb1ELi256ELi4Ei16rocblas_bfloat16PKffEviiT4_lPKT3_lilS6_lilPT5_i.uses_vcc, 1
	.set _ZL23rocblas_gemvt_sn_kernelILb1ELi256ELi4Ei16rocblas_bfloat16PKffEviiT4_lPKT3_lilS6_lilPT5_i.uses_flat_scratch, 0
	.set _ZL23rocblas_gemvt_sn_kernelILb1ELi256ELi4Ei16rocblas_bfloat16PKffEviiT4_lPKT3_lilS6_lilPT5_i.has_dyn_sized_stack, 0
	.set _ZL23rocblas_gemvt_sn_kernelILb1ELi256ELi4Ei16rocblas_bfloat16PKffEviiT4_lPKT3_lilS6_lilPT5_i.has_recursion, 0
	.set _ZL23rocblas_gemvt_sn_kernelILb1ELi256ELi4Ei16rocblas_bfloat16PKffEviiT4_lPKT3_lilS6_lilPT5_i.has_indirect_call, 0
	.section	.AMDGPU.csdata,"",@progbits
; Kernel info:
; codeLenInByte = 4148
; TotalNumSgprs: 82
; NumVgprs: 64
; ScratchSize: 0
; MemoryBound: 0
; FloatMode: 240
; IeeeMode: 1
; LDSByteSize: 128 bytes/workgroup (compile time only)
; SGPRBlocks: 0
; VGPRBlocks: 3
; NumSGPRsForWavesPerEU: 82
; NumVGPRsForWavesPerEU: 64
; NamedBarCnt: 0
; Occupancy: 16
; WaveLimiterHint : 0
; COMPUTE_PGM_RSRC2:SCRATCH_EN: 0
; COMPUTE_PGM_RSRC2:USER_SGPR: 2
; COMPUTE_PGM_RSRC2:TRAP_HANDLER: 0
; COMPUTE_PGM_RSRC2:TGID_X_EN: 1
; COMPUTE_PGM_RSRC2:TGID_Y_EN: 0
; COMPUTE_PGM_RSRC2:TGID_Z_EN: 1
; COMPUTE_PGM_RSRC2:TIDIG_COMP_CNT: 0
	.section	.text._ZL23rocblas_gemvt_sn_kernelILb1ELi256ELi4El16rocblas_bfloat16PKffEviiT4_lPKT3_lilS6_lilPT5_i,"axG",@progbits,_ZL23rocblas_gemvt_sn_kernelILb1ELi256ELi4El16rocblas_bfloat16PKffEviiT4_lPKT3_lilS6_lilPT5_i,comdat
	.globl	_ZL23rocblas_gemvt_sn_kernelILb1ELi256ELi4El16rocblas_bfloat16PKffEviiT4_lPKT3_lilS6_lilPT5_i ; -- Begin function _ZL23rocblas_gemvt_sn_kernelILb1ELi256ELi4El16rocblas_bfloat16PKffEviiT4_lPKT3_lilS6_lilPT5_i
	.p2align	8
	.type	_ZL23rocblas_gemvt_sn_kernelILb1ELi256ELi4El16rocblas_bfloat16PKffEviiT4_lPKT3_lilS6_lilPT5_i,@function
_ZL23rocblas_gemvt_sn_kernelILb1ELi256ELi4El16rocblas_bfloat16PKffEviiT4_lPKT3_lilS6_lilPT5_i: ; @_ZL23rocblas_gemvt_sn_kernelILb1ELi256ELi4El16rocblas_bfloat16PKffEviiT4_lPKT3_lilS6_lilPT5_i
; %bb.0:
	s_load_b32 s33, s[0:1], 0x60
	s_bfe_u32 s2, ttmp6, 0x40014
	s_lshr_b32 s3, ttmp7, 16
	s_add_co_i32 s2, s2, 1
	s_bfe_u32 s5, ttmp6, 0x40008
	s_mul_i32 s4, s3, s2
	s_getreg_b32 s2, hwreg(HW_REG_IB_STS2, 6, 4)
	s_add_co_i32 s5, s5, s4
	s_cmp_eq_u32 s2, 0
	s_mov_b32 s29, 0
	s_cselect_b32 s10, s3, s5
	s_wait_kmcnt 0x0
	s_cmp_ge_u32 s10, s33
	s_cbranch_scc1 .LBB575_88
; %bb.1:
	s_clause 0x6
	s_load_b32 s30, s[0:1], 0x28
	s_load_b96 s[4:6], s[0:1], 0x40
	s_load_b256 s[12:19], s[0:1], 0x8
	s_load_b64 s[34:35], s[0:1], 0x0
	s_load_b128 s[20:23], s[0:1], 0x30
	s_load_b128 s[24:27], s[0:1], 0x50
	s_load_b32 s36, s[0:1], 0x68
	s_wait_xcnt 0x0
	v_cmp_eq_u32_e64 s0, 0, v0
	v_mbcnt_lo_u32_b32 v42, -1, 0
	v_mov_b64_e32 v[20:21], 0
	s_mov_b32 s37, s29
	s_delay_alu instid0(VALU_DEP_2)
	v_lshl_or_b32 v43, v42, 2, 64
	s_wait_kmcnt 0x0
	s_ashr_i32 s31, s30, 31
	s_ashr_i32 s7, s6, 31
	s_lshl_b64 s[4:5], s[4:5], 1
	s_lshl_b64 s[8:9], s[18:19], 1
	s_ashr_i32 s43, s35, 31
	s_cmp_gt_i32 s35, 0
	s_add_nc_u64 s[18:19], s[22:23], s[4:5]
	s_cselect_b32 s1, -1, 0
	s_bfe_u32 s3, ttmp6, 0x4000c
	s_add_nc_u64 s[4:5], s[16:17], s[8:9]
	s_add_co_i32 s3, s3, 1
	s_and_b32 s8, ttmp6, 15
	s_mul_i32 s3, ttmp9, s3
	s_and_b32 s64, s0, s1
	s_add_co_i32 s8, s8, s3
	s_cmp_eq_u32 s2, 0
	s_mov_b32 s42, s35
	s_cselect_b32 s28, ttmp9, s8
	s_ashr_i32 s2, s34, 31
	s_lshl_b32 s3, s28, 10
	s_lshr_b32 s2, s2, 30
	v_lshl_or_b32 v2, v0, 2, s3
	s_add_co_i32 s2, s34, s2
	s_lshr_b32 s1, s43, 30
	s_and_b32 s2, s2, -4
	s_add_co_i32 s1, s35, s1
	s_sub_co_i32 s66, s34, s2
	v_dual_ashrrev_i32 v3, 31, v2 :: v_dual_add_nc_u32 v1, 4, v2
	v_dual_add_nc_u32 v4, s66, v2 :: v_dual_bitop2_b32 v6, 2, v2 bitop3:0x54
	s_and_b32 s65, s1, -4
	s_delay_alu instid0(VALU_DEP_2) | instskip(SKIP_1) | instid1(VALU_DEP_3)
	v_lshl_add_u64 v[8:9], v[2:3], 1, s[4:5]
	v_mul_u64_e32 v[10:11], s[6:7], v[2:3]
	v_cmp_ge_i32_e64 s2, s34, v4
	v_or_b32_e32 v4, 1, v2
	v_or_b32_e32 v2, 3, v2
	v_cmp_ge_i32_e64 s1, s34, v1
	v_dual_ashrrev_i32 v7, 31, v6 :: v_dual_bitop2_b32 v1, 31, v0 bitop3:0x40
	s_cmp_gt_i32 s65, 0
	v_dual_ashrrev_i32 v3, 31, v2 :: v_dual_ashrrev_i32 v5, 31, v4
	s_cselect_b32 s67, -1, 0
	s_delay_alu instid0(VALU_DEP_2) | instskip(SKIP_1) | instid1(VALU_DEP_2)
	v_mul_u64_e32 v[14:15], s[6:7], v[6:7]
	s_cmp_gt_i32 s66, 0
	v_mul_u64_e32 v[16:17], s[6:7], v[2:3]
	v_mul_u64_e32 v[12:13], s[6:7], v[4:5]
	s_cselect_b32 s34, -1, 0
	s_cmp_gt_u32 s35, 1
	v_cmp_gt_u32_e64 s3, 32, v0
	s_cselect_b32 s8, -1, 0
	s_cmp_eq_u32 s36, 1
	v_cmp_gt_u32_e64 s5, 8, v0
	v_dual_lshrrev_b32 v0, 3, v0 :: v_dual_lshlrev_b32 v40, 2, v1
	s_cselect_b32 s9, -1, 0
	s_and_b32 s68, s35, 0x7ffffffe
	s_and_b32 s69, s8, s9
	s_cmp_lg_u32 s35, s68
	v_cmp_eq_u32_e64 s4, 0, v1
	v_dual_mov_b32 v0, 0 :: v_dual_bitop2_b32 v41, 28, v0 bitop3:0x40
	s_mul_u64 s[16:17], s[42:43], s[36:37]
	s_cselect_b32 s70, -1, 0
	v_lshl_add_u64 v[18:19], v[10:11], 1, s[18:19]
	s_lshl_b64 s[22:23], s[28:29], 2
	s_lshl_b64 s[40:41], s[16:17], 2
	s_add_nc_u64 s[38:39], s[26:27], s[22:23]
	s_lshl_b64 s[42:43], s[42:43], 2
	s_lshl_b64 s[44:45], s[36:37], 2
	s_lshl_b64 s[46:47], s[24:25], 1
	s_lshl_b64 s[48:49], s[6:7], 1
	s_lshl_b64 s[50:51], s[20:21], 1
	s_lshl_b64 s[52:53], s[30:31], 3
	s_lshl_b64 s[54:55], s[30:31], 1
	s_lshl_b64 s[56:57], s[30:31], 2
	s_mul_u64 s[58:59], s[30:31], 6
	s_branch .LBB575_3
.LBB575_2:                              ;   in Loop: Header=BB575_3 Depth=1
	s_add_co_i32 s10, s10, 0x10000
	s_delay_alu instid0(SALU_CYCLE_1)
	s_cmp_lt_u32 s10, s33
	s_cbranch_scc0 .LBB575_88
.LBB575_3:                              ; =>This Loop Header: Depth=1
                                        ;     Child Loop BB575_7 Depth 2
                                        ;     Child Loop BB575_11 Depth 2
	;; [unrolled: 1-line block ×3, first 2 shown]
                                        ;       Child Loop BB575_48 Depth 3
                                        ;       Child Loop BB575_51 Depth 3
                                        ;     Child Loop BB575_67 Depth 2
                                        ;       Child Loop BB575_80 Depth 3
                                        ;       Child Loop BB575_83 Depth 3
	s_mov_b32 s11, s29
	s_delay_alu instid0(SALU_CYCLE_1) | instskip(NEXT) | instid1(SALU_CYCLE_1)
	s_mul_u64 s[6:7], s[14:15], s[10:11]
	s_lshl_b64 s[6:7], s[6:7], 2
	s_delay_alu instid0(SALU_CYCLE_1)
	s_add_nc_u64 s[6:7], s[12:13], s[6:7]
	global_load_b32 v44, v0, s[6:7]
	s_wait_xcnt 0x0
	s_mov_b32 s6, -1
	s_wait_loadcnt 0x0
	v_cmp_neq_f32_e32 vcc_lo, 0, v44
	s_cbranch_vccnz .LBB575_13
; %bb.4:                                ;   in Loop: Header=BB575_3 Depth=1
	s_and_saveexec_b32 s8, s64
	s_cbranch_execz .LBB575_12
; %bb.5:                                ;   in Loop: Header=BB575_3 Depth=1
	s_and_not1_b32 vcc_lo, exec_lo, s69
	s_cbranch_vccnz .LBB575_9
; %bb.6:                                ;   in Loop: Header=BB575_3 Depth=1
	s_mul_u64 s[6:7], s[40:41], s[10:11]
	s_mov_b32 s9, s68
	s_add_nc_u64 s[6:7], s[38:39], s[6:7]
.LBB575_7:                              ;   Parent Loop BB575_3 Depth=1
                                        ; =>  This Inner Loop Header: Depth=2
	s_add_co_i32 s9, s9, -2
	global_store_b64 v0, v[20:21], s[6:7]
	s_wait_xcnt 0x0
	s_add_nc_u64 s[6:7], s[6:7], 8
	s_mov_b32 s28, s68
	s_cmp_lg_u32 s9, 0
	s_mov_b32 s60, s70
	s_cbranch_scc1 .LBB575_7
; %bb.8:                                ;   in Loop: Header=BB575_3 Depth=1
	s_and_b32 vcc_lo, exec_lo, s60
	s_cbranch_vccnz .LBB575_10
	s_branch .LBB575_12
.LBB575_9:                              ;   in Loop: Header=BB575_3 Depth=1
	s_mov_b32 s28, 0
	s_cbranch_execz .LBB575_12
.LBB575_10:                             ;   in Loop: Header=BB575_3 Depth=1
	s_mul_u64 s[6:7], s[42:43], s[10:11]
	s_lshl_b64 s[60:61], s[28:29], 2
	s_sub_co_i32 s9, s35, s28
	s_add_nc_u64 s[6:7], s[6:7], s[60:61]
	s_delay_alu instid0(SALU_CYCLE_1) | instskip(NEXT) | instid1(SALU_CYCLE_1)
	s_mul_u64 s[6:7], s[36:37], s[6:7]
	s_add_nc_u64 s[6:7], s[38:39], s[6:7]
.LBB575_11:                             ;   Parent Loop BB575_3 Depth=1
                                        ; =>  This Inner Loop Header: Depth=2
	s_add_co_i32 s9, s9, -1
	global_store_b32 v0, v0, s[6:7]
	s_cmp_eq_u32 s9, 0
	s_wait_xcnt 0x0
	s_add_nc_u64 s[6:7], s[6:7], s[44:45]
	s_cbranch_scc0 .LBB575_11
.LBB575_12:                             ;   in Loop: Header=BB575_3 Depth=1
	s_or_b32 exec_lo, exec_lo, s8
	s_mov_b32 s6, 0
.LBB575_13:                             ;   in Loop: Header=BB575_3 Depth=1
	s_delay_alu instid0(SALU_CYCLE_1)
	s_and_not1_b32 vcc_lo, exec_lo, s6
	s_cbranch_vccnz .LBB575_2
; %bb.14:                               ;   in Loop: Header=BB575_3 Depth=1
	v_mad_nc_u64_u32 v[22:23], s46, s10, v[18:19]
	s_mul_u64 s[6:7], s[24:25], s[10:11]
	s_mul_u64 s[8:9], s[16:17], s[10:11]
	s_lshl_b64 s[6:7], s[6:7], 1
	s_mul_u64 s[60:61], s[20:21], s[10:11]
	s_add_nc_u64 s[6:7], s[18:19], s[6:7]
	s_lshl_b64 s[72:73], s[8:9], 2
	v_lshl_add_u64 v[24:25], s[60:61], 1, v[8:9]
	v_lshl_add_u64 v[26:27], v[10:11], 1, s[6:7]
	;; [unrolled: 1-line block ×4, first 2 shown]
	v_mad_u32 v23, s47, s10, v23
	v_lshl_add_u64 v[32:33], v[16:17], 1, s[6:7]
	v_cmp_gt_u32_e64 s9, 24, v42
	v_cmp_gt_u32_e64 s8, 28, v42
	;; [unrolled: 1-line block ×3, first 2 shown]
	v_cmp_ne_u32_e64 s6, 31, v42
	s_add_nc_u64 s[60:61], s[26:27], s[72:73]
	s_mul_u64 s[62:63], s[50:51], s[10:11]
	s_and_not1_b32 vcc_lo, exec_lo, s67
	s_add_nc_u64 s[60:61], s[60:61], s[22:23]
	s_cbranch_vccnz .LBB575_63
; %bb.15:                               ;   in Loop: Header=BB575_3 Depth=1
	v_cndmask_b32_e64 v4, 0, 8, s9
	v_cndmask_b32_e64 v5, 0, 4, s8
	s_wait_dscnt 0x0
	v_add_co_ci_u32_e64 v35, null, 0, v42, s6
	v_dual_mov_b32 v1, v0 :: v_dual_mov_b32 v2, v0
	s_delay_alu instid0(VALU_DEP_2) | instskip(SKIP_3) | instid1(VALU_DEP_4)
	v_dual_mov_b32 v3, v0 :: v_dual_lshlrev_b32 v48, 2, v35
	v_cndmask_b32_e64 v34, 0, 2, s7
	v_add_lshl_u32 v45, v4, v42, 2
	v_add_lshl_u32 v46, v5, v42, 2
	v_mov_b64_e32 v[4:5], v[2:3]
	v_add_nc_u64_e32 v[6:7], s[62:63], v[8:9]
	v_mov_b64_e32 v[2:3], v[0:1]
	v_add_lshl_u32 v47, v34, v42, 2
	s_mov_b32 s28, 0
	s_branch .LBB575_17
.LBB575_16:                             ;   in Loop: Header=BB575_17 Depth=2
	s_wait_xcnt 0x0
	s_or_b32 exec_lo, exec_lo, s6
	v_add_nc_u64_e32 v[6:7], s[52:53], v[6:7]
	s_add_co_i32 s28, s28, 4
	s_delay_alu instid0(SALU_CYCLE_1)
	s_cmp_ge_i32 s28, s65
	s_cbranch_scc1 .LBB575_64
.LBB575_17:                             ;   Parent Loop BB575_3 Depth=1
                                        ; =>  This Loop Header: Depth=2
                                        ;       Child Loop BB575_48 Depth 3
                                        ;       Child Loop BB575_51 Depth 3
                                        ; implicit-def: $vgpr35
                                        ; implicit-def: $vgpr37
	s_and_saveexec_b32 s6, s1
	s_delay_alu instid0(SALU_CYCLE_1)
	s_xor_b32 s6, exec_lo, s6
	s_cbranch_execnz .LBB575_44
; %bb.18:                               ;   in Loop: Header=BB575_17 Depth=2
	s_and_not1_saveexec_b32 s11, s6
	s_cbranch_execnz .LBB575_45
.LBB575_19:                             ;   in Loop: Header=BB575_17 Depth=2
	s_or_b32 exec_lo, exec_lo, s11
	s_and_saveexec_b32 s6, s3
.LBB575_20:                             ;   in Loop: Header=BB575_17 Depth=2
	ds_store_b32 v40, v0
.LBB575_21:                             ;   in Loop: Header=BB575_17 Depth=2
	s_or_b32 exec_lo, exec_lo, s6
	ds_bpermute_b32 v1, v43, v36
	s_wait_storecnt_dscnt 0x0
	s_barrier_signal -1
	s_barrier_wait -1
	v_add_f32_e32 v1, v36, v1
	ds_bpermute_b32 v36, v45, v1
	s_wait_dscnt 0x0
	v_add_f32_e32 v1, v1, v36
	ds_bpermute_b32 v36, v46, v1
	s_wait_dscnt 0x0
	;; [unrolled: 3-line block ×3, first 2 shown]
	v_add_f32_e32 v1, v1, v36
	ds_bpermute_b32 v36, v48, v1
	s_and_saveexec_b32 s6, s4
	s_cbranch_execz .LBB575_23
; %bb.22:                               ;   in Loop: Header=BB575_17 Depth=2
	s_wait_dscnt 0x0
	v_add_f32_e32 v1, v1, v36
	ds_store_b32 v41, v1
.LBB575_23:                             ;   in Loop: Header=BB575_17 Depth=2
	s_or_b32 exec_lo, exec_lo, s6
	v_mov_b32_e32 v1, 0
	s_wait_dscnt 0x0
	s_barrier_signal -1
	s_barrier_wait -1
	s_and_saveexec_b32 s6, s5
	s_cbranch_execnz .LBB575_52
; %bb.24:                               ;   in Loop: Header=BB575_17 Depth=2
	s_or_b32 exec_lo, exec_lo, s6
	s_and_saveexec_b32 s6, s3
	s_cbranch_execnz .LBB575_53
.LBB575_25:                             ;   in Loop: Header=BB575_17 Depth=2
	s_or_b32 exec_lo, exec_lo, s6
	s_and_saveexec_b32 s6, s3
.LBB575_26:                             ;   in Loop: Header=BB575_17 Depth=2
	ds_store_b32 v40, v0
.LBB575_27:                             ;   in Loop: Header=BB575_17 Depth=2
	s_or_b32 exec_lo, exec_lo, s6
	ds_bpermute_b32 v36, v43, v37
	s_wait_dscnt 0x0
	s_barrier_signal -1
	s_barrier_wait -1
	v_add_f32_e32 v36, v37, v36
	ds_bpermute_b32 v37, v45, v36
	s_wait_dscnt 0x0
	v_add_f32_e32 v36, v36, v37
	ds_bpermute_b32 v37, v46, v36
	s_wait_dscnt 0x0
	;; [unrolled: 3-line block ×3, first 2 shown]
	v_add_f32_e32 v36, v36, v37
	ds_bpermute_b32 v37, v48, v36
	s_and_saveexec_b32 s6, s4
	s_cbranch_execz .LBB575_29
; %bb.28:                               ;   in Loop: Header=BB575_17 Depth=2
	s_wait_dscnt 0x0
	v_add_f32_e32 v36, v36, v37
	ds_store_b32 v41, v36
.LBB575_29:                             ;   in Loop: Header=BB575_17 Depth=2
	s_or_b32 exec_lo, exec_lo, s6
	v_mov_b32_e32 v36, 0
	s_wait_dscnt 0x0
	s_barrier_signal -1
	s_barrier_wait -1
	s_and_saveexec_b32 s6, s5
	s_cbranch_execnz .LBB575_54
; %bb.30:                               ;   in Loop: Header=BB575_17 Depth=2
	s_or_b32 exec_lo, exec_lo, s6
	s_and_saveexec_b32 s6, s3
	s_cbranch_execnz .LBB575_55
.LBB575_31:                             ;   in Loop: Header=BB575_17 Depth=2
	s_or_b32 exec_lo, exec_lo, s6
	s_and_saveexec_b32 s6, s3
.LBB575_32:                             ;   in Loop: Header=BB575_17 Depth=2
	ds_store_b32 v40, v0
.LBB575_33:                             ;   in Loop: Header=BB575_17 Depth=2
	s_or_b32 exec_lo, exec_lo, s6
	ds_bpermute_b32 v37, v43, v34
	s_wait_dscnt 0x0
	s_barrier_signal -1
	s_barrier_wait -1
	v_add_f32_e32 v34, v34, v37
	ds_bpermute_b32 v37, v45, v34
	s_wait_dscnt 0x0
	v_add_f32_e32 v34, v34, v37
	ds_bpermute_b32 v37, v46, v34
	s_wait_dscnt 0x0
	;; [unrolled: 3-line block ×3, first 2 shown]
	v_add_f32_e32 v34, v34, v37
	ds_bpermute_b32 v37, v48, v34
	s_and_saveexec_b32 s6, s4
	s_cbranch_execz .LBB575_35
; %bb.34:                               ;   in Loop: Header=BB575_17 Depth=2
	s_wait_dscnt 0x0
	v_add_f32_e32 v34, v34, v37
	ds_store_b32 v41, v34
.LBB575_35:                             ;   in Loop: Header=BB575_17 Depth=2
	s_or_b32 exec_lo, exec_lo, s6
	v_mov_b32_e32 v34, 0
	s_wait_dscnt 0x0
	s_barrier_signal -1
	s_barrier_wait -1
	s_and_saveexec_b32 s6, s5
	s_cbranch_execnz .LBB575_56
; %bb.36:                               ;   in Loop: Header=BB575_17 Depth=2
	s_or_b32 exec_lo, exec_lo, s6
	s_and_saveexec_b32 s6, s3
	s_cbranch_execnz .LBB575_57
.LBB575_37:                             ;   in Loop: Header=BB575_17 Depth=2
	s_or_b32 exec_lo, exec_lo, s6
	s_and_saveexec_b32 s6, s3
.LBB575_38:                             ;   in Loop: Header=BB575_17 Depth=2
	ds_store_b32 v40, v0
.LBB575_39:                             ;   in Loop: Header=BB575_17 Depth=2
	s_or_b32 exec_lo, exec_lo, s6
	ds_bpermute_b32 v37, v43, v35
	s_wait_dscnt 0x0
	s_barrier_signal -1
	s_barrier_wait -1
	v_add_f32_e32 v35, v35, v37
	ds_bpermute_b32 v37, v45, v35
	s_wait_dscnt 0x0
	v_add_f32_e32 v35, v35, v37
	ds_bpermute_b32 v37, v46, v35
	s_wait_dscnt 0x0
	;; [unrolled: 3-line block ×3, first 2 shown]
	v_add_f32_e32 v35, v35, v37
	ds_bpermute_b32 v37, v48, v35
	s_and_saveexec_b32 s6, s4
	s_cbranch_execz .LBB575_41
; %bb.40:                               ;   in Loop: Header=BB575_17 Depth=2
	s_wait_dscnt 0x0
	v_add_f32_e32 v35, v35, v37
	ds_store_b32 v41, v35
.LBB575_41:                             ;   in Loop: Header=BB575_17 Depth=2
	s_or_b32 exec_lo, exec_lo, s6
	v_mov_b32_e32 v35, 0
	s_wait_dscnt 0x0
	s_barrier_signal -1
	s_barrier_wait -1
	s_and_saveexec_b32 s6, s5
	s_cbranch_execnz .LBB575_58
; %bb.42:                               ;   in Loop: Header=BB575_17 Depth=2
	s_or_b32 exec_lo, exec_lo, s6
	s_and_saveexec_b32 s6, s3
	s_cbranch_execnz .LBB575_59
.LBB575_43:                             ;   in Loop: Header=BB575_17 Depth=2
	s_or_b32 exec_lo, exec_lo, s6
	s_and_saveexec_b32 s6, s0
	s_cbranch_execz .LBB575_16
	s_branch .LBB575_60
.LBB575_44:                             ;   in Loop: Header=BB575_17 Depth=2
	s_mul_u64 s[8:9], s[28:29], s[30:31]
	s_or_b32 s72, s28, 2
	s_mov_b32 s73, s29
	v_lshl_add_u64 v[2:3], s[8:9], 1, v[24:25]
	s_or_b32 s8, s28, 3
	s_mov_b32 s9, s29
	s_mul_u64 s[72:73], s[72:73], s[30:31]
	s_mul_u64 s[8:9], s[8:9], s[30:31]
	v_lshl_add_u64 v[4:5], s[72:73], 1, v[24:25]
	s_wait_dscnt 0x0
	v_lshl_add_u64 v[34:35], s[8:9], 1, v[24:25]
	s_clause 0x3
	global_load_u16 v1, v[26:27], off
	global_load_u16 v49, v[28:29], off
	;; [unrolled: 1-line block ×4, first 2 shown]
	s_clause 0x2
	global_load_b64 v[36:37], v[2:3], off
	global_load_b64 v[4:5], v[4:5], off
	global_load_b64 v[34:35], v[34:35], off
	s_or_b32 s8, s28, 1
	s_mov_b32 s9, s29
	s_delay_alu instid0(SALU_CYCLE_1)
	s_mul_u64 s[8:9], s[8:9], s[30:31]
	s_wait_xcnt 0x2
	v_lshl_add_u64 v[2:3], s[8:9], 1, v[24:25]
	global_load_b64 v[38:39], v[2:3], off
	s_wait_loadcnt 0x7
	s_wait_xcnt 0x0
	v_lshlrev_b32_e32 v2, 16, v1
	s_wait_loadcnt 0x5
	v_dual_lshlrev_b32 v51, 16, v49 :: v_dual_lshlrev_b32 v54, 16, v50
	s_wait_loadcnt 0x4
	v_lshlrev_b32_e32 v53, 16, v52
	s_wait_loadcnt 0x3
	v_dual_lshlrev_b32 v60, 16, v36 :: v_dual_lshlrev_b32 v62, 16, v37
	s_wait_loadcnt 0x1
	v_dual_lshlrev_b32 v1, 16, v4 :: v_dual_lshlrev_b32 v50, 16, v34
	v_and_b32_e32 v3, 0xffff0000, v34
	v_and_b32_e32 v49, 0xffff0000, v4
	v_dual_lshlrev_b32 v57, 16, v5 :: v_dual_lshlrev_b32 v52, 16, v35
	v_and_b32_e32 v59, 0xffff0000, v5
	s_delay_alu instid0(VALU_DEP_4) | instskip(SKIP_3) | instid1(VALU_DEP_3)
	v_pk_mul_f32 v[4:5], v[50:51], v[2:3]
	v_and_b32_e32 v55, 0xffff0000, v35
	v_dual_mul_f32 v34, v2, v1 :: v_dual_mov_b32 v3, v51
	s_wait_loadcnt 0x0
	v_dual_lshlrev_b32 v61, 16, v38 :: v_dual_mov_b32 v35, v4
	v_dual_mov_b32 v56, v51 :: v_dual_mov_b32 v58, v53
	v_and_b32_e32 v36, 0xffff0000, v36
	v_and_b32_e32 v64, 0xffff0000, v37
	;; [unrolled: 1-line block ×3, first 2 shown]
	v_dual_mul_f32 v4, v51, v49 :: v_dual_lshlrev_b32 v63, 16, v39
	v_pk_mul_f32 v[50:51], v[52:53], v[54:55]
	v_pk_add_f32 v[34:35], v[34:35], 0 op_sel_hi:[1,0]
	v_pk_fma_f32 v[60:61], v[2:3], v[60:61], 0 op_sel_hi:[0,1,0]
	v_mul_f32_e32 v66, v54, v57
	v_and_b32_e32 v65, 0xffff0000, v39
	v_mov_b32_e32 v67, v50
	v_pk_add_f32 v[4:5], v[34:35], v[4:5]
	v_pk_fma_f32 v[34:35], v[56:57], v[36:37], v[60:61] op_sel_hi:[0,1,1]
	v_mul_f32_e32 v50, v53, v59
	s_delay_alu instid0(VALU_DEP_3) | instskip(NEXT) | instid1(VALU_DEP_3)
	v_pk_add_f32 v[36:37], v[4:5], v[66:67]
	v_pk_fma_f32 v[38:39], v[54:55], v[62:63], v[34:35] op_sel_hi:[0,1,1]
	v_dual_mov_b32 v4, v54 :: v_dual_mov_b32 v5, v53
	s_delay_alu instid0(VALU_DEP_3) | instskip(NEXT) | instid1(VALU_DEP_3)
	v_pk_add_f32 v[34:35], v[36:37], v[50:51]
	v_pk_fma_f32 v[36:37], v[58:59], v[64:65], v[38:39] op_sel_hi:[0,1,1]
	s_and_not1_saveexec_b32 s11, s6
	s_cbranch_execz .LBB575_19
.LBB575_45:                             ;   in Loop: Header=BB575_17 Depth=2
	s_wait_dscnt 0x0
	v_dual_mov_b32 v35, 0 :: v_dual_mov_b32 v34, 0
	v_dual_mov_b32 v37, 0 :: v_dual_mov_b32 v36, 0
	s_and_saveexec_b32 s71, s2
	s_cbranch_execz .LBB575_62
; %bb.46:                               ;   in Loop: Header=BB575_17 Depth=2
	s_and_not1_b32 vcc_lo, exec_lo, s34
	s_cbranch_vccnz .LBB575_49
; %bb.47:                               ;   in Loop: Header=BB575_17 Depth=2
	v_mov_b64_e32 v[34:35], v[22:23]
	s_mov_b64 s[8:9], 0
.LBB575_48:                             ;   Parent Loop BB575_3 Depth=1
                                        ;     Parent Loop BB575_17 Depth=2
                                        ; =>    This Inner Loop Header: Depth=3
	global_load_u16 v1, v[34:35], off
	s_cmp_eq_u32 s8, 3
	s_wait_xcnt 0x0
	v_add_nc_u64_e32 v[34:35], s[48:49], v[34:35]
	s_cselect_b32 vcc_lo, -1, 0
	s_cmp_eq_u32 s8, 2
	s_cselect_b32 s6, -1, 0
	s_cmp_eq_u32 s8, 1
	s_cselect_b32 s7, -1, 0
	s_cmp_eq_u32 s8, 0
	s_add_nc_u64 s[8:9], s[8:9], 1
	s_wait_loadcnt 0x0
	v_lshlrev_b32_e32 v1, 16, v1
	s_delay_alu instid0(VALU_DEP_1) | instskip(SKIP_1) | instid1(SALU_CYCLE_1)
	v_dual_cndmask_b32 v5, v5, v1, vcc_lo :: v_dual_cndmask_b32 v4, v4, v1, s6
	s_cselect_b32 vcc_lo, -1, 0
	v_dual_cndmask_b32 v3, v3, v1, s7 :: v_dual_cndmask_b32 v2, v2, v1, vcc_lo
	s_cmp_eq_u32 s66, s8
	s_cbranch_scc0 .LBB575_48
.LBB575_49:                             ;   in Loop: Header=BB575_17 Depth=2
	s_and_not1_b32 vcc_lo, exec_lo, s34
	s_cbranch_vccnz .LBB575_61
; %bb.50:                               ;   in Loop: Header=BB575_17 Depth=2
	v_mov_b32_e32 v36, 0
	v_mov_b64_e32 v[38:39], v[6:7]
	s_mov_b64 s[6:7], 0
	s_delay_alu instid0(VALU_DEP_2)
	v_dual_mov_b32 v37, v36 :: v_dual_mov_b32 v34, v36
	v_mov_b32_e32 v35, v36
.LBB575_51:                             ;   Parent Loop BB575_3 Depth=1
                                        ;     Parent Loop BB575_17 Depth=2
                                        ; =>    This Inner Loop Header: Depth=3
	s_delay_alu instid0(VALU_DEP_3)
	v_add_nc_u64_e32 v[50:51], s[54:55], v[38:39]
	v_add_nc_u64_e32 v[52:53], s[58:59], v[38:39]
	;; [unrolled: 1-line block ×3, first 2 shown]
	s_cmp_eq_u32 s6, 1
	s_clause 0x3
	global_load_u16 v1, v[38:39], off
	global_load_u16 v49, v[50:51], off
	;; [unrolled: 1-line block ×4, first 2 shown]
	s_cselect_b32 vcc_lo, -1, 0
	s_cmp_eq_u32 s6, 2
	v_cndmask_b32_e32 v50, v2, v3, vcc_lo
	s_cselect_b32 vcc_lo, -1, 0
	s_cmp_eq_u32 s6, 3
	v_add_nc_u64_e32 v[38:39], 2, v[38:39]
	s_add_nc_u64 s[6:7], s[6:7], 1
	s_wait_loadcnt 0x3
	s_wait_xcnt 0x1
	v_dual_lshlrev_b32 v52, 16, v1 :: v_dual_cndmask_b32 v50, v50, v4, vcc_lo
	s_wait_loadcnt 0x2
	v_lshlrev_b32_e32 v53, 16, v49
	s_cselect_b32 vcc_lo, -1, 0
	s_wait_loadcnt 0x0
	v_dual_lshlrev_b32 v54, 16, v54 :: v_dual_lshlrev_b32 v55, 16, v51
	v_cndmask_b32_e32 v50, v50, v5, vcc_lo
	s_cmp_lg_u32 s66, s6
	s_delay_alu instid0(VALU_DEP_1) | instskip(NEXT) | instid1(VALU_DEP_3)
	v_pk_fma_f32 v[36:37], v[50:51], v[52:53], v[36:37] op_sel_hi:[0,1,1]
	v_pk_fma_f32 v[34:35], v[50:51], v[54:55], v[34:35] op_sel_hi:[0,1,1]
	s_cbranch_scc1 .LBB575_51
	s_branch .LBB575_62
.LBB575_52:                             ;   in Loop: Header=BB575_17 Depth=2
	ds_load_b32 v1, v40
	s_or_b32 exec_lo, exec_lo, s6
	s_and_saveexec_b32 s6, s3
	s_cbranch_execz .LBB575_25
.LBB575_53:                             ;   in Loop: Header=BB575_17 Depth=2
	s_wait_dscnt 0x0
	ds_bpermute_b32 v36, v46, v1
	s_wait_dscnt 0x0
	v_add_f32_e32 v1, v1, v36
	ds_bpermute_b32 v36, v47, v1
	s_wait_dscnt 0x0
	v_add_f32_e32 v1, v1, v36
	ds_bpermute_b32 v36, v48, v1
	s_wait_dscnt 0x0
	v_add_f32_e32 v1, v1, v36
	s_or_b32 exec_lo, exec_lo, s6
	s_and_saveexec_b32 s6, s3
	s_cbranch_execnz .LBB575_26
	s_branch .LBB575_27
.LBB575_54:                             ;   in Loop: Header=BB575_17 Depth=2
	ds_load_b32 v36, v40
	s_or_b32 exec_lo, exec_lo, s6
	s_and_saveexec_b32 s6, s3
	s_cbranch_execz .LBB575_31
.LBB575_55:                             ;   in Loop: Header=BB575_17 Depth=2
	s_wait_dscnt 0x0
	ds_bpermute_b32 v37, v46, v36
	s_wait_dscnt 0x0
	v_add_f32_e32 v36, v36, v37
	ds_bpermute_b32 v37, v47, v36
	s_wait_dscnt 0x0
	v_add_f32_e32 v36, v36, v37
	;; [unrolled: 3-line block ×3, first 2 shown]
	s_or_b32 exec_lo, exec_lo, s6
	s_and_saveexec_b32 s6, s3
	s_cbranch_execnz .LBB575_32
	s_branch .LBB575_33
.LBB575_56:                             ;   in Loop: Header=BB575_17 Depth=2
	ds_load_b32 v34, v40
	s_or_b32 exec_lo, exec_lo, s6
	s_and_saveexec_b32 s6, s3
	s_cbranch_execz .LBB575_37
.LBB575_57:                             ;   in Loop: Header=BB575_17 Depth=2
	s_wait_dscnt 0x0
	ds_bpermute_b32 v37, v46, v34
	s_wait_dscnt 0x0
	v_add_f32_e32 v34, v34, v37
	ds_bpermute_b32 v37, v47, v34
	s_wait_dscnt 0x0
	v_add_f32_e32 v34, v34, v37
	;; [unrolled: 3-line block ×3, first 2 shown]
	s_or_b32 exec_lo, exec_lo, s6
	s_and_saveexec_b32 s6, s3
	s_cbranch_execnz .LBB575_38
	s_branch .LBB575_39
.LBB575_58:                             ;   in Loop: Header=BB575_17 Depth=2
	ds_load_b32 v35, v40
	s_or_b32 exec_lo, exec_lo, s6
	s_and_saveexec_b32 s6, s3
	s_cbranch_execz .LBB575_43
.LBB575_59:                             ;   in Loop: Header=BB575_17 Depth=2
	s_wait_dscnt 0x0
	ds_bpermute_b32 v37, v46, v35
	s_wait_dscnt 0x0
	v_add_f32_e32 v35, v35, v37
	ds_bpermute_b32 v37, v47, v35
	s_wait_dscnt 0x0
	v_add_f32_e32 v35, v35, v37
	;; [unrolled: 3-line block ×3, first 2 shown]
	s_or_b32 exec_lo, exec_lo, s6
	s_and_saveexec_b32 s6, s0
	s_cbranch_execz .LBB575_16
.LBB575_60:                             ;   in Loop: Header=BB575_17 Depth=2
	s_or_b32 s72, s28, 1
	s_mov_b32 s73, s29
	s_mul_u64 s[8:9], s[28:29], s[36:37]
	v_dual_mul_f32 v1, v44, v1 :: v_dual_mul_f32 v36, v44, v36
	s_mul_u64 s[72:73], s[72:73], s[36:37]
	s_lshl_b64 s[8:9], s[8:9], 2
	s_lshl_b64 s[72:73], s[72:73], 2
	s_add_nc_u64 s[8:9], s[60:61], s[8:9]
	s_add_nc_u64 s[72:73], s[60:61], s[72:73]
	s_clause 0x1
	global_store_b32 v0, v1, s[8:9]
	global_store_b32 v0, v36, s[72:73]
	s_wait_xcnt 0x1
	s_or_b32 s8, s28, 2
	s_mov_b32 s9, s29
	s_wait_xcnt 0x0
	s_or_b32 s72, s28, 3
	s_mov_b32 s73, s29
	s_mul_u64 s[8:9], s[8:9], s[36:37]
	s_wait_dscnt 0x0
	v_dual_mul_f32 v1, v44, v34 :: v_dual_mul_f32 v34, v44, v35
	s_mul_u64 s[72:73], s[72:73], s[36:37]
	s_lshl_b64 s[8:9], s[8:9], 2
	s_lshl_b64 s[72:73], s[72:73], 2
	s_add_nc_u64 s[8:9], s[60:61], s[8:9]
	s_add_nc_u64 s[72:73], s[60:61], s[72:73]
	s_clause 0x1
	global_store_b32 v0, v1, s[8:9]
	global_store_b32 v0, v34, s[72:73]
	s_branch .LBB575_16
.LBB575_61:                             ;   in Loop: Header=BB575_17 Depth=2
	v_mov_b32_e32 v35, 0
	s_delay_alu instid0(VALU_DEP_1)
	v_dual_mov_b32 v34, v35 :: v_dual_mov_b32 v37, v35
	v_mov_b32_e32 v36, v35
.LBB575_62:                             ;   in Loop: Header=BB575_17 Depth=2
	s_or_b32 exec_lo, exec_lo, s71
	s_delay_alu instid0(SALU_CYCLE_1)
	s_or_b32 exec_lo, exec_lo, s11
	s_and_saveexec_b32 s6, s3
	s_cbranch_execnz .LBB575_20
	s_branch .LBB575_21
.LBB575_63:                             ;   in Loop: Header=BB575_3 Depth=1
	v_dual_mov_b32 v1, v0 :: v_dual_mov_b32 v2, v0
	v_mov_b32_e32 v3, v0
	s_mov_b32 s28, 0
	s_delay_alu instid0(VALU_DEP_1) | instskip(NEXT) | instid1(VALU_DEP_3)
	v_mov_b64_e32 v[4:5], v[2:3]
	v_mov_b64_e32 v[2:3], v[0:1]
.LBB575_64:                             ;   in Loop: Header=BB575_3 Depth=1
	s_cmp_ge_i32 s28, s35
	s_cbranch_scc1 .LBB575_2
; %bb.65:                               ;   in Loop: Header=BB575_3 Depth=1
	v_cmp_gt_u32_e32 vcc_lo, 24, v42
	s_mul_u64 s[6:7], s[54:55], s[28:29]
	s_delay_alu instid0(SALU_CYCLE_1) | instskip(SKIP_4) | instid1(VALU_DEP_2)
	s_add_nc_u64 s[6:7], s[6:7], s[62:63]
	s_wait_dscnt 0x0
	v_add_nc_u64_e32 v[34:35], s[6:7], v[8:9]
	v_cndmask_b32_e64 v1, 0, 8, vcc_lo
	v_cmp_gt_u32_e32 vcc_lo, 28, v42
	v_add_lshl_u32 v1, v1, v42, 2
	v_cndmask_b32_e64 v6, 0, 4, vcc_lo
	v_cmp_gt_u32_e32 vcc_lo, 30, v42
	s_delay_alu instid0(VALU_DEP_2) | instskip(SKIP_2) | instid1(VALU_DEP_2)
	v_add_lshl_u32 v7, v6, v42, 2
	v_cndmask_b32_e64 v36, 0, 2, vcc_lo
	v_cmp_ne_u32_e32 vcc_lo, 31, v42
	v_add_lshl_u32 v38, v36, v42, 2
	v_add_co_ci_u32_e64 v37, null, 0, v42, vcc_lo
	s_delay_alu instid0(VALU_DEP_1)
	v_lshlrev_b32_e32 v39, 2, v37
	s_branch .LBB575_67
.LBB575_66:                             ;   in Loop: Header=BB575_67 Depth=2
	s_wait_xcnt 0x0
	s_or_b32 exec_lo, exec_lo, s6
	v_add_nc_u64_e32 v[34:35], s[54:55], v[34:35]
	s_add_co_i32 s28, s28, 1
	s_delay_alu instid0(SALU_CYCLE_1)
	s_cmp_ge_i32 s28, s35
	s_cbranch_scc1 .LBB575_2
.LBB575_67:                             ;   Parent Loop BB575_3 Depth=1
                                        ; =>  This Loop Header: Depth=2
                                        ;       Child Loop BB575_80 Depth 3
                                        ;       Child Loop BB575_83 Depth 3
	s_wait_dscnt 0x0
	v_mov_b32_e32 v6, s29
	s_and_saveexec_b32 s6, s1
	s_delay_alu instid0(SALU_CYCLE_1)
	s_xor_b32 s6, exec_lo, s6
	s_cbranch_execnz .LBB575_76
; %bb.68:                               ;   in Loop: Header=BB575_67 Depth=2
	s_and_not1_saveexec_b32 s11, s6
	s_cbranch_execnz .LBB575_77
.LBB575_69:                             ;   in Loop: Header=BB575_67 Depth=2
	s_or_b32 exec_lo, exec_lo, s11
	s_and_saveexec_b32 s6, s3
.LBB575_70:                             ;   in Loop: Header=BB575_67 Depth=2
	ds_store_b32 v40, v0
.LBB575_71:                             ;   in Loop: Header=BB575_67 Depth=2
	s_or_b32 exec_lo, exec_lo, s6
	ds_bpermute_b32 v36, v43, v6
	s_wait_storecnt_dscnt 0x0
	s_barrier_signal -1
	s_barrier_wait -1
	v_add_f32_e32 v6, v6, v36
	ds_bpermute_b32 v36, v1, v6
	s_wait_dscnt 0x0
	v_add_f32_e32 v6, v6, v36
	ds_bpermute_b32 v36, v7, v6
	s_wait_dscnt 0x0
	;; [unrolled: 3-line block ×3, first 2 shown]
	v_add_f32_e32 v6, v6, v36
	ds_bpermute_b32 v36, v39, v6
	s_and_saveexec_b32 s6, s4
	s_cbranch_execz .LBB575_73
; %bb.72:                               ;   in Loop: Header=BB575_67 Depth=2
	s_wait_dscnt 0x0
	v_add_f32_e32 v6, v6, v36
	ds_store_b32 v41, v6
.LBB575_73:                             ;   in Loop: Header=BB575_67 Depth=2
	s_or_b32 exec_lo, exec_lo, s6
	v_mov_b32_e32 v6, 0
	s_wait_dscnt 0x0
	s_barrier_signal -1
	s_barrier_wait -1
	s_and_saveexec_b32 s6, s5
	s_cbranch_execnz .LBB575_85
; %bb.74:                               ;   in Loop: Header=BB575_67 Depth=2
	s_or_b32 exec_lo, exec_lo, s6
	s_and_saveexec_b32 s6, s3
	s_cbranch_execnz .LBB575_86
.LBB575_75:                             ;   in Loop: Header=BB575_67 Depth=2
	s_or_b32 exec_lo, exec_lo, s6
	s_and_saveexec_b32 s6, s0
	s_cbranch_execz .LBB575_66
	s_branch .LBB575_87
.LBB575_76:                             ;   in Loop: Header=BB575_67 Depth=2
	s_mul_u64 s[8:9], s[28:29], s[30:31]
	s_delay_alu instid0(SALU_CYCLE_1)
	v_lshl_add_u64 v[2:3], s[8:9], 1, v[24:25]
	s_clause 0x1
	global_load_u16 v4, v[28:29], off
	global_load_u16 v5, v[26:27], off
	global_load_b64 v[36:37], v[2:3], off
	s_clause 0x1
	global_load_u16 v6, v[32:33], off
	global_load_u16 v45, v[30:31], off
	s_wait_loadcnt 0x3
	s_wait_xcnt 0x2
	v_dual_lshlrev_b32 v3, 16, v4 :: v_dual_lshlrev_b32 v2, 16, v5
	s_wait_loadcnt 0x2
	v_and_b32_e32 v5, 0xffff0000, v36
	v_lshlrev_b32_e32 v4, 16, v36
	v_and_b32_e32 v49, 0xffff0000, v37
	s_delay_alu instid0(VALU_DEP_2) | instskip(SKIP_2) | instid1(VALU_DEP_2)
	v_pk_mul_f32 v[46:47], v[2:3], v[4:5]
	s_wait_loadcnt 0x0
	v_dual_lshlrev_b32 v5, 16, v6 :: v_dual_lshlrev_b32 v4, 16, v45
	v_dual_add_f32 v6, 0, v46 :: v_dual_lshlrev_b32 v48, 16, v37
	s_delay_alu instid0(VALU_DEP_1) | instskip(NEXT) | instid1(VALU_DEP_2)
	v_add_f32_e32 v6, v6, v47
	v_pk_mul_f32 v[36:37], v[4:5], v[48:49]
	s_delay_alu instid0(VALU_DEP_1) | instskip(NEXT) | instid1(VALU_DEP_1)
	v_add_f32_e32 v6, v6, v36
	v_add_f32_e32 v6, v6, v37
	s_wait_xcnt 0x0
	s_and_not1_saveexec_b32 s11, s6
	s_cbranch_execz .LBB575_69
.LBB575_77:                             ;   in Loop: Header=BB575_67 Depth=2
	s_and_saveexec_b32 s62, s2
	s_cbranch_execz .LBB575_84
; %bb.78:                               ;   in Loop: Header=BB575_67 Depth=2
	s_and_not1_b32 vcc_lo, exec_lo, s34
	s_cbranch_vccnz .LBB575_81
; %bb.79:                               ;   in Loop: Header=BB575_67 Depth=2
	v_mov_b64_e32 v[36:37], v[22:23]
	s_mov_b64 s[8:9], 0
.LBB575_80:                             ;   Parent Loop BB575_3 Depth=1
                                        ;     Parent Loop BB575_67 Depth=2
                                        ; =>    This Inner Loop Header: Depth=3
	global_load_u16 v45, v[36:37], off
	s_cmp_eq_u32 s8, 3
	s_wait_xcnt 0x0
	v_add_nc_u64_e32 v[36:37], s[48:49], v[36:37]
	s_cselect_b32 vcc_lo, -1, 0
	s_cmp_eq_u32 s8, 2
	s_cselect_b32 s6, -1, 0
	s_cmp_eq_u32 s8, 1
	s_cselect_b32 s7, -1, 0
	s_cmp_eq_u32 s8, 0
	s_add_nc_u64 s[8:9], s[8:9], 1
	s_wait_loadcnt 0x0
	v_lshlrev_b32_e32 v45, 16, v45
	s_delay_alu instid0(VALU_DEP_1) | instskip(SKIP_1) | instid1(SALU_CYCLE_1)
	v_dual_cndmask_b32 v5, v5, v45, vcc_lo :: v_dual_cndmask_b32 v4, v4, v45, s6
	s_cselect_b32 vcc_lo, -1, 0
	v_dual_cndmask_b32 v3, v3, v45, s7 :: v_dual_cndmask_b32 v2, v2, v45, vcc_lo
	s_cmp_eq_u32 s66, s8
	s_cbranch_scc0 .LBB575_80
.LBB575_81:                             ;   in Loop: Header=BB575_67 Depth=2
	s_and_not1_b32 vcc_lo, exec_lo, s34
	s_cbranch_vccnz .LBB575_84
; %bb.82:                               ;   in Loop: Header=BB575_67 Depth=2
	v_mov_b64_e32 v[36:37], v[34:35]
	s_mov_b64 s[6:7], 0
.LBB575_83:                             ;   Parent Loop BB575_3 Depth=1
                                        ;     Parent Loop BB575_67 Depth=2
                                        ; =>    This Inner Loop Header: Depth=3
	global_load_u16 v45, v[36:37], off
	s_cmp_eq_u32 s6, 1
	s_wait_xcnt 0x0
	v_add_nc_u64_e32 v[36:37], 2, v[36:37]
	s_cselect_b32 vcc_lo, -1, 0
	s_cmp_eq_u32 s6, 2
	v_cndmask_b32_e32 v46, v2, v3, vcc_lo
	s_cselect_b32 vcc_lo, -1, 0
	s_cmp_eq_u32 s6, 3
	s_add_nc_u64 s[6:7], s[6:7], 1
	s_delay_alu instid0(VALU_DEP_1) | instskip(SKIP_2) | instid1(VALU_DEP_1)
	v_cndmask_b32_e32 v46, v46, v4, vcc_lo
	s_cselect_b32 vcc_lo, -1, 0
	s_cmp_lg_u32 s66, s6
	v_cndmask_b32_e32 v46, v46, v5, vcc_lo
	s_wait_loadcnt 0x0
	s_delay_alu instid0(VALU_DEP_1)
	v_fma_mix_f32_bf16 v6, v46, v45, v6 op_sel_hi:[0,1,0]
	s_cbranch_scc1 .LBB575_83
.LBB575_84:                             ;   in Loop: Header=BB575_67 Depth=2
	s_or_b32 exec_lo, exec_lo, s62
	s_delay_alu instid0(SALU_CYCLE_1)
	s_or_b32 exec_lo, exec_lo, s11
	s_and_saveexec_b32 s6, s3
	s_cbranch_execnz .LBB575_70
	s_branch .LBB575_71
.LBB575_85:                             ;   in Loop: Header=BB575_67 Depth=2
	ds_load_b32 v6, v40
	s_or_b32 exec_lo, exec_lo, s6
	s_and_saveexec_b32 s6, s3
	s_cbranch_execz .LBB575_75
.LBB575_86:                             ;   in Loop: Header=BB575_67 Depth=2
	s_wait_dscnt 0x0
	ds_bpermute_b32 v36, v7, v6
	s_wait_dscnt 0x0
	v_add_f32_e32 v6, v6, v36
	ds_bpermute_b32 v36, v38, v6
	s_wait_dscnt 0x0
	v_add_f32_e32 v6, v6, v36
	;; [unrolled: 3-line block ×3, first 2 shown]
	s_or_b32 exec_lo, exec_lo, s6
	s_and_saveexec_b32 s6, s0
	s_cbranch_execz .LBB575_66
.LBB575_87:                             ;   in Loop: Header=BB575_67 Depth=2
	s_mul_u64 s[8:9], s[28:29], s[36:37]
	s_wait_dscnt 0x0
	v_mul_f32_e32 v6, v44, v6
	s_lshl_b64 s[8:9], s[8:9], 2
	s_delay_alu instid0(SALU_CYCLE_1)
	s_add_nc_u64 s[8:9], s[60:61], s[8:9]
	global_store_b32 v0, v6, s[8:9]
	s_branch .LBB575_66
.LBB575_88:
	s_sendmsg sendmsg(MSG_DEALLOC_VGPRS)
	s_endpgm
	.section	.rodata,"a",@progbits
	.p2align	6, 0x0
	.amdhsa_kernel _ZL23rocblas_gemvt_sn_kernelILb1ELi256ELi4El16rocblas_bfloat16PKffEviiT4_lPKT3_lilS6_lilPT5_i
		.amdhsa_group_segment_fixed_size 128
		.amdhsa_private_segment_fixed_size 0
		.amdhsa_kernarg_size 360
		.amdhsa_user_sgpr_count 2
		.amdhsa_user_sgpr_dispatch_ptr 0
		.amdhsa_user_sgpr_queue_ptr 0
		.amdhsa_user_sgpr_kernarg_segment_ptr 1
		.amdhsa_user_sgpr_dispatch_id 0
		.amdhsa_user_sgpr_kernarg_preload_length 0
		.amdhsa_user_sgpr_kernarg_preload_offset 0
		.amdhsa_user_sgpr_private_segment_size 0
		.amdhsa_wavefront_size32 1
		.amdhsa_uses_dynamic_stack 0
		.amdhsa_enable_private_segment 0
		.amdhsa_system_sgpr_workgroup_id_x 1
		.amdhsa_system_sgpr_workgroup_id_y 0
		.amdhsa_system_sgpr_workgroup_id_z 1
		.amdhsa_system_sgpr_workgroup_info 0
		.amdhsa_system_vgpr_workitem_id 0
		.amdhsa_next_free_vgpr 68
		.amdhsa_next_free_sgpr 74
		.amdhsa_named_barrier_count 0
		.amdhsa_reserve_vcc 1
		.amdhsa_float_round_mode_32 0
		.amdhsa_float_round_mode_16_64 0
		.amdhsa_float_denorm_mode_32 3
		.amdhsa_float_denorm_mode_16_64 3
		.amdhsa_fp16_overflow 0
		.amdhsa_memory_ordered 1
		.amdhsa_forward_progress 1
		.amdhsa_inst_pref_size 33
		.amdhsa_round_robin_scheduling 0
		.amdhsa_exception_fp_ieee_invalid_op 0
		.amdhsa_exception_fp_denorm_src 0
		.amdhsa_exception_fp_ieee_div_zero 0
		.amdhsa_exception_fp_ieee_overflow 0
		.amdhsa_exception_fp_ieee_underflow 0
		.amdhsa_exception_fp_ieee_inexact 0
		.amdhsa_exception_int_div_zero 0
	.end_amdhsa_kernel
	.section	.text._ZL23rocblas_gemvt_sn_kernelILb1ELi256ELi4El16rocblas_bfloat16PKffEviiT4_lPKT3_lilS6_lilPT5_i,"axG",@progbits,_ZL23rocblas_gemvt_sn_kernelILb1ELi256ELi4El16rocblas_bfloat16PKffEviiT4_lPKT3_lilS6_lilPT5_i,comdat
.Lfunc_end575:
	.size	_ZL23rocblas_gemvt_sn_kernelILb1ELi256ELi4El16rocblas_bfloat16PKffEviiT4_lPKT3_lilS6_lilPT5_i, .Lfunc_end575-_ZL23rocblas_gemvt_sn_kernelILb1ELi256ELi4El16rocblas_bfloat16PKffEviiT4_lPKT3_lilS6_lilPT5_i
                                        ; -- End function
	.set _ZL23rocblas_gemvt_sn_kernelILb1ELi256ELi4El16rocblas_bfloat16PKffEviiT4_lPKT3_lilS6_lilPT5_i.num_vgpr, 68
	.set _ZL23rocblas_gemvt_sn_kernelILb1ELi256ELi4El16rocblas_bfloat16PKffEviiT4_lPKT3_lilS6_lilPT5_i.num_agpr, 0
	.set _ZL23rocblas_gemvt_sn_kernelILb1ELi256ELi4El16rocblas_bfloat16PKffEviiT4_lPKT3_lilS6_lilPT5_i.numbered_sgpr, 74
	.set _ZL23rocblas_gemvt_sn_kernelILb1ELi256ELi4El16rocblas_bfloat16PKffEviiT4_lPKT3_lilS6_lilPT5_i.num_named_barrier, 0
	.set _ZL23rocblas_gemvt_sn_kernelILb1ELi256ELi4El16rocblas_bfloat16PKffEviiT4_lPKT3_lilS6_lilPT5_i.private_seg_size, 0
	.set _ZL23rocblas_gemvt_sn_kernelILb1ELi256ELi4El16rocblas_bfloat16PKffEviiT4_lPKT3_lilS6_lilPT5_i.uses_vcc, 1
	.set _ZL23rocblas_gemvt_sn_kernelILb1ELi256ELi4El16rocblas_bfloat16PKffEviiT4_lPKT3_lilS6_lilPT5_i.uses_flat_scratch, 0
	.set _ZL23rocblas_gemvt_sn_kernelILb1ELi256ELi4El16rocblas_bfloat16PKffEviiT4_lPKT3_lilS6_lilPT5_i.has_dyn_sized_stack, 0
	.set _ZL23rocblas_gemvt_sn_kernelILb1ELi256ELi4El16rocblas_bfloat16PKffEviiT4_lPKT3_lilS6_lilPT5_i.has_recursion, 0
	.set _ZL23rocblas_gemvt_sn_kernelILb1ELi256ELi4El16rocblas_bfloat16PKffEviiT4_lPKT3_lilS6_lilPT5_i.has_indirect_call, 0
	.section	.AMDGPU.csdata,"",@progbits
; Kernel info:
; codeLenInByte = 4148
; TotalNumSgprs: 76
; NumVgprs: 68
; ScratchSize: 0
; MemoryBound: 0
; FloatMode: 240
; IeeeMode: 1
; LDSByteSize: 128 bytes/workgroup (compile time only)
; SGPRBlocks: 0
; VGPRBlocks: 4
; NumSGPRsForWavesPerEU: 76
; NumVGPRsForWavesPerEU: 68
; NamedBarCnt: 0
; Occupancy: 12
; WaveLimiterHint : 0
; COMPUTE_PGM_RSRC2:SCRATCH_EN: 0
; COMPUTE_PGM_RSRC2:USER_SGPR: 2
; COMPUTE_PGM_RSRC2:TRAP_HANDLER: 0
; COMPUTE_PGM_RSRC2:TGID_X_EN: 1
; COMPUTE_PGM_RSRC2:TGID_Y_EN: 0
; COMPUTE_PGM_RSRC2:TGID_Z_EN: 1
; COMPUTE_PGM_RSRC2:TIDIG_COMP_CNT: 0
	.section	.text._ZL23rocblas_gemvt_sn_kernelILb1ELi256ELi4Ei16rocblas_bfloat16ffEviiT4_lPKT3_lilS4_lilPT5_i,"axG",@progbits,_ZL23rocblas_gemvt_sn_kernelILb1ELi256ELi4Ei16rocblas_bfloat16ffEviiT4_lPKT3_lilS4_lilPT5_i,comdat
	.globl	_ZL23rocblas_gemvt_sn_kernelILb1ELi256ELi4Ei16rocblas_bfloat16ffEviiT4_lPKT3_lilS4_lilPT5_i ; -- Begin function _ZL23rocblas_gemvt_sn_kernelILb1ELi256ELi4Ei16rocblas_bfloat16ffEviiT4_lPKT3_lilS4_lilPT5_i
	.p2align	8
	.type	_ZL23rocblas_gemvt_sn_kernelILb1ELi256ELi4Ei16rocblas_bfloat16ffEviiT4_lPKT3_lilS4_lilPT5_i,@function
_ZL23rocblas_gemvt_sn_kernelILb1ELi256ELi4Ei16rocblas_bfloat16ffEviiT4_lPKT3_lilS4_lilPT5_i: ; @_ZL23rocblas_gemvt_sn_kernelILb1ELi256ELi4Ei16rocblas_bfloat16ffEviiT4_lPKT3_lilS4_lilPT5_i
; %bb.0:
	s_load_b32 s11, s[0:1], 0x60
	s_bfe_u32 s2, ttmp6, 0x40014
	s_lshr_b32 s3, ttmp7, 16
	s_add_co_i32 s2, s2, 1
	s_bfe_u32 s4, ttmp6, 0x40008
	s_mul_i32 s2, s3, s2
	s_getreg_b32 s25, hwreg(HW_REG_IB_STS2, 6, 4)
	s_add_co_i32 s4, s4, s2
	s_cmp_eq_u32 s25, 0
	s_mov_b32 s27, 0
	s_cselect_b32 s24, s3, s4
	s_wait_kmcnt 0x0
	s_cmp_ge_u32 s24, s11
	s_cbranch_scc1 .LBB576_88
; %bb.1:
	s_clause 0x6
	s_load_b96 s[8:10], s[0:1], 0x40
	s_load_b128 s[4:7], s[0:1], 0x18
	s_load_b96 s[20:22], s[0:1], 0x0
	s_load_b32 s28, s[0:1], 0x28
	s_load_b128 s[12:15], s[0:1], 0x30
	s_load_b128 s[16:19], s[0:1], 0x50
	s_load_b32 s30, s[0:1], 0x68
	s_wait_xcnt 0x0
	v_cmp_eq_u32_e64 s0, 0, v0
	v_dual_lshrrev_b32 v2, 3, v0 :: v_dual_bitop2_b32 v1, 31, v0 bitop3:0x40
	v_cmp_gt_u32_e64 s1, 32, v0
	v_cmp_gt_u32_e64 s2, 8, v0
	v_mbcnt_lo_u32_b32 v38, -1, 0
	s_delay_alu instid0(VALU_DEP_4)
	v_cmp_eq_u32_e64 s3, 0, v1
	v_dual_lshlrev_b32 v36, 2, v1 :: v_dual_bitop2_b32 v37, 28, v2 bitop3:0x40
	v_mov_b64_e32 v[18:19], 0
	s_mov_b32 s31, s27
	s_mov_b32 s35, s27
	v_lshl_or_b32 v39, v38, 2, 64
	s_wait_kmcnt 0x0
	s_lshl_b64 s[8:9], s[8:9], 1
	s_lshl_b64 s[6:7], s[6:7], 1
	s_ashr_i32 s45, s21, 31
	s_cmp_eq_f32 s22, 0
	s_add_nc_u64 s[14:15], s[14:15], s[8:9]
	s_add_nc_u64 s[4:5], s[4:5], s[6:7]
	s_mov_b32 s44, s21
	s_cselect_b32 s23, -1, 0
	s_cmp_gt_i32 s21, 0
	s_mul_u64 s[36:37], s[44:45], s[30:31]
	s_cselect_b32 s8, -1, 0
	s_bfe_u32 s9, ttmp6, 0x4000c
	s_and_b32 s6, ttmp6, 15
	s_add_co_i32 s9, s9, 1
	s_and_b32 s33, s0, s8
	s_mul_i32 s7, ttmp9, s9
	s_mov_b32 s29, s27
	s_add_co_i32 s6, s6, s7
	s_cmp_eq_u32 s25, 0
	s_mov_b32 s49, s27
	s_cselect_b32 s34, ttmp9, s6
	s_ashr_i32 s7, s20, 31
	s_lshl_b32 s8, s34, 10
	s_lshr_b32 s6, s45, 30
	v_lshl_or_b32 v0, v0, 2, s8
	s_lshr_b32 s7, s7, 30
	s_add_co_i32 s6, s21, s6
	s_add_co_i32 s7, s20, s7
	s_and_b32 s68, s6, -4
	v_mul_lo_u32 v8, s10, v0
	s_and_b32 s6, s7, -4
	v_dual_ashrrev_i32 v1, 31, v0 :: v_dual_add_nc_u32 v2, 4, v0
	s_sub_co_i32 s69, s20, s6
	s_cmp_gt_i32 s68, 0
	s_cselect_b32 s70, -1, 0
	s_cmp_gt_i32 s69, 0
	v_lshl_add_u64 v[10:11], v[0:1], 1, s[4:5]
	s_cselect_b32 s71, -1, 0
	s_delay_alu instid0(VALU_DEP_3)
	v_dual_add_nc_u32 v12, s10, v8 :: v_dual_ashrrev_i32 v9, 31, v8
	s_cmp_gt_u32 s21, 1
	v_cmp_ge_i32_e64 s4, s20, v2
	s_cselect_b32 s6, -1, 0
	v_dual_add_nc_u32 v14, s10, v12 :: v_dual_ashrrev_i32 v13, 31, v12
	v_add_nc_u32_e32 v3, s69, v0
	s_cmp_eq_u32 s30, 1
	v_mov_b32_e32 v0, 0
	s_cselect_b32 s7, -1, 0
	v_add_nc_u32_e32 v16, s10, v14
	v_cmp_ge_i32_e64 s5, s20, v3
	s_and_b32 s20, s21, 0x7ffffffe
	s_and_b32 s72, s6, s7
	s_cmp_lg_u32 s21, s20
	v_dual_ashrrev_i32 v15, 31, v14 :: v_dual_ashrrev_i32 v17, 31, v16
	s_cselect_b32 s73, -1, 0
	s_lshl_b32 s26, s28, 1
	s_lshl_b64 s[38:39], s[34:35], 2
	s_mov_b64 s[50:51], s[26:27]
	s_mul_i32 s26, s28, 3
	s_add_nc_u64 s[40:41], s[18:19], s[38:39]
	s_lshl_b64 s[42:43], s[36:37], 2
	s_lshl_b64 s[44:45], s[44:45], 2
	;; [unrolled: 1-line block ×3, first 2 shown]
	s_lshl_b32 s48, s28, 2
	s_mov_b64 s[52:53], s[26:27]
	s_lshl_b64 s[54:55], s[12:13], 1
	s_branch .LBB576_3
.LBB576_2:                              ;   in Loop: Header=BB576_3 Depth=1
	s_add_co_i32 s24, s24, 0x10000
	s_delay_alu instid0(SALU_CYCLE_1)
	s_cmp_lt_u32 s24, s11
	s_cbranch_scc0 .LBB576_88
.LBB576_3:                              ; =>This Loop Header: Depth=1
                                        ;     Child Loop BB576_7 Depth 2
                                        ;     Child Loop BB576_11 Depth 2
	;; [unrolled: 1-line block ×3, first 2 shown]
                                        ;       Child Loop BB576_48 Depth 3
                                        ;       Child Loop BB576_51 Depth 3
                                        ;     Child Loop BB576_67 Depth 2
                                        ;       Child Loop BB576_80 Depth 3
                                        ;       Child Loop BB576_83 Depth 3
	s_mov_b32 s25, s27
	s_and_not1_b32 vcc_lo, exec_lo, s23
	s_mov_b32 s6, -1
	s_cbranch_vccnz .LBB576_13
; %bb.4:                                ;   in Loop: Header=BB576_3 Depth=1
	s_and_saveexec_b32 s8, s33
	s_cbranch_execz .LBB576_12
; %bb.5:                                ;   in Loop: Header=BB576_3 Depth=1
	s_and_not1_b32 vcc_lo, exec_lo, s72
	s_cbranch_vccnz .LBB576_9
; %bb.6:                                ;   in Loop: Header=BB576_3 Depth=1
	s_mul_u64 s[6:7], s[42:43], s[24:25]
	s_mov_b32 s9, s20
	s_add_nc_u64 s[6:7], s[40:41], s[6:7]
.LBB576_7:                              ;   Parent Loop BB576_3 Depth=1
                                        ; =>  This Inner Loop Header: Depth=2
	s_add_co_i32 s9, s9, -2
	global_store_b64 v0, v[18:19], s[6:7]
	s_wait_xcnt 0x0
	s_add_nc_u64 s[6:7], s[6:7], 8
	s_mov_b32 s26, s20
	s_cmp_lg_u32 s9, 0
	s_mov_b32 s35, s73
	s_cbranch_scc1 .LBB576_7
; %bb.8:                                ;   in Loop: Header=BB576_3 Depth=1
	s_and_b32 vcc_lo, exec_lo, s35
	s_cbranch_vccnz .LBB576_10
	s_branch .LBB576_12
.LBB576_9:                              ;   in Loop: Header=BB576_3 Depth=1
	s_mov_b32 s26, 0
	s_cbranch_execz .LBB576_12
.LBB576_10:                             ;   in Loop: Header=BB576_3 Depth=1
	s_mul_u64 s[6:7], s[44:45], s[24:25]
	s_lshl_b64 s[56:57], s[26:27], 2
	s_sub_co_i32 s9, s21, s26
	s_add_nc_u64 s[6:7], s[6:7], s[56:57]
	s_delay_alu instid0(SALU_CYCLE_1) | instskip(NEXT) | instid1(SALU_CYCLE_1)
	s_mul_u64 s[6:7], s[30:31], s[6:7]
	s_add_nc_u64 s[6:7], s[40:41], s[6:7]
.LBB576_11:                             ;   Parent Loop BB576_3 Depth=1
                                        ; =>  This Inner Loop Header: Depth=2
	s_add_co_i32 s9, s9, -1
	global_store_b32 v0, v0, s[6:7]
	s_cmp_eq_u32 s9, 0
	s_wait_xcnt 0x0
	s_add_nc_u64 s[6:7], s[6:7], s[46:47]
	s_cbranch_scc0 .LBB576_11
.LBB576_12:                             ;   in Loop: Header=BB576_3 Depth=1
	s_or_b32 exec_lo, exec_lo, s8
	s_mov_b32 s6, 0
.LBB576_13:                             ;   in Loop: Header=BB576_3 Depth=1
	s_delay_alu instid0(SALU_CYCLE_1)
	s_and_not1_b32 vcc_lo, exec_lo, s6
	s_cbranch_vccnz .LBB576_2
; %bb.14:                               ;   in Loop: Header=BB576_3 Depth=1
	s_mul_u64 s[6:7], s[16:17], s[24:25]
	s_mul_u64 s[8:9], s[54:55], s[24:25]
	s_lshl_b64 s[6:7], s[6:7], 1
	s_mul_u64 s[58:59], s[12:13], s[24:25]
	s_add_nc_u64 s[56:57], s[14:15], s[6:7]
	v_add_nc_u64_e32 v[30:31], s[8:9], v[10:11]
	s_mul_u64 s[60:61], s[36:37], s[24:25]
	v_lshl_add_u64 v[20:21], s[58:59], 1, v[10:11]
	v_lshl_add_u64 v[22:23], v[8:9], 1, s[56:57]
	v_lshl_add_u64 v[24:25], v[12:13], 1, s[56:57]
	v_lshl_add_u64 v[26:27], v[14:15], 1, s[56:57]
	v_lshl_add_u64 v[28:29], v[16:17], 1, s[56:57]
	v_cmp_gt_u32_e64 s9, 24, v38
	v_cmp_gt_u32_e64 s8, 28, v38
	;; [unrolled: 1-line block ×3, first 2 shown]
	v_cmp_ne_u32_e64 s6, 31, v38
	s_lshl_b64 s[58:59], s[60:61], 2
	s_and_not1_b32 vcc_lo, exec_lo, s70
	s_add_nc_u64 s[58:59], s[18:19], s[58:59]
	s_cbranch_vccnz .LBB576_63
; %bb.15:                               ;   in Loop: Header=BB576_3 Depth=1
	v_cndmask_b32_e64 v1, 0, 8, s9
	v_cndmask_b32_e64 v4, 0, 4, s8
	;; [unrolled: 1-line block ×3, first 2 shown]
	s_wait_dscnt 0x0
	v_add_co_ci_u32_e64 v6, null, 0, v38, s6
	v_add_lshl_u32 v40, v1, v38, 2
	v_dual_mov_b32 v1, v0 :: v_dual_mov_b32 v2, v0
	s_delay_alu instid0(VALU_DEP_3) | instskip(SKIP_3) | instid1(VALU_DEP_3)
	v_dual_mov_b32 v3, v0 :: v_dual_lshlrev_b32 v43, 2, v6
	v_add_lshl_u32 v41, v4, v38, 2
	v_add_lshl_u32 v42, v5, v38, 2
	s_mov_b32 s60, 0
	v_mov_b64_e32 v[4:5], v[2:3]
	v_mov_b64_e32 v[2:3], v[0:1]
	s_mov_b64 s[8:9], s[52:53]
	s_mov_b64 s[62:63], s[50:51]
	;; [unrolled: 1-line block ×3, first 2 shown]
	s_mov_b32 s26, s60
	s_branch .LBB576_17
.LBB576_16:                             ;   in Loop: Header=BB576_17 Depth=2
	s_wait_xcnt 0x0
	s_or_b32 exec_lo, exec_lo, s6
	s_add_co_i32 s26, s26, 4
	s_add_co_i32 s60, s60, s48
	s_add_nc_u64 s[64:65], s[64:65], s[48:49]
	s_add_nc_u64 s[62:63], s[62:63], s[48:49]
	s_cmp_ge_i32 s26, s68
	s_add_nc_u64 s[8:9], s[8:9], s[48:49]
	s_cbranch_scc1 .LBB576_64
.LBB576_17:                             ;   Parent Loop BB576_3 Depth=1
                                        ; =>  This Loop Header: Depth=2
                                        ;       Child Loop BB576_48 Depth 3
                                        ;       Child Loop BB576_51 Depth 3
                                        ; implicit-def: $vgpr7
                                        ; implicit-def: $vgpr33
	s_and_saveexec_b32 s6, s4
	s_delay_alu instid0(SALU_CYCLE_1)
	s_xor_b32 s6, exec_lo, s6
	s_cbranch_execnz .LBB576_44
; %bb.18:                               ;   in Loop: Header=BB576_17 Depth=2
	s_and_not1_saveexec_b32 s25, s6
	s_cbranch_execnz .LBB576_45
.LBB576_19:                             ;   in Loop: Header=BB576_17 Depth=2
	s_or_b32 exec_lo, exec_lo, s25
	s_and_saveexec_b32 s6, s1
.LBB576_20:                             ;   in Loop: Header=BB576_17 Depth=2
	ds_store_b32 v36, v0
.LBB576_21:                             ;   in Loop: Header=BB576_17 Depth=2
	s_or_b32 exec_lo, exec_lo, s6
	ds_bpermute_b32 v1, v39, v32
	s_wait_storecnt_dscnt 0x0
	s_barrier_signal -1
	s_barrier_wait -1
	v_add_f32_e32 v1, v32, v1
	ds_bpermute_b32 v32, v40, v1
	s_wait_dscnt 0x0
	v_add_f32_e32 v1, v1, v32
	ds_bpermute_b32 v32, v41, v1
	s_wait_dscnt 0x0
	;; [unrolled: 3-line block ×3, first 2 shown]
	v_add_f32_e32 v1, v1, v32
	ds_bpermute_b32 v32, v43, v1
	s_and_saveexec_b32 s6, s3
	s_cbranch_execz .LBB576_23
; %bb.22:                               ;   in Loop: Header=BB576_17 Depth=2
	s_wait_dscnt 0x0
	v_add_f32_e32 v1, v1, v32
	ds_store_b32 v37, v1
.LBB576_23:                             ;   in Loop: Header=BB576_17 Depth=2
	s_or_b32 exec_lo, exec_lo, s6
	v_mov_b32_e32 v1, 0
	s_wait_dscnt 0x0
	s_barrier_signal -1
	s_barrier_wait -1
	s_and_saveexec_b32 s6, s2
	s_cbranch_execnz .LBB576_52
; %bb.24:                               ;   in Loop: Header=BB576_17 Depth=2
	s_or_b32 exec_lo, exec_lo, s6
	s_and_saveexec_b32 s6, s1
	s_cbranch_execnz .LBB576_53
.LBB576_25:                             ;   in Loop: Header=BB576_17 Depth=2
	s_or_b32 exec_lo, exec_lo, s6
	s_and_saveexec_b32 s6, s1
.LBB576_26:                             ;   in Loop: Header=BB576_17 Depth=2
	ds_store_b32 v36, v0
.LBB576_27:                             ;   in Loop: Header=BB576_17 Depth=2
	s_or_b32 exec_lo, exec_lo, s6
	ds_bpermute_b32 v32, v39, v33
	s_wait_dscnt 0x0
	s_barrier_signal -1
	s_barrier_wait -1
	v_add_f32_e32 v32, v33, v32
	ds_bpermute_b32 v33, v40, v32
	s_wait_dscnt 0x0
	v_add_f32_e32 v32, v32, v33
	ds_bpermute_b32 v33, v41, v32
	s_wait_dscnt 0x0
	;; [unrolled: 3-line block ×3, first 2 shown]
	v_add_f32_e32 v32, v32, v33
	ds_bpermute_b32 v33, v43, v32
	s_and_saveexec_b32 s6, s3
	s_cbranch_execz .LBB576_29
; %bb.28:                               ;   in Loop: Header=BB576_17 Depth=2
	s_wait_dscnt 0x0
	v_add_f32_e32 v32, v32, v33
	ds_store_b32 v37, v32
.LBB576_29:                             ;   in Loop: Header=BB576_17 Depth=2
	s_or_b32 exec_lo, exec_lo, s6
	v_mov_b32_e32 v32, 0
	s_wait_dscnt 0x0
	s_barrier_signal -1
	s_barrier_wait -1
	s_and_saveexec_b32 s6, s2
	s_cbranch_execnz .LBB576_54
; %bb.30:                               ;   in Loop: Header=BB576_17 Depth=2
	s_or_b32 exec_lo, exec_lo, s6
	s_and_saveexec_b32 s6, s1
	s_cbranch_execnz .LBB576_55
.LBB576_31:                             ;   in Loop: Header=BB576_17 Depth=2
	s_or_b32 exec_lo, exec_lo, s6
	s_and_saveexec_b32 s6, s1
.LBB576_32:                             ;   in Loop: Header=BB576_17 Depth=2
	ds_store_b32 v36, v0
.LBB576_33:                             ;   in Loop: Header=BB576_17 Depth=2
	s_or_b32 exec_lo, exec_lo, s6
	ds_bpermute_b32 v33, v39, v6
	s_wait_dscnt 0x0
	s_barrier_signal -1
	s_barrier_wait -1
	v_add_f32_e32 v6, v6, v33
	ds_bpermute_b32 v33, v40, v6
	s_wait_dscnt 0x0
	v_add_f32_e32 v6, v6, v33
	ds_bpermute_b32 v33, v41, v6
	s_wait_dscnt 0x0
	;; [unrolled: 3-line block ×3, first 2 shown]
	v_add_f32_e32 v6, v6, v33
	ds_bpermute_b32 v33, v43, v6
	s_and_saveexec_b32 s6, s3
	s_cbranch_execz .LBB576_35
; %bb.34:                               ;   in Loop: Header=BB576_17 Depth=2
	s_wait_dscnt 0x0
	v_add_f32_e32 v6, v6, v33
	ds_store_b32 v37, v6
.LBB576_35:                             ;   in Loop: Header=BB576_17 Depth=2
	s_or_b32 exec_lo, exec_lo, s6
	v_mov_b32_e32 v6, 0
	s_wait_dscnt 0x0
	s_barrier_signal -1
	s_barrier_wait -1
	s_and_saveexec_b32 s6, s2
	s_cbranch_execnz .LBB576_56
; %bb.36:                               ;   in Loop: Header=BB576_17 Depth=2
	s_or_b32 exec_lo, exec_lo, s6
	s_and_saveexec_b32 s6, s1
	s_cbranch_execnz .LBB576_57
.LBB576_37:                             ;   in Loop: Header=BB576_17 Depth=2
	s_or_b32 exec_lo, exec_lo, s6
	s_and_saveexec_b32 s6, s1
.LBB576_38:                             ;   in Loop: Header=BB576_17 Depth=2
	ds_store_b32 v36, v0
.LBB576_39:                             ;   in Loop: Header=BB576_17 Depth=2
	s_or_b32 exec_lo, exec_lo, s6
	ds_bpermute_b32 v33, v39, v7
	s_wait_dscnt 0x0
	s_barrier_signal -1
	s_barrier_wait -1
	v_add_f32_e32 v7, v7, v33
	ds_bpermute_b32 v33, v40, v7
	s_wait_dscnt 0x0
	v_add_f32_e32 v7, v7, v33
	ds_bpermute_b32 v33, v41, v7
	s_wait_dscnt 0x0
	;; [unrolled: 3-line block ×3, first 2 shown]
	v_add_f32_e32 v7, v7, v33
	ds_bpermute_b32 v33, v43, v7
	s_and_saveexec_b32 s6, s3
	s_cbranch_execz .LBB576_41
; %bb.40:                               ;   in Loop: Header=BB576_17 Depth=2
	s_wait_dscnt 0x0
	v_add_f32_e32 v7, v7, v33
	ds_store_b32 v37, v7
.LBB576_41:                             ;   in Loop: Header=BB576_17 Depth=2
	s_or_b32 exec_lo, exec_lo, s6
	v_mov_b32_e32 v7, 0
	s_wait_dscnt 0x0
	s_barrier_signal -1
	s_barrier_wait -1
	s_and_saveexec_b32 s6, s2
	s_cbranch_execnz .LBB576_58
; %bb.42:                               ;   in Loop: Header=BB576_17 Depth=2
	s_or_b32 exec_lo, exec_lo, s6
	s_and_saveexec_b32 s6, s1
	s_cbranch_execnz .LBB576_59
.LBB576_43:                             ;   in Loop: Header=BB576_17 Depth=2
	s_or_b32 exec_lo, exec_lo, s6
	s_and_saveexec_b32 s6, s0
	s_cbranch_execz .LBB576_16
	s_branch .LBB576_60
.LBB576_44:                             ;   in Loop: Header=BB576_17 Depth=2
	s_mul_i32 s66, s26, s28
	s_clause 0x3
	global_load_u16 v1, v[22:23], off
	global_load_u16 v44, v[24:25], off
	;; [unrolled: 1-line block ×4, first 2 shown]
	s_ashr_i32 s67, s66, 31
	s_add_co_i32 s74, s66, s28
	v_lshl_add_u64 v[2:3], s[66:67], 1, v[20:21]
	s_add_co_i32 s66, s74, s28
	s_ashr_i32 s75, s74, 31
	s_add_co_i32 s76, s66, s28
	s_ashr_i32 s67, s66, 31
	s_ashr_i32 s77, s76, 31
	v_lshl_add_u64 v[4:5], s[66:67], 1, v[20:21]
	s_wait_dscnt 0x0
	v_lshl_add_u64 v[6:7], s[76:77], 1, v[20:21]
	s_clause 0x2
	global_load_b64 v[32:33], v[2:3], off
	global_load_b64 v[4:5], v[4:5], off
	;; [unrolled: 1-line block ×3, first 2 shown]
	s_wait_xcnt 0x2
	v_lshl_add_u64 v[2:3], s[74:75], 1, v[20:21]
	global_load_b64 v[34:35], v[2:3], off
	s_wait_loadcnt 0x6
	s_wait_xcnt 0x0
	v_dual_lshlrev_b32 v2, 16, v1 :: v_dual_lshlrev_b32 v45, 16, v44
	s_wait_loadcnt 0x4
	v_dual_lshlrev_b32 v48, 16, v46 :: v_dual_lshlrev_b32 v47, 16, v47
	s_delay_alu instid0(VALU_DEP_1)
	v_dual_mov_b32 v50, v45 :: v_dual_mov_b32 v52, v47
	s_wait_loadcnt 0x3
	v_dual_lshlrev_b32 v54, 16, v32 :: v_dual_lshlrev_b32 v56, 16, v33
	s_wait_loadcnt 0x1
	v_dual_lshlrev_b32 v1, 16, v4 :: v_dual_lshlrev_b32 v44, 16, v6
	v_and_b32_e32 v3, 0xffff0000, v6
	v_and_b32_e32 v51, 0xffff0000, v4
	v_dual_lshlrev_b32 v53, 16, v5 :: v_dual_lshlrev_b32 v46, 16, v7
	v_and_b32_e32 v62, 0xffff0000, v5
	s_delay_alu instid0(VALU_DEP_4) | instskip(SKIP_3) | instid1(VALU_DEP_3)
	v_pk_mul_f32 v[4:5], v[44:45], v[2:3]
	v_and_b32_e32 v49, 0xffff0000, v7
	s_wait_loadcnt 0x0
	v_dual_mul_f32 v6, v2, v1 :: v_dual_lshlrev_b32 v55, 16, v34
	v_dual_mov_b32 v3, v45 :: v_dual_mov_b32 v7, v4
	v_and_b32_e32 v32, 0xffff0000, v32
	v_and_b32_e32 v58, 0xffff0000, v33
	;; [unrolled: 1-line block ×3, first 2 shown]
	v_dual_mul_f32 v4, v45, v51 :: v_dual_mul_f32 v60, v48, v53
	v_pk_mul_f32 v[44:45], v[46:47], v[48:49]
	v_pk_add_f32 v[6:7], v[6:7], 0 op_sel_hi:[1,0]
	v_pk_fma_f32 v[54:55], v[2:3], v[54:55], 0 op_sel_hi:[0,1,0]
	v_lshlrev_b32_e32 v57, 16, v35
	v_and_b32_e32 v59, 0xffff0000, v35
	v_mov_b32_e32 v61, v44
	v_pk_add_f32 v[4:5], v[6:7], v[4:5]
	v_pk_fma_f32 v[6:7], v[50:51], v[32:33], v[54:55] op_sel_hi:[0,1,1]
	v_mul_f32_e32 v44, v47, v62
	s_delay_alu instid0(VALU_DEP_3) | instskip(NEXT) | instid1(VALU_DEP_3)
	v_pk_add_f32 v[32:33], v[4:5], v[60:61]
	v_pk_fma_f32 v[34:35], v[48:49], v[56:57], v[6:7] op_sel_hi:[0,1,1]
	v_dual_mov_b32 v4, v48 :: v_dual_mov_b32 v5, v47
	s_delay_alu instid0(VALU_DEP_3) | instskip(NEXT) | instid1(VALU_DEP_3)
	v_pk_add_f32 v[6:7], v[32:33], v[44:45]
	v_pk_fma_f32 v[32:33], v[52:53], v[58:59], v[34:35] op_sel_hi:[0,1,1]
	s_and_not1_saveexec_b32 s25, s6
	s_cbranch_execz .LBB576_19
.LBB576_45:                             ;   in Loop: Header=BB576_17 Depth=2
	s_wait_dscnt 0x0
	v_dual_mov_b32 v7, 0 :: v_dual_mov_b32 v6, 0
	v_dual_mov_b32 v33, 0 :: v_dual_mov_b32 v32, 0
	s_and_saveexec_b32 s35, s5
	s_cbranch_execz .LBB576_62
; %bb.46:                               ;   in Loop: Header=BB576_17 Depth=2
	s_and_not1_b32 vcc_lo, exec_lo, s71
	s_cbranch_vccnz .LBB576_49
; %bb.47:                               ;   in Loop: Header=BB576_17 Depth=2
	v_mov_b32_e32 v1, v8
	s_mov_b64 s[66:67], 0
.LBB576_48:                             ;   Parent Loop BB576_3 Depth=1
                                        ;     Parent Loop BB576_17 Depth=2
                                        ; =>    This Inner Loop Header: Depth=3
	global_load_u16 v6, v1, s[56:57] scale_offset
	s_cmp_eq_u32 s66, 3
	s_wait_xcnt 0x0
	v_add_nc_u32_e32 v1, s10, v1
	s_cselect_b32 vcc_lo, -1, 0
	s_cmp_eq_u32 s66, 2
	s_cselect_b32 s6, -1, 0
	s_cmp_eq_u32 s66, 1
	s_cselect_b32 s7, -1, 0
	s_cmp_eq_u32 s66, 0
	s_add_nc_u64 s[66:67], s[66:67], 1
	s_wait_loadcnt 0x0
	v_lshlrev_b32_e32 v6, 16, v6
	s_delay_alu instid0(VALU_DEP_1) | instskip(SKIP_1) | instid1(SALU_CYCLE_1)
	v_dual_cndmask_b32 v5, v5, v6, vcc_lo :: v_dual_cndmask_b32 v4, v4, v6, s6
	s_cselect_b32 vcc_lo, -1, 0
	v_dual_cndmask_b32 v3, v3, v6, s7 :: v_dual_cndmask_b32 v2, v2, v6, vcc_lo
	s_cmp_eq_u32 s69, s66
	s_cbranch_scc0 .LBB576_48
.LBB576_49:                             ;   in Loop: Header=BB576_17 Depth=2
	s_and_not1_b32 vcc_lo, exec_lo, s71
	s_cbranch_vccnz .LBB576_61
; %bb.50:                               ;   in Loop: Header=BB576_17 Depth=2
	v_mov_b32_e32 v32, 0
	s_ashr_i32 s61, s60, 31
	s_mov_b64 s[6:7], 0
	v_lshl_add_u64 v[34:35], s[60:61], 1, v[30:31]
	s_delay_alu instid0(VALU_DEP_2)
	v_dual_mov_b32 v33, v32 :: v_dual_mov_b32 v6, v32
	v_mov_b32_e32 v7, v32
.LBB576_51:                             ;   Parent Loop BB576_3 Depth=1
                                        ;     Parent Loop BB576_17 Depth=2
                                        ; =>    This Inner Loop Header: Depth=3
	s_cmp_eq_u32 s6, 1
	s_cselect_b32 vcc_lo, -1, 0
	s_cmp_eq_u32 s6, 2
	v_cndmask_b32_e32 v1, v2, v3, vcc_lo
	s_cselect_b32 vcc_lo, -1, 0
	s_cmp_eq_u32 s6, 3
	s_delay_alu instid0(VALU_DEP_1)
	v_cndmask_b32_e32 v1, v1, v4, vcc_lo
	s_cselect_b32 vcc_lo, -1, 0
	s_add_co_i32 s66, s64, s6
	s_add_co_i32 s76, s8, s6
	;; [unrolled: 1-line block ×3, first 2 shown]
	s_ashr_i32 s67, s66, 31
	s_ashr_i32 s77, s76, 31
	;; [unrolled: 1-line block ×3, first 2 shown]
	v_lshl_add_u64 v[44:45], s[66:67], 1, v[20:21]
	v_lshl_add_u64 v[46:47], s[76:77], 1, v[20:21]
	;; [unrolled: 1-line block ×3, first 2 shown]
	global_load_u16 v50, v[34:35], off
	s_clause 0x2
	global_load_u16 v45, v[44:45], off
	global_load_u16 v51, v[46:47], off
	;; [unrolled: 1-line block ×3, first 2 shown]
	s_wait_xcnt 0x3
	v_add_nc_u64_e32 v[34:35], 2, v[34:35]
	s_add_nc_u64 s[6:7], s[6:7], 1
	s_delay_alu instid0(SALU_CYCLE_1)
	s_cmp_lg_u32 s69, s6
	s_wait_loadcnt 0x2
	s_wait_xcnt 0x1
	v_dual_lshlrev_b32 v46, 16, v50 :: v_dual_lshlrev_b32 v47, 16, v45
	s_wait_loadcnt 0x1
	s_wait_xcnt 0x0
	v_dual_cndmask_b32 v44, v1, v5 :: v_dual_lshlrev_b32 v49, 16, v51
	s_wait_loadcnt 0x0
	v_lshlrev_b32_e32 v48, 16, v48
	s_delay_alu instid0(VALU_DEP_2) | instskip(NEXT) | instid1(VALU_DEP_2)
	v_pk_fma_f32 v[32:33], v[44:45], v[46:47], v[32:33] op_sel_hi:[0,1,1]
	v_pk_fma_f32 v[6:7], v[44:45], v[48:49], v[6:7] op_sel_hi:[0,1,1]
	s_cbranch_scc1 .LBB576_51
	s_branch .LBB576_62
.LBB576_52:                             ;   in Loop: Header=BB576_17 Depth=2
	ds_load_b32 v1, v36
	s_or_b32 exec_lo, exec_lo, s6
	s_and_saveexec_b32 s6, s1
	s_cbranch_execz .LBB576_25
.LBB576_53:                             ;   in Loop: Header=BB576_17 Depth=2
	s_wait_dscnt 0x0
	ds_bpermute_b32 v32, v41, v1
	s_wait_dscnt 0x0
	v_add_f32_e32 v1, v1, v32
	ds_bpermute_b32 v32, v42, v1
	s_wait_dscnt 0x0
	v_add_f32_e32 v1, v1, v32
	;; [unrolled: 3-line block ×3, first 2 shown]
	s_or_b32 exec_lo, exec_lo, s6
	s_and_saveexec_b32 s6, s1
	s_cbranch_execnz .LBB576_26
	s_branch .LBB576_27
.LBB576_54:                             ;   in Loop: Header=BB576_17 Depth=2
	ds_load_b32 v32, v36
	s_or_b32 exec_lo, exec_lo, s6
	s_and_saveexec_b32 s6, s1
	s_cbranch_execz .LBB576_31
.LBB576_55:                             ;   in Loop: Header=BB576_17 Depth=2
	s_wait_dscnt 0x0
	ds_bpermute_b32 v33, v41, v32
	s_wait_dscnt 0x0
	v_add_f32_e32 v32, v32, v33
	ds_bpermute_b32 v33, v42, v32
	s_wait_dscnt 0x0
	v_add_f32_e32 v32, v32, v33
	;; [unrolled: 3-line block ×3, first 2 shown]
	s_or_b32 exec_lo, exec_lo, s6
	s_and_saveexec_b32 s6, s1
	s_cbranch_execnz .LBB576_32
	s_branch .LBB576_33
.LBB576_56:                             ;   in Loop: Header=BB576_17 Depth=2
	ds_load_b32 v6, v36
	s_or_b32 exec_lo, exec_lo, s6
	s_and_saveexec_b32 s6, s1
	s_cbranch_execz .LBB576_37
.LBB576_57:                             ;   in Loop: Header=BB576_17 Depth=2
	s_wait_dscnt 0x0
	ds_bpermute_b32 v33, v41, v6
	s_wait_dscnt 0x0
	v_add_f32_e32 v6, v6, v33
	ds_bpermute_b32 v33, v42, v6
	s_wait_dscnt 0x0
	v_add_f32_e32 v6, v6, v33
	;; [unrolled: 3-line block ×3, first 2 shown]
	s_or_b32 exec_lo, exec_lo, s6
	s_and_saveexec_b32 s6, s1
	s_cbranch_execnz .LBB576_38
	s_branch .LBB576_39
.LBB576_58:                             ;   in Loop: Header=BB576_17 Depth=2
	ds_load_b32 v7, v36
	s_or_b32 exec_lo, exec_lo, s6
	s_and_saveexec_b32 s6, s1
	s_cbranch_execz .LBB576_43
.LBB576_59:                             ;   in Loop: Header=BB576_17 Depth=2
	s_wait_dscnt 0x0
	ds_bpermute_b32 v33, v41, v7
	s_wait_dscnt 0x0
	v_add_f32_e32 v7, v7, v33
	ds_bpermute_b32 v33, v42, v7
	s_wait_dscnt 0x0
	v_add_f32_e32 v7, v7, v33
	;; [unrolled: 3-line block ×3, first 2 shown]
	s_or_b32 exec_lo, exec_lo, s6
	s_and_saveexec_b32 s6, s0
	s_cbranch_execz .LBB576_16
.LBB576_60:                             ;   in Loop: Header=BB576_17 Depth=2
	s_mul_i32 s7, s26, s30
	v_dual_mul_f32 v1, s22, v1 :: v_dual_mul_f32 v32, s22, v32
	s_add_co_i32 s7, s7, s34
	s_delay_alu instid0(SALU_CYCLE_1) | instskip(NEXT) | instid1(SALU_CYCLE_1)
	s_add_co_i32 s25, s7, s30
	v_dual_mov_b32 v33, s7 :: v_dual_mov_b32 v34, s25
	s_add_co_i32 s7, s25, s30
	s_delay_alu instid0(SALU_CYCLE_1)
	v_dual_mul_f32 v6, s22, v6 :: v_dual_mov_b32 v35, s7
	s_add_co_i32 s7, s7, s30
	s_wait_dscnt 0x0
	v_dual_mul_f32 v7, s22, v7 :: v_dual_mov_b32 v44, s7
	s_clause 0x3
	global_store_b32 v33, v1, s[58:59] scale_offset
	global_store_b32 v34, v32, s[58:59] scale_offset
	;; [unrolled: 1-line block ×4, first 2 shown]
	s_branch .LBB576_16
.LBB576_61:                             ;   in Loop: Header=BB576_17 Depth=2
	v_mov_b32_e32 v7, 0
	s_delay_alu instid0(VALU_DEP_1)
	v_dual_mov_b32 v6, v7 :: v_dual_mov_b32 v33, v7
	v_mov_b32_e32 v32, v7
.LBB576_62:                             ;   in Loop: Header=BB576_17 Depth=2
	s_or_b32 exec_lo, exec_lo, s35
	s_delay_alu instid0(SALU_CYCLE_1)
	s_or_b32 exec_lo, exec_lo, s25
	s_and_saveexec_b32 s6, s1
	s_cbranch_execnz .LBB576_20
	s_branch .LBB576_21
.LBB576_63:                             ;   in Loop: Header=BB576_3 Depth=1
	v_dual_mov_b32 v1, v0 :: v_dual_mov_b32 v2, v0
	v_mov_b32_e32 v3, v0
	s_mov_b32 s26, 0
	s_delay_alu instid0(VALU_DEP_1) | instskip(NEXT) | instid1(VALU_DEP_3)
	v_mov_b64_e32 v[4:5], v[2:3]
	v_mov_b64_e32 v[2:3], v[0:1]
.LBB576_64:                             ;   in Loop: Header=BB576_3 Depth=1
	s_cmp_ge_i32 s26, s21
	s_cbranch_scc1 .LBB576_2
; %bb.65:                               ;   in Loop: Header=BB576_3 Depth=1
	v_cmp_gt_u32_e32 vcc_lo, 24, v38
	s_add_nc_u64 s[8:9], s[58:59], s[38:39]
	s_mul_i32 s58, s28, s26
	v_cndmask_b32_e64 v1, 0, 8, vcc_lo
	v_cmp_gt_u32_e32 vcc_lo, 28, v38
	s_delay_alu instid0(VALU_DEP_2) | instskip(SKIP_4) | instid1(VALU_DEP_2)
	v_add_lshl_u32 v1, v1, v38, 2
	s_wait_dscnt 0x0
	v_cndmask_b32_e64 v6, 0, 4, vcc_lo
	v_cmp_gt_u32_e32 vcc_lo, 30, v38
	s_wait_dscnt 0x0
	v_add_lshl_u32 v7, v6, v38, 2
	v_cndmask_b32_e64 v32, 0, 2, vcc_lo
	v_cmp_ne_u32_e32 vcc_lo, 31, v38
	s_delay_alu instid0(VALU_DEP_2) | instskip(SKIP_1) | instid1(VALU_DEP_1)
	v_add_lshl_u32 v34, v32, v38, 2
	v_add_co_ci_u32_e64 v33, null, 0, v38, vcc_lo
	v_lshlrev_b32_e32 v35, 2, v33
	s_branch .LBB576_67
.LBB576_66:                             ;   in Loop: Header=BB576_67 Depth=2
	s_wait_xcnt 0x0
	s_or_b32 exec_lo, exec_lo, s6
	s_add_co_i32 s26, s26, 1
	s_add_co_i32 s58, s58, s28
	s_cmp_ge_i32 s26, s21
	s_cbranch_scc1 .LBB576_2
.LBB576_67:                             ;   Parent Loop BB576_3 Depth=1
                                        ; =>  This Loop Header: Depth=2
                                        ;       Child Loop BB576_80 Depth 3
                                        ;       Child Loop BB576_83 Depth 3
	s_wait_dscnt 0x0
	v_mov_b32_e32 v6, s27
	s_and_saveexec_b32 s6, s4
	s_delay_alu instid0(SALU_CYCLE_1)
	s_xor_b32 s6, exec_lo, s6
	s_cbranch_execnz .LBB576_76
; %bb.68:                               ;   in Loop: Header=BB576_67 Depth=2
	s_and_not1_saveexec_b32 s25, s6
	s_cbranch_execnz .LBB576_77
.LBB576_69:                             ;   in Loop: Header=BB576_67 Depth=2
	s_or_b32 exec_lo, exec_lo, s25
	s_and_saveexec_b32 s6, s1
.LBB576_70:                             ;   in Loop: Header=BB576_67 Depth=2
	ds_store_b32 v36, v0
.LBB576_71:                             ;   in Loop: Header=BB576_67 Depth=2
	s_or_b32 exec_lo, exec_lo, s6
	ds_bpermute_b32 v32, v39, v6
	s_wait_storecnt_dscnt 0x0
	s_barrier_signal -1
	s_barrier_wait -1
	v_add_f32_e32 v6, v6, v32
	ds_bpermute_b32 v32, v1, v6
	s_wait_dscnt 0x0
	v_add_f32_e32 v6, v6, v32
	ds_bpermute_b32 v32, v7, v6
	s_wait_dscnt 0x0
	;; [unrolled: 3-line block ×3, first 2 shown]
	v_add_f32_e32 v6, v6, v32
	ds_bpermute_b32 v32, v35, v6
	s_and_saveexec_b32 s6, s3
	s_cbranch_execz .LBB576_73
; %bb.72:                               ;   in Loop: Header=BB576_67 Depth=2
	s_wait_dscnt 0x0
	v_add_f32_e32 v6, v6, v32
	ds_store_b32 v37, v6
.LBB576_73:                             ;   in Loop: Header=BB576_67 Depth=2
	s_or_b32 exec_lo, exec_lo, s6
	v_mov_b32_e32 v6, 0
	s_wait_dscnt 0x0
	s_barrier_signal -1
	s_barrier_wait -1
	s_and_saveexec_b32 s6, s2
	s_cbranch_execnz .LBB576_85
; %bb.74:                               ;   in Loop: Header=BB576_67 Depth=2
	s_or_b32 exec_lo, exec_lo, s6
	s_and_saveexec_b32 s6, s1
	s_cbranch_execnz .LBB576_86
.LBB576_75:                             ;   in Loop: Header=BB576_67 Depth=2
	s_or_b32 exec_lo, exec_lo, s6
	s_and_saveexec_b32 s6, s0
	s_cbranch_execz .LBB576_66
	s_branch .LBB576_87
.LBB576_76:                             ;   in Loop: Header=BB576_67 Depth=2
	s_mul_i32 s60, s26, s28
	s_delay_alu instid0(SALU_CYCLE_1) | instskip(NEXT) | instid1(SALU_CYCLE_1)
	s_ashr_i32 s61, s60, 31
	v_lshl_add_u64 v[2:3], s[60:61], 1, v[20:21]
	s_clause 0x1
	global_load_u16 v4, v[24:25], off
	global_load_u16 v5, v[22:23], off
	global_load_b64 v[32:33], v[2:3], off
	s_clause 0x1
	global_load_u16 v6, v[28:29], off
	global_load_u16 v42, v[26:27], off
	s_wait_loadcnt 0x3
	s_wait_xcnt 0x2
	v_dual_lshlrev_b32 v3, 16, v4 :: v_dual_lshlrev_b32 v2, 16, v5
	s_wait_loadcnt 0x2
	v_and_b32_e32 v5, 0xffff0000, v32
	v_lshlrev_b32_e32 v4, 16, v32
	v_and_b32_e32 v43, 0xffff0000, v33
	s_delay_alu instid0(VALU_DEP_2) | instskip(SKIP_3) | instid1(VALU_DEP_2)
	v_pk_mul_f32 v[40:41], v[2:3], v[4:5]
	s_wait_loadcnt 0x1
	v_lshlrev_b32_e32 v5, 16, v6
	s_wait_loadcnt 0x0
	v_dual_lshlrev_b32 v4, 16, v42 :: v_dual_add_f32 v6, 0, v40
	s_delay_alu instid0(VALU_DEP_1) | instskip(SKIP_1) | instid1(VALU_DEP_1)
	v_add_f32_e32 v6, v6, v41
	v_lshlrev_b32_e32 v42, 16, v33
	v_pk_mul_f32 v[32:33], v[4:5], v[42:43]
	s_delay_alu instid0(VALU_DEP_1) | instskip(NEXT) | instid1(VALU_DEP_1)
	v_add_f32_e32 v6, v6, v32
	v_add_f32_e32 v6, v6, v33
	s_wait_xcnt 0x0
	s_and_not1_saveexec_b32 s25, s6
	s_cbranch_execz .LBB576_69
.LBB576_77:                             ;   in Loop: Header=BB576_67 Depth=2
	s_and_saveexec_b32 s35, s5
	s_cbranch_execz .LBB576_84
; %bb.78:                               ;   in Loop: Header=BB576_67 Depth=2
	s_and_not1_b32 vcc_lo, exec_lo, s71
	s_cbranch_vccnz .LBB576_81
; %bb.79:                               ;   in Loop: Header=BB576_67 Depth=2
	v_mov_b32_e32 v32, v8
	s_mov_b64 s[60:61], 0
.LBB576_80:                             ;   Parent Loop BB576_3 Depth=1
                                        ;     Parent Loop BB576_67 Depth=2
                                        ; =>    This Inner Loop Header: Depth=3
	global_load_u16 v33, v32, s[56:57] scale_offset
	s_cmp_eq_u32 s60, 3
	s_wait_xcnt 0x0
	v_add_nc_u32_e32 v32, s10, v32
	s_cselect_b32 vcc_lo, -1, 0
	s_cmp_eq_u32 s60, 2
	s_cselect_b32 s6, -1, 0
	s_cmp_eq_u32 s60, 1
	s_cselect_b32 s7, -1, 0
	s_cmp_eq_u32 s60, 0
	s_add_nc_u64 s[60:61], s[60:61], 1
	s_wait_loadcnt 0x0
	v_lshlrev_b32_e32 v33, 16, v33
	s_delay_alu instid0(VALU_DEP_1) | instskip(SKIP_1) | instid1(SALU_CYCLE_1)
	v_dual_cndmask_b32 v5, v5, v33, vcc_lo :: v_dual_cndmask_b32 v4, v4, v33, s6
	s_cselect_b32 vcc_lo, -1, 0
	v_dual_cndmask_b32 v3, v3, v33, s7 :: v_dual_cndmask_b32 v2, v2, v33, vcc_lo
	s_cmp_eq_u32 s69, s60
	s_cbranch_scc0 .LBB576_80
.LBB576_81:                             ;   in Loop: Header=BB576_67 Depth=2
	s_and_not1_b32 vcc_lo, exec_lo, s71
	s_cbranch_vccnz .LBB576_84
; %bb.82:                               ;   in Loop: Header=BB576_67 Depth=2
	s_ashr_i32 s59, s58, 31
	s_mov_b64 s[6:7], 0
	v_lshl_add_u64 v[32:33], s[58:59], 1, v[30:31]
.LBB576_83:                             ;   Parent Loop BB576_3 Depth=1
                                        ;     Parent Loop BB576_67 Depth=2
                                        ; =>    This Inner Loop Header: Depth=3
	global_load_u16 v40, v[32:33], off
	s_cmp_eq_u32 s6, 1
	s_wait_xcnt 0x0
	v_add_nc_u64_e32 v[32:33], 2, v[32:33]
	s_cselect_b32 vcc_lo, -1, 0
	s_cmp_eq_u32 s6, 2
	v_cndmask_b32_e32 v41, v2, v3, vcc_lo
	s_cselect_b32 vcc_lo, -1, 0
	s_cmp_eq_u32 s6, 3
	s_add_nc_u64 s[6:7], s[6:7], 1
	s_delay_alu instid0(VALU_DEP_1) | instskip(SKIP_2) | instid1(VALU_DEP_1)
	v_cndmask_b32_e32 v41, v41, v4, vcc_lo
	s_cselect_b32 vcc_lo, -1, 0
	s_cmp_lg_u32 s69, s6
	v_cndmask_b32_e32 v41, v41, v5, vcc_lo
	s_wait_loadcnt 0x0
	s_delay_alu instid0(VALU_DEP_1)
	v_fma_mix_f32_bf16 v6, v41, v40, v6 op_sel_hi:[0,1,0]
	s_cbranch_scc1 .LBB576_83
.LBB576_84:                             ;   in Loop: Header=BB576_67 Depth=2
	s_or_b32 exec_lo, exec_lo, s35
	s_delay_alu instid0(SALU_CYCLE_1)
	s_or_b32 exec_lo, exec_lo, s25
	s_and_saveexec_b32 s6, s1
	s_cbranch_execnz .LBB576_70
	s_branch .LBB576_71
.LBB576_85:                             ;   in Loop: Header=BB576_67 Depth=2
	ds_load_b32 v6, v36
	s_or_b32 exec_lo, exec_lo, s6
	s_and_saveexec_b32 s6, s1
	s_cbranch_execz .LBB576_75
.LBB576_86:                             ;   in Loop: Header=BB576_67 Depth=2
	s_wait_dscnt 0x0
	ds_bpermute_b32 v32, v7, v6
	s_wait_dscnt 0x0
	v_add_f32_e32 v6, v6, v32
	ds_bpermute_b32 v32, v34, v6
	s_wait_dscnt 0x0
	v_add_f32_e32 v6, v6, v32
	;; [unrolled: 3-line block ×3, first 2 shown]
	s_or_b32 exec_lo, exec_lo, s6
	s_and_saveexec_b32 s6, s0
	s_cbranch_execz .LBB576_66
.LBB576_87:                             ;   in Loop: Header=BB576_67 Depth=2
	s_mul_u64 s[60:61], s[26:27], s[30:31]
	s_wait_dscnt 0x0
	v_mul_f32_e32 v6, s22, v6
	s_lshl_b64 s[60:61], s[60:61], 2
	s_delay_alu instid0(SALU_CYCLE_1)
	s_add_nc_u64 s[60:61], s[8:9], s[60:61]
	global_store_b32 v0, v6, s[60:61]
	s_branch .LBB576_66
.LBB576_88:
	s_endpgm
	.section	.rodata,"a",@progbits
	.p2align	6, 0x0
	.amdhsa_kernel _ZL23rocblas_gemvt_sn_kernelILb1ELi256ELi4Ei16rocblas_bfloat16ffEviiT4_lPKT3_lilS4_lilPT5_i
		.amdhsa_group_segment_fixed_size 128
		.amdhsa_private_segment_fixed_size 0
		.amdhsa_kernarg_size 360
		.amdhsa_user_sgpr_count 2
		.amdhsa_user_sgpr_dispatch_ptr 0
		.amdhsa_user_sgpr_queue_ptr 0
		.amdhsa_user_sgpr_kernarg_segment_ptr 1
		.amdhsa_user_sgpr_dispatch_id 0
		.amdhsa_user_sgpr_kernarg_preload_length 0
		.amdhsa_user_sgpr_kernarg_preload_offset 0
		.amdhsa_user_sgpr_private_segment_size 0
		.amdhsa_wavefront_size32 1
		.amdhsa_uses_dynamic_stack 0
		.amdhsa_enable_private_segment 0
		.amdhsa_system_sgpr_workgroup_id_x 1
		.amdhsa_system_sgpr_workgroup_id_y 0
		.amdhsa_system_sgpr_workgroup_id_z 1
		.amdhsa_system_sgpr_workgroup_info 0
		.amdhsa_system_vgpr_workitem_id 0
		.amdhsa_next_free_vgpr 63
		.amdhsa_next_free_sgpr 78
		.amdhsa_named_barrier_count 0
		.amdhsa_reserve_vcc 1
		.amdhsa_float_round_mode_32 0
		.amdhsa_float_round_mode_16_64 0
		.amdhsa_float_denorm_mode_32 3
		.amdhsa_float_denorm_mode_16_64 3
		.amdhsa_fp16_overflow 0
		.amdhsa_memory_ordered 1
		.amdhsa_forward_progress 1
		.amdhsa_inst_pref_size 33
		.amdhsa_round_robin_scheduling 0
		.amdhsa_exception_fp_ieee_invalid_op 0
		.amdhsa_exception_fp_denorm_src 0
		.amdhsa_exception_fp_ieee_div_zero 0
		.amdhsa_exception_fp_ieee_overflow 0
		.amdhsa_exception_fp_ieee_underflow 0
		.amdhsa_exception_fp_ieee_inexact 0
		.amdhsa_exception_int_div_zero 0
	.end_amdhsa_kernel
	.section	.text._ZL23rocblas_gemvt_sn_kernelILb1ELi256ELi4Ei16rocblas_bfloat16ffEviiT4_lPKT3_lilS4_lilPT5_i,"axG",@progbits,_ZL23rocblas_gemvt_sn_kernelILb1ELi256ELi4Ei16rocblas_bfloat16ffEviiT4_lPKT3_lilS4_lilPT5_i,comdat
.Lfunc_end576:
	.size	_ZL23rocblas_gemvt_sn_kernelILb1ELi256ELi4Ei16rocblas_bfloat16ffEviiT4_lPKT3_lilS4_lilPT5_i, .Lfunc_end576-_ZL23rocblas_gemvt_sn_kernelILb1ELi256ELi4Ei16rocblas_bfloat16ffEviiT4_lPKT3_lilS4_lilPT5_i
                                        ; -- End function
	.set _ZL23rocblas_gemvt_sn_kernelILb1ELi256ELi4Ei16rocblas_bfloat16ffEviiT4_lPKT3_lilS4_lilPT5_i.num_vgpr, 63
	.set _ZL23rocblas_gemvt_sn_kernelILb1ELi256ELi4Ei16rocblas_bfloat16ffEviiT4_lPKT3_lilS4_lilPT5_i.num_agpr, 0
	.set _ZL23rocblas_gemvt_sn_kernelILb1ELi256ELi4Ei16rocblas_bfloat16ffEviiT4_lPKT3_lilS4_lilPT5_i.numbered_sgpr, 78
	.set _ZL23rocblas_gemvt_sn_kernelILb1ELi256ELi4Ei16rocblas_bfloat16ffEviiT4_lPKT3_lilS4_lilPT5_i.num_named_barrier, 0
	.set _ZL23rocblas_gemvt_sn_kernelILb1ELi256ELi4Ei16rocblas_bfloat16ffEviiT4_lPKT3_lilS4_lilPT5_i.private_seg_size, 0
	.set _ZL23rocblas_gemvt_sn_kernelILb1ELi256ELi4Ei16rocblas_bfloat16ffEviiT4_lPKT3_lilS4_lilPT5_i.uses_vcc, 1
	.set _ZL23rocblas_gemvt_sn_kernelILb1ELi256ELi4Ei16rocblas_bfloat16ffEviiT4_lPKT3_lilS4_lilPT5_i.uses_flat_scratch, 0
	.set _ZL23rocblas_gemvt_sn_kernelILb1ELi256ELi4Ei16rocblas_bfloat16ffEviiT4_lPKT3_lilS4_lilPT5_i.has_dyn_sized_stack, 0
	.set _ZL23rocblas_gemvt_sn_kernelILb1ELi256ELi4Ei16rocblas_bfloat16ffEviiT4_lPKT3_lilS4_lilPT5_i.has_recursion, 0
	.set _ZL23rocblas_gemvt_sn_kernelILb1ELi256ELi4Ei16rocblas_bfloat16ffEviiT4_lPKT3_lilS4_lilPT5_i.has_indirect_call, 0
	.section	.AMDGPU.csdata,"",@progbits
; Kernel info:
; codeLenInByte = 4116
; TotalNumSgprs: 80
; NumVgprs: 63
; ScratchSize: 0
; MemoryBound: 0
; FloatMode: 240
; IeeeMode: 1
; LDSByteSize: 128 bytes/workgroup (compile time only)
; SGPRBlocks: 0
; VGPRBlocks: 3
; NumSGPRsForWavesPerEU: 80
; NumVGPRsForWavesPerEU: 63
; NamedBarCnt: 0
; Occupancy: 16
; WaveLimiterHint : 0
; COMPUTE_PGM_RSRC2:SCRATCH_EN: 0
; COMPUTE_PGM_RSRC2:USER_SGPR: 2
; COMPUTE_PGM_RSRC2:TRAP_HANDLER: 0
; COMPUTE_PGM_RSRC2:TGID_X_EN: 1
; COMPUTE_PGM_RSRC2:TGID_Y_EN: 0
; COMPUTE_PGM_RSRC2:TGID_Z_EN: 1
; COMPUTE_PGM_RSRC2:TIDIG_COMP_CNT: 0
	.section	.text._ZL23rocblas_gemvt_sn_kernelILb1ELi256ELi4El16rocblas_bfloat16ffEviiT4_lPKT3_lilS4_lilPT5_i,"axG",@progbits,_ZL23rocblas_gemvt_sn_kernelILb1ELi256ELi4El16rocblas_bfloat16ffEviiT4_lPKT3_lilS4_lilPT5_i,comdat
	.globl	_ZL23rocblas_gemvt_sn_kernelILb1ELi256ELi4El16rocblas_bfloat16ffEviiT4_lPKT3_lilS4_lilPT5_i ; -- Begin function _ZL23rocblas_gemvt_sn_kernelILb1ELi256ELi4El16rocblas_bfloat16ffEviiT4_lPKT3_lilS4_lilPT5_i
	.p2align	8
	.type	_ZL23rocblas_gemvt_sn_kernelILb1ELi256ELi4El16rocblas_bfloat16ffEviiT4_lPKT3_lilS4_lilPT5_i,@function
_ZL23rocblas_gemvt_sn_kernelILb1ELi256ELi4El16rocblas_bfloat16ffEviiT4_lPKT3_lilS4_lilPT5_i: ; @_ZL23rocblas_gemvt_sn_kernelILb1ELi256ELi4El16rocblas_bfloat16ffEviiT4_lPKT3_lilS4_lilPT5_i
; %bb.0:
	s_load_b32 s23, s[0:1], 0x60
	s_bfe_u32 s2, ttmp6, 0x40014
	s_lshr_b32 s3, ttmp7, 16
	s_add_co_i32 s2, s2, 1
	s_bfe_u32 s4, ttmp6, 0x40008
	s_mul_i32 s2, s3, s2
	s_getreg_b32 s25, hwreg(HW_REG_IB_STS2, 6, 4)
	s_add_co_i32 s4, s4, s2
	s_cmp_eq_u32 s25, 0
	s_mov_b32 s11, 0
	s_cselect_b32 s24, s3, s4
	s_wait_kmcnt 0x0
	s_cmp_ge_u32 s24, s23
	s_cbranch_scc1 .LBB577_88
; %bb.1:
	s_clause 0x6
	s_load_b32 s26, s[0:1], 0x28
	s_load_b96 s[8:10], s[0:1], 0x40
	s_load_b128 s[4:7], s[0:1], 0x18
	s_load_b96 s[20:22], s[0:1], 0x0
	s_load_b128 s[12:15], s[0:1], 0x30
	s_load_b128 s[16:19], s[0:1], 0x50
	s_load_b32 s28, s[0:1], 0x68
	s_wait_xcnt 0x0
	v_cmp_eq_u32_e64 s0, 0, v0
	v_dual_lshrrev_b32 v2, 3, v0 :: v_dual_bitop2_b32 v1, 31, v0 bitop3:0x40
	v_cmp_gt_u32_e64 s1, 32, v0
	v_cmp_gt_u32_e64 s2, 8, v0
	v_mbcnt_lo_u32_b32 v42, -1, 0
	s_delay_alu instid0(VALU_DEP_4)
	v_cmp_eq_u32_e64 s3, 0, v1
	v_dual_lshlrev_b32 v40, 2, v1 :: v_dual_bitop2_b32 v41, 28, v2 bitop3:0x40
	v_mov_b64_e32 v[20:21], 0
	s_mov_b32 s29, s11
	v_lshl_or_b32 v43, v42, 2, 64
	s_wait_kmcnt 0x0
	s_ashr_i32 s27, s26, 31
	s_ashr_i32 s47, s10, 31
	s_lshl_b64 s[8:9], s[8:9], 1
	s_lshl_b64 s[6:7], s[6:7], 1
	s_ashr_i32 s39, s21, 31
	s_cmp_eq_f32 s22, 0
	s_mov_b32 s46, s10
	s_add_nc_u64 s[14:15], s[14:15], s[8:9]
	s_add_nc_u64 s[4:5], s[4:5], s[6:7]
	s_cselect_b32 s33, -1, 0
	s_cmp_gt_i32 s21, 0
	s_mov_b32 s38, s21
	s_cselect_b32 s10, -1, 0
	s_bfe_u32 s30, ttmp6, 0x4000c
	s_and_b32 s8, ttmp6, 15
	s_add_co_i32 s30, s30, 1
	s_and_b32 s62, s0, s10
	s_mul_i32 s9, ttmp9, s30
	s_mul_u64 s[30:31], s[38:39], s[28:29]
	s_add_co_i32 s8, s8, s9
	s_cmp_eq_u32 s25, 0
	s_mul_u64 s[56:57], s[26:27], 6
	s_cselect_b32 s10, ttmp9, s8
	s_ashr_i32 s7, s20, 31
	s_lshl_b32 s6, s10, 10
	s_lshr_b32 s7, s7, 30
	v_lshl_or_b32 v0, v0, 2, s6
	s_add_co_i32 s7, s20, s7
	s_lshr_b32 s6, s39, 30
	s_and_b32 s7, s7, -4
	s_add_co_i32 s6, s21, s6
	s_sub_co_i32 s64, s20, s7
	v_dual_ashrrev_i32 v1, 31, v0 :: v_dual_add_nc_u32 v18, 4, v0
	v_dual_add_nc_u32 v19, s64, v0 :: v_dual_bitop2_b32 v2, 1, v0 bitop3:0x54
	v_or_b32_e32 v4, 2, v0
	v_or_b32_e32 v6, 3, v0
	s_delay_alu instid0(VALU_DEP_4) | instskip(NEXT) | instid1(VALU_DEP_4)
	v_mul_u64_e32 v[8:9], s[46:47], v[0:1]
	v_ashrrev_i32_e32 v3, 31, v2
	v_lshl_add_u64 v[16:17], v[0:1], 1, s[4:5]
	v_dual_mov_b32 v0, 0 :: v_dual_ashrrev_i32 v5, 31, v4
	v_ashrrev_i32_e32 v7, 31, v6
	s_delay_alu instid0(VALU_DEP_4)
	v_mul_u64_e32 v[10:11], s[46:47], v[2:3]
	s_and_b32 s63, s6, -4
	v_cmp_ge_i32_e64 s4, s20, v18
	v_mul_u64_e32 v[12:13], s[46:47], v[4:5]
	v_mul_u64_e32 v[14:15], s[46:47], v[6:7]
	s_cmp_gt_i32 s63, 0
	s_cselect_b32 s65, -1, 0
	s_cmp_gt_i32 s64, 0
	s_cselect_b32 s66, -1, 0
	s_cmp_gt_u32 s21, 1
	s_cselect_b32 s5, -1, 0
	s_cmp_eq_u32 s28, 1
	s_cselect_b32 s6, -1, 0
	s_and_b32 s67, s21, 0x7ffffffe
	s_and_b32 s68, s5, s6
	s_cmp_lg_u32 s21, s67
	v_cmp_ge_i32_e64 s5, s20, v19
	s_cselect_b32 s20, -1, 0
	s_lshl_b64 s[34:35], s[10:11], 2
	s_lshl_b64 s[36:37], s[30:31], 2
	;; [unrolled: 1-line block ×4, first 2 shown]
	v_lshl_add_u64 v[18:19], v[8:9], 1, s[14:15]
	s_lshl_b64 s[42:43], s[16:17], 1
	s_add_nc_u64 s[44:45], s[18:19], s[34:35]
	s_lshl_b64 s[46:47], s[46:47], 1
	s_lshl_b64 s[48:49], s[12:13], 1
	;; [unrolled: 1-line block ×5, first 2 shown]
	s_branch .LBB577_3
.LBB577_2:                              ;   in Loop: Header=BB577_3 Depth=1
	s_add_co_i32 s24, s24, 0x10000
	s_delay_alu instid0(SALU_CYCLE_1)
	s_cmp_lt_u32 s24, s23
	s_cbranch_scc0 .LBB577_88
.LBB577_3:                              ; =>This Loop Header: Depth=1
                                        ;     Child Loop BB577_7 Depth 2
                                        ;     Child Loop BB577_11 Depth 2
	;; [unrolled: 1-line block ×3, first 2 shown]
                                        ;       Child Loop BB577_48 Depth 3
                                        ;       Child Loop BB577_51 Depth 3
                                        ;     Child Loop BB577_67 Depth 2
                                        ;       Child Loop BB577_80 Depth 3
                                        ;       Child Loop BB577_83 Depth 3
	s_mov_b32 s25, s11
	s_and_not1_b32 vcc_lo, exec_lo, s33
	s_mov_b32 s6, -1
	s_cbranch_vccnz .LBB577_13
; %bb.4:                                ;   in Loop: Header=BB577_3 Depth=1
	s_and_saveexec_b32 s8, s62
	s_cbranch_execz .LBB577_12
; %bb.5:                                ;   in Loop: Header=BB577_3 Depth=1
	s_and_not1_b32 vcc_lo, exec_lo, s68
	s_cbranch_vccnz .LBB577_9
; %bb.6:                                ;   in Loop: Header=BB577_3 Depth=1
	s_mul_u64 s[6:7], s[36:37], s[24:25]
	s_mov_b32 s9, s67
	s_add_nc_u64 s[6:7], s[44:45], s[6:7]
.LBB577_7:                              ;   Parent Loop BB577_3 Depth=1
                                        ; =>  This Inner Loop Header: Depth=2
	s_add_co_i32 s9, s9, -2
	global_store_b64 v0, v[20:21], s[6:7]
	s_wait_xcnt 0x0
	s_add_nc_u64 s[6:7], s[6:7], 8
	s_mov_b32 s10, s67
	s_cmp_lg_u32 s9, 0
	s_mov_b32 s58, s20
	s_cbranch_scc1 .LBB577_7
; %bb.8:                                ;   in Loop: Header=BB577_3 Depth=1
	s_and_b32 vcc_lo, exec_lo, s58
	s_cbranch_vccnz .LBB577_10
	s_branch .LBB577_12
.LBB577_9:                              ;   in Loop: Header=BB577_3 Depth=1
	s_mov_b32 s10, 0
	s_cbranch_execz .LBB577_12
.LBB577_10:                             ;   in Loop: Header=BB577_3 Depth=1
	s_mul_u64 s[6:7], s[38:39], s[24:25]
	s_lshl_b64 s[58:59], s[10:11], 2
	s_sub_co_i32 s9, s21, s10
	s_add_nc_u64 s[6:7], s[6:7], s[58:59]
	s_delay_alu instid0(SALU_CYCLE_1) | instskip(NEXT) | instid1(SALU_CYCLE_1)
	s_mul_u64 s[6:7], s[28:29], s[6:7]
	s_add_nc_u64 s[6:7], s[44:45], s[6:7]
.LBB577_11:                             ;   Parent Loop BB577_3 Depth=1
                                        ; =>  This Inner Loop Header: Depth=2
	s_add_co_i32 s9, s9, -1
	global_store_b32 v0, v0, s[6:7]
	s_cmp_eq_u32 s9, 0
	s_wait_xcnt 0x0
	s_add_nc_u64 s[6:7], s[6:7], s[40:41]
	s_cbranch_scc0 .LBB577_11
.LBB577_12:                             ;   in Loop: Header=BB577_3 Depth=1
	s_or_b32 exec_lo, exec_lo, s8
	s_mov_b32 s6, 0
.LBB577_13:                             ;   in Loop: Header=BB577_3 Depth=1
	s_delay_alu instid0(SALU_CYCLE_1)
	s_and_not1_b32 vcc_lo, exec_lo, s6
	s_cbranch_vccnz .LBB577_2
; %bb.14:                               ;   in Loop: Header=BB577_3 Depth=1
	v_mad_nc_u64_u32 v[22:23], s42, s24, v[18:19]
	s_mul_u64 s[6:7], s[16:17], s[24:25]
	s_mul_u64 s[8:9], s[30:31], s[24:25]
	s_lshl_b64 s[6:7], s[6:7], 1
	s_mul_u64 s[58:59], s[12:13], s[24:25]
	s_add_nc_u64 s[6:7], s[14:15], s[6:7]
	s_lshl_b64 s[70:71], s[8:9], 2
	v_lshl_add_u64 v[24:25], s[58:59], 1, v[16:17]
	v_lshl_add_u64 v[26:27], v[8:9], 1, s[6:7]
	;; [unrolled: 1-line block ×4, first 2 shown]
	v_mad_u32 v23, s43, s24, v23
	v_lshl_add_u64 v[32:33], v[14:15], 1, s[6:7]
	v_cmp_gt_u32_e64 s9, 24, v42
	v_cmp_gt_u32_e64 s8, 28, v42
	;; [unrolled: 1-line block ×3, first 2 shown]
	v_cmp_ne_u32_e64 s6, 31, v42
	s_add_nc_u64 s[58:59], s[18:19], s[70:71]
	s_mul_u64 s[60:61], s[48:49], s[24:25]
	s_and_not1_b32 vcc_lo, exec_lo, s65
	s_add_nc_u64 s[58:59], s[58:59], s[34:35]
	s_cbranch_vccnz .LBB577_63
; %bb.15:                               ;   in Loop: Header=BB577_3 Depth=1
	v_cndmask_b32_e64 v4, 0, 8, s9
	v_cndmask_b32_e64 v5, 0, 4, s8
	s_wait_dscnt 0x0
	v_add_co_ci_u32_e64 v35, null, 0, v42, s6
	v_dual_mov_b32 v1, v0 :: v_dual_mov_b32 v2, v0
	s_delay_alu instid0(VALU_DEP_2) | instskip(SKIP_3) | instid1(VALU_DEP_4)
	v_dual_mov_b32 v3, v0 :: v_dual_lshlrev_b32 v47, 2, v35
	v_cndmask_b32_e64 v34, 0, 2, s7
	v_add_lshl_u32 v44, v4, v42, 2
	v_add_lshl_u32 v45, v5, v42, 2
	v_mov_b64_e32 v[4:5], v[2:3]
	v_add_nc_u64_e32 v[6:7], s[60:61], v[16:17]
	v_mov_b64_e32 v[2:3], v[0:1]
	v_add_lshl_u32 v46, v34, v42, 2
	s_mov_b32 s10, 0
	s_branch .LBB577_17
.LBB577_16:                             ;   in Loop: Header=BB577_17 Depth=2
	s_wait_xcnt 0x0
	s_or_b32 exec_lo, exec_lo, s6
	v_add_nc_u64_e32 v[6:7], s[50:51], v[6:7]
	s_add_co_i32 s10, s10, 4
	s_delay_alu instid0(SALU_CYCLE_1)
	s_cmp_ge_i32 s10, s63
	s_cbranch_scc1 .LBB577_64
.LBB577_17:                             ;   Parent Loop BB577_3 Depth=1
                                        ; =>  This Loop Header: Depth=2
                                        ;       Child Loop BB577_48 Depth 3
                                        ;       Child Loop BB577_51 Depth 3
                                        ; implicit-def: $vgpr35
                                        ; implicit-def: $vgpr37
	s_and_saveexec_b32 s6, s4
	s_delay_alu instid0(SALU_CYCLE_1)
	s_xor_b32 s6, exec_lo, s6
	s_cbranch_execnz .LBB577_44
; %bb.18:                               ;   in Loop: Header=BB577_17 Depth=2
	s_and_not1_saveexec_b32 s25, s6
	s_cbranch_execnz .LBB577_45
.LBB577_19:                             ;   in Loop: Header=BB577_17 Depth=2
	s_or_b32 exec_lo, exec_lo, s25
	s_and_saveexec_b32 s6, s1
.LBB577_20:                             ;   in Loop: Header=BB577_17 Depth=2
	ds_store_b32 v40, v0
.LBB577_21:                             ;   in Loop: Header=BB577_17 Depth=2
	s_or_b32 exec_lo, exec_lo, s6
	ds_bpermute_b32 v1, v43, v36
	s_wait_storecnt_dscnt 0x0
	s_barrier_signal -1
	s_barrier_wait -1
	v_add_f32_e32 v1, v36, v1
	ds_bpermute_b32 v36, v44, v1
	s_wait_dscnt 0x0
	v_add_f32_e32 v1, v1, v36
	ds_bpermute_b32 v36, v45, v1
	s_wait_dscnt 0x0
	;; [unrolled: 3-line block ×3, first 2 shown]
	v_add_f32_e32 v1, v1, v36
	ds_bpermute_b32 v36, v47, v1
	s_and_saveexec_b32 s6, s3
	s_cbranch_execz .LBB577_23
; %bb.22:                               ;   in Loop: Header=BB577_17 Depth=2
	s_wait_dscnt 0x0
	v_add_f32_e32 v1, v1, v36
	ds_store_b32 v41, v1
.LBB577_23:                             ;   in Loop: Header=BB577_17 Depth=2
	s_or_b32 exec_lo, exec_lo, s6
	v_mov_b32_e32 v1, 0
	s_wait_dscnt 0x0
	s_barrier_signal -1
	s_barrier_wait -1
	s_and_saveexec_b32 s6, s2
	s_cbranch_execnz .LBB577_52
; %bb.24:                               ;   in Loop: Header=BB577_17 Depth=2
	s_or_b32 exec_lo, exec_lo, s6
	s_and_saveexec_b32 s6, s1
	s_cbranch_execnz .LBB577_53
.LBB577_25:                             ;   in Loop: Header=BB577_17 Depth=2
	s_or_b32 exec_lo, exec_lo, s6
	s_and_saveexec_b32 s6, s1
.LBB577_26:                             ;   in Loop: Header=BB577_17 Depth=2
	ds_store_b32 v40, v0
.LBB577_27:                             ;   in Loop: Header=BB577_17 Depth=2
	s_or_b32 exec_lo, exec_lo, s6
	ds_bpermute_b32 v36, v43, v37
	s_wait_dscnt 0x0
	s_barrier_signal -1
	s_barrier_wait -1
	v_add_f32_e32 v36, v37, v36
	ds_bpermute_b32 v37, v44, v36
	s_wait_dscnt 0x0
	v_add_f32_e32 v36, v36, v37
	ds_bpermute_b32 v37, v45, v36
	s_wait_dscnt 0x0
	;; [unrolled: 3-line block ×3, first 2 shown]
	v_add_f32_e32 v36, v36, v37
	ds_bpermute_b32 v37, v47, v36
	s_and_saveexec_b32 s6, s3
	s_cbranch_execz .LBB577_29
; %bb.28:                               ;   in Loop: Header=BB577_17 Depth=2
	s_wait_dscnt 0x0
	v_add_f32_e32 v36, v36, v37
	ds_store_b32 v41, v36
.LBB577_29:                             ;   in Loop: Header=BB577_17 Depth=2
	s_or_b32 exec_lo, exec_lo, s6
	v_mov_b32_e32 v36, 0
	s_wait_dscnt 0x0
	s_barrier_signal -1
	s_barrier_wait -1
	s_and_saveexec_b32 s6, s2
	s_cbranch_execnz .LBB577_54
; %bb.30:                               ;   in Loop: Header=BB577_17 Depth=2
	s_or_b32 exec_lo, exec_lo, s6
	s_and_saveexec_b32 s6, s1
	s_cbranch_execnz .LBB577_55
.LBB577_31:                             ;   in Loop: Header=BB577_17 Depth=2
	s_or_b32 exec_lo, exec_lo, s6
	s_and_saveexec_b32 s6, s1
.LBB577_32:                             ;   in Loop: Header=BB577_17 Depth=2
	ds_store_b32 v40, v0
.LBB577_33:                             ;   in Loop: Header=BB577_17 Depth=2
	s_or_b32 exec_lo, exec_lo, s6
	ds_bpermute_b32 v37, v43, v34
	s_wait_dscnt 0x0
	s_barrier_signal -1
	s_barrier_wait -1
	v_add_f32_e32 v34, v34, v37
	ds_bpermute_b32 v37, v44, v34
	s_wait_dscnt 0x0
	v_add_f32_e32 v34, v34, v37
	ds_bpermute_b32 v37, v45, v34
	s_wait_dscnt 0x0
	;; [unrolled: 3-line block ×3, first 2 shown]
	v_add_f32_e32 v34, v34, v37
	ds_bpermute_b32 v37, v47, v34
	s_and_saveexec_b32 s6, s3
	s_cbranch_execz .LBB577_35
; %bb.34:                               ;   in Loop: Header=BB577_17 Depth=2
	s_wait_dscnt 0x0
	v_add_f32_e32 v34, v34, v37
	ds_store_b32 v41, v34
.LBB577_35:                             ;   in Loop: Header=BB577_17 Depth=2
	s_or_b32 exec_lo, exec_lo, s6
	v_mov_b32_e32 v34, 0
	s_wait_dscnt 0x0
	s_barrier_signal -1
	s_barrier_wait -1
	s_and_saveexec_b32 s6, s2
	s_cbranch_execnz .LBB577_56
; %bb.36:                               ;   in Loop: Header=BB577_17 Depth=2
	s_or_b32 exec_lo, exec_lo, s6
	s_and_saveexec_b32 s6, s1
	s_cbranch_execnz .LBB577_57
.LBB577_37:                             ;   in Loop: Header=BB577_17 Depth=2
	s_or_b32 exec_lo, exec_lo, s6
	s_and_saveexec_b32 s6, s1
.LBB577_38:                             ;   in Loop: Header=BB577_17 Depth=2
	ds_store_b32 v40, v0
.LBB577_39:                             ;   in Loop: Header=BB577_17 Depth=2
	s_or_b32 exec_lo, exec_lo, s6
	ds_bpermute_b32 v37, v43, v35
	s_wait_dscnt 0x0
	s_barrier_signal -1
	s_barrier_wait -1
	v_add_f32_e32 v35, v35, v37
	ds_bpermute_b32 v37, v44, v35
	s_wait_dscnt 0x0
	v_add_f32_e32 v35, v35, v37
	ds_bpermute_b32 v37, v45, v35
	s_wait_dscnt 0x0
	;; [unrolled: 3-line block ×3, first 2 shown]
	v_add_f32_e32 v35, v35, v37
	ds_bpermute_b32 v37, v47, v35
	s_and_saveexec_b32 s6, s3
	s_cbranch_execz .LBB577_41
; %bb.40:                               ;   in Loop: Header=BB577_17 Depth=2
	s_wait_dscnt 0x0
	v_add_f32_e32 v35, v35, v37
	ds_store_b32 v41, v35
.LBB577_41:                             ;   in Loop: Header=BB577_17 Depth=2
	s_or_b32 exec_lo, exec_lo, s6
	v_mov_b32_e32 v35, 0
	s_wait_dscnt 0x0
	s_barrier_signal -1
	s_barrier_wait -1
	s_and_saveexec_b32 s6, s2
	s_cbranch_execnz .LBB577_58
; %bb.42:                               ;   in Loop: Header=BB577_17 Depth=2
	s_or_b32 exec_lo, exec_lo, s6
	s_and_saveexec_b32 s6, s1
	s_cbranch_execnz .LBB577_59
.LBB577_43:                             ;   in Loop: Header=BB577_17 Depth=2
	s_or_b32 exec_lo, exec_lo, s6
	s_and_saveexec_b32 s6, s0
	s_cbranch_execz .LBB577_16
	s_branch .LBB577_60
.LBB577_44:                             ;   in Loop: Header=BB577_17 Depth=2
	s_mul_u64 s[8:9], s[10:11], s[26:27]
	s_or_b32 s70, s10, 2
	s_mov_b32 s71, s11
	v_lshl_add_u64 v[2:3], s[8:9], 1, v[24:25]
	s_or_b32 s8, s10, 3
	s_mov_b32 s9, s11
	s_mul_u64 s[70:71], s[70:71], s[26:27]
	s_mul_u64 s[8:9], s[8:9], s[26:27]
	v_lshl_add_u64 v[4:5], s[70:71], 1, v[24:25]
	s_wait_dscnt 0x0
	v_lshl_add_u64 v[34:35], s[8:9], 1, v[24:25]
	s_clause 0x3
	global_load_u16 v1, v[26:27], off
	global_load_u16 v48, v[28:29], off
	;; [unrolled: 1-line block ×4, first 2 shown]
	s_clause 0x2
	global_load_b64 v[36:37], v[2:3], off
	global_load_b64 v[4:5], v[4:5], off
	;; [unrolled: 1-line block ×3, first 2 shown]
	s_or_b32 s8, s10, 1
	s_mov_b32 s9, s11
	s_delay_alu instid0(SALU_CYCLE_1)
	s_mul_u64 s[8:9], s[8:9], s[26:27]
	s_wait_xcnt 0x2
	v_lshl_add_u64 v[2:3], s[8:9], 1, v[24:25]
	global_load_b64 v[38:39], v[2:3], off
	s_wait_loadcnt 0x6
	s_wait_xcnt 0x0
	v_dual_lshlrev_b32 v2, 16, v1 :: v_dual_lshlrev_b32 v49, 16, v48
	s_wait_loadcnt 0x4
	v_dual_lshlrev_b32 v52, 16, v50 :: v_dual_lshlrev_b32 v51, 16, v51
	s_wait_loadcnt 0x3
	;; [unrolled: 2-line block ×3, first 2 shown]
	v_dual_lshlrev_b32 v1, 16, v4 :: v_dual_lshlrev_b32 v48, 16, v34
	v_and_b32_e32 v3, 0xffff0000, v34
	v_and_b32_e32 v55, 0xffff0000, v4
	v_dual_lshlrev_b32 v57, 16, v5 :: v_dual_lshlrev_b32 v50, 16, v35
	v_and_b32_e32 v66, 0xffff0000, v5
	s_delay_alu instid0(VALU_DEP_4) | instskip(SKIP_3) | instid1(VALU_DEP_3)
	v_pk_mul_f32 v[4:5], v[48:49], v[2:3]
	v_and_b32_e32 v53, 0xffff0000, v35
	v_dual_mul_f32 v34, v2, v1 :: v_dual_mov_b32 v3, v49
	s_wait_loadcnt 0x0
	v_dual_lshlrev_b32 v59, 16, v38 :: v_dual_mov_b32 v35, v4
	v_dual_mov_b32 v54, v49 :: v_dual_mov_b32 v56, v51
	v_and_b32_e32 v36, 0xffff0000, v36
	v_and_b32_e32 v62, 0xffff0000, v37
	;; [unrolled: 1-line block ×3, first 2 shown]
	v_dual_mul_f32 v4, v49, v55 :: v_dual_mul_f32 v64, v52, v57
	v_pk_mul_f32 v[48:49], v[50:51], v[52:53]
	v_pk_add_f32 v[34:35], v[34:35], 0 op_sel_hi:[1,0]
	v_pk_fma_f32 v[58:59], v[2:3], v[58:59], 0 op_sel_hi:[0,1,0]
	v_lshlrev_b32_e32 v61, 16, v39
	v_and_b32_e32 v63, 0xffff0000, v39
	v_mov_b32_e32 v65, v48
	v_pk_add_f32 v[4:5], v[34:35], v[4:5]
	v_pk_fma_f32 v[34:35], v[54:55], v[36:37], v[58:59] op_sel_hi:[0,1,1]
	v_mul_f32_e32 v48, v51, v66
	s_delay_alu instid0(VALU_DEP_3) | instskip(NEXT) | instid1(VALU_DEP_3)
	v_pk_add_f32 v[36:37], v[4:5], v[64:65]
	v_pk_fma_f32 v[38:39], v[52:53], v[60:61], v[34:35] op_sel_hi:[0,1,1]
	v_dual_mov_b32 v4, v52 :: v_dual_mov_b32 v5, v51
	s_delay_alu instid0(VALU_DEP_3) | instskip(NEXT) | instid1(VALU_DEP_3)
	v_pk_add_f32 v[34:35], v[36:37], v[48:49]
	v_pk_fma_f32 v[36:37], v[56:57], v[62:63], v[38:39] op_sel_hi:[0,1,1]
	s_and_not1_saveexec_b32 s25, s6
	s_cbranch_execz .LBB577_19
.LBB577_45:                             ;   in Loop: Header=BB577_17 Depth=2
	s_wait_dscnt 0x0
	v_dual_mov_b32 v35, 0 :: v_dual_mov_b32 v34, 0
	v_dual_mov_b32 v37, 0 :: v_dual_mov_b32 v36, 0
	s_and_saveexec_b32 s69, s5
	s_cbranch_execz .LBB577_62
; %bb.46:                               ;   in Loop: Header=BB577_17 Depth=2
	s_and_not1_b32 vcc_lo, exec_lo, s66
	s_cbranch_vccnz .LBB577_49
; %bb.47:                               ;   in Loop: Header=BB577_17 Depth=2
	v_mov_b64_e32 v[34:35], v[22:23]
	s_mov_b64 s[8:9], 0
.LBB577_48:                             ;   Parent Loop BB577_3 Depth=1
                                        ;     Parent Loop BB577_17 Depth=2
                                        ; =>    This Inner Loop Header: Depth=3
	global_load_u16 v1, v[34:35], off
	s_cmp_eq_u32 s8, 3
	s_wait_xcnt 0x0
	v_add_nc_u64_e32 v[34:35], s[46:47], v[34:35]
	s_cselect_b32 vcc_lo, -1, 0
	s_cmp_eq_u32 s8, 2
	s_cselect_b32 s6, -1, 0
	s_cmp_eq_u32 s8, 1
	s_cselect_b32 s7, -1, 0
	s_cmp_eq_u32 s8, 0
	s_add_nc_u64 s[8:9], s[8:9], 1
	s_wait_loadcnt 0x0
	v_lshlrev_b32_e32 v1, 16, v1
	s_delay_alu instid0(VALU_DEP_1) | instskip(SKIP_1) | instid1(SALU_CYCLE_1)
	v_dual_cndmask_b32 v5, v5, v1, vcc_lo :: v_dual_cndmask_b32 v4, v4, v1, s6
	s_cselect_b32 vcc_lo, -1, 0
	v_dual_cndmask_b32 v3, v3, v1, s7 :: v_dual_cndmask_b32 v2, v2, v1, vcc_lo
	s_cmp_eq_u32 s64, s8
	s_cbranch_scc0 .LBB577_48
.LBB577_49:                             ;   in Loop: Header=BB577_17 Depth=2
	s_and_not1_b32 vcc_lo, exec_lo, s66
	s_cbranch_vccnz .LBB577_61
; %bb.50:                               ;   in Loop: Header=BB577_17 Depth=2
	v_mov_b32_e32 v36, 0
	v_mov_b64_e32 v[38:39], v[6:7]
	s_mov_b64 s[6:7], 0
	s_delay_alu instid0(VALU_DEP_2)
	v_dual_mov_b32 v37, v36 :: v_dual_mov_b32 v34, v36
	v_mov_b32_e32 v35, v36
.LBB577_51:                             ;   Parent Loop BB577_3 Depth=1
                                        ;     Parent Loop BB577_17 Depth=2
                                        ; =>    This Inner Loop Header: Depth=3
	s_delay_alu instid0(VALU_DEP_3)
	v_add_nc_u64_e32 v[48:49], s[52:53], v[38:39]
	v_add_nc_u64_e32 v[50:51], s[56:57], v[38:39]
	;; [unrolled: 1-line block ×3, first 2 shown]
	s_cmp_eq_u32 s6, 1
	s_clause 0x3
	global_load_u16 v1, v[38:39], off
	global_load_u16 v49, v[48:49], off
	;; [unrolled: 1-line block ×4, first 2 shown]
	s_cselect_b32 vcc_lo, -1, 0
	s_cmp_eq_u32 s6, 2
	s_wait_xcnt 0x2
	v_cndmask_b32_e32 v48, v2, v3, vcc_lo
	s_cselect_b32 vcc_lo, -1, 0
	s_cmp_eq_u32 s6, 3
	v_add_nc_u64_e32 v[38:39], 2, v[38:39]
	s_add_nc_u64 s[6:7], s[6:7], 1
	s_wait_loadcnt 0x3
	s_wait_xcnt 0x1
	v_dual_lshlrev_b32 v50, 16, v1 :: v_dual_cndmask_b32 v48, v48, v4, vcc_lo
	s_wait_loadcnt 0x2
	v_lshlrev_b32_e32 v51, 16, v49
	s_cselect_b32 vcc_lo, -1, 0
	s_wait_loadcnt 0x0
	v_dual_lshlrev_b32 v52, 16, v52 :: v_dual_lshlrev_b32 v53, 16, v54
	v_cndmask_b32_e32 v48, v48, v5, vcc_lo
	s_cmp_lg_u32 s64, s6
	s_delay_alu instid0(VALU_DEP_1) | instskip(NEXT) | instid1(VALU_DEP_3)
	v_pk_fma_f32 v[36:37], v[48:49], v[50:51], v[36:37] op_sel_hi:[0,1,1]
	v_pk_fma_f32 v[34:35], v[48:49], v[52:53], v[34:35] op_sel_hi:[0,1,1]
	s_cbranch_scc1 .LBB577_51
	s_branch .LBB577_62
.LBB577_52:                             ;   in Loop: Header=BB577_17 Depth=2
	ds_load_b32 v1, v40
	s_or_b32 exec_lo, exec_lo, s6
	s_and_saveexec_b32 s6, s1
	s_cbranch_execz .LBB577_25
.LBB577_53:                             ;   in Loop: Header=BB577_17 Depth=2
	s_wait_dscnt 0x0
	ds_bpermute_b32 v36, v45, v1
	s_wait_dscnt 0x0
	v_add_f32_e32 v1, v1, v36
	ds_bpermute_b32 v36, v46, v1
	s_wait_dscnt 0x0
	v_add_f32_e32 v1, v1, v36
	;; [unrolled: 3-line block ×3, first 2 shown]
	s_or_b32 exec_lo, exec_lo, s6
	s_and_saveexec_b32 s6, s1
	s_cbranch_execnz .LBB577_26
	s_branch .LBB577_27
.LBB577_54:                             ;   in Loop: Header=BB577_17 Depth=2
	ds_load_b32 v36, v40
	s_or_b32 exec_lo, exec_lo, s6
	s_and_saveexec_b32 s6, s1
	s_cbranch_execz .LBB577_31
.LBB577_55:                             ;   in Loop: Header=BB577_17 Depth=2
	s_wait_dscnt 0x0
	ds_bpermute_b32 v37, v45, v36
	s_wait_dscnt 0x0
	v_add_f32_e32 v36, v36, v37
	ds_bpermute_b32 v37, v46, v36
	s_wait_dscnt 0x0
	v_add_f32_e32 v36, v36, v37
	;; [unrolled: 3-line block ×3, first 2 shown]
	s_or_b32 exec_lo, exec_lo, s6
	s_and_saveexec_b32 s6, s1
	s_cbranch_execnz .LBB577_32
	s_branch .LBB577_33
.LBB577_56:                             ;   in Loop: Header=BB577_17 Depth=2
	ds_load_b32 v34, v40
	s_or_b32 exec_lo, exec_lo, s6
	s_and_saveexec_b32 s6, s1
	s_cbranch_execz .LBB577_37
.LBB577_57:                             ;   in Loop: Header=BB577_17 Depth=2
	s_wait_dscnt 0x0
	ds_bpermute_b32 v37, v45, v34
	s_wait_dscnt 0x0
	v_add_f32_e32 v34, v34, v37
	ds_bpermute_b32 v37, v46, v34
	s_wait_dscnt 0x0
	v_add_f32_e32 v34, v34, v37
	;; [unrolled: 3-line block ×3, first 2 shown]
	s_or_b32 exec_lo, exec_lo, s6
	s_and_saveexec_b32 s6, s1
	s_cbranch_execnz .LBB577_38
	s_branch .LBB577_39
.LBB577_58:                             ;   in Loop: Header=BB577_17 Depth=2
	ds_load_b32 v35, v40
	s_or_b32 exec_lo, exec_lo, s6
	s_and_saveexec_b32 s6, s1
	s_cbranch_execz .LBB577_43
.LBB577_59:                             ;   in Loop: Header=BB577_17 Depth=2
	s_wait_dscnt 0x0
	ds_bpermute_b32 v37, v45, v35
	s_wait_dscnt 0x0
	v_add_f32_e32 v35, v35, v37
	ds_bpermute_b32 v37, v46, v35
	s_wait_dscnt 0x0
	v_add_f32_e32 v35, v35, v37
	;; [unrolled: 3-line block ×3, first 2 shown]
	s_or_b32 exec_lo, exec_lo, s6
	s_and_saveexec_b32 s6, s0
	s_cbranch_execz .LBB577_16
.LBB577_60:                             ;   in Loop: Header=BB577_17 Depth=2
	s_or_b32 s70, s10, 1
	s_mov_b32 s71, s11
	s_mul_u64 s[8:9], s[10:11], s[28:29]
	v_dual_mul_f32 v1, s22, v1 :: v_dual_mul_f32 v36, s22, v36
	s_mul_u64 s[70:71], s[70:71], s[28:29]
	s_lshl_b64 s[8:9], s[8:9], 2
	s_lshl_b64 s[70:71], s[70:71], 2
	s_add_nc_u64 s[8:9], s[58:59], s[8:9]
	s_add_nc_u64 s[70:71], s[58:59], s[70:71]
	s_clause 0x1
	global_store_b32 v0, v1, s[8:9]
	global_store_b32 v0, v36, s[70:71]
	s_wait_xcnt 0x1
	s_or_b32 s8, s10, 2
	s_mov_b32 s9, s11
	s_wait_xcnt 0x0
	s_or_b32 s70, s10, 3
	s_mov_b32 s71, s11
	s_mul_u64 s[8:9], s[8:9], s[28:29]
	s_wait_dscnt 0x0
	v_dual_mul_f32 v1, s22, v34 :: v_dual_mul_f32 v34, s22, v35
	s_mul_u64 s[70:71], s[70:71], s[28:29]
	s_lshl_b64 s[8:9], s[8:9], 2
	s_lshl_b64 s[70:71], s[70:71], 2
	s_add_nc_u64 s[8:9], s[58:59], s[8:9]
	s_add_nc_u64 s[70:71], s[58:59], s[70:71]
	s_clause 0x1
	global_store_b32 v0, v1, s[8:9]
	global_store_b32 v0, v34, s[70:71]
	s_branch .LBB577_16
.LBB577_61:                             ;   in Loop: Header=BB577_17 Depth=2
	v_mov_b32_e32 v35, 0
	s_delay_alu instid0(VALU_DEP_1)
	v_dual_mov_b32 v34, v35 :: v_dual_mov_b32 v37, v35
	v_mov_b32_e32 v36, v35
.LBB577_62:                             ;   in Loop: Header=BB577_17 Depth=2
	s_or_b32 exec_lo, exec_lo, s69
	s_delay_alu instid0(SALU_CYCLE_1)
	s_or_b32 exec_lo, exec_lo, s25
	s_and_saveexec_b32 s6, s1
	s_cbranch_execnz .LBB577_20
	s_branch .LBB577_21
.LBB577_63:                             ;   in Loop: Header=BB577_3 Depth=1
	v_dual_mov_b32 v1, v0 :: v_dual_mov_b32 v2, v0
	v_mov_b32_e32 v3, v0
	s_mov_b32 s10, 0
	s_delay_alu instid0(VALU_DEP_1) | instskip(NEXT) | instid1(VALU_DEP_3)
	v_mov_b64_e32 v[4:5], v[2:3]
	v_mov_b64_e32 v[2:3], v[0:1]
.LBB577_64:                             ;   in Loop: Header=BB577_3 Depth=1
	s_cmp_ge_i32 s10, s21
	s_cbranch_scc1 .LBB577_2
; %bb.65:                               ;   in Loop: Header=BB577_3 Depth=1
	v_cmp_gt_u32_e32 vcc_lo, 24, v42
	s_mul_u64 s[6:7], s[52:53], s[10:11]
	s_delay_alu instid0(SALU_CYCLE_1) | instskip(SKIP_4) | instid1(VALU_DEP_2)
	s_add_nc_u64 s[6:7], s[6:7], s[60:61]
	s_wait_dscnt 0x0
	v_add_nc_u64_e32 v[34:35], s[6:7], v[16:17]
	v_cndmask_b32_e64 v1, 0, 8, vcc_lo
	v_cmp_gt_u32_e32 vcc_lo, 28, v42
	v_add_lshl_u32 v1, v1, v42, 2
	v_cndmask_b32_e64 v6, 0, 4, vcc_lo
	v_cmp_gt_u32_e32 vcc_lo, 30, v42
	s_delay_alu instid0(VALU_DEP_2) | instskip(SKIP_2) | instid1(VALU_DEP_2)
	v_add_lshl_u32 v7, v6, v42, 2
	v_cndmask_b32_e64 v36, 0, 2, vcc_lo
	v_cmp_ne_u32_e32 vcc_lo, 31, v42
	v_add_lshl_u32 v38, v36, v42, 2
	v_add_co_ci_u32_e64 v37, null, 0, v42, vcc_lo
	s_delay_alu instid0(VALU_DEP_1)
	v_lshlrev_b32_e32 v39, 2, v37
	s_branch .LBB577_67
.LBB577_66:                             ;   in Loop: Header=BB577_67 Depth=2
	s_wait_xcnt 0x0
	s_or_b32 exec_lo, exec_lo, s6
	v_add_nc_u64_e32 v[34:35], s[52:53], v[34:35]
	s_add_co_i32 s10, s10, 1
	s_delay_alu instid0(SALU_CYCLE_1)
	s_cmp_ge_i32 s10, s21
	s_cbranch_scc1 .LBB577_2
.LBB577_67:                             ;   Parent Loop BB577_3 Depth=1
                                        ; =>  This Loop Header: Depth=2
                                        ;       Child Loop BB577_80 Depth 3
                                        ;       Child Loop BB577_83 Depth 3
	s_wait_dscnt 0x0
	v_mov_b32_e32 v6, s11
	s_and_saveexec_b32 s6, s4
	s_delay_alu instid0(SALU_CYCLE_1)
	s_xor_b32 s6, exec_lo, s6
	s_cbranch_execnz .LBB577_76
; %bb.68:                               ;   in Loop: Header=BB577_67 Depth=2
	s_and_not1_saveexec_b32 s25, s6
	s_cbranch_execnz .LBB577_77
.LBB577_69:                             ;   in Loop: Header=BB577_67 Depth=2
	s_or_b32 exec_lo, exec_lo, s25
	s_and_saveexec_b32 s6, s1
.LBB577_70:                             ;   in Loop: Header=BB577_67 Depth=2
	ds_store_b32 v40, v0
.LBB577_71:                             ;   in Loop: Header=BB577_67 Depth=2
	s_or_b32 exec_lo, exec_lo, s6
	ds_bpermute_b32 v36, v43, v6
	s_wait_storecnt_dscnt 0x0
	s_barrier_signal -1
	s_barrier_wait -1
	v_add_f32_e32 v6, v6, v36
	ds_bpermute_b32 v36, v1, v6
	s_wait_dscnt 0x0
	v_add_f32_e32 v6, v6, v36
	ds_bpermute_b32 v36, v7, v6
	s_wait_dscnt 0x0
	;; [unrolled: 3-line block ×3, first 2 shown]
	v_add_f32_e32 v6, v6, v36
	ds_bpermute_b32 v36, v39, v6
	s_and_saveexec_b32 s6, s3
	s_cbranch_execz .LBB577_73
; %bb.72:                               ;   in Loop: Header=BB577_67 Depth=2
	s_wait_dscnt 0x0
	v_add_f32_e32 v6, v6, v36
	ds_store_b32 v41, v6
.LBB577_73:                             ;   in Loop: Header=BB577_67 Depth=2
	s_or_b32 exec_lo, exec_lo, s6
	v_mov_b32_e32 v6, 0
	s_wait_dscnt 0x0
	s_barrier_signal -1
	s_barrier_wait -1
	s_and_saveexec_b32 s6, s2
	s_cbranch_execnz .LBB577_85
; %bb.74:                               ;   in Loop: Header=BB577_67 Depth=2
	s_or_b32 exec_lo, exec_lo, s6
	s_and_saveexec_b32 s6, s1
	s_cbranch_execnz .LBB577_86
.LBB577_75:                             ;   in Loop: Header=BB577_67 Depth=2
	s_or_b32 exec_lo, exec_lo, s6
	s_and_saveexec_b32 s6, s0
	s_cbranch_execz .LBB577_66
	s_branch .LBB577_87
.LBB577_76:                             ;   in Loop: Header=BB577_67 Depth=2
	s_mul_u64 s[8:9], s[10:11], s[26:27]
	s_delay_alu instid0(SALU_CYCLE_1)
	v_lshl_add_u64 v[2:3], s[8:9], 1, v[24:25]
	s_clause 0x1
	global_load_u16 v4, v[28:29], off
	global_load_u16 v5, v[26:27], off
	global_load_b64 v[36:37], v[2:3], off
	s_clause 0x1
	global_load_u16 v6, v[32:33], off
	global_load_u16 v46, v[30:31], off
	s_wait_loadcnt 0x3
	s_wait_xcnt 0x2
	v_dual_lshlrev_b32 v3, 16, v4 :: v_dual_lshlrev_b32 v2, 16, v5
	s_wait_loadcnt 0x2
	v_and_b32_e32 v5, 0xffff0000, v36
	v_lshlrev_b32_e32 v4, 16, v36
	v_and_b32_e32 v47, 0xffff0000, v37
	s_delay_alu instid0(VALU_DEP_2) | instskip(SKIP_3) | instid1(VALU_DEP_2)
	v_pk_mul_f32 v[44:45], v[2:3], v[4:5]
	s_wait_loadcnt 0x1
	v_lshlrev_b32_e32 v5, 16, v6
	s_wait_loadcnt 0x0
	v_dual_lshlrev_b32 v4, 16, v46 :: v_dual_add_f32 v6, 0, v44
	s_delay_alu instid0(VALU_DEP_1) | instskip(SKIP_1) | instid1(VALU_DEP_1)
	v_add_f32_e32 v6, v6, v45
	v_lshlrev_b32_e32 v46, 16, v37
	v_pk_mul_f32 v[36:37], v[4:5], v[46:47]
	s_delay_alu instid0(VALU_DEP_1) | instskip(NEXT) | instid1(VALU_DEP_1)
	v_add_f32_e32 v6, v6, v36
	v_add_f32_e32 v6, v6, v37
	s_wait_xcnt 0x0
	s_and_not1_saveexec_b32 s25, s6
	s_cbranch_execz .LBB577_69
.LBB577_77:                             ;   in Loop: Header=BB577_67 Depth=2
	s_and_saveexec_b32 s60, s5
	s_cbranch_execz .LBB577_84
; %bb.78:                               ;   in Loop: Header=BB577_67 Depth=2
	s_and_not1_b32 vcc_lo, exec_lo, s66
	s_cbranch_vccnz .LBB577_81
; %bb.79:                               ;   in Loop: Header=BB577_67 Depth=2
	v_mov_b64_e32 v[36:37], v[22:23]
	s_mov_b64 s[8:9], 0
.LBB577_80:                             ;   Parent Loop BB577_3 Depth=1
                                        ;     Parent Loop BB577_67 Depth=2
                                        ; =>    This Inner Loop Header: Depth=3
	global_load_u16 v44, v[36:37], off
	s_cmp_eq_u32 s8, 3
	s_wait_xcnt 0x0
	v_add_nc_u64_e32 v[36:37], s[46:47], v[36:37]
	s_cselect_b32 vcc_lo, -1, 0
	s_cmp_eq_u32 s8, 2
	s_cselect_b32 s6, -1, 0
	s_cmp_eq_u32 s8, 1
	s_cselect_b32 s7, -1, 0
	s_cmp_eq_u32 s8, 0
	s_add_nc_u64 s[8:9], s[8:9], 1
	s_wait_loadcnt 0x0
	v_lshlrev_b32_e32 v44, 16, v44
	s_delay_alu instid0(VALU_DEP_1) | instskip(SKIP_1) | instid1(SALU_CYCLE_1)
	v_dual_cndmask_b32 v5, v5, v44, vcc_lo :: v_dual_cndmask_b32 v4, v4, v44, s6
	s_cselect_b32 vcc_lo, -1, 0
	v_dual_cndmask_b32 v3, v3, v44, s7 :: v_dual_cndmask_b32 v2, v2, v44, vcc_lo
	s_cmp_eq_u32 s64, s8
	s_cbranch_scc0 .LBB577_80
.LBB577_81:                             ;   in Loop: Header=BB577_67 Depth=2
	s_and_not1_b32 vcc_lo, exec_lo, s66
	s_cbranch_vccnz .LBB577_84
; %bb.82:                               ;   in Loop: Header=BB577_67 Depth=2
	v_mov_b64_e32 v[36:37], v[34:35]
	s_mov_b64 s[6:7], 0
.LBB577_83:                             ;   Parent Loop BB577_3 Depth=1
                                        ;     Parent Loop BB577_67 Depth=2
                                        ; =>    This Inner Loop Header: Depth=3
	global_load_u16 v44, v[36:37], off
	s_cmp_eq_u32 s6, 1
	s_wait_xcnt 0x0
	v_add_nc_u64_e32 v[36:37], 2, v[36:37]
	s_cselect_b32 vcc_lo, -1, 0
	s_cmp_eq_u32 s6, 2
	v_cndmask_b32_e32 v45, v2, v3, vcc_lo
	s_cselect_b32 vcc_lo, -1, 0
	s_cmp_eq_u32 s6, 3
	s_add_nc_u64 s[6:7], s[6:7], 1
	s_delay_alu instid0(VALU_DEP_1) | instskip(SKIP_2) | instid1(VALU_DEP_1)
	v_cndmask_b32_e32 v45, v45, v4, vcc_lo
	s_cselect_b32 vcc_lo, -1, 0
	s_cmp_lg_u32 s64, s6
	v_cndmask_b32_e32 v45, v45, v5, vcc_lo
	s_wait_loadcnt 0x0
	s_delay_alu instid0(VALU_DEP_1)
	v_fma_mix_f32_bf16 v6, v45, v44, v6 op_sel_hi:[0,1,0]
	s_cbranch_scc1 .LBB577_83
.LBB577_84:                             ;   in Loop: Header=BB577_67 Depth=2
	s_or_b32 exec_lo, exec_lo, s60
	s_delay_alu instid0(SALU_CYCLE_1)
	s_or_b32 exec_lo, exec_lo, s25
	s_and_saveexec_b32 s6, s1
	s_cbranch_execnz .LBB577_70
	s_branch .LBB577_71
.LBB577_85:                             ;   in Loop: Header=BB577_67 Depth=2
	ds_load_b32 v6, v40
	s_or_b32 exec_lo, exec_lo, s6
	s_and_saveexec_b32 s6, s1
	s_cbranch_execz .LBB577_75
.LBB577_86:                             ;   in Loop: Header=BB577_67 Depth=2
	s_wait_dscnt 0x0
	ds_bpermute_b32 v36, v7, v6
	s_wait_dscnt 0x0
	v_add_f32_e32 v6, v6, v36
	ds_bpermute_b32 v36, v38, v6
	s_wait_dscnt 0x0
	v_add_f32_e32 v6, v6, v36
	;; [unrolled: 3-line block ×3, first 2 shown]
	s_or_b32 exec_lo, exec_lo, s6
	s_and_saveexec_b32 s6, s0
	s_cbranch_execz .LBB577_66
.LBB577_87:                             ;   in Loop: Header=BB577_67 Depth=2
	s_mul_u64 s[8:9], s[10:11], s[28:29]
	s_wait_dscnt 0x0
	v_mul_f32_e32 v6, s22, v6
	s_lshl_b64 s[8:9], s[8:9], 2
	s_delay_alu instid0(SALU_CYCLE_1)
	s_add_nc_u64 s[8:9], s[58:59], s[8:9]
	global_store_b32 v0, v6, s[8:9]
	s_branch .LBB577_66
.LBB577_88:
	s_sendmsg sendmsg(MSG_DEALLOC_VGPRS)
	s_endpgm
	.section	.rodata,"a",@progbits
	.p2align	6, 0x0
	.amdhsa_kernel _ZL23rocblas_gemvt_sn_kernelILb1ELi256ELi4El16rocblas_bfloat16ffEviiT4_lPKT3_lilS4_lilPT5_i
		.amdhsa_group_segment_fixed_size 128
		.amdhsa_private_segment_fixed_size 0
		.amdhsa_kernarg_size 360
		.amdhsa_user_sgpr_count 2
		.amdhsa_user_sgpr_dispatch_ptr 0
		.amdhsa_user_sgpr_queue_ptr 0
		.amdhsa_user_sgpr_kernarg_segment_ptr 1
		.amdhsa_user_sgpr_dispatch_id 0
		.amdhsa_user_sgpr_kernarg_preload_length 0
		.amdhsa_user_sgpr_kernarg_preload_offset 0
		.amdhsa_user_sgpr_private_segment_size 0
		.amdhsa_wavefront_size32 1
		.amdhsa_uses_dynamic_stack 0
		.amdhsa_enable_private_segment 0
		.amdhsa_system_sgpr_workgroup_id_x 1
		.amdhsa_system_sgpr_workgroup_id_y 0
		.amdhsa_system_sgpr_workgroup_id_z 1
		.amdhsa_system_sgpr_workgroup_info 0
		.amdhsa_system_vgpr_workitem_id 0
		.amdhsa_next_free_vgpr 67
		.amdhsa_next_free_sgpr 72
		.amdhsa_named_barrier_count 0
		.amdhsa_reserve_vcc 1
		.amdhsa_float_round_mode_32 0
		.amdhsa_float_round_mode_16_64 0
		.amdhsa_float_denorm_mode_32 3
		.amdhsa_float_denorm_mode_16_64 3
		.amdhsa_fp16_overflow 0
		.amdhsa_memory_ordered 1
		.amdhsa_forward_progress 1
		.amdhsa_inst_pref_size 33
		.amdhsa_round_robin_scheduling 0
		.amdhsa_exception_fp_ieee_invalid_op 0
		.amdhsa_exception_fp_denorm_src 0
		.amdhsa_exception_fp_ieee_div_zero 0
		.amdhsa_exception_fp_ieee_overflow 0
		.amdhsa_exception_fp_ieee_underflow 0
		.amdhsa_exception_fp_ieee_inexact 0
		.amdhsa_exception_int_div_zero 0
	.end_amdhsa_kernel
	.section	.text._ZL23rocblas_gemvt_sn_kernelILb1ELi256ELi4El16rocblas_bfloat16ffEviiT4_lPKT3_lilS4_lilPT5_i,"axG",@progbits,_ZL23rocblas_gemvt_sn_kernelILb1ELi256ELi4El16rocblas_bfloat16ffEviiT4_lPKT3_lilS4_lilPT5_i,comdat
.Lfunc_end577:
	.size	_ZL23rocblas_gemvt_sn_kernelILb1ELi256ELi4El16rocblas_bfloat16ffEviiT4_lPKT3_lilS4_lilPT5_i, .Lfunc_end577-_ZL23rocblas_gemvt_sn_kernelILb1ELi256ELi4El16rocblas_bfloat16ffEviiT4_lPKT3_lilS4_lilPT5_i
                                        ; -- End function
	.set _ZL23rocblas_gemvt_sn_kernelILb1ELi256ELi4El16rocblas_bfloat16ffEviiT4_lPKT3_lilS4_lilPT5_i.num_vgpr, 67
	.set _ZL23rocblas_gemvt_sn_kernelILb1ELi256ELi4El16rocblas_bfloat16ffEviiT4_lPKT3_lilS4_lilPT5_i.num_agpr, 0
	.set _ZL23rocblas_gemvt_sn_kernelILb1ELi256ELi4El16rocblas_bfloat16ffEviiT4_lPKT3_lilS4_lilPT5_i.numbered_sgpr, 72
	.set _ZL23rocblas_gemvt_sn_kernelILb1ELi256ELi4El16rocblas_bfloat16ffEviiT4_lPKT3_lilS4_lilPT5_i.num_named_barrier, 0
	.set _ZL23rocblas_gemvt_sn_kernelILb1ELi256ELi4El16rocblas_bfloat16ffEviiT4_lPKT3_lilS4_lilPT5_i.private_seg_size, 0
	.set _ZL23rocblas_gemvt_sn_kernelILb1ELi256ELi4El16rocblas_bfloat16ffEviiT4_lPKT3_lilS4_lilPT5_i.uses_vcc, 1
	.set _ZL23rocblas_gemvt_sn_kernelILb1ELi256ELi4El16rocblas_bfloat16ffEviiT4_lPKT3_lilS4_lilPT5_i.uses_flat_scratch, 0
	.set _ZL23rocblas_gemvt_sn_kernelILb1ELi256ELi4El16rocblas_bfloat16ffEviiT4_lPKT3_lilS4_lilPT5_i.has_dyn_sized_stack, 0
	.set _ZL23rocblas_gemvt_sn_kernelILb1ELi256ELi4El16rocblas_bfloat16ffEviiT4_lPKT3_lilS4_lilPT5_i.has_recursion, 0
	.set _ZL23rocblas_gemvt_sn_kernelILb1ELi256ELi4El16rocblas_bfloat16ffEviiT4_lPKT3_lilS4_lilPT5_i.has_indirect_call, 0
	.section	.AMDGPU.csdata,"",@progbits
; Kernel info:
; codeLenInByte = 4124
; TotalNumSgprs: 74
; NumVgprs: 67
; ScratchSize: 0
; MemoryBound: 0
; FloatMode: 240
; IeeeMode: 1
; LDSByteSize: 128 bytes/workgroup (compile time only)
; SGPRBlocks: 0
; VGPRBlocks: 4
; NumSGPRsForWavesPerEU: 74
; NumVGPRsForWavesPerEU: 67
; NamedBarCnt: 0
; Occupancy: 12
; WaveLimiterHint : 0
; COMPUTE_PGM_RSRC2:SCRATCH_EN: 0
; COMPUTE_PGM_RSRC2:USER_SGPR: 2
; COMPUTE_PGM_RSRC2:TRAP_HANDLER: 0
; COMPUTE_PGM_RSRC2:TGID_X_EN: 1
; COMPUTE_PGM_RSRC2:TGID_Y_EN: 0
; COMPUTE_PGM_RSRC2:TGID_Z_EN: 1
; COMPUTE_PGM_RSRC2:TIDIG_COMP_CNT: 0
	.section	.text._ZL20rocblas_gemvt_kernelILb1ELi256E16rocblas_bfloat16PKfS0_EviiT2_lPKT1_lilS6_lilS3_lPT3_lili,"axG",@progbits,_ZL20rocblas_gemvt_kernelILb1ELi256E16rocblas_bfloat16PKfS0_EviiT2_lPKT1_lilS6_lilS3_lPT3_lili,comdat
	.globl	_ZL20rocblas_gemvt_kernelILb1ELi256E16rocblas_bfloat16PKfS0_EviiT2_lPKT1_lilS6_lilS3_lPT3_lili ; -- Begin function _ZL20rocblas_gemvt_kernelILb1ELi256E16rocblas_bfloat16PKfS0_EviiT2_lPKT1_lilS6_lilS3_lPT3_lili
	.p2align	8
	.type	_ZL20rocblas_gemvt_kernelILb1ELi256E16rocblas_bfloat16PKfS0_EviiT2_lPKT1_lilS6_lilS3_lPT3_lili,@function
_ZL20rocblas_gemvt_kernelILb1ELi256E16rocblas_bfloat16PKfS0_EviiT2_lPKT1_lilS6_lilS3_lPT3_lili: ; @_ZL20rocblas_gemvt_kernelILb1ELi256E16rocblas_bfloat16PKfS0_EviiT2_lPKT1_lilS6_lilS3_lPT3_lili
; %bb.0:
	s_load_b32 s33, s[0:1], 0x88
	s_bfe_u32 s2, ttmp6, 0x40014
	s_lshr_b32 s3, ttmp7, 16
	s_add_co_i32 s2, s2, 1
	s_bfe_u32 s4, ttmp6, 0x40008
	s_mul_i32 s2, s3, s2
	s_getreg_b32 s7, hwreg(HW_REG_IB_STS2, 6, 4)
	s_add_co_i32 s4, s4, s2
	s_cmp_eq_u32 s7, 0
	s_mov_b32 s35, 0
	s_cselect_b32 s34, s3, s4
	s_wait_kmcnt 0x0
	s_cmp_ge_u32 s34, s33
	s_cbranch_scc1 .LBB578_65
; %bb.1:
	s_clause 0x4
	s_load_b32 s2, s[0:1], 0x28
	s_load_b96 s[4:6], s[0:1], 0x40
	s_load_b96 s[8:10], s[0:1], 0x70
	s_load_b256 s[12:19], s[0:1], 0x8
	s_load_b32 s46, s[0:1], 0x0
	s_bfe_u32 s3, ttmp6, 0x4000c
	s_and_b32 s11, ttmp6, 15
	s_add_co_i32 s3, s3, 1
	s_load_b128 s[28:31], s[0:1], 0x30
	s_mul_i32 s3, ttmp9, s3
	s_load_b64 s[36:37], s[0:1], 0x80
	s_add_co_i32 s11, s11, s3
	s_load_b256 s[20:27], s[0:1], 0x50
	v_lshlrev_b32_e32 v14, 2, v0
	s_wait_kmcnt 0x0
	s_ashr_i32 s3, s2, 31
	s_ashr_i32 s39, s6, 31
	;; [unrolled: 1-line block ×3, first 2 shown]
	s_lshl_b64 s[4:5], s[4:5], 1
	s_lshl_b64 s[8:9], s[8:9], 1
	s_lshl_b64 s[42:43], s[18:19], 1
	s_cmp_eq_u32 s7, 0
	s_mov_b32 s38, s6
	s_cselect_b32 s44, ttmp9, s11
	s_ashr_i32 s7, s46, 31
	v_cmp_gt_i32_e32 vcc_lo, s46, v0
	s_lshr_b32 s0, s7, 24
	s_ashr_i32 s45, s44, 31
	s_add_co_i32 s0, s46, s0
	s_mul_u64 s[2:3], s[2:3], s[44:45]
	s_and_b32 s18, s0, 0xffffff00
	s_delay_alu instid0(SALU_CYCLE_1) | instskip(SKIP_3) | instid1(VALU_DEP_1)
	v_dual_mov_b32 v3, 0 :: v_dual_bitop2_b32 v8, s18, v0 bitop3:0x54
	s_add_nc_u64 s[0:1], s[16:17], s[42:43]
	s_add_nc_u64 s[26:27], s[26:27], s[8:9]
	s_lshl_b64 s[8:9], s[2:3], 1
	v_dual_mov_b32 v1, v3 :: v_dual_ashrrev_i32 v9, 31, v8
	s_mov_b32 s40, s10
	s_add_nc_u64 s[10:11], s[30:31], s[4:5]
	s_add_nc_u64 s[30:31], s[8:9], s[42:43]
	s_delay_alu instid0(VALU_DEP_1)
	v_mul_u64_e32 v[10:11], s[38:39], v[0:1]
	v_mul_u64_e32 v[4:5], s[38:39], v[8:9]
	v_cndmask_b32_e32 v1, 0, v0, vcc_lo
	s_add_nc_u64 s[16:17], s[16:17], s[30:31]
	v_cmp_gt_u32_e64 s2, 0x80, v0
	v_cmp_gt_u32_e64 s3, 64, v0
	;; [unrolled: 1-line block ×3, first 2 shown]
	v_lshlrev_b32_e32 v2, 1, v1
	v_cmp_gt_u32_e64 s5, 16, v0
	v_cmp_gt_u32_e64 s6, 8, v0
	;; [unrolled: 1-line block ×3, first 2 shown]
	s_mul_u64 s[40:41], s[40:41], s[44:45]
	v_add_nc_u64_e32 v[6:7], s[0:1], v[2:3]
	v_cmp_gt_i32_e64 s1, s46, v8
	v_add_nc_u64_e32 v[8:9], s[16:17], v[2:3]
	v_cmp_eq_u32_e64 s0, 0, v0
	s_cmp_gt_i32 s46, 0xff
	s_cselect_b32 s44, -1, 0
	v_add_nc_u64_e32 v[6:7], s[8:9], v[6:7]
	v_cmp_gt_u32_e64 s8, 2, v0
	s_ashr_i32 s19, s18, 31
	s_lshl_b64 s[16:17], s[20:21], 1
	s_lshl_b64 s[30:31], s[38:39], 9
	;; [unrolled: 1-line block ×4, first 2 shown]
	v_lshl_add_u64 v[0:1], v[10:11], 1, s[10:11]
	s_branch .LBB578_4
.LBB578_2:                              ;   in Loop: Header=BB578_4 Depth=1
	s_wait_xcnt 0x0
	s_or_b32 exec_lo, exec_lo, s45
.LBB578_3:                              ;   in Loop: Header=BB578_4 Depth=1
	s_add_co_i32 s34, s34, 0x10000
	s_delay_alu instid0(SALU_CYCLE_1)
	s_cmp_lt_u32 s34, s33
	s_cbranch_scc0 .LBB578_65
.LBB578_4:                              ; =>This Loop Header: Depth=1
                                        ;     Child Loop BB578_19 Depth 2
	s_mul_u64 s[42:43], s[14:15], s[34:35]
	s_mul_u64 s[46:47], s[24:25], s[34:35]
	s_lshl_b64 s[42:43], s[42:43], 2
	s_lshl_b64 s[46:47], s[46:47], 2
	s_add_nc_u64 s[42:43], s[12:13], s[42:43]
	s_add_nc_u64 s[46:47], s[22:23], s[46:47]
	s_clause 0x1
	global_load_b32 v2, v3, s[42:43]
	global_load_b32 v10, v3, s[46:47]
	s_wait_loadcnt 0x1
	v_cmp_eq_f32_e32 vcc_lo, 0, v2
	s_wait_loadcnt 0x0
	v_cmp_eq_f32_e64 s9, 1.0, v10
	s_wait_xcnt 0x0
	v_readfirstlane_b32 s46, v2
	v_readfirstlane_b32 s45, v10
	s_and_b32 s9, vcc_lo, s9
	s_delay_alu instid0(SALU_CYCLE_1)
	s_and_b32 vcc_lo, exec_lo, s9
	s_cbranch_vccnz .LBB578_3
; %bb.5:                                ;   in Loop: Header=BB578_4 Depth=1
	s_mul_u64 s[42:43], s[36:37], s[34:35]
	s_delay_alu instid0(SALU_CYCLE_1)
	s_lshl_b64 s[42:43], s[42:43], 1
	s_cmp_neq_f32 s46, 0
	s_add_nc_u64 s[42:43], s[26:27], s[42:43]
	s_cbranch_scc1 .LBB578_13
; %bb.6:                                ;   in Loop: Header=BB578_4 Depth=1
	s_mov_b32 s47, 0
	s_mov_b32 s9, 0
                                        ; implicit-def: $sgpr48
	s_and_saveexec_b32 s49, s0
	s_cbranch_execz .LBB578_14
; %bb.7:                                ;   in Loop: Header=BB578_4 Depth=1
	s_cmp_eq_f32 s45, 0
	s_cbranch_scc1 .LBB578_15
; %bb.8:                                ;   in Loop: Header=BB578_4 Depth=1
	s_add_nc_u64 s[50:51], s[42:43], s[40:41]
	global_load_u16 v2, v3, s[50:51]
	s_wait_xcnt 0x0
	s_mov_b32 s50, -1
	s_wait_loadcnt 0x0
	v_readfirstlane_b32 s9, v2
	s_lshl_b32 s9, s9, 16
	s_delay_alu instid0(SALU_CYCLE_1) | instskip(NEXT) | instid1(SALU_CYCLE_3)
	s_mul_f32 s9, s45, s9
	s_and_b32 s48, s9, 0x7f800000
	s_delay_alu instid0(SALU_CYCLE_1)
	s_cmp_eq_u32 s48, 0x7f800000
                                        ; implicit-def: $sgpr48
	s_cbranch_scc1 .LBB578_10
; %bb.9:                                ;   in Loop: Header=BB578_4 Depth=1
	s_bfe_u32 s48, s9, 0x10010
	s_mov_b32 s50, 0
	s_add_co_i32 s48, s9, s48
	s_delay_alu instid0(SALU_CYCLE_1)
	s_addk_co_i32 s48, 0x7fff
.LBB578_10:                             ;   in Loop: Header=BB578_4 Depth=1
	s_and_not1_b32 vcc_lo, exec_lo, s50
	s_cbranch_vccnz .LBB578_12
; %bb.11:                               ;   in Loop: Header=BB578_4 Depth=1
	s_and_b32 s48, s9, 0xffff
	s_or_b32 s50, s9, 0x10000
	s_cmp_eq_u32 s48, 0
	s_cselect_b32 s48, s9, s50
.LBB578_12:                             ;   in Loop: Header=BB578_4 Depth=1
	s_delay_alu instid0(SALU_CYCLE_1) | instskip(SKIP_2) | instid1(SALU_CYCLE_1)
	s_lshr_b32 s48, s48, 16
	s_mov_b32 s9, exec_lo
	s_or_b32 exec_lo, exec_lo, s49
	s_and_b32 vcc_lo, exec_lo, s47
	s_cbranch_vccnz .LBB578_16
	s_branch .LBB578_63
.LBB578_13:                             ;   in Loop: Header=BB578_4 Depth=1
	s_mov_b32 s9, 0
                                        ; implicit-def: $sgpr48
	s_cbranch_execnz .LBB578_16
	s_branch .LBB578_63
.LBB578_14:                             ;   in Loop: Header=BB578_4 Depth=1
	s_or_b32 exec_lo, exec_lo, s49
	s_delay_alu instid0(SALU_CYCLE_1)
	s_and_b32 vcc_lo, exec_lo, s47
	s_cbranch_vccnz .LBB578_16
	s_branch .LBB578_63
.LBB578_15:                             ;   in Loop: Header=BB578_4 Depth=1
	s_mov_b32 s48, 0
	s_mov_b32 s9, exec_lo
	s_or_b32 exec_lo, exec_lo, s49
	s_delay_alu instid0(SALU_CYCLE_1)
	s_and_b32 vcc_lo, exec_lo, s47
	s_cbranch_vccz .LBB578_63
.LBB578_16:                             ;   in Loop: Header=BB578_4 Depth=1
	v_mov_b32_e32 v2, 0
	s_and_not1_b32 vcc_lo, exec_lo, s44
	s_cbranch_vccnz .LBB578_23
; %bb.17:                               ;   in Loop: Header=BB578_4 Depth=1
	v_mad_nc_u64_u32 v[10:11], s16, s34, v[0:1]
	v_mad_nc_u64_u32 v[12:13], s38, s34, v[8:9]
	v_mov_b32_e32 v2, 0
	s_mov_b32 s47, 0
	s_delay_alu instid0(VALU_DEP_3) | instskip(NEXT) | instid1(VALU_DEP_3)
	v_mad_u32 v11, s17, s34, v11
	v_mad_u32 v13, s39, s34, v13
	s_branch .LBB578_19
.LBB578_18:                             ;   in Loop: Header=BB578_19 Depth=2
	s_or_b32 exec_lo, exec_lo, s48
	s_delay_alu instid0(VALU_DEP_1) | instskip(SKIP_3) | instid1(SALU_CYCLE_1)
	v_and_b32_e32 v15, 0xffff0000, v16
	v_add_nc_u64_e32 v[10:11], s[30:31], v[10:11]
	v_add_nc_u64_e32 v[12:13], 0x200, v[12:13]
	s_addk_co_i32 s47, 0x100
	s_cmp_ge_i32 s47, s18
	v_add_f32_e32 v2, v2, v15
	s_cbranch_scc1 .LBB578_23
.LBB578_19:                             ;   Parent Loop BB578_4 Depth=1
                                        ; =>  This Inner Loop Header: Depth=2
	global_load_u16 v15, v[12:13], off
	global_load_u16 v16, v[10:11], off
	s_wait_loadcnt 0x0
	v_dual_lshlrev_b32 v15, 16, v15 :: v_dual_lshlrev_b32 v16, 16, v16
	s_delay_alu instid0(VALU_DEP_1) | instskip(NEXT) | instid1(VALU_DEP_1)
	v_mul_f32_e32 v15, v16, v15
	v_and_b32_e32 v16, 0x7f800000, v15
	s_delay_alu instid0(VALU_DEP_1) | instskip(SKIP_2) | instid1(SALU_CYCLE_1)
	v_cmp_ne_u32_e32 vcc_lo, 0x7f800000, v16
                                        ; implicit-def: $vgpr16
	s_wait_xcnt 0x0
	s_and_saveexec_b32 s48, vcc_lo
	s_xor_b32 s48, exec_lo, s48
; %bb.20:                               ;   in Loop: Header=BB578_19 Depth=2
	v_bfe_u32 v16, v15, 16, 1
	s_delay_alu instid0(VALU_DEP_1)
	v_add3_u32 v16, v15, v16, 0x7fff
                                        ; implicit-def: $vgpr15
; %bb.21:                               ;   in Loop: Header=BB578_19 Depth=2
	s_and_not1_saveexec_b32 s48, s48
	s_cbranch_execz .LBB578_18
; %bb.22:                               ;   in Loop: Header=BB578_19 Depth=2
	v_and_b32_e32 v16, 0xffff, v15
	v_or_b32_e32 v17, 0x10000, v15
	s_delay_alu instid0(VALU_DEP_2) | instskip(NEXT) | instid1(VALU_DEP_2)
	v_cmp_eq_u32_e32 vcc_lo, 0, v16
	v_cndmask_b32_e32 v16, v17, v15, vcc_lo
	s_branch .LBB578_18
.LBB578_23:                             ;   in Loop: Header=BB578_4 Depth=1
	s_and_saveexec_b32 s47, s1
	s_cbranch_execz .LBB578_29
; %bb.24:                               ;   in Loop: Header=BB578_4 Depth=1
	s_mul_u64 s[48:49], s[28:29], s[34:35]
	s_mul_u64 s[50:51], s[20:21], s[34:35]
	v_lshl_add_u64 v[10:11], s[48:49], 1, v[6:7]
	s_lshl_b64 s[48:49], s[50:51], 1
	s_delay_alu instid0(SALU_CYCLE_1) | instskip(NEXT) | instid1(SALU_CYCLE_1)
	s_add_nc_u64 s[48:49], s[10:11], s[48:49]
	v_lshl_add_u64 v[12:13], v[4:5], 1, s[48:49]
	s_delay_alu instid0(VALU_DEP_2)
	v_lshl_add_u64 v[10:11], s[18:19], 1, v[10:11]
	global_load_u16 v15, v[10:11], off
	global_load_u16 v16, v[12:13], off
	s_wait_loadcnt 0x0
	s_wait_xcnt 0x1
	v_dual_lshlrev_b32 v10, 16, v15 :: v_dual_lshlrev_b32 v11, 16, v16
	s_delay_alu instid0(VALU_DEP_1) | instskip(NEXT) | instid1(VALU_DEP_1)
	v_mul_f32_e32 v10, v11, v10
	v_and_b32_e32 v11, 0x7f800000, v10
	s_delay_alu instid0(VALU_DEP_1) | instskip(SKIP_2) | instid1(SALU_CYCLE_1)
	v_cmp_ne_u32_e32 vcc_lo, 0x7f800000, v11
                                        ; implicit-def: $vgpr11
	s_wait_xcnt 0x0
	s_and_saveexec_b32 s48, vcc_lo
	s_xor_b32 s48, exec_lo, s48
; %bb.25:                               ;   in Loop: Header=BB578_4 Depth=1
	v_bfe_u32 v11, v10, 16, 1
	s_delay_alu instid0(VALU_DEP_1)
	v_add3_u32 v11, v10, v11, 0x7fff
                                        ; implicit-def: $vgpr10
; %bb.26:                               ;   in Loop: Header=BB578_4 Depth=1
	s_and_not1_saveexec_b32 s48, s48
; %bb.27:                               ;   in Loop: Header=BB578_4 Depth=1
	v_and_b32_e32 v11, 0xffff, v10
	v_or_b32_e32 v12, 0x10000, v10
	s_delay_alu instid0(VALU_DEP_2) | instskip(NEXT) | instid1(VALU_DEP_2)
	v_cmp_eq_u32_e32 vcc_lo, 0, v11
	v_cndmask_b32_e32 v11, v12, v10, vcc_lo
; %bb.28:                               ;   in Loop: Header=BB578_4 Depth=1
	s_or_b32 exec_lo, exec_lo, s48
	s_delay_alu instid0(VALU_DEP_1) | instskip(NEXT) | instid1(VALU_DEP_1)
	v_and_b32_e32 v10, 0xffff0000, v11
	v_add_f32_e32 v2, v2, v10
.LBB578_29:                             ;   in Loop: Header=BB578_4 Depth=1
	s_or_b32 exec_lo, exec_lo, s47
	ds_store_b32 v14, v2
	s_wait_dscnt 0x0
	s_barrier_signal -1
	s_barrier_wait -1
	s_and_saveexec_b32 s47, s2
	s_cbranch_execz .LBB578_31
; %bb.30:                               ;   in Loop: Header=BB578_4 Depth=1
	ds_load_2addr_stride64_b32 v[10:11], v14 offset1:2
	s_wait_dscnt 0x0
	v_add_f32_e32 v2, v11, v10
	ds_store_b32 v14, v2
.LBB578_31:                             ;   in Loop: Header=BB578_4 Depth=1
	s_or_b32 exec_lo, exec_lo, s47
	s_wait_dscnt 0x0
	s_barrier_signal -1
	s_barrier_wait -1
	s_and_saveexec_b32 s47, s3
	s_cbranch_execz .LBB578_33
; %bb.32:                               ;   in Loop: Header=BB578_4 Depth=1
	ds_load_2addr_stride64_b32 v[10:11], v14 offset1:1
	s_wait_dscnt 0x0
	v_add_f32_e32 v2, v11, v10
	ds_store_b32 v14, v2
.LBB578_33:                             ;   in Loop: Header=BB578_4 Depth=1
	s_or_b32 exec_lo, exec_lo, s47
	s_wait_dscnt 0x0
	s_barrier_signal -1
	s_barrier_wait -1
	s_and_saveexec_b32 s47, s4
	s_cbranch_execz .LBB578_35
; %bb.34:                               ;   in Loop: Header=BB578_4 Depth=1
	ds_load_2addr_b32 v[10:11], v14 offset1:32
	s_wait_dscnt 0x0
	v_add_f32_e32 v2, v11, v10
	ds_store_b32 v14, v2
.LBB578_35:                             ;   in Loop: Header=BB578_4 Depth=1
	s_or_b32 exec_lo, exec_lo, s47
	s_wait_dscnt 0x0
	s_barrier_signal -1
	s_barrier_wait -1
	s_and_saveexec_b32 s47, s5
	s_cbranch_execz .LBB578_37
; %bb.36:                               ;   in Loop: Header=BB578_4 Depth=1
	ds_load_2addr_b32 v[10:11], v14 offset1:16
	s_wait_dscnt 0x0
	v_add_f32_e32 v2, v11, v10
	ds_store_b32 v14, v2
.LBB578_37:                             ;   in Loop: Header=BB578_4 Depth=1
	;; [unrolled: 12-line block ×5, first 2 shown]
	s_or_b32 exec_lo, exec_lo, s47
	s_wait_dscnt 0x0
	s_barrier_signal -1
	s_barrier_wait -1
	s_and_saveexec_b32 s47, s0
	s_cbranch_execz .LBB578_45
; %bb.44:                               ;   in Loop: Header=BB578_4 Depth=1
	ds_load_b64 v[10:11], v3
	s_wait_dscnt 0x0
	v_add_f32_e32 v2, v11, v10
	ds_store_b32 v3, v2
.LBB578_45:                             ;   in Loop: Header=BB578_4 Depth=1
	s_or_b32 exec_lo, exec_lo, s47
	s_wait_dscnt 0x0
	s_barrier_signal -1
	s_barrier_wait -1
                                        ; implicit-def: $sgpr48
	s_and_saveexec_b32 s47, s0
	s_cbranch_execz .LBB578_62
; %bb.46:                               ;   in Loop: Header=BB578_4 Depth=1
	ds_load_b32 v2, v3
	s_cmp_eq_f32 s45, 0
	s_wait_dscnt 0x0
	v_readfirstlane_b32 s48, v2
	s_mul_f32 s46, s46, s48
	s_cbranch_scc0 .LBB578_52
; %bb.47:                               ;   in Loop: Header=BB578_4 Depth=1
	s_delay_alu instid0(SALU_CYCLE_2)
	s_and_b32 s48, s46, 0x7f800000
	s_mov_b32 s49, -1
	s_cmp_eq_u32 s48, 0x7f800000
                                        ; implicit-def: $sgpr48
	s_cbranch_scc1 .LBB578_49
; %bb.48:                               ;   in Loop: Header=BB578_4 Depth=1
	s_bfe_u32 s48, s46, 0x10010
	s_mov_b32 s49, 0
	s_add_co_i32 s48, s46, s48
	s_delay_alu instid0(SALU_CYCLE_1)
	s_addk_co_i32 s48, 0x7fff
.LBB578_49:                             ;   in Loop: Header=BB578_4 Depth=1
	s_and_not1_b32 vcc_lo, exec_lo, s49
	s_cbranch_vccnz .LBB578_51
; %bb.50:                               ;   in Loop: Header=BB578_4 Depth=1
	s_and_b32 s48, s46, 0xffff
	s_or_b32 s49, s46, 0x10000
	s_cmp_eq_u32 s48, 0
	s_cselect_b32 s48, s46, s49
.LBB578_51:                             ;   in Loop: Header=BB578_4 Depth=1
	s_cbranch_execz .LBB578_53
	s_branch .LBB578_61
.LBB578_52:                             ;   in Loop: Header=BB578_4 Depth=1
                                        ; implicit-def: $sgpr48
.LBB578_53:                             ;   in Loop: Header=BB578_4 Depth=1
	s_add_nc_u64 s[48:49], s[42:43], s[40:41]
	global_load_u16 v2, v3, s[48:49]
	s_wait_xcnt 0x0
	s_mov_b32 s49, -1
	s_wait_loadcnt 0x0
	v_readfirstlane_b32 s48, v2
	s_lshl_b32 s48, s48, 16
	s_delay_alu instid0(SALU_CYCLE_1) | instskip(NEXT) | instid1(SALU_CYCLE_3)
	s_mul_f32 s45, s45, s48
	s_and_b32 s48, s45, 0x7f800000
	s_delay_alu instid0(SALU_CYCLE_1)
	s_cmp_eq_u32 s48, 0x7f800000
                                        ; implicit-def: $sgpr48
	s_cbranch_scc1 .LBB578_55
; %bb.54:                               ;   in Loop: Header=BB578_4 Depth=1
	s_bfe_u32 s48, s45, 0x10010
	s_mov_b32 s49, 0
	s_add_co_i32 s48, s45, s48
	s_delay_alu instid0(SALU_CYCLE_1)
	s_addk_co_i32 s48, 0x7fff
.LBB578_55:                             ;   in Loop: Header=BB578_4 Depth=1
	s_and_not1_b32 vcc_lo, exec_lo, s49
	s_cbranch_vccnz .LBB578_57
; %bb.56:                               ;   in Loop: Header=BB578_4 Depth=1
	s_and_b32 s48, s45, 0xffff
	s_or_b32 s49, s45, 0x10000
	s_cmp_eq_u32 s48, 0
	s_cselect_b32 s48, s45, s49
.LBB578_57:                             ;   in Loop: Header=BB578_4 Depth=1
	s_delay_alu instid0(SALU_CYCLE_1) | instskip(NEXT) | instid1(SALU_CYCLE_1)
	s_and_b32 s45, s48, 0xffff0000
                                        ; implicit-def: $sgpr48
	s_add_f32 s45, s46, s45
	s_delay_alu instid0(SALU_CYCLE_3) | instskip(NEXT) | instid1(SALU_CYCLE_1)
	s_and_b32 s46, s45, 0x7f800000
	s_cmp_eq_u32 s46, 0x7f800000
	s_mov_b32 s46, -1
	s_cbranch_scc1 .LBB578_59
; %bb.58:                               ;   in Loop: Header=BB578_4 Depth=1
	s_bfe_u32 s46, s45, 0x10010
	s_delay_alu instid0(SALU_CYCLE_1) | instskip(NEXT) | instid1(SALU_CYCLE_1)
	s_add_co_i32 s46, s45, s46
	s_add_co_i32 s48, s46, 0x7fff
	s_mov_b32 s46, 0
.LBB578_59:                             ;   in Loop: Header=BB578_4 Depth=1
	s_delay_alu instid0(SALU_CYCLE_1)
	s_and_not1_b32 vcc_lo, exec_lo, s46
	s_cbranch_vccnz .LBB578_61
; %bb.60:                               ;   in Loop: Header=BB578_4 Depth=1
	s_and_b32 s46, s45, 0xffff
	s_or_b32 s48, s45, 0x10000
	s_cmp_eq_u32 s46, 0
	s_cselect_b32 s48, s45, s48
.LBB578_61:                             ;   in Loop: Header=BB578_4 Depth=1
	s_delay_alu instid0(SALU_CYCLE_1)
	s_lshr_b32 s48, s48, 16
	s_or_b32 s9, s9, exec_lo
.LBB578_62:                             ;   in Loop: Header=BB578_4 Depth=1
	s_or_b32 exec_lo, exec_lo, s47
.LBB578_63:                             ;   in Loop: Header=BB578_4 Depth=1
	s_and_saveexec_b32 s45, s9
	s_cbranch_execz .LBB578_2
; %bb.64:                               ;   in Loop: Header=BB578_4 Depth=1
	v_mov_b32_e32 v2, s48
	s_add_nc_u64 s[42:43], s[42:43], s[40:41]
	global_store_b16 v3, v2, s[42:43]
	s_branch .LBB578_2
.LBB578_65:
	s_endpgm
	.section	.rodata,"a",@progbits
	.p2align	6, 0x0
	.amdhsa_kernel _ZL20rocblas_gemvt_kernelILb1ELi256E16rocblas_bfloat16PKfS0_EviiT2_lPKT1_lilS6_lilS3_lPT3_lili
		.amdhsa_group_segment_fixed_size 1024
		.amdhsa_private_segment_fixed_size 0
		.amdhsa_kernarg_size 140
		.amdhsa_user_sgpr_count 2
		.amdhsa_user_sgpr_dispatch_ptr 0
		.amdhsa_user_sgpr_queue_ptr 0
		.amdhsa_user_sgpr_kernarg_segment_ptr 1
		.amdhsa_user_sgpr_dispatch_id 0
		.amdhsa_user_sgpr_kernarg_preload_length 0
		.amdhsa_user_sgpr_kernarg_preload_offset 0
		.amdhsa_user_sgpr_private_segment_size 0
		.amdhsa_wavefront_size32 1
		.amdhsa_uses_dynamic_stack 0
		.amdhsa_enable_private_segment 0
		.amdhsa_system_sgpr_workgroup_id_x 1
		.amdhsa_system_sgpr_workgroup_id_y 0
		.amdhsa_system_sgpr_workgroup_id_z 1
		.amdhsa_system_sgpr_workgroup_info 0
		.amdhsa_system_vgpr_workitem_id 0
		.amdhsa_next_free_vgpr 18
		.amdhsa_next_free_sgpr 52
		.amdhsa_named_barrier_count 0
		.amdhsa_reserve_vcc 1
		.amdhsa_float_round_mode_32 0
		.amdhsa_float_round_mode_16_64 0
		.amdhsa_float_denorm_mode_32 3
		.amdhsa_float_denorm_mode_16_64 3
		.amdhsa_fp16_overflow 0
		.amdhsa_memory_ordered 1
		.amdhsa_forward_progress 1
		.amdhsa_inst_pref_size 17
		.amdhsa_round_robin_scheduling 0
		.amdhsa_exception_fp_ieee_invalid_op 0
		.amdhsa_exception_fp_denorm_src 0
		.amdhsa_exception_fp_ieee_div_zero 0
		.amdhsa_exception_fp_ieee_overflow 0
		.amdhsa_exception_fp_ieee_underflow 0
		.amdhsa_exception_fp_ieee_inexact 0
		.amdhsa_exception_int_div_zero 0
	.end_amdhsa_kernel
	.section	.text._ZL20rocblas_gemvt_kernelILb1ELi256E16rocblas_bfloat16PKfS0_EviiT2_lPKT1_lilS6_lilS3_lPT3_lili,"axG",@progbits,_ZL20rocblas_gemvt_kernelILb1ELi256E16rocblas_bfloat16PKfS0_EviiT2_lPKT1_lilS6_lilS3_lPT3_lili,comdat
.Lfunc_end578:
	.size	_ZL20rocblas_gemvt_kernelILb1ELi256E16rocblas_bfloat16PKfS0_EviiT2_lPKT1_lilS6_lilS3_lPT3_lili, .Lfunc_end578-_ZL20rocblas_gemvt_kernelILb1ELi256E16rocblas_bfloat16PKfS0_EviiT2_lPKT1_lilS6_lilS3_lPT3_lili
                                        ; -- End function
	.set _ZL20rocblas_gemvt_kernelILb1ELi256E16rocblas_bfloat16PKfS0_EviiT2_lPKT1_lilS6_lilS3_lPT3_lili.num_vgpr, 18
	.set _ZL20rocblas_gemvt_kernelILb1ELi256E16rocblas_bfloat16PKfS0_EviiT2_lPKT1_lilS6_lilS3_lPT3_lili.num_agpr, 0
	.set _ZL20rocblas_gemvt_kernelILb1ELi256E16rocblas_bfloat16PKfS0_EviiT2_lPKT1_lilS6_lilS3_lPT3_lili.numbered_sgpr, 52
	.set _ZL20rocblas_gemvt_kernelILb1ELi256E16rocblas_bfloat16PKfS0_EviiT2_lPKT1_lilS6_lilS3_lPT3_lili.num_named_barrier, 0
	.set _ZL20rocblas_gemvt_kernelILb1ELi256E16rocblas_bfloat16PKfS0_EviiT2_lPKT1_lilS6_lilS3_lPT3_lili.private_seg_size, 0
	.set _ZL20rocblas_gemvt_kernelILb1ELi256E16rocblas_bfloat16PKfS0_EviiT2_lPKT1_lilS6_lilS3_lPT3_lili.uses_vcc, 1
	.set _ZL20rocblas_gemvt_kernelILb1ELi256E16rocblas_bfloat16PKfS0_EviiT2_lPKT1_lilS6_lilS3_lPT3_lili.uses_flat_scratch, 0
	.set _ZL20rocblas_gemvt_kernelILb1ELi256E16rocblas_bfloat16PKfS0_EviiT2_lPKT1_lilS6_lilS3_lPT3_lili.has_dyn_sized_stack, 0
	.set _ZL20rocblas_gemvt_kernelILb1ELi256E16rocblas_bfloat16PKfS0_EviiT2_lPKT1_lilS6_lilS3_lPT3_lili.has_recursion, 0
	.set _ZL20rocblas_gemvt_kernelILb1ELi256E16rocblas_bfloat16PKfS0_EviiT2_lPKT1_lilS6_lilS3_lPT3_lili.has_indirect_call, 0
	.section	.AMDGPU.csdata,"",@progbits
; Kernel info:
; codeLenInByte = 2116
; TotalNumSgprs: 54
; NumVgprs: 18
; ScratchSize: 0
; MemoryBound: 0
; FloatMode: 240
; IeeeMode: 1
; LDSByteSize: 1024 bytes/workgroup (compile time only)
; SGPRBlocks: 0
; VGPRBlocks: 1
; NumSGPRsForWavesPerEU: 54
; NumVGPRsForWavesPerEU: 18
; NamedBarCnt: 0
; Occupancy: 16
; WaveLimiterHint : 0
; COMPUTE_PGM_RSRC2:SCRATCH_EN: 0
; COMPUTE_PGM_RSRC2:USER_SGPR: 2
; COMPUTE_PGM_RSRC2:TRAP_HANDLER: 0
; COMPUTE_PGM_RSRC2:TGID_X_EN: 1
; COMPUTE_PGM_RSRC2:TGID_Y_EN: 0
; COMPUTE_PGM_RSRC2:TGID_Z_EN: 1
; COMPUTE_PGM_RSRC2:TIDIG_COMP_CNT: 0
	.section	.text._ZL20rocblas_gemvt_kernelILb1ELi256E16rocblas_bfloat16fS0_EviiT2_lPKT1_lilS4_lilS1_lPT3_lili,"axG",@progbits,_ZL20rocblas_gemvt_kernelILb1ELi256E16rocblas_bfloat16fS0_EviiT2_lPKT1_lilS4_lilS1_lPT3_lili,comdat
	.globl	_ZL20rocblas_gemvt_kernelILb1ELi256E16rocblas_bfloat16fS0_EviiT2_lPKT1_lilS4_lilS1_lPT3_lili ; -- Begin function _ZL20rocblas_gemvt_kernelILb1ELi256E16rocblas_bfloat16fS0_EviiT2_lPKT1_lilS4_lilS1_lPT3_lili
	.p2align	8
	.type	_ZL20rocblas_gemvt_kernelILb1ELi256E16rocblas_bfloat16fS0_EviiT2_lPKT1_lilS4_lilS1_lPT3_lili,@function
_ZL20rocblas_gemvt_kernelILb1ELi256E16rocblas_bfloat16fS0_EviiT2_lPKT1_lilS4_lilS1_lPT3_lili: ; @_ZL20rocblas_gemvt_kernelILb1ELi256E16rocblas_bfloat16fS0_EviiT2_lPKT1_lilS4_lilS1_lPT3_lili
; %bb.0:
	s_load_b32 s23, s[0:1], 0x88
	s_bfe_u32 s2, ttmp6, 0x40014
	s_lshr_b32 s3, ttmp7, 16
	s_add_co_i32 s2, s2, 1
	s_bfe_u32 s4, ttmp6, 0x40008
	s_mul_i32 s2, s3, s2
	s_getreg_b32 s11, hwreg(HW_REG_IB_STS2, 6, 4)
	s_add_co_i32 s4, s4, s2
	s_cmp_eq_u32 s11, 0
	s_mov_b32 s25, 0
	s_cselect_b32 s24, s3, s4
	s_wait_kmcnt 0x0
	s_cmp_ge_u32 s24, s23
	s_cbranch_scc1 .LBB579_65
; %bb.1:
	s_clause 0x8
	s_load_b32 s2, s[0:1], 0x28
	s_load_b96 s[8:10], s[0:1], 0x40
	s_load_b32 s34, s[0:1], 0x78
	s_load_b128 s[4:7], s[0:1], 0x68
	s_load_b128 s[16:19], s[0:1], 0x18
	s_load_b32 s33, s[0:1], 0x8
	s_load_b96 s[20:22], s[0:1], 0x50
	s_load_b64 s[26:27], s[0:1], 0x80
	s_load_b32 s44, s[0:1], 0x0
	v_lshlrev_b32_e32 v14, 2, v0
	s_wait_kmcnt 0x0
	s_ashr_i32 s3, s2, 31
	s_ashr_i32 s29, s10, 31
	s_ashr_i32 s35, s34, 31
	s_lshl_b64 s[36:37], s[8:9], 1
	s_lshl_b64 s[6:7], s[6:7], 1
	;; [unrolled: 1-line block ×3, first 2 shown]
	s_cmp_eq_f32 s33, 0
	s_mov_b32 s28, s10
	s_cselect_b32 s9, -1, 0
	s_cmp_neq_f32 s33, 0
	s_cselect_b32 s8, -1, 0
	s_cmp_neq_f32 s22, 1.0
	s_cselect_b32 s12, -1, 0
	s_delay_alu instid0(SALU_CYCLE_1)
	s_or_b32 s38, s8, s12
	s_cmp_neq_f32 s22, 0
	s_load_b128 s[12:15], s[0:1], 0x30
	v_cmp_gt_i32_e32 vcc_lo, s44, v0
	v_mov_b32_e32 v3, 0
	s_cselect_b32 s39, -1, 0
	s_cmp_eq_f32 s22, 0
	s_cselect_b32 s40, -1, 0
	s_bfe_u32 s8, ttmp6, 0x4000c
	s_and_b32 s18, ttmp6, 15
	s_add_co_i32 s8, s8, 1
	s_delay_alu instid0(SALU_CYCLE_1) | instskip(NEXT) | instid1(SALU_CYCLE_1)
	s_mul_i32 s8, ttmp9, s8
	s_add_co_i32 s18, s18, s8
	s_cmp_eq_u32 s11, 0
	v_cmp_gt_u32_e64 s8, 2, v0
	s_cselect_b32 s42, ttmp9, s18
	s_wait_xcnt 0x0
	s_ashr_i32 s0, s44, 31
	s_ashr_i32 s43, s42, 31
	s_lshr_b32 s0, s0, 24
	s_mul_u64 s[2:3], s[2:3], s[42:43]
	s_add_co_i32 s0, s44, s0
	s_wait_kmcnt 0x0
	s_add_nc_u64 s[14:15], s[14:15], s[36:37]
	s_and_b32 s10, s0, 0xffffff00
	s_delay_alu instid0(SALU_CYCLE_1) | instskip(SKIP_3) | instid1(VALU_DEP_1)
	v_dual_mov_b32 v1, v3 :: v_dual_bitop2_b32 v10, s10, v0 bitop3:0x54
	s_add_nc_u64 s[0:1], s[16:17], s[30:31]
	s_lshl_b64 s[36:37], s[2:3], 1
	s_add_nc_u64 s[18:19], s[4:5], s[6:7]
	v_mul_u64_e32 v[8:9], s[28:29], v[0:1]
	v_dual_cndmask_b32 v1, 0, v0, vcc_lo :: v_dual_ashrrev_i32 v11, 31, v10
	s_add_nc_u64 s[30:31], s[36:37], s[30:31]
	v_cmp_gt_u32_e64 s2, 0x80, v0
	s_add_nc_u64 s[30:31], s[16:17], s[30:31]
	v_lshlrev_b32_e32 v2, 1, v1
	v_mul_u64_e32 v[4:5], s[28:29], v[10:11]
	v_cmp_gt_u32_e64 s3, 64, v0
	v_cmp_gt_u32_e64 s4, 32, v0
	;; [unrolled: 1-line block ×3, first 2 shown]
	v_add_nc_u64_e32 v[6:7], s[0:1], v[2:3]
	v_cmp_eq_u32_e64 s0, 0, v0
	v_cmp_gt_u32_e64 s6, 8, v0
	v_cmp_gt_u32_e64 s7, 4, v0
	v_cmp_gt_i32_e64 s1, s44, v10
	s_mul_u64 s[34:35], s[34:35], s[42:43]
	s_cmp_gt_i32 s44, 0xff
	v_add_nc_u64_e32 v[6:7], s[36:37], v[6:7]
	s_cselect_b32 s41, -1, 0
	s_ashr_i32 s11, s10, 31
	s_lshl_b64 s[16:17], s[20:21], 1
	s_lshl_b64 s[28:29], s[28:29], 9
	;; [unrolled: 1-line block ×3, first 2 shown]
	v_lshl_add_u64 v[0:1], v[8:9], 1, s[14:15]
	v_add_nc_u64_e32 v[8:9], s[30:31], v[2:3]
	s_lshl_b64 s[30:31], s[12:13], 1
	s_branch .LBB579_4
.LBB579_2:                              ;   in Loop: Header=BB579_4 Depth=1
	s_wait_xcnt 0x0
	s_or_b32 exec_lo, exec_lo, s43
.LBB579_3:                              ;   in Loop: Header=BB579_4 Depth=1
	s_add_co_i32 s24, s24, 0x10000
	s_delay_alu instid0(SALU_CYCLE_1)
	s_cmp_lt_u32 s24, s23
	s_cbranch_scc0 .LBB579_65
.LBB579_4:                              ; =>This Loop Header: Depth=1
                                        ;     Child Loop BB579_19 Depth 2
	s_and_not1_b32 vcc_lo, exec_lo, s38
	s_cbranch_vccnz .LBB579_3
; %bb.5:                                ;   in Loop: Header=BB579_4 Depth=1
	s_mul_u64 s[36:37], s[26:27], s[24:25]
	s_and_not1_b32 vcc_lo, exec_lo, s9
	s_lshl_b64 s[36:37], s[36:37], 1
	s_delay_alu instid0(SALU_CYCLE_1)
	s_add_nc_u64 s[36:37], s[18:19], s[36:37]
	s_cbranch_vccnz .LBB579_13
; %bb.6:                                ;   in Loop: Header=BB579_4 Depth=1
	s_mov_b32 s43, 0
	s_mov_b32 s42, 0
                                        ; implicit-def: $sgpr44
	s_and_saveexec_b32 s45, s0
	s_cbranch_execz .LBB579_14
; %bb.7:                                ;   in Loop: Header=BB579_4 Depth=1
	s_and_not1_b32 vcc_lo, exec_lo, s39
	s_cbranch_vccnz .LBB579_15
; %bb.8:                                ;   in Loop: Header=BB579_4 Depth=1
	s_add_nc_u64 s[46:47], s[36:37], s[34:35]
	global_load_u16 v2, v3, s[46:47]
	s_wait_xcnt 0x0
	s_mov_b32 s46, -1
	s_wait_loadcnt 0x0
	v_readfirstlane_b32 s42, v2
	s_lshl_b32 s42, s42, 16
	s_delay_alu instid0(SALU_CYCLE_1) | instskip(NEXT) | instid1(SALU_CYCLE_3)
	s_mul_f32 s42, s22, s42
	s_and_b32 s44, s42, 0x7f800000
	s_delay_alu instid0(SALU_CYCLE_1)
	s_cmp_eq_u32 s44, 0x7f800000
                                        ; implicit-def: $sgpr44
	s_cbranch_scc1 .LBB579_10
; %bb.9:                                ;   in Loop: Header=BB579_4 Depth=1
	s_bfe_u32 s44, s42, 0x10010
	s_mov_b32 s46, 0
	s_add_co_i32 s44, s42, s44
	s_delay_alu instid0(SALU_CYCLE_1)
	s_addk_co_i32 s44, 0x7fff
.LBB579_10:                             ;   in Loop: Header=BB579_4 Depth=1
	s_and_not1_b32 vcc_lo, exec_lo, s46
	s_cbranch_vccnz .LBB579_12
; %bb.11:                               ;   in Loop: Header=BB579_4 Depth=1
	s_and_b32 s44, s42, 0xffff
	s_or_b32 s46, s42, 0x10000
	s_cmp_eq_u32 s44, 0
	s_cselect_b32 s44, s42, s46
.LBB579_12:                             ;   in Loop: Header=BB579_4 Depth=1
	s_delay_alu instid0(SALU_CYCLE_1) | instskip(SKIP_2) | instid1(SALU_CYCLE_1)
	s_lshr_b32 s44, s44, 16
	s_mov_b32 s42, exec_lo
	s_or_b32 exec_lo, exec_lo, s45
	s_and_b32 vcc_lo, exec_lo, s43
	s_cbranch_vccnz .LBB579_16
	s_branch .LBB579_63
.LBB579_13:                             ;   in Loop: Header=BB579_4 Depth=1
	s_mov_b32 s42, 0
                                        ; implicit-def: $sgpr44
	s_cbranch_execnz .LBB579_16
	s_branch .LBB579_63
.LBB579_14:                             ;   in Loop: Header=BB579_4 Depth=1
	s_or_b32 exec_lo, exec_lo, s45
	s_delay_alu instid0(SALU_CYCLE_1)
	s_and_b32 vcc_lo, exec_lo, s43
	s_cbranch_vccnz .LBB579_16
	s_branch .LBB579_63
.LBB579_15:                             ;   in Loop: Header=BB579_4 Depth=1
	s_mov_b32 s44, 0
	s_mov_b32 s42, exec_lo
	s_or_b32 exec_lo, exec_lo, s45
	s_delay_alu instid0(SALU_CYCLE_1)
	s_and_b32 vcc_lo, exec_lo, s43
	s_cbranch_vccz .LBB579_63
.LBB579_16:                             ;   in Loop: Header=BB579_4 Depth=1
	v_mov_b32_e32 v2, 0
	s_and_not1_b32 vcc_lo, exec_lo, s41
	s_cbranch_vccnz .LBB579_23
; %bb.17:                               ;   in Loop: Header=BB579_4 Depth=1
	v_mad_nc_u64_u32 v[10:11], s16, s24, v[0:1]
	v_mad_nc_u64_u32 v[12:13], s30, s24, v[8:9]
	v_mov_b32_e32 v2, 0
	s_mov_b32 s43, 0
	s_delay_alu instid0(VALU_DEP_3) | instskip(NEXT) | instid1(VALU_DEP_3)
	v_mad_u32 v11, s17, s24, v11
	v_mad_u32 v13, s31, s24, v13
	s_branch .LBB579_19
.LBB579_18:                             ;   in Loop: Header=BB579_19 Depth=2
	s_or_b32 exec_lo, exec_lo, s44
	s_delay_alu instid0(VALU_DEP_1) | instskip(SKIP_3) | instid1(SALU_CYCLE_1)
	v_and_b32_e32 v15, 0xffff0000, v16
	v_add_nc_u64_e32 v[10:11], s[28:29], v[10:11]
	v_add_nc_u64_e32 v[12:13], 0x200, v[12:13]
	s_addk_co_i32 s43, 0x100
	s_cmp_ge_i32 s43, s10
	v_add_f32_e32 v2, v2, v15
	s_cbranch_scc1 .LBB579_23
.LBB579_19:                             ;   Parent Loop BB579_4 Depth=1
                                        ; =>  This Inner Loop Header: Depth=2
	global_load_u16 v15, v[12:13], off
	global_load_u16 v16, v[10:11], off
	s_wait_loadcnt 0x0
	v_dual_lshlrev_b32 v15, 16, v15 :: v_dual_lshlrev_b32 v16, 16, v16
	s_delay_alu instid0(VALU_DEP_1) | instskip(NEXT) | instid1(VALU_DEP_1)
	v_mul_f32_e32 v15, v16, v15
	v_and_b32_e32 v16, 0x7f800000, v15
	s_delay_alu instid0(VALU_DEP_1) | instskip(SKIP_2) | instid1(SALU_CYCLE_1)
	v_cmp_ne_u32_e32 vcc_lo, 0x7f800000, v16
                                        ; implicit-def: $vgpr16
	s_wait_xcnt 0x0
	s_and_saveexec_b32 s44, vcc_lo
	s_xor_b32 s44, exec_lo, s44
; %bb.20:                               ;   in Loop: Header=BB579_19 Depth=2
	v_bfe_u32 v16, v15, 16, 1
	s_delay_alu instid0(VALU_DEP_1)
	v_add3_u32 v16, v15, v16, 0x7fff
                                        ; implicit-def: $vgpr15
; %bb.21:                               ;   in Loop: Header=BB579_19 Depth=2
	s_and_not1_saveexec_b32 s44, s44
	s_cbranch_execz .LBB579_18
; %bb.22:                               ;   in Loop: Header=BB579_19 Depth=2
	v_and_b32_e32 v16, 0xffff, v15
	v_or_b32_e32 v17, 0x10000, v15
	s_delay_alu instid0(VALU_DEP_2) | instskip(NEXT) | instid1(VALU_DEP_2)
	v_cmp_eq_u32_e32 vcc_lo, 0, v16
	v_cndmask_b32_e32 v16, v17, v15, vcc_lo
	s_branch .LBB579_18
.LBB579_23:                             ;   in Loop: Header=BB579_4 Depth=1
	s_and_saveexec_b32 s43, s1
	s_cbranch_execz .LBB579_29
; %bb.24:                               ;   in Loop: Header=BB579_4 Depth=1
	s_mul_u64 s[44:45], s[12:13], s[24:25]
	s_mul_u64 s[46:47], s[20:21], s[24:25]
	v_lshl_add_u64 v[10:11], s[44:45], 1, v[6:7]
	s_lshl_b64 s[44:45], s[46:47], 1
	s_delay_alu instid0(SALU_CYCLE_1) | instskip(NEXT) | instid1(SALU_CYCLE_1)
	s_add_nc_u64 s[44:45], s[14:15], s[44:45]
	v_lshl_add_u64 v[12:13], v[4:5], 1, s[44:45]
	s_delay_alu instid0(VALU_DEP_2)
	v_lshl_add_u64 v[10:11], s[10:11], 1, v[10:11]
	global_load_u16 v15, v[10:11], off
	global_load_u16 v16, v[12:13], off
	s_wait_loadcnt 0x0
	s_wait_xcnt 0x1
	v_dual_lshlrev_b32 v10, 16, v15 :: v_dual_lshlrev_b32 v11, 16, v16
	s_delay_alu instid0(VALU_DEP_1) | instskip(NEXT) | instid1(VALU_DEP_1)
	v_mul_f32_e32 v10, v11, v10
	v_and_b32_e32 v11, 0x7f800000, v10
	s_delay_alu instid0(VALU_DEP_1) | instskip(SKIP_2) | instid1(SALU_CYCLE_1)
	v_cmp_ne_u32_e32 vcc_lo, 0x7f800000, v11
                                        ; implicit-def: $vgpr11
	s_wait_xcnt 0x0
	s_and_saveexec_b32 s44, vcc_lo
	s_xor_b32 s44, exec_lo, s44
; %bb.25:                               ;   in Loop: Header=BB579_4 Depth=1
	v_bfe_u32 v11, v10, 16, 1
	s_delay_alu instid0(VALU_DEP_1)
	v_add3_u32 v11, v10, v11, 0x7fff
                                        ; implicit-def: $vgpr10
; %bb.26:                               ;   in Loop: Header=BB579_4 Depth=1
	s_and_not1_saveexec_b32 s44, s44
; %bb.27:                               ;   in Loop: Header=BB579_4 Depth=1
	v_and_b32_e32 v11, 0xffff, v10
	v_or_b32_e32 v12, 0x10000, v10
	s_delay_alu instid0(VALU_DEP_2) | instskip(NEXT) | instid1(VALU_DEP_2)
	v_cmp_eq_u32_e32 vcc_lo, 0, v11
	v_cndmask_b32_e32 v11, v12, v10, vcc_lo
; %bb.28:                               ;   in Loop: Header=BB579_4 Depth=1
	s_or_b32 exec_lo, exec_lo, s44
	s_delay_alu instid0(VALU_DEP_1) | instskip(NEXT) | instid1(VALU_DEP_1)
	v_and_b32_e32 v10, 0xffff0000, v11
	v_add_f32_e32 v2, v2, v10
.LBB579_29:                             ;   in Loop: Header=BB579_4 Depth=1
	s_or_b32 exec_lo, exec_lo, s43
	ds_store_b32 v14, v2
	s_wait_dscnt 0x0
	s_barrier_signal -1
	s_barrier_wait -1
	s_and_saveexec_b32 s43, s2
	s_cbranch_execz .LBB579_31
; %bb.30:                               ;   in Loop: Header=BB579_4 Depth=1
	ds_load_2addr_stride64_b32 v[10:11], v14 offset1:2
	s_wait_dscnt 0x0
	v_add_f32_e32 v2, v11, v10
	ds_store_b32 v14, v2
.LBB579_31:                             ;   in Loop: Header=BB579_4 Depth=1
	s_or_b32 exec_lo, exec_lo, s43
	s_wait_dscnt 0x0
	s_barrier_signal -1
	s_barrier_wait -1
	s_and_saveexec_b32 s43, s3
	s_cbranch_execz .LBB579_33
; %bb.32:                               ;   in Loop: Header=BB579_4 Depth=1
	ds_load_2addr_stride64_b32 v[10:11], v14 offset1:1
	s_wait_dscnt 0x0
	v_add_f32_e32 v2, v11, v10
	ds_store_b32 v14, v2
.LBB579_33:                             ;   in Loop: Header=BB579_4 Depth=1
	s_or_b32 exec_lo, exec_lo, s43
	s_wait_dscnt 0x0
	s_barrier_signal -1
	s_barrier_wait -1
	s_and_saveexec_b32 s43, s4
	s_cbranch_execz .LBB579_35
; %bb.34:                               ;   in Loop: Header=BB579_4 Depth=1
	ds_load_2addr_b32 v[10:11], v14 offset1:32
	s_wait_dscnt 0x0
	v_add_f32_e32 v2, v11, v10
	ds_store_b32 v14, v2
.LBB579_35:                             ;   in Loop: Header=BB579_4 Depth=1
	s_or_b32 exec_lo, exec_lo, s43
	s_wait_dscnt 0x0
	s_barrier_signal -1
	s_barrier_wait -1
	s_and_saveexec_b32 s43, s5
	s_cbranch_execz .LBB579_37
; %bb.36:                               ;   in Loop: Header=BB579_4 Depth=1
	ds_load_2addr_b32 v[10:11], v14 offset1:16
	s_wait_dscnt 0x0
	v_add_f32_e32 v2, v11, v10
	ds_store_b32 v14, v2
.LBB579_37:                             ;   in Loop: Header=BB579_4 Depth=1
	s_or_b32 exec_lo, exec_lo, s43
	s_wait_dscnt 0x0
	s_barrier_signal -1
	s_barrier_wait -1
	s_and_saveexec_b32 s43, s6
	s_cbranch_execz .LBB579_39
; %bb.38:                               ;   in Loop: Header=BB579_4 Depth=1
	ds_load_2addr_b32 v[10:11], v14 offset1:8
	s_wait_dscnt 0x0
	v_add_f32_e32 v2, v11, v10
	ds_store_b32 v14, v2
.LBB579_39:                             ;   in Loop: Header=BB579_4 Depth=1
	s_or_b32 exec_lo, exec_lo, s43
	s_wait_dscnt 0x0
	s_barrier_signal -1
	s_barrier_wait -1
	s_and_saveexec_b32 s43, s7
	s_cbranch_execz .LBB579_41
; %bb.40:                               ;   in Loop: Header=BB579_4 Depth=1
	ds_load_2addr_b32 v[10:11], v14 offset1:4
	s_wait_dscnt 0x0
	v_add_f32_e32 v2, v11, v10
	ds_store_b32 v14, v2
.LBB579_41:                             ;   in Loop: Header=BB579_4 Depth=1
	s_or_b32 exec_lo, exec_lo, s43
	s_wait_dscnt 0x0
	s_barrier_signal -1
	s_barrier_wait -1
	s_and_saveexec_b32 s43, s8
	s_cbranch_execz .LBB579_43
; %bb.42:                               ;   in Loop: Header=BB579_4 Depth=1
	ds_load_2addr_b32 v[10:11], v14 offset1:2
	s_wait_dscnt 0x0
	v_add_f32_e32 v2, v11, v10
	ds_store_b32 v14, v2
.LBB579_43:                             ;   in Loop: Header=BB579_4 Depth=1
	s_or_b32 exec_lo, exec_lo, s43
	s_wait_dscnt 0x0
	s_barrier_signal -1
	s_barrier_wait -1
	s_and_saveexec_b32 s43, s0
	s_cbranch_execz .LBB579_45
; %bb.44:                               ;   in Loop: Header=BB579_4 Depth=1
	ds_load_b64 v[10:11], v3
	s_wait_dscnt 0x0
	v_add_f32_e32 v2, v11, v10
	ds_store_b32 v3, v2
.LBB579_45:                             ;   in Loop: Header=BB579_4 Depth=1
	s_or_b32 exec_lo, exec_lo, s43
	s_wait_dscnt 0x0
	s_barrier_signal -1
	s_barrier_wait -1
                                        ; implicit-def: $sgpr44
	s_and_saveexec_b32 s43, s0
	s_cbranch_execz .LBB579_62
; %bb.46:                               ;   in Loop: Header=BB579_4 Depth=1
	ds_load_b32 v2, v3
	s_and_b32 vcc_lo, exec_lo, s40
	s_mov_b32 s46, -1
                                        ; implicit-def: $sgpr45
	s_wait_dscnt 0x0
	v_readfirstlane_b32 s44, v2
	s_mul_f32 s44, s33, s44
	s_cbranch_vccz .LBB579_52
; %bb.47:                               ;   in Loop: Header=BB579_4 Depth=1
	s_delay_alu instid0(SALU_CYCLE_2) | instskip(NEXT) | instid1(SALU_CYCLE_1)
	s_and_b32 s45, s44, 0x7f800000
	s_cmp_eq_u32 s45, 0x7f800000
                                        ; implicit-def: $sgpr45
	s_cbranch_scc1 .LBB579_49
; %bb.48:                               ;   in Loop: Header=BB579_4 Depth=1
	s_bfe_u32 s45, s44, 0x10010
	s_mov_b32 s46, 0
	s_add_co_i32 s45, s44, s45
	s_delay_alu instid0(SALU_CYCLE_1)
	s_addk_co_i32 s45, 0x7fff
.LBB579_49:                             ;   in Loop: Header=BB579_4 Depth=1
	s_and_not1_b32 vcc_lo, exec_lo, s46
	s_cbranch_vccnz .LBB579_51
; %bb.50:                               ;   in Loop: Header=BB579_4 Depth=1
	s_and_b32 s45, s44, 0xffff
	s_or_b32 s46, s44, 0x10000
	s_cmp_eq_u32 s45, 0
	s_cselect_b32 s45, s44, s46
.LBB579_51:                             ;   in Loop: Header=BB579_4 Depth=1
	s_mov_b32 s46, 0
.LBB579_52:                             ;   in Loop: Header=BB579_4 Depth=1
	s_delay_alu instid0(SALU_CYCLE_1)
	s_and_not1_b32 vcc_lo, exec_lo, s46
	s_cbranch_vccnz .LBB579_61
; %bb.53:                               ;   in Loop: Header=BB579_4 Depth=1
	s_add_nc_u64 s[46:47], s[36:37], s[34:35]
	global_load_u16 v2, v3, s[46:47]
	s_wait_xcnt 0x0
	s_mov_b32 s47, -1
	s_wait_loadcnt 0x0
	v_readfirstlane_b32 s45, v2
	s_lshl_b32 s45, s45, 16
	s_delay_alu instid0(SALU_CYCLE_1) | instskip(NEXT) | instid1(SALU_CYCLE_3)
	s_mul_f32 s45, s22, s45
	s_and_b32 s46, s45, 0x7f800000
	s_delay_alu instid0(SALU_CYCLE_1)
	s_cmp_eq_u32 s46, 0x7f800000
                                        ; implicit-def: $sgpr46
	s_cbranch_scc1 .LBB579_55
; %bb.54:                               ;   in Loop: Header=BB579_4 Depth=1
	s_bfe_u32 s46, s45, 0x10010
	s_mov_b32 s47, 0
	s_add_co_i32 s46, s45, s46
	s_delay_alu instid0(SALU_CYCLE_1)
	s_addk_co_i32 s46, 0x7fff
.LBB579_55:                             ;   in Loop: Header=BB579_4 Depth=1
	s_and_not1_b32 vcc_lo, exec_lo, s47
	s_cbranch_vccnz .LBB579_57
; %bb.56:                               ;   in Loop: Header=BB579_4 Depth=1
	s_and_b32 s46, s45, 0xffff
	s_or_b32 s47, s45, 0x10000
	s_cmp_eq_u32 s46, 0
	s_cselect_b32 s46, s45, s47
.LBB579_57:                             ;   in Loop: Header=BB579_4 Depth=1
	s_delay_alu instid0(SALU_CYCLE_1) | instskip(SKIP_2) | instid1(SALU_CYCLE_3)
	s_and_b32 s45, s46, 0xffff0000
	s_mov_b32 s46, -1
	s_add_f32 s44, s44, s45
	s_and_b32 s45, s44, 0x7f800000
	s_delay_alu instid0(SALU_CYCLE_1)
	s_cmp_eq_u32 s45, 0x7f800000
                                        ; implicit-def: $sgpr45
	s_cbranch_scc1 .LBB579_59
; %bb.58:                               ;   in Loop: Header=BB579_4 Depth=1
	s_bfe_u32 s45, s44, 0x10010
	s_mov_b32 s46, 0
	s_add_co_i32 s45, s44, s45
	s_delay_alu instid0(SALU_CYCLE_1)
	s_addk_co_i32 s45, 0x7fff
.LBB579_59:                             ;   in Loop: Header=BB579_4 Depth=1
	s_and_not1_b32 vcc_lo, exec_lo, s46
	s_cbranch_vccnz .LBB579_61
; %bb.60:                               ;   in Loop: Header=BB579_4 Depth=1
	s_and_b32 s45, s44, 0xffff
	s_or_b32 s46, s44, 0x10000
	s_cmp_eq_u32 s45, 0
	s_cselect_b32 s45, s44, s46
.LBB579_61:                             ;   in Loop: Header=BB579_4 Depth=1
	s_delay_alu instid0(SALU_CYCLE_1)
	s_lshr_b32 s44, s45, 16
	s_or_b32 s42, s42, exec_lo
.LBB579_62:                             ;   in Loop: Header=BB579_4 Depth=1
	s_or_b32 exec_lo, exec_lo, s43
.LBB579_63:                             ;   in Loop: Header=BB579_4 Depth=1
	s_and_saveexec_b32 s43, s42
	s_cbranch_execz .LBB579_2
; %bb.64:                               ;   in Loop: Header=BB579_4 Depth=1
	v_mov_b32_e32 v2, s44
	s_add_nc_u64 s[36:37], s[36:37], s[34:35]
	global_store_b16 v3, v2, s[36:37]
	s_branch .LBB579_2
.LBB579_65:
	s_endpgm
	.section	.rodata,"a",@progbits
	.p2align	6, 0x0
	.amdhsa_kernel _ZL20rocblas_gemvt_kernelILb1ELi256E16rocblas_bfloat16fS0_EviiT2_lPKT1_lilS4_lilS1_lPT3_lili
		.amdhsa_group_segment_fixed_size 1024
		.amdhsa_private_segment_fixed_size 0
		.amdhsa_kernarg_size 140
		.amdhsa_user_sgpr_count 2
		.amdhsa_user_sgpr_dispatch_ptr 0
		.amdhsa_user_sgpr_queue_ptr 0
		.amdhsa_user_sgpr_kernarg_segment_ptr 1
		.amdhsa_user_sgpr_dispatch_id 0
		.amdhsa_user_sgpr_kernarg_preload_length 0
		.amdhsa_user_sgpr_kernarg_preload_offset 0
		.amdhsa_user_sgpr_private_segment_size 0
		.amdhsa_wavefront_size32 1
		.amdhsa_uses_dynamic_stack 0
		.amdhsa_enable_private_segment 0
		.amdhsa_system_sgpr_workgroup_id_x 1
		.amdhsa_system_sgpr_workgroup_id_y 0
		.amdhsa_system_sgpr_workgroup_id_z 1
		.amdhsa_system_sgpr_workgroup_info 0
		.amdhsa_system_vgpr_workitem_id 0
		.amdhsa_next_free_vgpr 18
		.amdhsa_next_free_sgpr 48
		.amdhsa_named_barrier_count 0
		.amdhsa_reserve_vcc 1
		.amdhsa_float_round_mode_32 0
		.amdhsa_float_round_mode_16_64 0
		.amdhsa_float_denorm_mode_32 3
		.amdhsa_float_denorm_mode_16_64 3
		.amdhsa_fp16_overflow 0
		.amdhsa_memory_ordered 1
		.amdhsa_forward_progress 1
		.amdhsa_inst_pref_size 17
		.amdhsa_round_robin_scheduling 0
		.amdhsa_exception_fp_ieee_invalid_op 0
		.amdhsa_exception_fp_denorm_src 0
		.amdhsa_exception_fp_ieee_div_zero 0
		.amdhsa_exception_fp_ieee_overflow 0
		.amdhsa_exception_fp_ieee_underflow 0
		.amdhsa_exception_fp_ieee_inexact 0
		.amdhsa_exception_int_div_zero 0
	.end_amdhsa_kernel
	.section	.text._ZL20rocblas_gemvt_kernelILb1ELi256E16rocblas_bfloat16fS0_EviiT2_lPKT1_lilS4_lilS1_lPT3_lili,"axG",@progbits,_ZL20rocblas_gemvt_kernelILb1ELi256E16rocblas_bfloat16fS0_EviiT2_lPKT1_lilS4_lilS1_lPT3_lili,comdat
.Lfunc_end579:
	.size	_ZL20rocblas_gemvt_kernelILb1ELi256E16rocblas_bfloat16fS0_EviiT2_lPKT1_lilS4_lilS1_lPT3_lili, .Lfunc_end579-_ZL20rocblas_gemvt_kernelILb1ELi256E16rocblas_bfloat16fS0_EviiT2_lPKT1_lilS4_lilS1_lPT3_lili
                                        ; -- End function
	.set _ZL20rocblas_gemvt_kernelILb1ELi256E16rocblas_bfloat16fS0_EviiT2_lPKT1_lilS4_lilS1_lPT3_lili.num_vgpr, 18
	.set _ZL20rocblas_gemvt_kernelILb1ELi256E16rocblas_bfloat16fS0_EviiT2_lPKT1_lilS4_lilS1_lPT3_lili.num_agpr, 0
	.set _ZL20rocblas_gemvt_kernelILb1ELi256E16rocblas_bfloat16fS0_EviiT2_lPKT1_lilS4_lilS1_lPT3_lili.numbered_sgpr, 48
	.set _ZL20rocblas_gemvt_kernelILb1ELi256E16rocblas_bfloat16fS0_EviiT2_lPKT1_lilS4_lilS1_lPT3_lili.num_named_barrier, 0
	.set _ZL20rocblas_gemvt_kernelILb1ELi256E16rocblas_bfloat16fS0_EviiT2_lPKT1_lilS4_lilS1_lPT3_lili.private_seg_size, 0
	.set _ZL20rocblas_gemvt_kernelILb1ELi256E16rocblas_bfloat16fS0_EviiT2_lPKT1_lilS4_lilS1_lPT3_lili.uses_vcc, 1
	.set _ZL20rocblas_gemvt_kernelILb1ELi256E16rocblas_bfloat16fS0_EviiT2_lPKT1_lilS4_lilS1_lPT3_lili.uses_flat_scratch, 0
	.set _ZL20rocblas_gemvt_kernelILb1ELi256E16rocblas_bfloat16fS0_EviiT2_lPKT1_lilS4_lilS1_lPT3_lili.has_dyn_sized_stack, 0
	.set _ZL20rocblas_gemvt_kernelILb1ELi256E16rocblas_bfloat16fS0_EviiT2_lPKT1_lilS4_lilS1_lPT3_lili.has_recursion, 0
	.set _ZL20rocblas_gemvt_kernelILb1ELi256E16rocblas_bfloat16fS0_EviiT2_lPKT1_lilS4_lilS1_lPT3_lili.has_indirect_call, 0
	.section	.AMDGPU.csdata,"",@progbits
; Kernel info:
; codeLenInByte = 2092
; TotalNumSgprs: 50
; NumVgprs: 18
; ScratchSize: 0
; MemoryBound: 0
; FloatMode: 240
; IeeeMode: 1
; LDSByteSize: 1024 bytes/workgroup (compile time only)
; SGPRBlocks: 0
; VGPRBlocks: 1
; NumSGPRsForWavesPerEU: 50
; NumVGPRsForWavesPerEU: 18
; NamedBarCnt: 0
; Occupancy: 16
; WaveLimiterHint : 0
; COMPUTE_PGM_RSRC2:SCRATCH_EN: 0
; COMPUTE_PGM_RSRC2:USER_SGPR: 2
; COMPUTE_PGM_RSRC2:TRAP_HANDLER: 0
; COMPUTE_PGM_RSRC2:TGID_X_EN: 1
; COMPUTE_PGM_RSRC2:TGID_Y_EN: 0
; COMPUTE_PGM_RSRC2:TGID_Z_EN: 1
; COMPUTE_PGM_RSRC2:TIDIG_COMP_CNT: 0
	.section	.text._ZL32rocblas_gemvt_warp_reduce_kernelILb1ELi1024Ei16rocblas_bfloat16PKfS0_EviiT3_lPKT2_lT1_lS6_lS7_lS3_lPT4_lS7_li,"axG",@progbits,_ZL32rocblas_gemvt_warp_reduce_kernelILb1ELi1024Ei16rocblas_bfloat16PKfS0_EviiT3_lPKT2_lT1_lS6_lS7_lS3_lPT4_lS7_li,comdat
	.globl	_ZL32rocblas_gemvt_warp_reduce_kernelILb1ELi1024Ei16rocblas_bfloat16PKfS0_EviiT3_lPKT2_lT1_lS6_lS7_lS3_lPT4_lS7_li ; -- Begin function _ZL32rocblas_gemvt_warp_reduce_kernelILb1ELi1024Ei16rocblas_bfloat16PKfS0_EviiT3_lPKT2_lT1_lS6_lS7_lS3_lPT4_lS7_li
	.p2align	8
	.type	_ZL32rocblas_gemvt_warp_reduce_kernelILb1ELi1024Ei16rocblas_bfloat16PKfS0_EviiT3_lPKT2_lT1_lS6_lS7_lS3_lPT4_lS7_li,@function
_ZL32rocblas_gemvt_warp_reduce_kernelILb1ELi1024Ei16rocblas_bfloat16PKfS0_EviiT3_lPKT2_lT1_lS6_lS7_lS3_lPT4_lS7_li: ; @_ZL32rocblas_gemvt_warp_reduce_kernelILb1ELi1024Ei16rocblas_bfloat16PKfS0_EviiT3_lPKT2_lT1_lS6_lS7_lS3_lPT4_lS7_li
; %bb.0:
	s_load_b32 s33, s[0:1], 0x88
	s_bfe_u32 s2, ttmp6, 0x40014
	s_lshr_b32 s3, ttmp7, 16
	s_add_co_i32 s2, s2, 1
	s_bfe_u32 s5, ttmp6, 0x40008
	s_mul_i32 s4, s3, s2
	s_getreg_b32 s2, hwreg(HW_REG_IB_STS2, 6, 4)
	s_add_co_i32 s5, s5, s4
	s_cmp_eq_u32 s2, 0
	s_mov_b32 s35, 0
	s_cselect_b32 s34, s3, s5
	s_wait_kmcnt 0x0
	s_cmp_ge_u32 s34, s33
	s_cbranch_scc1 .LBB580_59
; %bb.1:
	s_clause 0x7
	s_load_b96 s[4:6], s[0:1], 0x40
	s_load_b96 s[28:30], s[0:1], 0x70
	s_load_b256 s[8:15], s[0:1], 0x8
	s_load_b32 s7, s[0:1], 0x0
	s_load_b32 s31, s[0:1], 0x28
	s_load_b128 s[24:27], s[0:1], 0x30
	s_load_b256 s[16:23], s[0:1], 0x50
	s_load_b64 s[36:37], s[0:1], 0x80
	s_wait_xcnt 0x0
	s_bfe_u32 s1, ttmp6, 0x4000c
	s_and_b32 s3, ttmp6, 15
	s_add_co_i32 s1, s1, 1
	v_dual_mov_b32 v3, 0 :: v_dual_bitop2_b32 v8, 31, v0 bitop3:0x40
	s_mul_i32 s1, ttmp9, s1
	v_mbcnt_lo_u32_b32 v13, -1, 0
	s_add_co_i32 s3, s3, s1
	v_cmp_eq_u32_e64 s0, 0, v0
	v_cmp_gt_u32_e64 s1, 32, v0
	s_delay_alu instid0(VALU_DEP_3)
	v_lshl_or_b32 v14, v13, 2, 64
	s_wait_kmcnt 0x0
	s_lshl_b64 s[4:5], s[4:5], 1
	s_lshl_b64 s[28:29], s[28:29], 1
	;; [unrolled: 1-line block ×3, first 2 shown]
	v_cmp_gt_i32_e32 vcc_lo, s7, v0
	s_cmp_eq_u32 s2, 0
	v_lshrrev_b32_e32 v10, 3, v0
	s_cselect_b32 s15, ttmp9, s3
	s_ashr_i32 s2, s7, 31
	v_cndmask_b32_e32 v2, 0, v0, vcc_lo
	s_lshr_b32 s2, s2, 22
	v_lshlrev_b32_e32 v1, 2, v8
	s_add_co_i32 s2, s7, s2
	s_add_nc_u64 s[26:27], s[26:27], s[4:5]
	s_and_b32 s14, s2, 0xfffffc00
	s_delay_alu instid0(SALU_CYCLE_1) | instskip(SKIP_3) | instid1(VALU_DEP_2)
	v_dual_lshlrev_b32 v2, 1, v2 :: v_dual_bitop2_b32 v5, s14, v0 bitop3:0x54
	s_add_nc_u64 s[2:3], s[12:13], s[38:39]
	s_mul_i32 s4, s31, s15
	v_mul_lo_u32 v12, v0, s6
	v_add_nc_u64_e32 v[6:7], s[2:3], v[2:3]
	v_mul_lo_u32 v4, s6, v5
	s_ashr_i32 s5, s4, 31
	s_add_nc_u64 s[22:23], s[22:23], s[28:29]
	s_lshl_b64 s[4:5], s[4:5], 1
	s_mul_i32 s28, s30, s15
	v_cmp_gt_i32_e64 s2, s14, v0
	v_add_nc_u64_e32 v[6:7], s[4:5], v[6:7]
	s_add_nc_u64 s[4:5], s[38:39], s[4:5]
	v_cmp_gt_i32_e64 s3, s7, v5
	s_add_nc_u64 s[12:13], s[12:13], s[4:5]
	v_cmp_eq_u32_e64 s4, 0, v8
	v_add_nc_u64_e32 v[8:9], s[12:13], v[2:3]
	v_ashrrev_i32_e32 v5, 31, v4
	v_and_b32_e32 v2, 0x7c, v10
	s_ashr_i32 s29, s28, 31
	s_ashr_i32 s15, s14, 31
	s_lshl_b32 s38, s6, 10
	s_lshl_b64 s[6:7], s[24:25], 1
	s_lshl_b64 s[12:13], s[28:29], 1
	s_branch .LBB580_4
.LBB580_2:                              ;   in Loop: Header=BB580_4 Depth=1
	s_wait_xcnt 0x0
	s_or_b32 exec_lo, exec_lo, s30
.LBB580_3:                              ;   in Loop: Header=BB580_4 Depth=1
	s_add_co_i32 s34, s34, 0x10000
	s_delay_alu instid0(SALU_CYCLE_1)
	s_cmp_lt_u32 s34, s33
	s_cbranch_scc0 .LBB580_59
.LBB580_4:                              ; =>This Loop Header: Depth=1
                                        ;     Child Loop BB580_26 Depth 2
	s_wait_xcnt 0x1
	s_mul_u64 s[28:29], s[10:11], s[34:35]
	s_wait_xcnt 0x0
	s_mul_u64 s[30:31], s[20:21], s[34:35]
	s_lshl_b64 s[28:29], s[28:29], 2
	s_lshl_b64 s[30:31], s[30:31], 2
	s_add_nc_u64 s[28:29], s[8:9], s[28:29]
	s_add_nc_u64 s[30:31], s[18:19], s[30:31]
	s_clause 0x1
	global_load_b32 v15, v3, s[28:29]
	global_load_b32 v10, v3, s[30:31]
	s_wait_loadcnt 0x1
	v_cmp_eq_f32_e32 vcc_lo, 0, v15
	s_wait_loadcnt 0x0
	v_cmp_eq_f32_e64 s5, 1.0, v10
	v_readfirstlane_b32 s39, v10
	s_and_b32 s5, vcc_lo, s5
	s_delay_alu instid0(SALU_CYCLE_1)
	s_and_b32 vcc_lo, exec_lo, s5
	s_cbranch_vccnz .LBB580_3
; %bb.5:                                ;   in Loop: Header=BB580_4 Depth=1
	v_cmp_neq_f32_e32 vcc_lo, 0, v15
	s_wait_xcnt 0x1
	s_mul_u64 s[28:29], s[36:37], s[34:35]
	s_delay_alu instid0(SALU_CYCLE_1) | instskip(NEXT) | instid1(SALU_CYCLE_1)
	s_lshl_b64 s[28:29], s[28:29], 1
	s_add_nc_u64 s[28:29], s[22:23], s[28:29]
	s_cbranch_vccnz .LBB580_13
; %bb.6:                                ;   in Loop: Header=BB580_4 Depth=1
	s_wait_xcnt 0x0
	s_mov_b32 s30, 0
	s_mov_b32 s5, 0
                                        ; implicit-def: $sgpr40
	s_and_saveexec_b32 s31, s0
	s_cbranch_execz .LBB580_14
; %bb.7:                                ;   in Loop: Header=BB580_4 Depth=1
	s_cmp_eq_f32 s39, 0
	s_cbranch_scc1 .LBB580_44
; %bb.8:                                ;   in Loop: Header=BB580_4 Depth=1
	s_add_nc_u64 s[40:41], s[28:29], s[12:13]
	global_load_u16 v10, v3, s[40:41]
	s_wait_xcnt 0x0
	s_mov_b32 s41, -1
	s_wait_loadcnt 0x0
	v_readfirstlane_b32 s5, v10
	s_lshl_b32 s5, s5, 16
	s_delay_alu instid0(SALU_CYCLE_1) | instskip(NEXT) | instid1(SALU_CYCLE_3)
	s_mul_f32 s5, s39, s5
	s_and_b32 s40, s5, 0x7f800000
	s_delay_alu instid0(SALU_CYCLE_1)
	s_cmp_eq_u32 s40, 0x7f800000
                                        ; implicit-def: $sgpr40
	s_cbranch_scc1 .LBB580_10
; %bb.9:                                ;   in Loop: Header=BB580_4 Depth=1
	s_bfe_u32 s40, s5, 0x10010
	s_mov_b32 s41, 0
	s_add_co_i32 s40, s5, s40
	s_delay_alu instid0(SALU_CYCLE_1)
	s_addk_co_i32 s40, 0x7fff
.LBB580_10:                             ;   in Loop: Header=BB580_4 Depth=1
	s_and_not1_b32 vcc_lo, exec_lo, s41
	s_cbranch_vccnz .LBB580_12
; %bb.11:                               ;   in Loop: Header=BB580_4 Depth=1
	s_and_b32 s40, s5, 0xffff
	s_or_b32 s41, s5, 0x10000
	s_cmp_eq_u32 s40, 0
	s_cselect_b32 s40, s5, s41
.LBB580_12:                             ;   in Loop: Header=BB580_4 Depth=1
	s_delay_alu instid0(SALU_CYCLE_1) | instskip(SKIP_2) | instid1(SALU_CYCLE_1)
	s_lshr_b32 s40, s40, 16
	s_mov_b32 s5, exec_lo
	s_or_b32 exec_lo, exec_lo, s31
	s_and_b32 vcc_lo, exec_lo, s30
	s_cbranch_vccnz .LBB580_15
	s_branch .LBB580_45
.LBB580_13:                             ;   in Loop: Header=BB580_4 Depth=1
	s_wait_xcnt 0x0
	s_mov_b32 s5, 0
                                        ; implicit-def: $sgpr40
	s_cbranch_execnz .LBB580_15
	s_branch .LBB580_45
.LBB580_14:                             ;   in Loop: Header=BB580_4 Depth=1
	s_or_b32 exec_lo, exec_lo, s31
	s_delay_alu instid0(SALU_CYCLE_1)
	s_and_b32 vcc_lo, exec_lo, s30
	s_cbranch_vccz .LBB580_45
.LBB580_15:                             ;   in Loop: Header=BB580_4 Depth=1
	s_mul_u64 s[30:31], s[16:17], s[34:35]
	v_mov_b32_e32 v16, 0
	s_lshl_b64 s[30:31], s[30:31], 1
	s_delay_alu instid0(SALU_CYCLE_1)
	s_add_nc_u64 s[30:31], s[26:27], s[30:31]
	s_and_saveexec_b32 s40, s2
	s_cbranch_execnz .LBB580_24
; %bb.16:                               ;   in Loop: Header=BB580_4 Depth=1
	s_or_b32 exec_lo, exec_lo, s40
	s_and_saveexec_b32 s40, s3
	s_cbranch_execnz .LBB580_39
.LBB580_17:                             ;   in Loop: Header=BB580_4 Depth=1
	s_or_b32 exec_lo, exec_lo, s40
	s_and_saveexec_b32 s30, s1
.LBB580_18:                             ;   in Loop: Header=BB580_4 Depth=1
	ds_store_b32 v1, v3
.LBB580_19:                             ;   in Loop: Header=BB580_4 Depth=1
	s_or_b32 exec_lo, exec_lo, s30
	ds_bpermute_b32 v11, v14, v16
	v_cmp_gt_u32_e32 vcc_lo, 24, v13
	s_wait_dscnt 0x0
	s_barrier_signal -1
	s_barrier_wait -1
	v_cndmask_b32_e64 v10, 0, 8, vcc_lo
	v_cmp_gt_u32_e32 vcc_lo, 28, v13
	s_delay_alu instid0(VALU_DEP_2)
	v_add_lshl_u32 v10, v10, v13, 2
	v_add_f32_e32 v16, v16, v11
	v_cndmask_b32_e64 v11, 0, 4, vcc_lo
	v_cmp_gt_u32_e32 vcc_lo, 30, v13
	ds_bpermute_b32 v17, v10, v16
	v_add_lshl_u32 v11, v11, v13, 2
	s_wait_dscnt 0x0
	v_add_f32_e32 v17, v16, v17
	v_cndmask_b32_e64 v16, 0, 2, vcc_lo
	v_cmp_ne_u32_e32 vcc_lo, 31, v13
	ds_bpermute_b32 v18, v11, v17
	v_add_lshl_u32 v16, v16, v13, 2
	v_add_co_ci_u32_e64 v19, null, 0, v13, vcc_lo
	s_wait_dscnt 0x0
	v_add_f32_e32 v17, v17, v18
	ds_bpermute_b32 v18, v16, v17
	s_wait_dscnt 0x0
	v_dual_add_f32 v18, v17, v18 :: v_dual_lshlrev_b32 v17, 2, v19
	ds_bpermute_b32 v19, v17, v18
	s_and_saveexec_b32 s30, s4
	s_cbranch_execz .LBB580_21
; %bb.20:                               ;   in Loop: Header=BB580_4 Depth=1
	s_wait_dscnt 0x0
	v_add_f32_e32 v18, v18, v19
	ds_store_b32 v2, v18
.LBB580_21:                             ;   in Loop: Header=BB580_4 Depth=1
	s_or_b32 exec_lo, exec_lo, s30
	v_mov_b32_e32 v18, 0
	s_wait_dscnt 0x0
	s_barrier_signal -1
	s_barrier_wait -1
	s_and_saveexec_b32 s30, s1
	s_cbranch_execnz .LBB580_30
; %bb.22:                               ;   in Loop: Header=BB580_4 Depth=1
	s_or_b32 exec_lo, exec_lo, s30
	s_and_saveexec_b32 s30, s1
	s_cbranch_execnz .LBB580_31
.LBB580_23:                             ;   in Loop: Header=BB580_4 Depth=1
	s_or_b32 exec_lo, exec_lo, s30
                                        ; implicit-def: $vgpr10
	s_and_saveexec_b32 s30, s0
	s_cbranch_execnz .LBB580_32
	s_branch .LBB580_57
.LBB580_24:                             ;   in Loop: Header=BB580_4 Depth=1
	v_mad_nc_u64_u32 v[10:11], s6, s34, v[8:9]
	v_dual_mov_b32 v16, 0 :: v_dual_mov_b32 v17, v0
	s_wait_dscnt 0x0
	v_mov_b32_e32 v18, v12
	s_mov_b32 s41, 0
	s_delay_alu instid0(VALU_DEP_3)
	v_mad_u32 v11, s7, s34, v11
	s_branch .LBB580_26
.LBB580_25:                             ;   in Loop: Header=BB580_26 Depth=2
	s_or_b32 exec_lo, exec_lo, s42
	s_delay_alu instid0(VALU_DEP_1) | instskip(SKIP_2) | instid1(VALU_DEP_3)
	v_and_b32_e32 v19, 0xffff0000, v19
	v_add_nc_u32_e32 v17, 0x400, v17
	v_add_nc_u64_e32 v[10:11], 0x800, v[10:11]
	v_dual_add_nc_u32 v18, s38, v18 :: v_dual_add_f32 v16, v16, v19
	s_delay_alu instid0(VALU_DEP_3) | instskip(SKIP_1) | instid1(SALU_CYCLE_1)
	v_cmp_le_i32_e32 vcc_lo, s14, v17
	s_or_b32 s41, vcc_lo, s41
	s_and_not1_b32 exec_lo, exec_lo, s41
	s_cbranch_execz .LBB580_38
.LBB580_26:                             ;   Parent Loop BB580_4 Depth=1
                                        ; =>  This Inner Loop Header: Depth=2
	global_load_u16 v19, v[10:11], off
	global_load_u16 v20, v18, s[30:31] scale_offset
	s_wait_loadcnt 0x0
	v_dual_lshlrev_b32 v19, 16, v19 :: v_dual_lshlrev_b32 v20, 16, v20
	s_delay_alu instid0(VALU_DEP_1) | instskip(NEXT) | instid1(VALU_DEP_1)
	v_mul_f32_e32 v20, v20, v19
	v_and_b32_e32 v19, 0x7f800000, v20
	s_delay_alu instid0(VALU_DEP_1) | instskip(SKIP_2) | instid1(SALU_CYCLE_1)
	v_cmp_ne_u32_e32 vcc_lo, 0x7f800000, v19
                                        ; implicit-def: $vgpr19
	s_wait_xcnt 0x0
	s_and_saveexec_b32 s42, vcc_lo
	s_xor_b32 s42, exec_lo, s42
; %bb.27:                               ;   in Loop: Header=BB580_26 Depth=2
	v_bfe_u32 v19, v20, 16, 1
	s_delay_alu instid0(VALU_DEP_1)
	v_add3_u32 v19, v20, v19, 0x7fff
                                        ; implicit-def: $vgpr20
; %bb.28:                               ;   in Loop: Header=BB580_26 Depth=2
	s_and_not1_saveexec_b32 s42, s42
	s_cbranch_execz .LBB580_25
; %bb.29:                               ;   in Loop: Header=BB580_26 Depth=2
	v_and_b32_e32 v19, 0xffff, v20
	v_or_b32_e32 v21, 0x10000, v20
	s_delay_alu instid0(VALU_DEP_2) | instskip(NEXT) | instid1(VALU_DEP_2)
	v_cmp_eq_u32_e32 vcc_lo, 0, v19
	v_cndmask_b32_e32 v19, v21, v20, vcc_lo
	s_branch .LBB580_25
.LBB580_30:                             ;   in Loop: Header=BB580_4 Depth=1
	ds_load_b32 v18, v1
	s_or_b32 exec_lo, exec_lo, s30
	s_and_saveexec_b32 s30, s1
	s_cbranch_execz .LBB580_23
.LBB580_31:                             ;   in Loop: Header=BB580_4 Depth=1
	s_wait_dscnt 0x0
	ds_bpermute_b32 v19, v14, v18
	s_wait_dscnt 0x0
	v_add_f32_e32 v18, v18, v19
	ds_bpermute_b32 v10, v10, v18
	s_wait_dscnt 0x0
	v_add_f32_e32 v10, v18, v10
	;; [unrolled: 3-line block ×5, first 2 shown]
	s_or_b32 exec_lo, exec_lo, s30
                                        ; implicit-def: $vgpr10
	s_and_saveexec_b32 s30, s0
	s_cbranch_execz .LBB580_57
.LBB580_32:                             ;   in Loop: Header=BB580_4 Depth=1
	s_wait_dscnt 0x0
	v_mul_f32_e32 v10, v15, v18
	s_cmp_eq_f32 s39, 0
	s_cbranch_scc0 .LBB580_46
; %bb.33:                               ;   in Loop: Header=BB580_4 Depth=1
	s_delay_alu instid0(VALU_DEP_1) | instskip(NEXT) | instid1(VALU_DEP_1)
	v_and_b32_e32 v11, 0x7f800000, v10
	v_cmp_ne_u32_e32 vcc_lo, 0x7f800000, v11
                                        ; implicit-def: $vgpr11
	s_and_saveexec_b32 s31, vcc_lo
	s_delay_alu instid0(SALU_CYCLE_1)
	s_xor_b32 s31, exec_lo, s31
; %bb.34:                               ;   in Loop: Header=BB580_4 Depth=1
	v_bfe_u32 v11, v10, 16, 1
	s_delay_alu instid0(VALU_DEP_1)
	v_add3_u32 v11, v10, v11, 0x7fff
; %bb.35:                               ;   in Loop: Header=BB580_4 Depth=1
	s_and_not1_saveexec_b32 s31, s31
; %bb.36:                               ;   in Loop: Header=BB580_4 Depth=1
	v_and_b32_e32 v11, 0xffff, v10
	v_or_b32_e32 v15, 0x10000, v10
	s_delay_alu instid0(VALU_DEP_2) | instskip(NEXT) | instid1(VALU_DEP_2)
	v_cmp_eq_u32_e32 vcc_lo, 0, v11
	v_cndmask_b32_e32 v11, v15, v10, vcc_lo
; %bb.37:                               ;   in Loop: Header=BB580_4 Depth=1
	s_or_b32 exec_lo, exec_lo, s31
	s_cbranch_execz .LBB580_47
	s_branch .LBB580_56
.LBB580_38:                             ;   in Loop: Header=BB580_4 Depth=1
	s_or_b32 exec_lo, exec_lo, s41
	s_delay_alu instid0(SALU_CYCLE_1)
	s_or_b32 exec_lo, exec_lo, s40
	s_and_saveexec_b32 s40, s3
	s_cbranch_execz .LBB580_17
.LBB580_39:                             ;   in Loop: Header=BB580_4 Depth=1
	s_mul_u64 s[42:43], s[24:25], s[34:35]
	s_wait_dscnt 0x0
	v_lshl_add_u64 v[18:19], v[4:5], 1, s[30:31]
	v_lshl_add_u64 v[10:11], s[42:43], 1, v[6:7]
	s_delay_alu instid0(VALU_DEP_1)
	v_lshl_add_u64 v[10:11], s[14:15], 1, v[10:11]
	global_load_u16 v17, v[18:19], off
	global_load_u16 v20, v[10:11], off
	s_wait_loadcnt 0x0
	s_wait_xcnt 0x0
	v_dual_lshlrev_b32 v10, 16, v17 :: v_dual_lshlrev_b32 v11, 16, v20
	s_delay_alu instid0(VALU_DEP_1) | instskip(NEXT) | instid1(VALU_DEP_1)
	v_mul_f32_e32 v10, v10, v11
	v_and_b32_e32 v11, 0x7f800000, v10
	s_delay_alu instid0(VALU_DEP_1) | instskip(SKIP_1) | instid1(SALU_CYCLE_1)
	v_cmp_ne_u32_e32 vcc_lo, 0x7f800000, v11
                                        ; implicit-def: $vgpr11
	s_and_saveexec_b32 s30, vcc_lo
	s_xor_b32 s30, exec_lo, s30
; %bb.40:                               ;   in Loop: Header=BB580_4 Depth=1
	v_bfe_u32 v11, v10, 16, 1
	s_delay_alu instid0(VALU_DEP_1)
	v_add3_u32 v11, v10, v11, 0x7fff
                                        ; implicit-def: $vgpr10
; %bb.41:                               ;   in Loop: Header=BB580_4 Depth=1
	s_and_not1_saveexec_b32 s30, s30
; %bb.42:                               ;   in Loop: Header=BB580_4 Depth=1
	v_and_b32_e32 v11, 0xffff, v10
	v_or_b32_e32 v17, 0x10000, v10
	s_delay_alu instid0(VALU_DEP_2) | instskip(NEXT) | instid1(VALU_DEP_2)
	v_cmp_eq_u32_e32 vcc_lo, 0, v11
	v_cndmask_b32_e32 v11, v17, v10, vcc_lo
; %bb.43:                               ;   in Loop: Header=BB580_4 Depth=1
	s_or_b32 exec_lo, exec_lo, s30
	s_delay_alu instid0(VALU_DEP_1) | instskip(NEXT) | instid1(VALU_DEP_1)
	v_and_b32_e32 v10, 0xffff0000, v11
	v_add_f32_e32 v16, v16, v10
	s_or_b32 exec_lo, exec_lo, s40
	s_and_saveexec_b32 s30, s1
	s_cbranch_execnz .LBB580_18
	s_branch .LBB580_19
.LBB580_44:                             ;   in Loop: Header=BB580_4 Depth=1
	s_mov_b32 s40, 0
	s_mov_b32 s5, exec_lo
	s_or_b32 exec_lo, exec_lo, s31
	s_delay_alu instid0(SALU_CYCLE_1)
	s_and_b32 vcc_lo, exec_lo, s30
	s_cbranch_vccnz .LBB580_15
.LBB580_45:                             ;   in Loop: Header=BB580_4 Depth=1
	v_mov_b32_e32 v10, s40
	s_and_saveexec_b32 s30, s5
	s_cbranch_execz .LBB580_2
	s_branch .LBB580_58
.LBB580_46:                             ;   in Loop: Header=BB580_4 Depth=1
                                        ; implicit-def: $vgpr11
.LBB580_47:                             ;   in Loop: Header=BB580_4 Depth=1
	s_add_nc_u64 s[40:41], s[28:29], s[12:13]
	global_load_u16 v11, v3, s[40:41]
	s_wait_xcnt 0x0
	s_mov_b32 s40, -1
	s_wait_loadcnt 0x0
	v_readfirstlane_b32 s31, v11
	s_lshl_b32 s31, s31, 16
	s_delay_alu instid0(SALU_CYCLE_1) | instskip(NEXT) | instid1(SALU_CYCLE_3)
	s_mul_f32 s31, s39, s31
	s_and_b32 s39, s31, 0x7f800000
	s_delay_alu instid0(SALU_CYCLE_1)
	s_cmp_eq_u32 s39, 0x7f800000
                                        ; implicit-def: $sgpr39
	s_cbranch_scc1 .LBB580_49
; %bb.48:                               ;   in Loop: Header=BB580_4 Depth=1
	s_bfe_u32 s39, s31, 0x10010
	s_mov_b32 s40, 0
	s_add_co_i32 s39, s31, s39
	s_delay_alu instid0(SALU_CYCLE_1)
	s_addk_co_i32 s39, 0x7fff
.LBB580_49:                             ;   in Loop: Header=BB580_4 Depth=1
	s_and_not1_b32 vcc_lo, exec_lo, s40
	s_cbranch_vccnz .LBB580_51
; %bb.50:                               ;   in Loop: Header=BB580_4 Depth=1
	s_and_b32 s39, s31, 0xffff
	s_or_b32 s40, s31, 0x10000
	s_cmp_eq_u32 s39, 0
	s_cselect_b32 s39, s31, s40
.LBB580_51:                             ;   in Loop: Header=BB580_4 Depth=1
	s_delay_alu instid0(SALU_CYCLE_1) | instskip(NEXT) | instid1(SALU_CYCLE_1)
	s_and_b32 s31, s39, 0xffff0000
	v_add_f32_e32 v10, s31, v10
	s_delay_alu instid0(VALU_DEP_1) | instskip(NEXT) | instid1(VALU_DEP_1)
	v_and_b32_e32 v11, 0x7f800000, v10
	v_cmp_ne_u32_e32 vcc_lo, 0x7f800000, v11
                                        ; implicit-def: $vgpr11
	s_and_saveexec_b32 s31, vcc_lo
	s_delay_alu instid0(SALU_CYCLE_1)
	s_xor_b32 s31, exec_lo, s31
; %bb.52:                               ;   in Loop: Header=BB580_4 Depth=1
	v_bfe_u32 v11, v10, 16, 1
	s_delay_alu instid0(VALU_DEP_1)
	v_add3_u32 v11, v10, v11, 0x7fff
                                        ; implicit-def: $vgpr10
; %bb.53:                               ;   in Loop: Header=BB580_4 Depth=1
	s_and_not1_saveexec_b32 s31, s31
; %bb.54:                               ;   in Loop: Header=BB580_4 Depth=1
	v_and_b32_e32 v11, 0xffff, v10
	v_or_b32_e32 v15, 0x10000, v10
	s_delay_alu instid0(VALU_DEP_2) | instskip(NEXT) | instid1(VALU_DEP_2)
	v_cmp_eq_u32_e32 vcc_lo, 0, v11
	v_cndmask_b32_e32 v11, v15, v10, vcc_lo
; %bb.55:                               ;   in Loop: Header=BB580_4 Depth=1
	s_or_b32 exec_lo, exec_lo, s31
.LBB580_56:                             ;   in Loop: Header=BB580_4 Depth=1
	s_delay_alu instid0(VALU_DEP_1)
	v_lshrrev_b32_e32 v10, 16, v11
	s_or_b32 s5, s5, exec_lo
.LBB580_57:                             ;   in Loop: Header=BB580_4 Depth=1
	s_or_b32 exec_lo, exec_lo, s30
	s_and_saveexec_b32 s30, s5
	s_cbranch_execz .LBB580_2
.LBB580_58:                             ;   in Loop: Header=BB580_4 Depth=1
	s_add_nc_u64 s[28:29], s[28:29], s[12:13]
	global_store_b16 v3, v10, s[28:29]
	s_branch .LBB580_2
.LBB580_59:
	s_endpgm
	.section	.rodata,"a",@progbits
	.p2align	6, 0x0
	.amdhsa_kernel _ZL32rocblas_gemvt_warp_reduce_kernelILb1ELi1024Ei16rocblas_bfloat16PKfS0_EviiT3_lPKT2_lT1_lS6_lS7_lS3_lPT4_lS7_li
		.amdhsa_group_segment_fixed_size 128
		.amdhsa_private_segment_fixed_size 0
		.amdhsa_kernarg_size 140
		.amdhsa_user_sgpr_count 2
		.amdhsa_user_sgpr_dispatch_ptr 0
		.amdhsa_user_sgpr_queue_ptr 0
		.amdhsa_user_sgpr_kernarg_segment_ptr 1
		.amdhsa_user_sgpr_dispatch_id 0
		.amdhsa_user_sgpr_kernarg_preload_length 0
		.amdhsa_user_sgpr_kernarg_preload_offset 0
		.amdhsa_user_sgpr_private_segment_size 0
		.amdhsa_wavefront_size32 1
		.amdhsa_uses_dynamic_stack 0
		.amdhsa_enable_private_segment 0
		.amdhsa_system_sgpr_workgroup_id_x 1
		.amdhsa_system_sgpr_workgroup_id_y 0
		.amdhsa_system_sgpr_workgroup_id_z 1
		.amdhsa_system_sgpr_workgroup_info 0
		.amdhsa_system_vgpr_workitem_id 0
		.amdhsa_next_free_vgpr 22
		.amdhsa_next_free_sgpr 44
		.amdhsa_named_barrier_count 0
		.amdhsa_reserve_vcc 1
		.amdhsa_float_round_mode_32 0
		.amdhsa_float_round_mode_16_64 0
		.amdhsa_float_denorm_mode_32 3
		.amdhsa_float_denorm_mode_16_64 3
		.amdhsa_fp16_overflow 0
		.amdhsa_memory_ordered 1
		.amdhsa_forward_progress 1
		.amdhsa_inst_pref_size 17
		.amdhsa_round_robin_scheduling 0
		.amdhsa_exception_fp_ieee_invalid_op 0
		.amdhsa_exception_fp_denorm_src 0
		.amdhsa_exception_fp_ieee_div_zero 0
		.amdhsa_exception_fp_ieee_overflow 0
		.amdhsa_exception_fp_ieee_underflow 0
		.amdhsa_exception_fp_ieee_inexact 0
		.amdhsa_exception_int_div_zero 0
	.end_amdhsa_kernel
	.section	.text._ZL32rocblas_gemvt_warp_reduce_kernelILb1ELi1024Ei16rocblas_bfloat16PKfS0_EviiT3_lPKT2_lT1_lS6_lS7_lS3_lPT4_lS7_li,"axG",@progbits,_ZL32rocblas_gemvt_warp_reduce_kernelILb1ELi1024Ei16rocblas_bfloat16PKfS0_EviiT3_lPKT2_lT1_lS6_lS7_lS3_lPT4_lS7_li,comdat
.Lfunc_end580:
	.size	_ZL32rocblas_gemvt_warp_reduce_kernelILb1ELi1024Ei16rocblas_bfloat16PKfS0_EviiT3_lPKT2_lT1_lS6_lS7_lS3_lPT4_lS7_li, .Lfunc_end580-_ZL32rocblas_gemvt_warp_reduce_kernelILb1ELi1024Ei16rocblas_bfloat16PKfS0_EviiT3_lPKT2_lT1_lS6_lS7_lS3_lPT4_lS7_li
                                        ; -- End function
	.set _ZL32rocblas_gemvt_warp_reduce_kernelILb1ELi1024Ei16rocblas_bfloat16PKfS0_EviiT3_lPKT2_lT1_lS6_lS7_lS3_lPT4_lS7_li.num_vgpr, 22
	.set _ZL32rocblas_gemvt_warp_reduce_kernelILb1ELi1024Ei16rocblas_bfloat16PKfS0_EviiT3_lPKT2_lT1_lS6_lS7_lS3_lPT4_lS7_li.num_agpr, 0
	.set _ZL32rocblas_gemvt_warp_reduce_kernelILb1ELi1024Ei16rocblas_bfloat16PKfS0_EviiT3_lPKT2_lT1_lS6_lS7_lS3_lPT4_lS7_li.numbered_sgpr, 44
	.set _ZL32rocblas_gemvt_warp_reduce_kernelILb1ELi1024Ei16rocblas_bfloat16PKfS0_EviiT3_lPKT2_lT1_lS6_lS7_lS3_lPT4_lS7_li.num_named_barrier, 0
	.set _ZL32rocblas_gemvt_warp_reduce_kernelILb1ELi1024Ei16rocblas_bfloat16PKfS0_EviiT3_lPKT2_lT1_lS6_lS7_lS3_lPT4_lS7_li.private_seg_size, 0
	.set _ZL32rocblas_gemvt_warp_reduce_kernelILb1ELi1024Ei16rocblas_bfloat16PKfS0_EviiT3_lPKT2_lT1_lS6_lS7_lS3_lPT4_lS7_li.uses_vcc, 1
	.set _ZL32rocblas_gemvt_warp_reduce_kernelILb1ELi1024Ei16rocblas_bfloat16PKfS0_EviiT3_lPKT2_lT1_lS6_lS7_lS3_lPT4_lS7_li.uses_flat_scratch, 0
	.set _ZL32rocblas_gemvt_warp_reduce_kernelILb1ELi1024Ei16rocblas_bfloat16PKfS0_EviiT3_lPKT2_lT1_lS6_lS7_lS3_lPT4_lS7_li.has_dyn_sized_stack, 0
	.set _ZL32rocblas_gemvt_warp_reduce_kernelILb1ELi1024Ei16rocblas_bfloat16PKfS0_EviiT3_lPKT2_lT1_lS6_lS7_lS3_lPT4_lS7_li.has_recursion, 0
	.set _ZL32rocblas_gemvt_warp_reduce_kernelILb1ELi1024Ei16rocblas_bfloat16PKfS0_EviiT3_lPKT2_lT1_lS6_lS7_lS3_lPT4_lS7_li.has_indirect_call, 0
	.section	.AMDGPU.csdata,"",@progbits
; Kernel info:
; codeLenInByte = 2112
; TotalNumSgprs: 46
; NumVgprs: 22
; ScratchSize: 0
; MemoryBound: 0
; FloatMode: 240
; IeeeMode: 1
; LDSByteSize: 128 bytes/workgroup (compile time only)
; SGPRBlocks: 0
; VGPRBlocks: 1
; NumSGPRsForWavesPerEU: 46
; NumVGPRsForWavesPerEU: 22
; NamedBarCnt: 0
; Occupancy: 16
; WaveLimiterHint : 0
; COMPUTE_PGM_RSRC2:SCRATCH_EN: 0
; COMPUTE_PGM_RSRC2:USER_SGPR: 2
; COMPUTE_PGM_RSRC2:TRAP_HANDLER: 0
; COMPUTE_PGM_RSRC2:TGID_X_EN: 1
; COMPUTE_PGM_RSRC2:TGID_Y_EN: 0
; COMPUTE_PGM_RSRC2:TGID_Z_EN: 1
; COMPUTE_PGM_RSRC2:TIDIG_COMP_CNT: 0
	.section	.text._ZL32rocblas_gemvt_warp_reduce_kernelILb1ELi1024El16rocblas_bfloat16PKfS0_EviiT3_lPKT2_lT1_lS6_lS7_lS3_lPT4_lS7_li,"axG",@progbits,_ZL32rocblas_gemvt_warp_reduce_kernelILb1ELi1024El16rocblas_bfloat16PKfS0_EviiT3_lPKT2_lT1_lS6_lS7_lS3_lPT4_lS7_li,comdat
	.globl	_ZL32rocblas_gemvt_warp_reduce_kernelILb1ELi1024El16rocblas_bfloat16PKfS0_EviiT3_lPKT2_lT1_lS6_lS7_lS3_lPT4_lS7_li ; -- Begin function _ZL32rocblas_gemvt_warp_reduce_kernelILb1ELi1024El16rocblas_bfloat16PKfS0_EviiT3_lPKT2_lT1_lS6_lS7_lS3_lPT4_lS7_li
	.p2align	8
	.type	_ZL32rocblas_gemvt_warp_reduce_kernelILb1ELi1024El16rocblas_bfloat16PKfS0_EviiT3_lPKT2_lT1_lS6_lS7_lS3_lPT4_lS7_li,@function
_ZL32rocblas_gemvt_warp_reduce_kernelILb1ELi1024El16rocblas_bfloat16PKfS0_EviiT3_lPKT2_lT1_lS6_lS7_lS3_lPT4_lS7_li: ; @_ZL32rocblas_gemvt_warp_reduce_kernelILb1ELi1024El16rocblas_bfloat16PKfS0_EviiT3_lPKT2_lT1_lS6_lS7_lS3_lPT4_lS7_li
; %bb.0:
	s_load_b32 s30, s[0:1], 0x88
	s_bfe_u32 s2, ttmp6, 0x40014
	s_lshr_b32 s3, ttmp7, 16
	s_add_co_i32 s2, s2, 1
	s_bfe_u32 s5, ttmp6, 0x40008
	s_mul_i32 s4, s3, s2
	s_getreg_b32 s2, hwreg(HW_REG_IB_STS2, 6, 4)
	s_add_co_i32 s5, s5, s4
	s_cmp_eq_u32 s2, 0
	s_mov_b32 s7, 0
	s_cselect_b32 s6, s3, s5
	s_wait_kmcnt 0x0
	s_cmp_ge_u32 s6, s30
	s_cbranch_scc1 .LBB581_59
; %bb.1:
	s_clause 0x2
	s_load_b512 s[8:23], s[0:1], 0x8
	s_load_b512 s[36:51], s[0:1], 0x48
	s_load_b32 s28, s[0:1], 0x0
	s_wait_xcnt 0x0
	s_bfe_u32 s0, ttmp6, 0x4000c
	s_and_b32 s1, ttmp6, 15
	s_add_co_i32 s0, s0, 1
	v_mbcnt_lo_u32_b32 v16, -1, 0
	s_mul_i32 s0, ttmp9, s0
	s_delay_alu instid0(SALU_CYCLE_1)
	s_add_co_i32 s3, s1, s0
	s_wait_kmcnt 0x0
	s_lshl_b64 s[0:1], s[22:23], 1
	s_lshl_b64 s[4:5], s[46:47], 1
	;; [unrolled: 1-line block ×3, first 2 shown]
	s_cmp_eq_u32 s2, 0
	v_cmp_gt_i32_e32 vcc_lo, s28, v0
	s_cselect_b32 s2, ttmp9, s3
	s_ashr_i32 s3, s28, 31
	s_add_nc_u64 s[22:23], s[12:13], s[24:25]
	s_lshr_b32 s3, s3, 22
	s_add_nc_u64 s[20:21], s[20:21], s[0:1]
	s_add_co_i32 s3, s28, s3
	v_cmp_eq_u32_e64 s0, 0, v0
	s_and_b32 s14, s3, 0xfffffc00
	s_delay_alu instid0(SALU_CYCLE_1) | instskip(SKIP_3) | instid1(VALU_DEP_3)
	v_dual_mov_b32 v3, 0 :: v_dual_bitop2_b32 v8, s14, v0 bitop3:0x54
	v_cndmask_b32_e32 v2, 0, v0, vcc_lo
	s_ashr_i32 s3, s2, 31
	v_cmp_gt_i32_e64 s1, s14, v0
	v_dual_mov_b32 v1, v3 :: v_dual_ashrrev_i32 v9, 31, v8
	s_delay_alu instid0(VALU_DEP_3) | instskip(SKIP_2) | instid1(VALU_DEP_2)
	v_lshlrev_b32_e32 v2, 1, v2
	s_mul_u64 s[26:27], s[48:49], s[2:3]
	s_ashr_i32 s15, s14, 31
	v_mul_u64_e32 v[10:11], s[36:37], v[0:1]
	v_mul_u64_e32 v[4:5], s[36:37], v[8:9]
	v_add_nc_u64_e32 v[6:7], s[22:23], v[2:3]
	s_add_nc_u64 s[22:23], s[44:45], s[4:5]
	s_mul_u64 s[4:5], s[16:17], s[2:3]
	v_and_b32_e32 v9, 31, v0
	s_lshl_b64 s[4:5], s[4:5], 1
	v_cmp_gt_i32_e64 s2, s28, v8
	v_lshrrev_b32_e32 v8, 3, v0
	s_add_nc_u64 s[16:17], s[4:5], s[24:25]
	v_add_nc_u64_e32 v[6:7], s[4:5], v[6:7]
	s_add_nc_u64 s[12:13], s[12:13], s[16:17]
	v_lshlrev_b32_e32 v1, 2, v9
	v_cmp_eq_u32_e64 s4, 0, v9
	v_and_b32_e32 v17, 0x7c, v8
	v_add_nc_u64_e32 v[8:9], s[12:13], v[2:3]
	v_cmp_gt_u32_e64 s3, 32, v0
	v_lshl_or_b32 v2, v16, 2, 64
	s_lshl_b64 s[12:13], s[18:19], 1
	s_lshl_b64 s[16:17], s[38:39], 1
	;; [unrolled: 1-line block ×4, first 2 shown]
	v_lshl_add_u64 v[10:11], v[10:11], 1, s[20:21]
	s_branch .LBB581_4
.LBB581_2:                              ;   in Loop: Header=BB581_4 Depth=1
	s_wait_xcnt 0x0
	s_or_b32 exec_lo, exec_lo, s31
.LBB581_3:                              ;   in Loop: Header=BB581_4 Depth=1
	s_add_co_i32 s6, s6, 0x10000
	s_delay_alu instid0(SALU_CYCLE_1)
	s_cmp_lt_u32 s6, s30
	s_cbranch_scc0 .LBB581_59
.LBB581_4:                              ; =>This Loop Header: Depth=1
                                        ;     Child Loop BB581_26 Depth 2
	s_wait_xcnt 0x1
	s_mul_u64 s[28:29], s[10:11], s[6:7]
	s_wait_xcnt 0x0
	s_mul_u64 s[34:35], s[42:43], s[6:7]
	s_lshl_b64 s[28:29], s[28:29], 2
	s_lshl_b64 s[34:35], s[34:35], 2
	s_add_nc_u64 s[28:29], s[8:9], s[28:29]
	s_add_nc_u64 s[34:35], s[40:41], s[34:35]
	s_clause 0x1
	global_load_b32 v18, v3, s[28:29]
	global_load_b32 v12, v3, s[34:35]
	s_wait_loadcnt 0x1
	v_cmp_eq_f32_e32 vcc_lo, 0, v18
	s_wait_loadcnt 0x0
	v_cmp_eq_f32_e64 s5, 1.0, v12
	v_readfirstlane_b32 s31, v12
	s_and_b32 s5, vcc_lo, s5
	s_delay_alu instid0(SALU_CYCLE_1)
	s_and_b32 vcc_lo, exec_lo, s5
	s_cbranch_vccnz .LBB581_3
; %bb.5:                                ;   in Loop: Header=BB581_4 Depth=1
	v_cmp_neq_f32_e32 vcc_lo, 0, v18
	s_wait_xcnt 0x1
	s_mul_u64 s[28:29], s[50:51], s[6:7]
	s_delay_alu instid0(SALU_CYCLE_1) | instskip(NEXT) | instid1(SALU_CYCLE_1)
	s_lshl_b64 s[28:29], s[28:29], 1
	s_add_nc_u64 s[28:29], s[22:23], s[28:29]
	s_cbranch_vccnz .LBB581_13
; %bb.6:                                ;   in Loop: Header=BB581_4 Depth=1
	s_mov_b32 s33, 0
	s_mov_b32 s5, 0
                                        ; implicit-def: $sgpr35
	s_wait_xcnt 0x0
	s_and_saveexec_b32 s34, s0
	s_cbranch_execz .LBB581_14
; %bb.7:                                ;   in Loop: Header=BB581_4 Depth=1
	s_cmp_eq_f32 s31, 0
	s_cbranch_scc1 .LBB581_44
; %bb.8:                                ;   in Loop: Header=BB581_4 Depth=1
	s_add_nc_u64 s[36:37], s[28:29], s[26:27]
	global_load_u16 v12, v3, s[36:37]
	s_wait_xcnt 0x0
	s_mov_b32 s36, -1
	s_wait_loadcnt 0x0
	v_readfirstlane_b32 s5, v12
	s_lshl_b32 s5, s5, 16
	s_delay_alu instid0(SALU_CYCLE_1) | instskip(NEXT) | instid1(SALU_CYCLE_3)
	s_mul_f32 s5, s31, s5
	s_and_b32 s35, s5, 0x7f800000
	s_delay_alu instid0(SALU_CYCLE_1)
	s_cmp_eq_u32 s35, 0x7f800000
                                        ; implicit-def: $sgpr35
	s_cbranch_scc1 .LBB581_10
; %bb.9:                                ;   in Loop: Header=BB581_4 Depth=1
	s_bfe_u32 s35, s5, 0x10010
	s_mov_b32 s36, 0
	s_add_co_i32 s35, s5, s35
	s_delay_alu instid0(SALU_CYCLE_1)
	s_addk_co_i32 s35, 0x7fff
.LBB581_10:                             ;   in Loop: Header=BB581_4 Depth=1
	s_and_not1_b32 vcc_lo, exec_lo, s36
	s_cbranch_vccnz .LBB581_12
; %bb.11:                               ;   in Loop: Header=BB581_4 Depth=1
	s_and_b32 s35, s5, 0xffff
	s_or_b32 s36, s5, 0x10000
	s_cmp_eq_u32 s35, 0
	s_cselect_b32 s35, s5, s36
.LBB581_12:                             ;   in Loop: Header=BB581_4 Depth=1
	s_delay_alu instid0(SALU_CYCLE_1) | instskip(SKIP_2) | instid1(SALU_CYCLE_1)
	s_lshr_b32 s35, s35, 16
	s_mov_b32 s5, exec_lo
	s_or_b32 exec_lo, exec_lo, s34
	s_and_b32 vcc_lo, exec_lo, s33
	s_cbranch_vccnz .LBB581_15
	s_branch .LBB581_45
.LBB581_13:                             ;   in Loop: Header=BB581_4 Depth=1
	s_mov_b32 s5, 0
                                        ; implicit-def: $sgpr35
	s_cbranch_execnz .LBB581_15
	s_branch .LBB581_45
.LBB581_14:                             ;   in Loop: Header=BB581_4 Depth=1
	s_or_b32 exec_lo, exec_lo, s34
	s_delay_alu instid0(SALU_CYCLE_1)
	s_and_b32 vcc_lo, exec_lo, s33
	s_cbranch_vccz .LBB581_45
.LBB581_15:                             ;   in Loop: Header=BB581_4 Depth=1
	s_wait_dscnt 0x0
	v_mov_b32_e32 v19, 0
	s_wait_xcnt 0x0
	s_and_saveexec_b32 s33, s1
	s_cbranch_execnz .LBB581_24
; %bb.16:                               ;   in Loop: Header=BB581_4 Depth=1
	s_or_b32 exec_lo, exec_lo, s33
	s_and_saveexec_b32 s33, s2
	s_cbranch_execnz .LBB581_39
.LBB581_17:                             ;   in Loop: Header=BB581_4 Depth=1
	s_or_b32 exec_lo, exec_lo, s33
	s_and_saveexec_b32 s33, s3
.LBB581_18:                             ;   in Loop: Header=BB581_4 Depth=1
	ds_store_b32 v1, v3
.LBB581_19:                             ;   in Loop: Header=BB581_4 Depth=1
	s_or_b32 exec_lo, exec_lo, s33
	ds_bpermute_b32 v13, v2, v19
	v_cmp_gt_u32_e32 vcc_lo, 24, v16
	s_wait_dscnt 0x0
	s_barrier_signal -1
	s_barrier_wait -1
	v_cndmask_b32_e64 v12, 0, 8, vcc_lo
	v_cmp_gt_u32_e32 vcc_lo, 28, v16
	s_delay_alu instid0(VALU_DEP_2)
	v_add_lshl_u32 v12, v12, v16, 2
	v_add_f32_e32 v14, v19, v13
	v_cndmask_b32_e64 v13, 0, 4, vcc_lo
	v_cmp_gt_u32_e32 vcc_lo, 30, v16
	ds_bpermute_b32 v15, v12, v14
	v_add_lshl_u32 v13, v13, v16, 2
	s_wait_dscnt 0x0
	v_add_f32_e32 v15, v14, v15
	v_cndmask_b32_e64 v14, 0, 2, vcc_lo
	v_cmp_ne_u32_e32 vcc_lo, 31, v16
	ds_bpermute_b32 v19, v13, v15
	v_add_lshl_u32 v14, v14, v16, 2
	v_add_co_ci_u32_e64 v20, null, 0, v16, vcc_lo
	s_wait_dscnt 0x0
	v_add_f32_e32 v15, v15, v19
	ds_bpermute_b32 v19, v14, v15
	s_wait_dscnt 0x0
	v_dual_add_f32 v19, v15, v19 :: v_dual_lshlrev_b32 v15, 2, v20
	ds_bpermute_b32 v20, v15, v19
	s_and_saveexec_b32 s33, s4
	s_cbranch_execz .LBB581_21
; %bb.20:                               ;   in Loop: Header=BB581_4 Depth=1
	s_wait_dscnt 0x0
	v_add_f32_e32 v19, v19, v20
	ds_store_b32 v17, v19
.LBB581_21:                             ;   in Loop: Header=BB581_4 Depth=1
	s_or_b32 exec_lo, exec_lo, s33
	v_mov_b32_e32 v19, 0
	s_wait_dscnt 0x0
	s_barrier_signal -1
	s_barrier_wait -1
	s_and_saveexec_b32 s33, s3
	s_cbranch_execnz .LBB581_30
; %bb.22:                               ;   in Loop: Header=BB581_4 Depth=1
	s_or_b32 exec_lo, exec_lo, s33
	s_and_saveexec_b32 s33, s3
	s_cbranch_execnz .LBB581_31
.LBB581_23:                             ;   in Loop: Header=BB581_4 Depth=1
	s_or_b32 exec_lo, exec_lo, s33
                                        ; implicit-def: $vgpr12
	s_and_saveexec_b32 s33, s0
	s_cbranch_execnz .LBB581_32
	s_branch .LBB581_57
.LBB581_24:                             ;   in Loop: Header=BB581_4 Depth=1
	v_mad_nc_u64_u32 v[12:13], s12, s6, v[8:9]
	v_mad_nc_u64_u32 v[14:15], s16, s6, v[10:11]
	v_dual_mov_b32 v19, 0 :: v_dual_mov_b32 v20, v0
	s_mov_b32 s34, 0
	s_delay_alu instid0(VALU_DEP_3) | instskip(NEXT) | instid1(VALU_DEP_3)
	v_mad_u32 v13, s13, s6, v13
	v_mad_u32 v15, s17, s6, v15
	s_branch .LBB581_26
.LBB581_25:                             ;   in Loop: Header=BB581_26 Depth=2
	s_or_b32 exec_lo, exec_lo, s35
	s_delay_alu instid0(VALU_DEP_1) | instskip(SKIP_3) | instid1(VALU_DEP_4)
	v_and_b32_e32 v21, 0xffff0000, v22
	v_add_nc_u32_e32 v20, 0x400, v20
	v_add_nc_u64_e32 v[12:13], 0x800, v[12:13]
	v_add_nc_u64_e32 v[14:15], s[24:25], v[14:15]
	v_add_f32_e32 v19, v19, v21
	s_delay_alu instid0(VALU_DEP_4) | instskip(SKIP_1) | instid1(SALU_CYCLE_1)
	v_cmp_le_i32_e32 vcc_lo, s14, v20
	s_or_b32 s34, vcc_lo, s34
	s_and_not1_b32 exec_lo, exec_lo, s34
	s_cbranch_execz .LBB581_38
.LBB581_26:                             ;   Parent Loop BB581_4 Depth=1
                                        ; =>  This Inner Loop Header: Depth=2
	global_load_u16 v21, v[12:13], off
	global_load_u16 v22, v[14:15], off
	s_wait_loadcnt 0x0
	v_dual_lshlrev_b32 v21, 16, v21 :: v_dual_lshlrev_b32 v22, 16, v22
	s_delay_alu instid0(VALU_DEP_1) | instskip(NEXT) | instid1(VALU_DEP_1)
	v_mul_f32_e32 v21, v22, v21
	v_and_b32_e32 v22, 0x7f800000, v21
	s_delay_alu instid0(VALU_DEP_1) | instskip(SKIP_2) | instid1(SALU_CYCLE_1)
	v_cmp_ne_u32_e32 vcc_lo, 0x7f800000, v22
                                        ; implicit-def: $vgpr22
	s_wait_xcnt 0x0
	s_and_saveexec_b32 s35, vcc_lo
	s_xor_b32 s35, exec_lo, s35
; %bb.27:                               ;   in Loop: Header=BB581_26 Depth=2
	v_bfe_u32 v22, v21, 16, 1
	s_delay_alu instid0(VALU_DEP_1)
	v_add3_u32 v22, v21, v22, 0x7fff
                                        ; implicit-def: $vgpr21
; %bb.28:                               ;   in Loop: Header=BB581_26 Depth=2
	s_and_not1_saveexec_b32 s35, s35
	s_cbranch_execz .LBB581_25
; %bb.29:                               ;   in Loop: Header=BB581_26 Depth=2
	v_and_b32_e32 v22, 0xffff, v21
	v_or_b32_e32 v23, 0x10000, v21
	s_delay_alu instid0(VALU_DEP_2) | instskip(NEXT) | instid1(VALU_DEP_2)
	v_cmp_eq_u32_e32 vcc_lo, 0, v22
	v_cndmask_b32_e32 v22, v23, v21, vcc_lo
	s_branch .LBB581_25
.LBB581_30:                             ;   in Loop: Header=BB581_4 Depth=1
	ds_load_b32 v19, v1
	s_or_b32 exec_lo, exec_lo, s33
	s_and_saveexec_b32 s33, s3
	s_cbranch_execz .LBB581_23
.LBB581_31:                             ;   in Loop: Header=BB581_4 Depth=1
	s_wait_dscnt 0x0
	ds_bpermute_b32 v20, v2, v19
	s_wait_dscnt 0x0
	v_add_f32_e32 v19, v19, v20
	ds_bpermute_b32 v12, v12, v19
	s_wait_dscnt 0x0
	v_add_f32_e32 v12, v19, v12
	;; [unrolled: 3-line block ×5, first 2 shown]
	s_or_b32 exec_lo, exec_lo, s33
                                        ; implicit-def: $vgpr12
	s_and_saveexec_b32 s33, s0
	s_cbranch_execz .LBB581_57
.LBB581_32:                             ;   in Loop: Header=BB581_4 Depth=1
	s_wait_dscnt 0x0
	v_mul_f32_e32 v12, v18, v19
	s_cmp_eq_f32 s31, 0
	s_cbranch_scc0 .LBB581_46
; %bb.33:                               ;   in Loop: Header=BB581_4 Depth=1
	s_delay_alu instid0(VALU_DEP_1) | instskip(NEXT) | instid1(VALU_DEP_1)
	v_and_b32_e32 v13, 0x7f800000, v12
	v_cmp_ne_u32_e32 vcc_lo, 0x7f800000, v13
                                        ; implicit-def: $vgpr13
	s_and_saveexec_b32 s34, vcc_lo
	s_delay_alu instid0(SALU_CYCLE_1)
	s_xor_b32 s34, exec_lo, s34
; %bb.34:                               ;   in Loop: Header=BB581_4 Depth=1
	v_bfe_u32 v13, v12, 16, 1
	s_delay_alu instid0(VALU_DEP_1)
	v_add3_u32 v13, v12, v13, 0x7fff
; %bb.35:                               ;   in Loop: Header=BB581_4 Depth=1
	s_and_not1_saveexec_b32 s34, s34
; %bb.36:                               ;   in Loop: Header=BB581_4 Depth=1
	v_and_b32_e32 v13, 0xffff, v12
	v_or_b32_e32 v14, 0x10000, v12
	s_delay_alu instid0(VALU_DEP_2) | instskip(NEXT) | instid1(VALU_DEP_2)
	v_cmp_eq_u32_e32 vcc_lo, 0, v13
	v_cndmask_b32_e32 v13, v14, v12, vcc_lo
; %bb.37:                               ;   in Loop: Header=BB581_4 Depth=1
	s_or_b32 exec_lo, exec_lo, s34
	s_cbranch_execz .LBB581_47
	s_branch .LBB581_56
.LBB581_38:                             ;   in Loop: Header=BB581_4 Depth=1
	s_or_b32 exec_lo, exec_lo, s34
	s_delay_alu instid0(SALU_CYCLE_1)
	s_or_b32 exec_lo, exec_lo, s33
	s_and_saveexec_b32 s33, s2
	s_cbranch_execz .LBB581_17
.LBB581_39:                             ;   in Loop: Header=BB581_4 Depth=1
	s_mul_u64 s[34:35], s[18:19], s[6:7]
	s_mul_u64 s[36:37], s[38:39], s[6:7]
	v_lshl_add_u64 v[12:13], s[34:35], 1, v[6:7]
	s_lshl_b64 s[34:35], s[36:37], 1
	s_delay_alu instid0(SALU_CYCLE_1) | instskip(NEXT) | instid1(SALU_CYCLE_1)
	s_add_nc_u64 s[34:35], s[20:21], s[34:35]
	v_lshl_add_u64 v[14:15], v[4:5], 1, s[34:35]
	s_delay_alu instid0(VALU_DEP_2)
	v_lshl_add_u64 v[12:13], s[14:15], 1, v[12:13]
	global_load_u16 v20, v[12:13], off
	global_load_u16 v21, v[14:15], off
	s_wait_loadcnt 0x0
	s_wait_xcnt 0x1
	v_dual_lshlrev_b32 v12, 16, v20 :: v_dual_lshlrev_b32 v13, 16, v21
	s_delay_alu instid0(VALU_DEP_1) | instskip(NEXT) | instid1(VALU_DEP_1)
	v_mul_f32_e32 v12, v13, v12
	v_and_b32_e32 v13, 0x7f800000, v12
	s_delay_alu instid0(VALU_DEP_1) | instskip(SKIP_2) | instid1(SALU_CYCLE_1)
	v_cmp_ne_u32_e32 vcc_lo, 0x7f800000, v13
                                        ; implicit-def: $vgpr13
	s_wait_xcnt 0x0
	s_and_saveexec_b32 s34, vcc_lo
	s_xor_b32 s34, exec_lo, s34
; %bb.40:                               ;   in Loop: Header=BB581_4 Depth=1
	v_bfe_u32 v13, v12, 16, 1
	s_delay_alu instid0(VALU_DEP_1)
	v_add3_u32 v13, v12, v13, 0x7fff
                                        ; implicit-def: $vgpr12
; %bb.41:                               ;   in Loop: Header=BB581_4 Depth=1
	s_and_not1_saveexec_b32 s34, s34
; %bb.42:                               ;   in Loop: Header=BB581_4 Depth=1
	v_and_b32_e32 v13, 0xffff, v12
	v_or_b32_e32 v14, 0x10000, v12
	s_delay_alu instid0(VALU_DEP_2) | instskip(NEXT) | instid1(VALU_DEP_2)
	v_cmp_eq_u32_e32 vcc_lo, 0, v13
	v_cndmask_b32_e32 v13, v14, v12, vcc_lo
; %bb.43:                               ;   in Loop: Header=BB581_4 Depth=1
	s_or_b32 exec_lo, exec_lo, s34
	s_delay_alu instid0(VALU_DEP_1) | instskip(NEXT) | instid1(VALU_DEP_1)
	v_and_b32_e32 v12, 0xffff0000, v13
	v_add_f32_e32 v19, v19, v12
	s_or_b32 exec_lo, exec_lo, s33
	s_and_saveexec_b32 s33, s3
	s_cbranch_execnz .LBB581_18
	s_branch .LBB581_19
.LBB581_44:                             ;   in Loop: Header=BB581_4 Depth=1
	s_mov_b32 s35, 0
	s_mov_b32 s5, exec_lo
	s_or_b32 exec_lo, exec_lo, s34
	s_delay_alu instid0(SALU_CYCLE_1)
	s_and_b32 vcc_lo, exec_lo, s33
	s_cbranch_vccnz .LBB581_15
.LBB581_45:                             ;   in Loop: Header=BB581_4 Depth=1
	v_mov_b32_e32 v12, s35
	s_wait_xcnt 0x0
	s_and_saveexec_b32 s31, s5
	s_cbranch_execz .LBB581_2
	s_branch .LBB581_58
.LBB581_46:                             ;   in Loop: Header=BB581_4 Depth=1
                                        ; implicit-def: $vgpr13
.LBB581_47:                             ;   in Loop: Header=BB581_4 Depth=1
	s_add_nc_u64 s[34:35], s[28:29], s[26:27]
	global_load_u16 v13, v3, s[34:35]
	s_wait_xcnt 0x0
	s_mov_b32 s35, -1
	s_wait_loadcnt 0x0
	v_readfirstlane_b32 s34, v13
	s_lshl_b32 s34, s34, 16
	s_delay_alu instid0(SALU_CYCLE_1) | instskip(NEXT) | instid1(SALU_CYCLE_3)
	s_mul_f32 s31, s31, s34
	s_and_b32 s34, s31, 0x7f800000
	s_delay_alu instid0(SALU_CYCLE_1)
	s_cmp_eq_u32 s34, 0x7f800000
                                        ; implicit-def: $sgpr34
	s_cbranch_scc1 .LBB581_49
; %bb.48:                               ;   in Loop: Header=BB581_4 Depth=1
	s_bfe_u32 s34, s31, 0x10010
	s_mov_b32 s35, 0
	s_add_co_i32 s34, s31, s34
	s_delay_alu instid0(SALU_CYCLE_1)
	s_addk_co_i32 s34, 0x7fff
.LBB581_49:                             ;   in Loop: Header=BB581_4 Depth=1
	s_and_not1_b32 vcc_lo, exec_lo, s35
	s_cbranch_vccnz .LBB581_51
; %bb.50:                               ;   in Loop: Header=BB581_4 Depth=1
	s_and_b32 s34, s31, 0xffff
	s_or_b32 s35, s31, 0x10000
	s_cmp_eq_u32 s34, 0
	s_cselect_b32 s34, s31, s35
.LBB581_51:                             ;   in Loop: Header=BB581_4 Depth=1
	s_delay_alu instid0(SALU_CYCLE_1) | instskip(NEXT) | instid1(SALU_CYCLE_1)
	s_and_b32 s31, s34, 0xffff0000
	v_add_f32_e32 v12, s31, v12
	s_delay_alu instid0(VALU_DEP_1) | instskip(NEXT) | instid1(VALU_DEP_1)
	v_and_b32_e32 v13, 0x7f800000, v12
	v_cmp_ne_u32_e32 vcc_lo, 0x7f800000, v13
                                        ; implicit-def: $vgpr13
	s_and_saveexec_b32 s31, vcc_lo
	s_delay_alu instid0(SALU_CYCLE_1)
	s_xor_b32 s31, exec_lo, s31
; %bb.52:                               ;   in Loop: Header=BB581_4 Depth=1
	v_bfe_u32 v13, v12, 16, 1
	s_delay_alu instid0(VALU_DEP_1)
	v_add3_u32 v13, v12, v13, 0x7fff
                                        ; implicit-def: $vgpr12
; %bb.53:                               ;   in Loop: Header=BB581_4 Depth=1
	s_and_not1_saveexec_b32 s31, s31
; %bb.54:                               ;   in Loop: Header=BB581_4 Depth=1
	v_and_b32_e32 v13, 0xffff, v12
	v_or_b32_e32 v14, 0x10000, v12
	s_delay_alu instid0(VALU_DEP_2) | instskip(NEXT) | instid1(VALU_DEP_2)
	v_cmp_eq_u32_e32 vcc_lo, 0, v13
	v_cndmask_b32_e32 v13, v14, v12, vcc_lo
; %bb.55:                               ;   in Loop: Header=BB581_4 Depth=1
	s_or_b32 exec_lo, exec_lo, s31
.LBB581_56:                             ;   in Loop: Header=BB581_4 Depth=1
	s_delay_alu instid0(VALU_DEP_1)
	v_lshrrev_b32_e32 v12, 16, v13
	s_or_b32 s5, s5, exec_lo
.LBB581_57:                             ;   in Loop: Header=BB581_4 Depth=1
	s_or_b32 exec_lo, exec_lo, s33
	s_and_saveexec_b32 s31, s5
	s_cbranch_execz .LBB581_2
.LBB581_58:                             ;   in Loop: Header=BB581_4 Depth=1
	s_add_nc_u64 s[28:29], s[28:29], s[26:27]
	global_store_b16 v3, v12, s[28:29]
	s_branch .LBB581_2
.LBB581_59:
	s_endpgm
	.section	.rodata,"a",@progbits
	.p2align	6, 0x0
	.amdhsa_kernel _ZL32rocblas_gemvt_warp_reduce_kernelILb1ELi1024El16rocblas_bfloat16PKfS0_EviiT3_lPKT2_lT1_lS6_lS7_lS3_lPT4_lS7_li
		.amdhsa_group_segment_fixed_size 128
		.amdhsa_private_segment_fixed_size 0
		.amdhsa_kernarg_size 140
		.amdhsa_user_sgpr_count 2
		.amdhsa_user_sgpr_dispatch_ptr 0
		.amdhsa_user_sgpr_queue_ptr 0
		.amdhsa_user_sgpr_kernarg_segment_ptr 1
		.amdhsa_user_sgpr_dispatch_id 0
		.amdhsa_user_sgpr_kernarg_preload_length 0
		.amdhsa_user_sgpr_kernarg_preload_offset 0
		.amdhsa_user_sgpr_private_segment_size 0
		.amdhsa_wavefront_size32 1
		.amdhsa_uses_dynamic_stack 0
		.amdhsa_enable_private_segment 0
		.amdhsa_system_sgpr_workgroup_id_x 1
		.amdhsa_system_sgpr_workgroup_id_y 0
		.amdhsa_system_sgpr_workgroup_id_z 1
		.amdhsa_system_sgpr_workgroup_info 0
		.amdhsa_system_vgpr_workitem_id 0
		.amdhsa_next_free_vgpr 24
		.amdhsa_next_free_sgpr 52
		.amdhsa_named_barrier_count 0
		.amdhsa_reserve_vcc 1
		.amdhsa_float_round_mode_32 0
		.amdhsa_float_round_mode_16_64 0
		.amdhsa_float_denorm_mode_32 3
		.amdhsa_float_denorm_mode_16_64 3
		.amdhsa_fp16_overflow 0
		.amdhsa_memory_ordered 1
		.amdhsa_forward_progress 1
		.amdhsa_inst_pref_size 17
		.amdhsa_round_robin_scheduling 0
		.amdhsa_exception_fp_ieee_invalid_op 0
		.amdhsa_exception_fp_denorm_src 0
		.amdhsa_exception_fp_ieee_div_zero 0
		.amdhsa_exception_fp_ieee_overflow 0
		.amdhsa_exception_fp_ieee_underflow 0
		.amdhsa_exception_fp_ieee_inexact 0
		.amdhsa_exception_int_div_zero 0
	.end_amdhsa_kernel
	.section	.text._ZL32rocblas_gemvt_warp_reduce_kernelILb1ELi1024El16rocblas_bfloat16PKfS0_EviiT3_lPKT2_lT1_lS6_lS7_lS3_lPT4_lS7_li,"axG",@progbits,_ZL32rocblas_gemvt_warp_reduce_kernelILb1ELi1024El16rocblas_bfloat16PKfS0_EviiT3_lPKT2_lT1_lS6_lS7_lS3_lPT4_lS7_li,comdat
.Lfunc_end581:
	.size	_ZL32rocblas_gemvt_warp_reduce_kernelILb1ELi1024El16rocblas_bfloat16PKfS0_EviiT3_lPKT2_lT1_lS6_lS7_lS3_lPT4_lS7_li, .Lfunc_end581-_ZL32rocblas_gemvt_warp_reduce_kernelILb1ELi1024El16rocblas_bfloat16PKfS0_EviiT3_lPKT2_lT1_lS6_lS7_lS3_lPT4_lS7_li
                                        ; -- End function
	.set _ZL32rocblas_gemvt_warp_reduce_kernelILb1ELi1024El16rocblas_bfloat16PKfS0_EviiT3_lPKT2_lT1_lS6_lS7_lS3_lPT4_lS7_li.num_vgpr, 24
	.set _ZL32rocblas_gemvt_warp_reduce_kernelILb1ELi1024El16rocblas_bfloat16PKfS0_EviiT3_lPKT2_lT1_lS6_lS7_lS3_lPT4_lS7_li.num_agpr, 0
	.set _ZL32rocblas_gemvt_warp_reduce_kernelILb1ELi1024El16rocblas_bfloat16PKfS0_EviiT3_lPKT2_lT1_lS6_lS7_lS3_lPT4_lS7_li.numbered_sgpr, 52
	.set _ZL32rocblas_gemvt_warp_reduce_kernelILb1ELi1024El16rocblas_bfloat16PKfS0_EviiT3_lPKT2_lT1_lS6_lS7_lS3_lPT4_lS7_li.num_named_barrier, 0
	.set _ZL32rocblas_gemvt_warp_reduce_kernelILb1ELi1024El16rocblas_bfloat16PKfS0_EviiT3_lPKT2_lT1_lS6_lS7_lS3_lPT4_lS7_li.private_seg_size, 0
	.set _ZL32rocblas_gemvt_warp_reduce_kernelILb1ELi1024El16rocblas_bfloat16PKfS0_EviiT3_lPKT2_lT1_lS6_lS7_lS3_lPT4_lS7_li.uses_vcc, 1
	.set _ZL32rocblas_gemvt_warp_reduce_kernelILb1ELi1024El16rocblas_bfloat16PKfS0_EviiT3_lPKT2_lT1_lS6_lS7_lS3_lPT4_lS7_li.uses_flat_scratch, 0
	.set _ZL32rocblas_gemvt_warp_reduce_kernelILb1ELi1024El16rocblas_bfloat16PKfS0_EviiT3_lPKT2_lT1_lS6_lS7_lS3_lPT4_lS7_li.has_dyn_sized_stack, 0
	.set _ZL32rocblas_gemvt_warp_reduce_kernelILb1ELi1024El16rocblas_bfloat16PKfS0_EviiT3_lPKT2_lT1_lS6_lS7_lS3_lPT4_lS7_li.has_recursion, 0
	.set _ZL32rocblas_gemvt_warp_reduce_kernelILb1ELi1024El16rocblas_bfloat16PKfS0_EviiT3_lPKT2_lT1_lS6_lS7_lS3_lPT4_lS7_li.has_indirect_call, 0
	.section	.AMDGPU.csdata,"",@progbits
; Kernel info:
; codeLenInByte = 2096
; TotalNumSgprs: 54
; NumVgprs: 24
; ScratchSize: 0
; MemoryBound: 0
; FloatMode: 240
; IeeeMode: 1
; LDSByteSize: 128 bytes/workgroup (compile time only)
; SGPRBlocks: 0
; VGPRBlocks: 1
; NumSGPRsForWavesPerEU: 54
; NumVGPRsForWavesPerEU: 24
; NamedBarCnt: 0
; Occupancy: 16
; WaveLimiterHint : 0
; COMPUTE_PGM_RSRC2:SCRATCH_EN: 0
; COMPUTE_PGM_RSRC2:USER_SGPR: 2
; COMPUTE_PGM_RSRC2:TRAP_HANDLER: 0
; COMPUTE_PGM_RSRC2:TGID_X_EN: 1
; COMPUTE_PGM_RSRC2:TGID_Y_EN: 0
; COMPUTE_PGM_RSRC2:TGID_Z_EN: 1
; COMPUTE_PGM_RSRC2:TIDIG_COMP_CNT: 0
	.section	.text._ZL32rocblas_gemvt_warp_reduce_kernelILb1ELi1024Ei16rocblas_bfloat16fS0_EviiT3_lPKT2_lT1_lS4_lS5_lS1_lPT4_lS5_li,"axG",@progbits,_ZL32rocblas_gemvt_warp_reduce_kernelILb1ELi1024Ei16rocblas_bfloat16fS0_EviiT3_lPKT2_lT1_lS4_lS5_lS1_lPT4_lS5_li,comdat
	.globl	_ZL32rocblas_gemvt_warp_reduce_kernelILb1ELi1024Ei16rocblas_bfloat16fS0_EviiT3_lPKT2_lT1_lS4_lS5_lS1_lPT4_lS5_li ; -- Begin function _ZL32rocblas_gemvt_warp_reduce_kernelILb1ELi1024Ei16rocblas_bfloat16fS0_EviiT3_lPKT2_lT1_lS4_lS5_lS1_lPT4_lS5_li
	.p2align	8
	.type	_ZL32rocblas_gemvt_warp_reduce_kernelILb1ELi1024Ei16rocblas_bfloat16fS0_EviiT3_lPKT2_lT1_lS4_lS5_lS1_lPT4_lS5_li,@function
_ZL32rocblas_gemvt_warp_reduce_kernelILb1ELi1024Ei16rocblas_bfloat16fS0_EviiT3_lPKT2_lT1_lS4_lS5_lS1_lPT4_lS5_li: ; @_ZL32rocblas_gemvt_warp_reduce_kernelILb1ELi1024Ei16rocblas_bfloat16fS0_EviiT3_lPKT2_lT1_lS4_lS5_lS1_lPT4_lS5_li
; %bb.0:
	s_load_b32 s19, s[0:1], 0x88
	s_bfe_u32 s2, ttmp6, 0x40014
	s_lshr_b32 s4, ttmp7, 16
	s_add_co_i32 s2, s2, 1
	s_bfe_u32 s5, ttmp6, 0x40008
	s_mul_i32 s2, s4, s2
	s_getreg_b32 s3, hwreg(HW_REG_IB_STS2, 6, 4)
	s_add_co_i32 s5, s5, s2
	s_cmp_eq_u32 s3, 0
	s_mov_b32 s25, 0
	s_cselect_b32 s24, s4, s5
	s_wait_kmcnt 0x0
	s_cmp_ge_u32 s24, s19
	s_cbranch_scc1 .LBB582_59
; %bb.1:
	s_clause 0x7
	s_load_b96 s[20:22], s[0:1], 0x40
	s_load_b128 s[12:15], s[0:1], 0x68
	s_load_b128 s[4:7], s[0:1], 0x18
	s_load_b32 s30, s[0:1], 0x8
	s_load_b96 s[16:18], s[0:1], 0x50
	s_load_b32 s23, s[0:1], 0x28
	s_load_b32 s36, s[0:1], 0x0
	s_load_b128 s[8:11], s[0:1], 0x30
	v_dual_mov_b32 v3, 0 :: v_dual_bitop2_b32 v2, 31, v0 bitop3:0x40
	v_lshrrev_b32_e32 v4, 3, v0
	v_mbcnt_lo_u32_b32 v1, -1, 0
	s_delay_alu instid0(VALU_DEP_3) | instskip(NEXT) | instid1(VALU_DEP_3)
	v_lshlrev_b32_e32 v12, 2, v2
	v_and_b32_e32 v13, 0x7c, v4
	s_wait_kmcnt 0x0
	s_lshl_b64 s[26:27], s[20:21], 1
	s_lshl_b64 s[14:15], s[14:15], 1
	;; [unrolled: 1-line block ×3, first 2 shown]
	s_cmp_eq_f32 s30, 0
	s_add_nc_u64 s[12:13], s[12:13], s[14:15]
	v_cmp_gt_i32_e32 vcc_lo, s36, v0
	s_clause 0x1
	s_load_b32 s28, s[0:1], 0x78
	s_load_b64 s[6:7], s[0:1], 0x80
	s_cselect_b32 s31, -1, 0
	s_cmp_neq_f32 s30, 0
	s_add_nc_u64 s[10:11], s[10:11], s[26:27]
	s_add_nc_u64 s[26:27], s[4:5], s[20:21]
	v_mul_lo_u32 v14, v0, s22
	s_cselect_b32 s2, -1, 0
	s_cmp_neq_f32 s18, 1.0
	s_wait_xcnt 0x0
	v_cmp_eq_u32_e64 s0, 0, v0
	v_cmp_gt_u32_e64 s1, 32, v0
	s_cselect_b32 s29, -1, 0
	s_delay_alu instid0(SALU_CYCLE_1)
	s_or_b32 s33, s2, s29
	s_cmp_neq_f32 s18, 0
	v_cmp_eq_u32_e64 s2, 0, v2
	s_cselect_b32 s34, -1, 0
	s_cmp_eq_f32 s18, 0
	s_cselect_b32 s35, -1, 0
	s_bfe_u32 s29, ttmp6, 0x4000c
	s_and_b32 s37, ttmp6, 15
	s_add_co_i32 s29, s29, 1
	s_delay_alu instid0(SALU_CYCLE_1) | instskip(NEXT) | instid1(SALU_CYCLE_1)
	s_mul_i32 s29, ttmp9, s29
	s_add_co_i32 s37, s37, s29
	s_cmp_eq_u32 s3, 0
	s_cselect_b32 s3, ttmp9, s37
	s_ashr_i32 s14, s36, 31
	s_wait_kmcnt 0x0
	s_mul_i32 s28, s28, s3
	s_lshr_b32 s14, s14, 22
	s_ashr_i32 s29, s28, 31
	s_add_co_i32 s14, s36, s14
	s_delay_alu instid0(SALU_CYCLE_1) | instskip(NEXT) | instid1(SALU_CYCLE_1)
	s_and_b32 s14, s14, 0xfffffc00
	v_dual_cndmask_b32 v2, 0, v0, vcc_lo :: v_dual_bitop2_b32 v5, s14, v0 bitop3:0x54
	s_ashr_i32 s15, s14, 31
	s_delay_alu instid0(VALU_DEP_1) | instskip(NEXT) | instid1(VALU_DEP_2)
	v_mul_lo_u32 v4, s22, v5
	v_lshlrev_b32_e32 v2, 1, v2
	s_delay_alu instid0(VALU_DEP_1) | instskip(SKIP_3) | instid1(SALU_CYCLE_1)
	v_add_nc_u64_e32 v[6:7], s[26:27], v[2:3]
	s_mul_i32 s26, s23, s3
	v_cmp_gt_i32_e64 s3, s14, v0
	s_ashr_i32 s27, s26, 31
	s_lshl_b64 s[26:27], s[26:27], 1
	s_delay_alu instid0(SALU_CYCLE_1)
	s_add_nc_u64 s[20:21], s[20:21], s[26:27]
	v_add_nc_u64_e32 v[6:7], s[26:27], v[6:7]
	s_add_nc_u64 s[4:5], s[4:5], s[20:21]
	s_lshl_b64 s[20:21], s[8:9], 1
	v_add_nc_u64_e32 v[8:9], s[4:5], v[2:3]
	v_cmp_gt_i32_e64 s4, s36, v5
	v_ashrrev_i32_e32 v5, 31, v4
	v_lshl_or_b32 v2, v1, 2, 64
	s_lshl_b32 s5, s22, 10
	s_lshl_b64 s[22:23], s[28:29], 1
	s_branch .LBB582_4
.LBB582_2:                              ;   in Loop: Header=BB582_4 Depth=1
	s_wait_xcnt 0x0
	s_or_b32 exec_lo, exec_lo, s28
.LBB582_3:                              ;   in Loop: Header=BB582_4 Depth=1
	s_add_co_i32 s24, s24, 0x10000
	s_delay_alu instid0(SALU_CYCLE_1)
	s_cmp_lt_u32 s24, s19
	s_cbranch_scc0 .LBB582_59
.LBB582_4:                              ; =>This Loop Header: Depth=1
                                        ;     Child Loop BB582_26 Depth 2
	s_and_not1_b32 vcc_lo, exec_lo, s33
	s_cbranch_vccnz .LBB582_3
; %bb.5:                                ;   in Loop: Header=BB582_4 Depth=1
	s_mul_u64 s[26:27], s[6:7], s[24:25]
	s_and_not1_b32 vcc_lo, exec_lo, s31
	s_lshl_b64 s[26:27], s[26:27], 1
	s_delay_alu instid0(SALU_CYCLE_1)
	s_add_nc_u64 s[26:27], s[12:13], s[26:27]
	s_cbranch_vccnz .LBB582_13
; %bb.6:                                ;   in Loop: Header=BB582_4 Depth=1
	s_mov_b32 s28, 0
	s_mov_b32 s36, 0
                                        ; implicit-def: $sgpr37
	s_and_saveexec_b32 s29, s0
	s_cbranch_execz .LBB582_14
; %bb.7:                                ;   in Loop: Header=BB582_4 Depth=1
	s_and_not1_b32 vcc_lo, exec_lo, s34
	s_cbranch_vccnz .LBB582_56
; %bb.8:                                ;   in Loop: Header=BB582_4 Depth=1
	s_add_nc_u64 s[36:37], s[26:27], s[22:23]
	s_mov_b32 s38, -1
	global_load_u16 v10, v3, s[36:37]
	s_wait_loadcnt 0x0
	s_wait_xcnt 0x0
	v_readfirstlane_b32 s36, v10
	s_lshl_b32 s36, s36, 16
	s_delay_alu instid0(SALU_CYCLE_1) | instskip(NEXT) | instid1(SALU_CYCLE_3)
	s_mul_f32 s36, s18, s36
	s_and_b32 s37, s36, 0x7f800000
	s_delay_alu instid0(SALU_CYCLE_1)
	s_cmp_eq_u32 s37, 0x7f800000
                                        ; implicit-def: $sgpr37
	s_cbranch_scc1 .LBB582_10
; %bb.9:                                ;   in Loop: Header=BB582_4 Depth=1
	s_bfe_u32 s37, s36, 0x10010
	s_mov_b32 s38, 0
	s_add_co_i32 s37, s36, s37
	s_delay_alu instid0(SALU_CYCLE_1)
	s_addk_co_i32 s37, 0x7fff
.LBB582_10:                             ;   in Loop: Header=BB582_4 Depth=1
	s_and_not1_b32 vcc_lo, exec_lo, s38
	s_cbranch_vccnz .LBB582_12
; %bb.11:                               ;   in Loop: Header=BB582_4 Depth=1
	s_and_b32 s37, s36, 0xffff
	s_or_b32 s38, s36, 0x10000
	s_cmp_eq_u32 s37, 0
	s_cselect_b32 s37, s36, s38
.LBB582_12:                             ;   in Loop: Header=BB582_4 Depth=1
	s_delay_alu instid0(SALU_CYCLE_1) | instskip(SKIP_2) | instid1(SALU_CYCLE_1)
	s_lshr_b32 s37, s37, 16
	s_mov_b32 s36, exec_lo
	s_or_b32 exec_lo, exec_lo, s29
	s_and_b32 vcc_lo, exec_lo, s28
	s_cbranch_vccnz .LBB582_15
	s_branch .LBB582_57
.LBB582_13:                             ;   in Loop: Header=BB582_4 Depth=1
	s_mov_b32 s36, 0
                                        ; implicit-def: $sgpr37
	s_cbranch_execnz .LBB582_15
	s_branch .LBB582_57
.LBB582_14:                             ;   in Loop: Header=BB582_4 Depth=1
	s_or_b32 exec_lo, exec_lo, s29
	s_delay_alu instid0(SALU_CYCLE_1)
	s_and_b32 vcc_lo, exec_lo, s28
	s_cbranch_vccz .LBB582_57
.LBB582_15:                             ;   in Loop: Header=BB582_4 Depth=1
	s_mul_u64 s[28:29], s[16:17], s[24:25]
	v_mov_b32_e32 v15, 0
	s_lshl_b64 s[28:29], s[28:29], 1
	s_delay_alu instid0(SALU_CYCLE_1)
	s_add_nc_u64 s[28:29], s[10:11], s[28:29]
	s_and_saveexec_b32 s37, s3
	s_cbranch_execnz .LBB582_24
; %bb.16:                               ;   in Loop: Header=BB582_4 Depth=1
	s_or_b32 exec_lo, exec_lo, s37
	s_and_saveexec_b32 s37, s4
	s_cbranch_execnz .LBB582_51
.LBB582_17:                             ;   in Loop: Header=BB582_4 Depth=1
	s_or_b32 exec_lo, exec_lo, s37
	s_and_saveexec_b32 s28, s1
.LBB582_18:                             ;   in Loop: Header=BB582_4 Depth=1
	ds_store_b32 v12, v3
.LBB582_19:                             ;   in Loop: Header=BB582_4 Depth=1
	s_or_b32 exec_lo, exec_lo, s28
	ds_bpermute_b32 v11, v2, v15
	v_cmp_gt_u32_e32 vcc_lo, 24, v1
	s_wait_dscnt 0x0
	s_barrier_signal -1
	s_barrier_wait -1
	v_cndmask_b32_e64 v10, 0, 8, vcc_lo
	v_cmp_gt_u32_e32 vcc_lo, 28, v1
	s_delay_alu instid0(VALU_DEP_2)
	v_add_lshl_u32 v10, v10, v1, 2
	v_add_f32_e32 v15, v15, v11
	v_cndmask_b32_e64 v11, 0, 4, vcc_lo
	v_cmp_gt_u32_e32 vcc_lo, 30, v1
	ds_bpermute_b32 v16, v10, v15
	v_add_lshl_u32 v11, v11, v1, 2
	s_wait_dscnt 0x0
	v_add_f32_e32 v16, v15, v16
	v_cndmask_b32_e64 v15, 0, 2, vcc_lo
	v_cmp_ne_u32_e32 vcc_lo, 31, v1
	ds_bpermute_b32 v17, v11, v16
	v_add_lshl_u32 v15, v15, v1, 2
	v_add_co_ci_u32_e64 v18, null, 0, v1, vcc_lo
	s_wait_dscnt 0x0
	v_add_f32_e32 v16, v16, v17
	ds_bpermute_b32 v17, v15, v16
	s_wait_dscnt 0x0
	v_dual_add_f32 v17, v16, v17 :: v_dual_lshlrev_b32 v16, 2, v18
	ds_bpermute_b32 v18, v16, v17
	s_and_saveexec_b32 s28, s2
	s_cbranch_execz .LBB582_21
; %bb.20:                               ;   in Loop: Header=BB582_4 Depth=1
	s_wait_dscnt 0x0
	v_add_f32_e32 v17, v17, v18
	ds_store_b32 v13, v17
.LBB582_21:                             ;   in Loop: Header=BB582_4 Depth=1
	s_or_b32 exec_lo, exec_lo, s28
	v_mov_b32_e32 v17, 0
	s_wait_dscnt 0x0
	s_barrier_signal -1
	s_barrier_wait -1
	s_and_saveexec_b32 s28, s1
	s_cbranch_execnz .LBB582_30
; %bb.22:                               ;   in Loop: Header=BB582_4 Depth=1
	s_or_b32 exec_lo, exec_lo, s28
	s_and_saveexec_b32 s28, s1
	s_cbranch_execnz .LBB582_31
.LBB582_23:                             ;   in Loop: Header=BB582_4 Depth=1
	s_or_b32 exec_lo, exec_lo, s28
                                        ; implicit-def: $vgpr10
	s_and_saveexec_b32 s28, s0
	s_cbranch_execnz .LBB582_32
	s_branch .LBB582_49
.LBB582_24:                             ;   in Loop: Header=BB582_4 Depth=1
	v_mad_nc_u64_u32 v[10:11], s20, s24, v[8:9]
	v_dual_mov_b32 v15, 0 :: v_dual_mov_b32 v16, v0
	s_wait_dscnt 0x0
	v_mov_b32_e32 v17, v14
	s_mov_b32 s38, 0
	s_delay_alu instid0(VALU_DEP_3)
	v_mad_u32 v11, s21, s24, v11
	s_branch .LBB582_26
.LBB582_25:                             ;   in Loop: Header=BB582_26 Depth=2
	s_or_b32 exec_lo, exec_lo, s39
	s_delay_alu instid0(VALU_DEP_1) | instskip(SKIP_2) | instid1(VALU_DEP_3)
	v_and_b32_e32 v18, 0xffff0000, v18
	v_add_nc_u32_e32 v16, 0x400, v16
	v_add_nc_u64_e32 v[10:11], 0x800, v[10:11]
	v_dual_add_nc_u32 v17, s5, v17 :: v_dual_add_f32 v15, v15, v18
	s_delay_alu instid0(VALU_DEP_3) | instskip(SKIP_1) | instid1(SALU_CYCLE_1)
	v_cmp_le_i32_e32 vcc_lo, s14, v16
	s_or_b32 s38, vcc_lo, s38
	s_and_not1_b32 exec_lo, exec_lo, s38
	s_cbranch_execz .LBB582_50
.LBB582_26:                             ;   Parent Loop BB582_4 Depth=1
                                        ; =>  This Inner Loop Header: Depth=2
	global_load_u16 v18, v[10:11], off
	global_load_u16 v19, v17, s[28:29] scale_offset
	s_wait_loadcnt 0x0
	v_dual_lshlrev_b32 v18, 16, v18 :: v_dual_lshlrev_b32 v19, 16, v19
	s_delay_alu instid0(VALU_DEP_1) | instskip(NEXT) | instid1(VALU_DEP_1)
	v_mul_f32_e32 v19, v19, v18
	v_and_b32_e32 v18, 0x7f800000, v19
	s_delay_alu instid0(VALU_DEP_1) | instskip(SKIP_2) | instid1(SALU_CYCLE_1)
	v_cmp_ne_u32_e32 vcc_lo, 0x7f800000, v18
                                        ; implicit-def: $vgpr18
	s_wait_xcnt 0x0
	s_and_saveexec_b32 s39, vcc_lo
	s_xor_b32 s39, exec_lo, s39
; %bb.27:                               ;   in Loop: Header=BB582_26 Depth=2
	v_bfe_u32 v18, v19, 16, 1
	s_delay_alu instid0(VALU_DEP_1)
	v_add3_u32 v18, v19, v18, 0x7fff
                                        ; implicit-def: $vgpr19
; %bb.28:                               ;   in Loop: Header=BB582_26 Depth=2
	s_and_not1_saveexec_b32 s39, s39
	s_cbranch_execz .LBB582_25
; %bb.29:                               ;   in Loop: Header=BB582_26 Depth=2
	v_and_b32_e32 v18, 0xffff, v19
	v_or_b32_e32 v20, 0x10000, v19
	s_delay_alu instid0(VALU_DEP_2) | instskip(NEXT) | instid1(VALU_DEP_2)
	v_cmp_eq_u32_e32 vcc_lo, 0, v18
	v_cndmask_b32_e32 v18, v20, v19, vcc_lo
	s_branch .LBB582_25
.LBB582_30:                             ;   in Loop: Header=BB582_4 Depth=1
	ds_load_b32 v17, v12
	s_or_b32 exec_lo, exec_lo, s28
	s_and_saveexec_b32 s28, s1
	s_cbranch_execz .LBB582_23
.LBB582_31:                             ;   in Loop: Header=BB582_4 Depth=1
	s_wait_dscnt 0x0
	ds_bpermute_b32 v18, v2, v17
	s_wait_dscnt 0x0
	v_add_f32_e32 v17, v17, v18
	ds_bpermute_b32 v10, v10, v17
	s_wait_dscnt 0x0
	v_add_f32_e32 v10, v17, v10
	;; [unrolled: 3-line block ×5, first 2 shown]
	s_or_b32 exec_lo, exec_lo, s28
                                        ; implicit-def: $vgpr10
	s_and_saveexec_b32 s28, s0
	s_cbranch_execz .LBB582_49
.LBB582_32:                             ;   in Loop: Header=BB582_4 Depth=1
	s_wait_dscnt 0x0
	v_mul_f32_e32 v10, s30, v17
	s_and_b32 vcc_lo, exec_lo, s35
	s_mov_b32 s29, -1
                                        ; implicit-def: $vgpr11
	s_cbranch_vccz .LBB582_38
; %bb.33:                               ;   in Loop: Header=BB582_4 Depth=1
	s_delay_alu instid0(VALU_DEP_1) | instskip(NEXT) | instid1(VALU_DEP_1)
	v_and_b32_e32 v11, 0x7f800000, v10
	v_cmp_ne_u32_e32 vcc_lo, 0x7f800000, v11
                                        ; implicit-def: $vgpr11
	s_and_saveexec_b32 s29, vcc_lo
	s_delay_alu instid0(SALU_CYCLE_1)
	s_xor_b32 s29, exec_lo, s29
; %bb.34:                               ;   in Loop: Header=BB582_4 Depth=1
	v_bfe_u32 v11, v10, 16, 1
	s_delay_alu instid0(VALU_DEP_1)
	v_add3_u32 v11, v10, v11, 0x7fff
; %bb.35:                               ;   in Loop: Header=BB582_4 Depth=1
	s_and_not1_saveexec_b32 s29, s29
; %bb.36:                               ;   in Loop: Header=BB582_4 Depth=1
	v_and_b32_e32 v11, 0xffff, v10
	v_or_b32_e32 v15, 0x10000, v10
	s_delay_alu instid0(VALU_DEP_2) | instskip(NEXT) | instid1(VALU_DEP_2)
	v_cmp_eq_u32_e32 vcc_lo, 0, v11
	v_cndmask_b32_e32 v11, v15, v10, vcc_lo
; %bb.37:                               ;   in Loop: Header=BB582_4 Depth=1
	s_or_b32 exec_lo, exec_lo, s29
	s_mov_b32 s29, 0
.LBB582_38:                             ;   in Loop: Header=BB582_4 Depth=1
	s_delay_alu instid0(SALU_CYCLE_1)
	s_and_not1_b32 vcc_lo, exec_lo, s29
	s_cbranch_vccnz .LBB582_48
; %bb.39:                               ;   in Loop: Header=BB582_4 Depth=1
	s_add_nc_u64 s[38:39], s[26:27], s[22:23]
	global_load_u16 v11, v3, s[38:39]
	s_wait_xcnt 0x0
	s_mov_b32 s38, -1
	s_wait_loadcnt 0x0
	v_readfirstlane_b32 s29, v11
	s_lshl_b32 s29, s29, 16
	s_delay_alu instid0(SALU_CYCLE_1) | instskip(NEXT) | instid1(SALU_CYCLE_3)
	s_mul_f32 s29, s18, s29
	s_and_b32 s37, s29, 0x7f800000
	s_delay_alu instid0(SALU_CYCLE_1)
	s_cmp_eq_u32 s37, 0x7f800000
                                        ; implicit-def: $sgpr37
	s_cbranch_scc1 .LBB582_41
; %bb.40:                               ;   in Loop: Header=BB582_4 Depth=1
	s_bfe_u32 s37, s29, 0x10010
	s_mov_b32 s38, 0
	s_add_co_i32 s37, s29, s37
	s_delay_alu instid0(SALU_CYCLE_1)
	s_addk_co_i32 s37, 0x7fff
.LBB582_41:                             ;   in Loop: Header=BB582_4 Depth=1
	s_and_not1_b32 vcc_lo, exec_lo, s38
	s_cbranch_vccnz .LBB582_43
; %bb.42:                               ;   in Loop: Header=BB582_4 Depth=1
	s_and_b32 s37, s29, 0xffff
	s_or_b32 s38, s29, 0x10000
	s_cmp_eq_u32 s37, 0
	s_cselect_b32 s37, s29, s38
.LBB582_43:                             ;   in Loop: Header=BB582_4 Depth=1
	s_delay_alu instid0(SALU_CYCLE_1) | instskip(NEXT) | instid1(SALU_CYCLE_1)
	s_and_b32 s29, s37, 0xffff0000
	v_add_f32_e32 v10, s29, v10
	s_delay_alu instid0(VALU_DEP_1) | instskip(NEXT) | instid1(VALU_DEP_1)
	v_and_b32_e32 v11, 0x7f800000, v10
	v_cmp_ne_u32_e32 vcc_lo, 0x7f800000, v11
                                        ; implicit-def: $vgpr11
	s_and_saveexec_b32 s29, vcc_lo
	s_delay_alu instid0(SALU_CYCLE_1)
	s_xor_b32 s29, exec_lo, s29
; %bb.44:                               ;   in Loop: Header=BB582_4 Depth=1
	v_bfe_u32 v11, v10, 16, 1
	s_delay_alu instid0(VALU_DEP_1)
	v_add3_u32 v11, v10, v11, 0x7fff
                                        ; implicit-def: $vgpr10
; %bb.45:                               ;   in Loop: Header=BB582_4 Depth=1
	s_and_not1_saveexec_b32 s29, s29
; %bb.46:                               ;   in Loop: Header=BB582_4 Depth=1
	v_and_b32_e32 v11, 0xffff, v10
	v_or_b32_e32 v15, 0x10000, v10
	s_delay_alu instid0(VALU_DEP_2) | instskip(NEXT) | instid1(VALU_DEP_2)
	v_cmp_eq_u32_e32 vcc_lo, 0, v11
	v_cndmask_b32_e32 v11, v15, v10, vcc_lo
; %bb.47:                               ;   in Loop: Header=BB582_4 Depth=1
	s_or_b32 exec_lo, exec_lo, s29
.LBB582_48:                             ;   in Loop: Header=BB582_4 Depth=1
	s_delay_alu instid0(VALU_DEP_1)
	v_lshrrev_b32_e32 v10, 16, v11
	s_or_b32 s36, s36, exec_lo
.LBB582_49:                             ;   in Loop: Header=BB582_4 Depth=1
	s_or_b32 exec_lo, exec_lo, s28
	s_and_saveexec_b32 s28, s36
	s_cbranch_execz .LBB582_2
	s_branch .LBB582_58
.LBB582_50:                             ;   in Loop: Header=BB582_4 Depth=1
	s_or_b32 exec_lo, exec_lo, s38
	s_delay_alu instid0(SALU_CYCLE_1)
	s_or_b32 exec_lo, exec_lo, s37
	s_and_saveexec_b32 s37, s4
	s_cbranch_execz .LBB582_17
.LBB582_51:                             ;   in Loop: Header=BB582_4 Depth=1
	s_mul_u64 s[38:39], s[8:9], s[24:25]
	s_wait_dscnt 0x0
	v_lshl_add_u64 v[16:17], v[4:5], 1, s[28:29]
	v_lshl_add_u64 v[10:11], s[38:39], 1, v[6:7]
	s_delay_alu instid0(VALU_DEP_1)
	v_lshl_add_u64 v[10:11], s[14:15], 1, v[10:11]
	global_load_u16 v18, v[16:17], off
	global_load_u16 v19, v[10:11], off
	s_wait_loadcnt 0x0
	s_wait_xcnt 0x0
	v_dual_lshlrev_b32 v10, 16, v18 :: v_dual_lshlrev_b32 v11, 16, v19
	s_delay_alu instid0(VALU_DEP_1) | instskip(NEXT) | instid1(VALU_DEP_1)
	v_mul_f32_e32 v10, v10, v11
	v_and_b32_e32 v11, 0x7f800000, v10
	s_delay_alu instid0(VALU_DEP_1) | instskip(SKIP_1) | instid1(SALU_CYCLE_1)
	v_cmp_ne_u32_e32 vcc_lo, 0x7f800000, v11
                                        ; implicit-def: $vgpr11
	s_and_saveexec_b32 s28, vcc_lo
	s_xor_b32 s28, exec_lo, s28
; %bb.52:                               ;   in Loop: Header=BB582_4 Depth=1
	v_bfe_u32 v11, v10, 16, 1
	s_delay_alu instid0(VALU_DEP_1)
	v_add3_u32 v11, v10, v11, 0x7fff
                                        ; implicit-def: $vgpr10
; %bb.53:                               ;   in Loop: Header=BB582_4 Depth=1
	s_and_not1_saveexec_b32 s28, s28
; %bb.54:                               ;   in Loop: Header=BB582_4 Depth=1
	v_and_b32_e32 v11, 0xffff, v10
	v_or_b32_e32 v16, 0x10000, v10
	s_delay_alu instid0(VALU_DEP_2) | instskip(NEXT) | instid1(VALU_DEP_2)
	v_cmp_eq_u32_e32 vcc_lo, 0, v11
	v_cndmask_b32_e32 v11, v16, v10, vcc_lo
; %bb.55:                               ;   in Loop: Header=BB582_4 Depth=1
	s_or_b32 exec_lo, exec_lo, s28
	s_delay_alu instid0(VALU_DEP_1) | instskip(NEXT) | instid1(VALU_DEP_1)
	v_and_b32_e32 v10, 0xffff0000, v11
	v_add_f32_e32 v15, v15, v10
	s_or_b32 exec_lo, exec_lo, s37
	s_and_saveexec_b32 s28, s1
	s_cbranch_execnz .LBB582_18
	s_branch .LBB582_19
.LBB582_56:                             ;   in Loop: Header=BB582_4 Depth=1
	s_mov_b32 s37, 0
	s_mov_b32 s36, exec_lo
	s_or_b32 exec_lo, exec_lo, s29
	s_delay_alu instid0(SALU_CYCLE_1)
	s_and_b32 vcc_lo, exec_lo, s28
	s_cbranch_vccnz .LBB582_15
.LBB582_57:                             ;   in Loop: Header=BB582_4 Depth=1
	v_mov_b32_e32 v10, s37
	s_and_saveexec_b32 s28, s36
	s_cbranch_execz .LBB582_2
.LBB582_58:                             ;   in Loop: Header=BB582_4 Depth=1
	s_add_nc_u64 s[26:27], s[26:27], s[22:23]
	global_store_b16 v3, v10, s[26:27]
	s_branch .LBB582_2
.LBB582_59:
	s_endpgm
	.section	.rodata,"a",@progbits
	.p2align	6, 0x0
	.amdhsa_kernel _ZL32rocblas_gemvt_warp_reduce_kernelILb1ELi1024Ei16rocblas_bfloat16fS0_EviiT3_lPKT2_lT1_lS4_lS5_lS1_lPT4_lS5_li
		.amdhsa_group_segment_fixed_size 128
		.amdhsa_private_segment_fixed_size 0
		.amdhsa_kernarg_size 140
		.amdhsa_user_sgpr_count 2
		.amdhsa_user_sgpr_dispatch_ptr 0
		.amdhsa_user_sgpr_queue_ptr 0
		.amdhsa_user_sgpr_kernarg_segment_ptr 1
		.amdhsa_user_sgpr_dispatch_id 0
		.amdhsa_user_sgpr_kernarg_preload_length 0
		.amdhsa_user_sgpr_kernarg_preload_offset 0
		.amdhsa_user_sgpr_private_segment_size 0
		.amdhsa_wavefront_size32 1
		.amdhsa_uses_dynamic_stack 0
		.amdhsa_enable_private_segment 0
		.amdhsa_system_sgpr_workgroup_id_x 1
		.amdhsa_system_sgpr_workgroup_id_y 0
		.amdhsa_system_sgpr_workgroup_id_z 1
		.amdhsa_system_sgpr_workgroup_info 0
		.amdhsa_system_vgpr_workitem_id 0
		.amdhsa_next_free_vgpr 21
		.amdhsa_next_free_sgpr 40
		.amdhsa_named_barrier_count 0
		.amdhsa_reserve_vcc 1
		.amdhsa_float_round_mode_32 0
		.amdhsa_float_round_mode_16_64 0
		.amdhsa_float_denorm_mode_32 3
		.amdhsa_float_denorm_mode_16_64 3
		.amdhsa_fp16_overflow 0
		.amdhsa_memory_ordered 1
		.amdhsa_forward_progress 1
		.amdhsa_inst_pref_size 17
		.amdhsa_round_robin_scheduling 0
		.amdhsa_exception_fp_ieee_invalid_op 0
		.amdhsa_exception_fp_denorm_src 0
		.amdhsa_exception_fp_ieee_div_zero 0
		.amdhsa_exception_fp_ieee_overflow 0
		.amdhsa_exception_fp_ieee_underflow 0
		.amdhsa_exception_fp_ieee_inexact 0
		.amdhsa_exception_int_div_zero 0
	.end_amdhsa_kernel
	.section	.text._ZL32rocblas_gemvt_warp_reduce_kernelILb1ELi1024Ei16rocblas_bfloat16fS0_EviiT3_lPKT2_lT1_lS4_lS5_lS1_lPT4_lS5_li,"axG",@progbits,_ZL32rocblas_gemvt_warp_reduce_kernelILb1ELi1024Ei16rocblas_bfloat16fS0_EviiT3_lPKT2_lT1_lS4_lS5_lS1_lPT4_lS5_li,comdat
.Lfunc_end582:
	.size	_ZL32rocblas_gemvt_warp_reduce_kernelILb1ELi1024Ei16rocblas_bfloat16fS0_EviiT3_lPKT2_lT1_lS4_lS5_lS1_lPT4_lS5_li, .Lfunc_end582-_ZL32rocblas_gemvt_warp_reduce_kernelILb1ELi1024Ei16rocblas_bfloat16fS0_EviiT3_lPKT2_lT1_lS4_lS5_lS1_lPT4_lS5_li
                                        ; -- End function
	.set _ZL32rocblas_gemvt_warp_reduce_kernelILb1ELi1024Ei16rocblas_bfloat16fS0_EviiT3_lPKT2_lT1_lS4_lS5_lS1_lPT4_lS5_li.num_vgpr, 21
	.set _ZL32rocblas_gemvt_warp_reduce_kernelILb1ELi1024Ei16rocblas_bfloat16fS0_EviiT3_lPKT2_lT1_lS4_lS5_lS1_lPT4_lS5_li.num_agpr, 0
	.set _ZL32rocblas_gemvt_warp_reduce_kernelILb1ELi1024Ei16rocblas_bfloat16fS0_EviiT3_lPKT2_lT1_lS4_lS5_lS1_lPT4_lS5_li.numbered_sgpr, 40
	.set _ZL32rocblas_gemvt_warp_reduce_kernelILb1ELi1024Ei16rocblas_bfloat16fS0_EviiT3_lPKT2_lT1_lS4_lS5_lS1_lPT4_lS5_li.num_named_barrier, 0
	.set _ZL32rocblas_gemvt_warp_reduce_kernelILb1ELi1024Ei16rocblas_bfloat16fS0_EviiT3_lPKT2_lT1_lS4_lS5_lS1_lPT4_lS5_li.private_seg_size, 0
	.set _ZL32rocblas_gemvt_warp_reduce_kernelILb1ELi1024Ei16rocblas_bfloat16fS0_EviiT3_lPKT2_lT1_lS4_lS5_lS1_lPT4_lS5_li.uses_vcc, 1
	.set _ZL32rocblas_gemvt_warp_reduce_kernelILb1ELi1024Ei16rocblas_bfloat16fS0_EviiT3_lPKT2_lT1_lS4_lS5_lS1_lPT4_lS5_li.uses_flat_scratch, 0
	.set _ZL32rocblas_gemvt_warp_reduce_kernelILb1ELi1024Ei16rocblas_bfloat16fS0_EviiT3_lPKT2_lT1_lS4_lS5_lS1_lPT4_lS5_li.has_dyn_sized_stack, 0
	.set _ZL32rocblas_gemvt_warp_reduce_kernelILb1ELi1024Ei16rocblas_bfloat16fS0_EviiT3_lPKT2_lT1_lS4_lS5_lS1_lPT4_lS5_li.has_recursion, 0
	.set _ZL32rocblas_gemvt_warp_reduce_kernelILb1ELi1024Ei16rocblas_bfloat16fS0_EviiT3_lPKT2_lT1_lS4_lS5_lS1_lPT4_lS5_li.has_indirect_call, 0
	.section	.AMDGPU.csdata,"",@progbits
; Kernel info:
; codeLenInByte = 2108
; TotalNumSgprs: 42
; NumVgprs: 21
; ScratchSize: 0
; MemoryBound: 0
; FloatMode: 240
; IeeeMode: 1
; LDSByteSize: 128 bytes/workgroup (compile time only)
; SGPRBlocks: 0
; VGPRBlocks: 1
; NumSGPRsForWavesPerEU: 42
; NumVGPRsForWavesPerEU: 21
; NamedBarCnt: 0
; Occupancy: 16
; WaveLimiterHint : 0
; COMPUTE_PGM_RSRC2:SCRATCH_EN: 0
; COMPUTE_PGM_RSRC2:USER_SGPR: 2
; COMPUTE_PGM_RSRC2:TRAP_HANDLER: 0
; COMPUTE_PGM_RSRC2:TGID_X_EN: 1
; COMPUTE_PGM_RSRC2:TGID_Y_EN: 0
; COMPUTE_PGM_RSRC2:TGID_Z_EN: 1
; COMPUTE_PGM_RSRC2:TIDIG_COMP_CNT: 0
	.section	.text._ZL32rocblas_gemvt_warp_reduce_kernelILb1ELi1024El16rocblas_bfloat16fS0_EviiT3_lPKT2_lT1_lS4_lS5_lS1_lPT4_lS5_li,"axG",@progbits,_ZL32rocblas_gemvt_warp_reduce_kernelILb1ELi1024El16rocblas_bfloat16fS0_EviiT3_lPKT2_lT1_lS4_lS5_lS1_lPT4_lS5_li,comdat
	.globl	_ZL32rocblas_gemvt_warp_reduce_kernelILb1ELi1024El16rocblas_bfloat16fS0_EviiT3_lPKT2_lT1_lS4_lS5_lS1_lPT4_lS5_li ; -- Begin function _ZL32rocblas_gemvt_warp_reduce_kernelILb1ELi1024El16rocblas_bfloat16fS0_EviiT3_lPKT2_lT1_lS4_lS5_lS1_lPT4_lS5_li
	.p2align	8
	.type	_ZL32rocblas_gemvt_warp_reduce_kernelILb1ELi1024El16rocblas_bfloat16fS0_EviiT3_lPKT2_lT1_lS4_lS5_lS1_lPT4_lS5_li,@function
_ZL32rocblas_gemvt_warp_reduce_kernelILb1ELi1024El16rocblas_bfloat16fS0_EviiT3_lPKT2_lT1_lS4_lS5_lS1_lPT4_lS5_li: ; @_ZL32rocblas_gemvt_warp_reduce_kernelILb1ELi1024El16rocblas_bfloat16fS0_EviiT3_lPKT2_lT1_lS4_lS5_lS1_lPT4_lS5_li
; %bb.0:
	s_load_b32 s5, s[0:1], 0x88
	s_bfe_u32 s2, ttmp6, 0x40014
	s_lshr_b32 s3, ttmp7, 16
	s_add_co_i32 s2, s2, 1
	s_bfe_u32 s6, ttmp6, 0x40008
	s_mul_i32 s4, s3, s2
	s_getreg_b32 s2, hwreg(HW_REG_IB_STS2, 6, 4)
	s_add_co_i32 s6, s6, s4
	s_cmp_eq_u32 s2, 0
	s_mov_b32 s7, 0
	s_cselect_b32 s6, s3, s6
	s_wait_kmcnt 0x0
	s_cmp_ge_u32 s6, s5
	s_cbranch_scc1 .LBB583_59
; %bb.1:
	s_clause 0x3
	s_load_b512 s[8:23], s[0:1], 0x18
	s_load_b256 s[24:31], s[0:1], 0x68
	s_load_b32 s33, s[0:1], 0x8
	s_load_b32 s34, s[0:1], 0x58
	s_wait_kmcnt 0x0
	s_lshl_b64 s[18:19], s[18:19], 1
	s_lshl_b64 s[26:27], s[26:27], 1
	;; [unrolled: 1-line block ×3, first 2 shown]
	s_cmp_eq_f32 s33, 0
	s_load_b32 s11, s[0:1], 0x0
	s_add_nc_u64 s[16:17], s[16:17], s[18:19]
	s_add_nc_u64 s[18:19], s[24:25], s[26:27]
	s_cselect_b32 s35, -1, 0
	s_cmp_neq_f32 s33, 0
	s_cselect_b32 s3, -1, 0
	s_cmp_neq_f32 s34, 1.0
	s_cselect_b32 s4, -1, 0
	s_delay_alu instid0(SALU_CYCLE_1)
	s_or_b32 s36, s3, s4
	s_cmp_neq_f32 s34, 0
	s_cselect_b32 s37, -1, 0
	s_cmp_eq_f32 s34, 0
	s_wait_kmcnt 0x0
	v_cmp_gt_i32_e32 vcc_lo, s11, v0
	v_mov_b32_e32 v3, 0
	s_cselect_b32 s38, -1, 0
	s_bfe_u32 s0, ttmp6, 0x4000c
	s_and_b32 s1, ttmp6, 15
	s_add_co_i32 s0, s0, 1
	v_cndmask_b32_e32 v2, 0, v0, vcc_lo
	s_mul_i32 s0, ttmp9, s0
	s_delay_alu instid0(SALU_CYCLE_1) | instskip(SKIP_1) | instid1(VALU_DEP_1)
	s_add_co_i32 s1, s1, s0
	s_cmp_eq_u32 s2, 0
	v_lshlrev_b32_e32 v2, 1, v2
	s_cselect_b32 s2, ttmp9, s1
	s_ashr_i32 s0, s11, 31
	s_ashr_i32 s3, s2, 31
	s_lshr_b32 s0, s0, 22
	s_mul_u64 s[12:13], s[12:13], s[2:3]
	s_add_co_i32 s0, s11, s0
	s_lshl_b64 s[12:13], s[12:13], 1
	s_and_b32 s10, s0, 0xfffffc00
	s_delay_alu instid0(SALU_CYCLE_1) | instskip(SKIP_3) | instid1(VALU_DEP_2)
	v_dual_mov_b32 v1, v3 :: v_dual_bitop2_b32 v8, s10, v0 bitop3:0x54
	s_add_nc_u64 s[0:1], s[8:9], s[40:41]
	s_mul_u64 s[24:25], s[28:29], s[2:3]
	v_cmp_gt_u32_e64 s3, 32, v0
	v_mul_u64_e32 v[10:11], s[20:21], v[0:1]
	v_ashrrev_i32_e32 v9, 31, v8
	v_add_nc_u64_e32 v[6:7], s[0:1], v[2:3]
	v_cmp_gt_i32_e64 s2, s11, v8
	v_cmp_eq_u32_e64 s0, 0, v0
	v_cmp_gt_i32_e64 s1, s10, v0
	v_mul_u64_e32 v[4:5], s[20:21], v[8:9]
	v_dual_lshrrev_b32 v8, 3, v0 :: v_dual_bitop2_b32 v9, 31, v0 bitop3:0x40
	v_add_nc_u64_e32 v[6:7], s[12:13], v[6:7]
	s_add_nc_u64 s[12:13], s[12:13], s[40:41]
	s_ashr_i32 s11, s10, 31
	s_add_nc_u64 s[8:9], s[8:9], s[12:13]
	v_lshlrev_b32_e32 v1, 2, v9
	v_cmp_eq_u32_e64 s4, 0, v9
	v_and_b32_e32 v16, 0x7c, v8
	v_add_nc_u64_e32 v[8:9], s[8:9], v[2:3]
	v_mbcnt_lo_u32_b32 v2, -1, 0
	s_lshl_b64 s[8:9], s[14:15], 1
	s_lshl_b64 s[12:13], s[22:23], 1
	;; [unrolled: 1-line block ×4, first 2 shown]
	v_lshl_or_b32 v17, v2, 2, 64
	v_lshl_add_u64 v[10:11], v[10:11], 1, s[16:17]
	s_branch .LBB583_4
.LBB583_2:                              ;   in Loop: Header=BB583_4 Depth=1
	s_wait_xcnt 0x0
	s_or_b32 exec_lo, exec_lo, s29
.LBB583_3:                              ;   in Loop: Header=BB583_4 Depth=1
	s_add_co_i32 s6, s6, 0x10000
	s_delay_alu instid0(SALU_CYCLE_1)
	s_cmp_lt_u32 s6, s5
	s_cbranch_scc0 .LBB583_59
.LBB583_4:                              ; =>This Loop Header: Depth=1
                                        ;     Child Loop BB583_26 Depth 2
	s_and_not1_b32 vcc_lo, exec_lo, s36
	s_cbranch_vccnz .LBB583_3
; %bb.5:                                ;   in Loop: Header=BB583_4 Depth=1
	s_mul_u64 s[26:27], s[30:31], s[6:7]
	s_and_not1_b32 vcc_lo, exec_lo, s35
	s_lshl_b64 s[26:27], s[26:27], 1
	s_delay_alu instid0(SALU_CYCLE_1)
	s_add_nc_u64 s[26:27], s[18:19], s[26:27]
	s_cbranch_vccnz .LBB583_13
; %bb.6:                                ;   in Loop: Header=BB583_4 Depth=1
	s_mov_b32 s29, 0
	s_mov_b32 s28, 0
                                        ; implicit-def: $sgpr40
	s_and_saveexec_b32 s39, s0
	s_cbranch_execz .LBB583_14
; %bb.7:                                ;   in Loop: Header=BB583_4 Depth=1
	s_and_not1_b32 vcc_lo, exec_lo, s37
	s_cbranch_vccnz .LBB583_56
; %bb.8:                                ;   in Loop: Header=BB583_4 Depth=1
	s_add_nc_u64 s[40:41], s[26:27], s[24:25]
	global_load_u16 v12, v3, s[40:41]
	s_wait_xcnt 0x0
	s_mov_b32 s41, -1
	s_wait_loadcnt 0x0
	v_readfirstlane_b32 s28, v12
	s_lshl_b32 s28, s28, 16
	s_delay_alu instid0(SALU_CYCLE_1) | instskip(NEXT) | instid1(SALU_CYCLE_3)
	s_mul_f32 s28, s34, s28
	s_and_b32 s40, s28, 0x7f800000
	s_delay_alu instid0(SALU_CYCLE_1)
	s_cmp_eq_u32 s40, 0x7f800000
                                        ; implicit-def: $sgpr40
	s_cbranch_scc1 .LBB583_10
; %bb.9:                                ;   in Loop: Header=BB583_4 Depth=1
	s_bfe_u32 s40, s28, 0x10010
	s_mov_b32 s41, 0
	s_add_co_i32 s40, s28, s40
	s_delay_alu instid0(SALU_CYCLE_1)
	s_addk_co_i32 s40, 0x7fff
.LBB583_10:                             ;   in Loop: Header=BB583_4 Depth=1
	s_and_not1_b32 vcc_lo, exec_lo, s41
	s_cbranch_vccnz .LBB583_12
; %bb.11:                               ;   in Loop: Header=BB583_4 Depth=1
	s_and_b32 s40, s28, 0xffff
	s_or_b32 s41, s28, 0x10000
	s_cmp_eq_u32 s40, 0
	s_cselect_b32 s40, s28, s41
.LBB583_12:                             ;   in Loop: Header=BB583_4 Depth=1
	s_delay_alu instid0(SALU_CYCLE_1) | instskip(SKIP_2) | instid1(SALU_CYCLE_1)
	s_lshr_b32 s40, s40, 16
	s_mov_b32 s28, exec_lo
	s_or_b32 exec_lo, exec_lo, s39
	s_and_b32 vcc_lo, exec_lo, s29
	s_cbranch_vccnz .LBB583_15
	s_branch .LBB583_57
.LBB583_13:                             ;   in Loop: Header=BB583_4 Depth=1
	s_mov_b32 s28, 0
                                        ; implicit-def: $sgpr40
	s_cbranch_execnz .LBB583_15
	s_branch .LBB583_57
.LBB583_14:                             ;   in Loop: Header=BB583_4 Depth=1
	s_or_b32 exec_lo, exec_lo, s39
	s_delay_alu instid0(SALU_CYCLE_1)
	s_and_b32 vcc_lo, exec_lo, s29
	s_cbranch_vccz .LBB583_57
.LBB583_15:                             ;   in Loop: Header=BB583_4 Depth=1
	s_wait_dscnt 0x0
	v_mov_b32_e32 v18, 0
	s_and_saveexec_b32 s29, s1
	s_cbranch_execnz .LBB583_24
; %bb.16:                               ;   in Loop: Header=BB583_4 Depth=1
	s_or_b32 exec_lo, exec_lo, s29
	s_and_saveexec_b32 s29, s2
	s_cbranch_execnz .LBB583_51
.LBB583_17:                             ;   in Loop: Header=BB583_4 Depth=1
	s_or_b32 exec_lo, exec_lo, s29
	s_and_saveexec_b32 s29, s3
.LBB583_18:                             ;   in Loop: Header=BB583_4 Depth=1
	ds_store_b32 v1, v3
.LBB583_19:                             ;   in Loop: Header=BB583_4 Depth=1
	s_or_b32 exec_lo, exec_lo, s29
	ds_bpermute_b32 v13, v17, v18
	v_cmp_gt_u32_e32 vcc_lo, 24, v2
	s_wait_dscnt 0x0
	s_barrier_signal -1
	s_barrier_wait -1
	v_cndmask_b32_e64 v12, 0, 8, vcc_lo
	v_cmp_gt_u32_e32 vcc_lo, 28, v2
	s_delay_alu instid0(VALU_DEP_2)
	v_add_lshl_u32 v12, v12, v2, 2
	v_add_f32_e32 v14, v18, v13
	v_cndmask_b32_e64 v13, 0, 4, vcc_lo
	v_cmp_gt_u32_e32 vcc_lo, 30, v2
	ds_bpermute_b32 v15, v12, v14
	v_add_lshl_u32 v13, v13, v2, 2
	s_wait_dscnt 0x0
	v_add_f32_e32 v15, v14, v15
	v_cndmask_b32_e64 v14, 0, 2, vcc_lo
	v_cmp_ne_u32_e32 vcc_lo, 31, v2
	ds_bpermute_b32 v18, v13, v15
	v_add_lshl_u32 v14, v14, v2, 2
	v_add_co_ci_u32_e64 v19, null, 0, v2, vcc_lo
	s_wait_dscnt 0x0
	v_add_f32_e32 v15, v15, v18
	ds_bpermute_b32 v18, v14, v15
	s_wait_dscnt 0x0
	v_dual_add_f32 v18, v15, v18 :: v_dual_lshlrev_b32 v15, 2, v19
	ds_bpermute_b32 v19, v15, v18
	s_and_saveexec_b32 s29, s4
	s_cbranch_execz .LBB583_21
; %bb.20:                               ;   in Loop: Header=BB583_4 Depth=1
	s_wait_dscnt 0x0
	v_add_f32_e32 v18, v18, v19
	ds_store_b32 v16, v18
.LBB583_21:                             ;   in Loop: Header=BB583_4 Depth=1
	s_or_b32 exec_lo, exec_lo, s29
	v_mov_b32_e32 v18, 0
	s_wait_dscnt 0x0
	s_barrier_signal -1
	s_barrier_wait -1
	s_and_saveexec_b32 s29, s3
	s_cbranch_execnz .LBB583_30
; %bb.22:                               ;   in Loop: Header=BB583_4 Depth=1
	s_or_b32 exec_lo, exec_lo, s29
	s_and_saveexec_b32 s29, s3
	s_cbranch_execnz .LBB583_31
.LBB583_23:                             ;   in Loop: Header=BB583_4 Depth=1
	s_or_b32 exec_lo, exec_lo, s29
                                        ; implicit-def: $vgpr12
	s_and_saveexec_b32 s29, s0
	s_cbranch_execnz .LBB583_32
	s_branch .LBB583_49
.LBB583_24:                             ;   in Loop: Header=BB583_4 Depth=1
	v_mad_nc_u64_u32 v[12:13], s8, s6, v[8:9]
	v_mad_nc_u64_u32 v[14:15], s12, s6, v[10:11]
	v_dual_mov_b32 v18, 0 :: v_dual_mov_b32 v19, v0
	s_mov_b32 s39, 0
	s_delay_alu instid0(VALU_DEP_3) | instskip(NEXT) | instid1(VALU_DEP_3)
	v_mad_u32 v13, s9, s6, v13
	v_mad_u32 v15, s13, s6, v15
	s_branch .LBB583_26
.LBB583_25:                             ;   in Loop: Header=BB583_26 Depth=2
	s_or_b32 exec_lo, exec_lo, s40
	s_delay_alu instid0(VALU_DEP_1) | instskip(SKIP_3) | instid1(VALU_DEP_4)
	v_and_b32_e32 v20, 0xffff0000, v21
	v_add_nc_u32_e32 v19, 0x400, v19
	v_add_nc_u64_e32 v[12:13], 0x800, v[12:13]
	v_add_nc_u64_e32 v[14:15], s[20:21], v[14:15]
	v_add_f32_e32 v18, v18, v20
	s_delay_alu instid0(VALU_DEP_4) | instskip(SKIP_1) | instid1(SALU_CYCLE_1)
	v_cmp_le_i32_e32 vcc_lo, s10, v19
	s_or_b32 s39, vcc_lo, s39
	s_and_not1_b32 exec_lo, exec_lo, s39
	s_cbranch_execz .LBB583_50
.LBB583_26:                             ;   Parent Loop BB583_4 Depth=1
                                        ; =>  This Inner Loop Header: Depth=2
	global_load_u16 v20, v[12:13], off
	global_load_u16 v21, v[14:15], off
	s_wait_loadcnt 0x0
	v_dual_lshlrev_b32 v20, 16, v20 :: v_dual_lshlrev_b32 v21, 16, v21
	s_delay_alu instid0(VALU_DEP_1) | instskip(NEXT) | instid1(VALU_DEP_1)
	v_mul_f32_e32 v20, v21, v20
	v_and_b32_e32 v21, 0x7f800000, v20
	s_delay_alu instid0(VALU_DEP_1) | instskip(SKIP_2) | instid1(SALU_CYCLE_1)
	v_cmp_ne_u32_e32 vcc_lo, 0x7f800000, v21
                                        ; implicit-def: $vgpr21
	s_wait_xcnt 0x0
	s_and_saveexec_b32 s40, vcc_lo
	s_xor_b32 s40, exec_lo, s40
; %bb.27:                               ;   in Loop: Header=BB583_26 Depth=2
	v_bfe_u32 v21, v20, 16, 1
	s_delay_alu instid0(VALU_DEP_1)
	v_add3_u32 v21, v20, v21, 0x7fff
                                        ; implicit-def: $vgpr20
; %bb.28:                               ;   in Loop: Header=BB583_26 Depth=2
	s_and_not1_saveexec_b32 s40, s40
	s_cbranch_execz .LBB583_25
; %bb.29:                               ;   in Loop: Header=BB583_26 Depth=2
	v_and_b32_e32 v21, 0xffff, v20
	v_or_b32_e32 v22, 0x10000, v20
	s_delay_alu instid0(VALU_DEP_2) | instskip(NEXT) | instid1(VALU_DEP_2)
	v_cmp_eq_u32_e32 vcc_lo, 0, v21
	v_cndmask_b32_e32 v21, v22, v20, vcc_lo
	s_branch .LBB583_25
.LBB583_30:                             ;   in Loop: Header=BB583_4 Depth=1
	ds_load_b32 v18, v1
	s_or_b32 exec_lo, exec_lo, s29
	s_and_saveexec_b32 s29, s3
	s_cbranch_execz .LBB583_23
.LBB583_31:                             ;   in Loop: Header=BB583_4 Depth=1
	s_wait_dscnt 0x0
	ds_bpermute_b32 v19, v17, v18
	s_wait_dscnt 0x0
	v_add_f32_e32 v18, v18, v19
	ds_bpermute_b32 v12, v12, v18
	s_wait_dscnt 0x0
	v_add_f32_e32 v12, v18, v12
	;; [unrolled: 3-line block ×5, first 2 shown]
	s_or_b32 exec_lo, exec_lo, s29
                                        ; implicit-def: $vgpr12
	s_and_saveexec_b32 s29, s0
	s_cbranch_execz .LBB583_49
.LBB583_32:                             ;   in Loop: Header=BB583_4 Depth=1
	s_wait_dscnt 0x0
	v_mul_f32_e32 v12, s33, v18
	s_and_b32 vcc_lo, exec_lo, s38
	s_mov_b32 s39, -1
                                        ; implicit-def: $vgpr13
	s_cbranch_vccz .LBB583_38
; %bb.33:                               ;   in Loop: Header=BB583_4 Depth=1
	s_delay_alu instid0(VALU_DEP_1) | instskip(NEXT) | instid1(VALU_DEP_1)
	v_and_b32_e32 v13, 0x7f800000, v12
	v_cmp_ne_u32_e32 vcc_lo, 0x7f800000, v13
                                        ; implicit-def: $vgpr13
	s_and_saveexec_b32 s39, vcc_lo
	s_delay_alu instid0(SALU_CYCLE_1)
	s_xor_b32 s39, exec_lo, s39
; %bb.34:                               ;   in Loop: Header=BB583_4 Depth=1
	v_bfe_u32 v13, v12, 16, 1
	s_delay_alu instid0(VALU_DEP_1)
	v_add3_u32 v13, v12, v13, 0x7fff
; %bb.35:                               ;   in Loop: Header=BB583_4 Depth=1
	s_and_not1_saveexec_b32 s39, s39
; %bb.36:                               ;   in Loop: Header=BB583_4 Depth=1
	v_and_b32_e32 v13, 0xffff, v12
	v_or_b32_e32 v14, 0x10000, v12
	s_delay_alu instid0(VALU_DEP_2) | instskip(NEXT) | instid1(VALU_DEP_2)
	v_cmp_eq_u32_e32 vcc_lo, 0, v13
	v_cndmask_b32_e32 v13, v14, v12, vcc_lo
; %bb.37:                               ;   in Loop: Header=BB583_4 Depth=1
	s_or_b32 exec_lo, exec_lo, s39
	s_mov_b32 s39, 0
.LBB583_38:                             ;   in Loop: Header=BB583_4 Depth=1
	s_delay_alu instid0(SALU_CYCLE_1)
	s_and_not1_b32 vcc_lo, exec_lo, s39
	s_cbranch_vccnz .LBB583_48
; %bb.39:                               ;   in Loop: Header=BB583_4 Depth=1
	s_add_nc_u64 s[40:41], s[26:27], s[24:25]
	global_load_u16 v13, v3, s[40:41]
	s_wait_xcnt 0x0
	s_mov_b32 s41, -1
	s_wait_loadcnt 0x0
	v_readfirstlane_b32 s39, v13
	s_lshl_b32 s39, s39, 16
	s_delay_alu instid0(SALU_CYCLE_1) | instskip(NEXT) | instid1(SALU_CYCLE_3)
	s_mul_f32 s39, s34, s39
	s_and_b32 s40, s39, 0x7f800000
	s_delay_alu instid0(SALU_CYCLE_1)
	s_cmp_eq_u32 s40, 0x7f800000
                                        ; implicit-def: $sgpr40
	s_cbranch_scc1 .LBB583_41
; %bb.40:                               ;   in Loop: Header=BB583_4 Depth=1
	s_bfe_u32 s40, s39, 0x10010
	s_mov_b32 s41, 0
	s_add_co_i32 s40, s39, s40
	s_delay_alu instid0(SALU_CYCLE_1)
	s_addk_co_i32 s40, 0x7fff
.LBB583_41:                             ;   in Loop: Header=BB583_4 Depth=1
	s_and_not1_b32 vcc_lo, exec_lo, s41
	s_cbranch_vccnz .LBB583_43
; %bb.42:                               ;   in Loop: Header=BB583_4 Depth=1
	s_and_b32 s40, s39, 0xffff
	s_or_b32 s41, s39, 0x10000
	s_cmp_eq_u32 s40, 0
	s_cselect_b32 s40, s39, s41
.LBB583_43:                             ;   in Loop: Header=BB583_4 Depth=1
	s_delay_alu instid0(SALU_CYCLE_1) | instskip(NEXT) | instid1(SALU_CYCLE_1)
	s_and_b32 s39, s40, 0xffff0000
	v_add_f32_e32 v12, s39, v12
	s_delay_alu instid0(VALU_DEP_1) | instskip(NEXT) | instid1(VALU_DEP_1)
	v_and_b32_e32 v13, 0x7f800000, v12
	v_cmp_ne_u32_e32 vcc_lo, 0x7f800000, v13
                                        ; implicit-def: $vgpr13
	s_and_saveexec_b32 s39, vcc_lo
	s_delay_alu instid0(SALU_CYCLE_1)
	s_xor_b32 s39, exec_lo, s39
; %bb.44:                               ;   in Loop: Header=BB583_4 Depth=1
	v_bfe_u32 v13, v12, 16, 1
	s_delay_alu instid0(VALU_DEP_1)
	v_add3_u32 v13, v12, v13, 0x7fff
                                        ; implicit-def: $vgpr12
; %bb.45:                               ;   in Loop: Header=BB583_4 Depth=1
	s_and_not1_saveexec_b32 s39, s39
; %bb.46:                               ;   in Loop: Header=BB583_4 Depth=1
	v_and_b32_e32 v13, 0xffff, v12
	v_or_b32_e32 v14, 0x10000, v12
	s_delay_alu instid0(VALU_DEP_2) | instskip(NEXT) | instid1(VALU_DEP_2)
	v_cmp_eq_u32_e32 vcc_lo, 0, v13
	v_cndmask_b32_e32 v13, v14, v12, vcc_lo
; %bb.47:                               ;   in Loop: Header=BB583_4 Depth=1
	s_or_b32 exec_lo, exec_lo, s39
.LBB583_48:                             ;   in Loop: Header=BB583_4 Depth=1
	s_delay_alu instid0(VALU_DEP_1)
	v_lshrrev_b32_e32 v12, 16, v13
	s_or_b32 s28, s28, exec_lo
.LBB583_49:                             ;   in Loop: Header=BB583_4 Depth=1
	s_or_b32 exec_lo, exec_lo, s29
	s_and_saveexec_b32 s29, s28
	s_cbranch_execz .LBB583_2
	s_branch .LBB583_58
.LBB583_50:                             ;   in Loop: Header=BB583_4 Depth=1
	s_or_b32 exec_lo, exec_lo, s39
	s_delay_alu instid0(SALU_CYCLE_1)
	s_or_b32 exec_lo, exec_lo, s29
	s_and_saveexec_b32 s29, s2
	s_cbranch_execz .LBB583_17
.LBB583_51:                             ;   in Loop: Header=BB583_4 Depth=1
	s_mul_u64 s[40:41], s[14:15], s[6:7]
	s_mul_u64 s[42:43], s[22:23], s[6:7]
	v_lshl_add_u64 v[12:13], s[40:41], 1, v[6:7]
	s_lshl_b64 s[40:41], s[42:43], 1
	s_delay_alu instid0(SALU_CYCLE_1) | instskip(NEXT) | instid1(SALU_CYCLE_1)
	s_add_nc_u64 s[40:41], s[16:17], s[40:41]
	v_lshl_add_u64 v[14:15], v[4:5], 1, s[40:41]
	s_delay_alu instid0(VALU_DEP_2)
	v_lshl_add_u64 v[12:13], s[10:11], 1, v[12:13]
	global_load_u16 v19, v[12:13], off
	global_load_u16 v20, v[14:15], off
	s_wait_loadcnt 0x0
	s_wait_xcnt 0x1
	v_dual_lshlrev_b32 v12, 16, v19 :: v_dual_lshlrev_b32 v13, 16, v20
	s_delay_alu instid0(VALU_DEP_1) | instskip(NEXT) | instid1(VALU_DEP_1)
	v_mul_f32_e32 v12, v13, v12
	v_and_b32_e32 v13, 0x7f800000, v12
	s_delay_alu instid0(VALU_DEP_1) | instskip(SKIP_2) | instid1(SALU_CYCLE_1)
	v_cmp_ne_u32_e32 vcc_lo, 0x7f800000, v13
                                        ; implicit-def: $vgpr13
	s_wait_xcnt 0x0
	s_and_saveexec_b32 s39, vcc_lo
	s_xor_b32 s39, exec_lo, s39
; %bb.52:                               ;   in Loop: Header=BB583_4 Depth=1
	v_bfe_u32 v13, v12, 16, 1
	s_delay_alu instid0(VALU_DEP_1)
	v_add3_u32 v13, v12, v13, 0x7fff
                                        ; implicit-def: $vgpr12
; %bb.53:                               ;   in Loop: Header=BB583_4 Depth=1
	s_and_not1_saveexec_b32 s39, s39
; %bb.54:                               ;   in Loop: Header=BB583_4 Depth=1
	v_and_b32_e32 v13, 0xffff, v12
	v_or_b32_e32 v14, 0x10000, v12
	s_delay_alu instid0(VALU_DEP_2) | instskip(NEXT) | instid1(VALU_DEP_2)
	v_cmp_eq_u32_e32 vcc_lo, 0, v13
	v_cndmask_b32_e32 v13, v14, v12, vcc_lo
; %bb.55:                               ;   in Loop: Header=BB583_4 Depth=1
	s_or_b32 exec_lo, exec_lo, s39
	s_delay_alu instid0(VALU_DEP_1) | instskip(NEXT) | instid1(VALU_DEP_1)
	v_and_b32_e32 v12, 0xffff0000, v13
	v_add_f32_e32 v18, v18, v12
	s_or_b32 exec_lo, exec_lo, s29
	s_and_saveexec_b32 s29, s3
	s_cbranch_execnz .LBB583_18
	s_branch .LBB583_19
.LBB583_56:                             ;   in Loop: Header=BB583_4 Depth=1
	s_mov_b32 s40, 0
	s_mov_b32 s28, exec_lo
	s_or_b32 exec_lo, exec_lo, s39
	s_delay_alu instid0(SALU_CYCLE_1)
	s_and_b32 vcc_lo, exec_lo, s29
	s_cbranch_vccnz .LBB583_15
.LBB583_57:                             ;   in Loop: Header=BB583_4 Depth=1
	v_mov_b32_e32 v12, s40
	s_and_saveexec_b32 s29, s28
	s_cbranch_execz .LBB583_2
.LBB583_58:                             ;   in Loop: Header=BB583_4 Depth=1
	s_add_nc_u64 s[26:27], s[26:27], s[24:25]
	global_store_b16 v3, v12, s[26:27]
	s_branch .LBB583_2
.LBB583_59:
	s_endpgm
	.section	.rodata,"a",@progbits
	.p2align	6, 0x0
	.amdhsa_kernel _ZL32rocblas_gemvt_warp_reduce_kernelILb1ELi1024El16rocblas_bfloat16fS0_EviiT3_lPKT2_lT1_lS4_lS5_lS1_lPT4_lS5_li
		.amdhsa_group_segment_fixed_size 128
		.amdhsa_private_segment_fixed_size 0
		.amdhsa_kernarg_size 140
		.amdhsa_user_sgpr_count 2
		.amdhsa_user_sgpr_dispatch_ptr 0
		.amdhsa_user_sgpr_queue_ptr 0
		.amdhsa_user_sgpr_kernarg_segment_ptr 1
		.amdhsa_user_sgpr_dispatch_id 0
		.amdhsa_user_sgpr_kernarg_preload_length 0
		.amdhsa_user_sgpr_kernarg_preload_offset 0
		.amdhsa_user_sgpr_private_segment_size 0
		.amdhsa_wavefront_size32 1
		.amdhsa_uses_dynamic_stack 0
		.amdhsa_enable_private_segment 0
		.amdhsa_system_sgpr_workgroup_id_x 1
		.amdhsa_system_sgpr_workgroup_id_y 0
		.amdhsa_system_sgpr_workgroup_id_z 1
		.amdhsa_system_sgpr_workgroup_info 0
		.amdhsa_system_vgpr_workitem_id 0
		.amdhsa_next_free_vgpr 23
		.amdhsa_next_free_sgpr 44
		.amdhsa_named_barrier_count 0
		.amdhsa_reserve_vcc 1
		.amdhsa_float_round_mode_32 0
		.amdhsa_float_round_mode_16_64 0
		.amdhsa_float_denorm_mode_32 3
		.amdhsa_float_denorm_mode_16_64 3
		.amdhsa_fp16_overflow 0
		.amdhsa_memory_ordered 1
		.amdhsa_forward_progress 1
		.amdhsa_inst_pref_size 17
		.amdhsa_round_robin_scheduling 0
		.amdhsa_exception_fp_ieee_invalid_op 0
		.amdhsa_exception_fp_denorm_src 0
		.amdhsa_exception_fp_ieee_div_zero 0
		.amdhsa_exception_fp_ieee_overflow 0
		.amdhsa_exception_fp_ieee_underflow 0
		.amdhsa_exception_fp_ieee_inexact 0
		.amdhsa_exception_int_div_zero 0
	.end_amdhsa_kernel
	.section	.text._ZL32rocblas_gemvt_warp_reduce_kernelILb1ELi1024El16rocblas_bfloat16fS0_EviiT3_lPKT2_lT1_lS4_lS5_lS1_lPT4_lS5_li,"axG",@progbits,_ZL32rocblas_gemvt_warp_reduce_kernelILb1ELi1024El16rocblas_bfloat16fS0_EviiT3_lPKT2_lT1_lS4_lS5_lS1_lPT4_lS5_li,comdat
.Lfunc_end583:
	.size	_ZL32rocblas_gemvt_warp_reduce_kernelILb1ELi1024El16rocblas_bfloat16fS0_EviiT3_lPKT2_lT1_lS4_lS5_lS1_lPT4_lS5_li, .Lfunc_end583-_ZL32rocblas_gemvt_warp_reduce_kernelILb1ELi1024El16rocblas_bfloat16fS0_EviiT3_lPKT2_lT1_lS4_lS5_lS1_lPT4_lS5_li
                                        ; -- End function
	.set _ZL32rocblas_gemvt_warp_reduce_kernelILb1ELi1024El16rocblas_bfloat16fS0_EviiT3_lPKT2_lT1_lS4_lS5_lS1_lPT4_lS5_li.num_vgpr, 23
	.set _ZL32rocblas_gemvt_warp_reduce_kernelILb1ELi1024El16rocblas_bfloat16fS0_EviiT3_lPKT2_lT1_lS4_lS5_lS1_lPT4_lS5_li.num_agpr, 0
	.set _ZL32rocblas_gemvt_warp_reduce_kernelILb1ELi1024El16rocblas_bfloat16fS0_EviiT3_lPKT2_lT1_lS4_lS5_lS1_lPT4_lS5_li.numbered_sgpr, 44
	.set _ZL32rocblas_gemvt_warp_reduce_kernelILb1ELi1024El16rocblas_bfloat16fS0_EviiT3_lPKT2_lT1_lS4_lS5_lS1_lPT4_lS5_li.num_named_barrier, 0
	.set _ZL32rocblas_gemvt_warp_reduce_kernelILb1ELi1024El16rocblas_bfloat16fS0_EviiT3_lPKT2_lT1_lS4_lS5_lS1_lPT4_lS5_li.private_seg_size, 0
	.set _ZL32rocblas_gemvt_warp_reduce_kernelILb1ELi1024El16rocblas_bfloat16fS0_EviiT3_lPKT2_lT1_lS4_lS5_lS1_lPT4_lS5_li.uses_vcc, 1
	.set _ZL32rocblas_gemvt_warp_reduce_kernelILb1ELi1024El16rocblas_bfloat16fS0_EviiT3_lPKT2_lT1_lS4_lS5_lS1_lPT4_lS5_li.uses_flat_scratch, 0
	.set _ZL32rocblas_gemvt_warp_reduce_kernelILb1ELi1024El16rocblas_bfloat16fS0_EviiT3_lPKT2_lT1_lS4_lS5_lS1_lPT4_lS5_li.has_dyn_sized_stack, 0
	.set _ZL32rocblas_gemvt_warp_reduce_kernelILb1ELi1024El16rocblas_bfloat16fS0_EviiT3_lPKT2_lT1_lS4_lS5_lS1_lPT4_lS5_li.has_recursion, 0
	.set _ZL32rocblas_gemvt_warp_reduce_kernelILb1ELi1024El16rocblas_bfloat16fS0_EviiT3_lPKT2_lT1_lS4_lS5_lS1_lPT4_lS5_li.has_indirect_call, 0
	.section	.AMDGPU.csdata,"",@progbits
; Kernel info:
; codeLenInByte = 2056
; TotalNumSgprs: 46
; NumVgprs: 23
; ScratchSize: 0
; MemoryBound: 0
; FloatMode: 240
; IeeeMode: 1
; LDSByteSize: 128 bytes/workgroup (compile time only)
; SGPRBlocks: 0
; VGPRBlocks: 1
; NumSGPRsForWavesPerEU: 46
; NumVGPRsForWavesPerEU: 23
; NamedBarCnt: 0
; Occupancy: 16
; WaveLimiterHint : 0
; COMPUTE_PGM_RSRC2:SCRATCH_EN: 0
; COMPUTE_PGM_RSRC2:USER_SGPR: 2
; COMPUTE_PGM_RSRC2:TRAP_HANDLER: 0
; COMPUTE_PGM_RSRC2:TGID_X_EN: 1
; COMPUTE_PGM_RSRC2:TGID_Y_EN: 0
; COMPUTE_PGM_RSRC2:TGID_Z_EN: 1
; COMPUTE_PGM_RSRC2:TIDIG_COMP_CNT: 0
	.section	.text._ZL34rocblas_gemvn_sm_mn_batched_kernelILi32ELi24EPK16rocblas_bfloat16PKfKPS0_EviiT2_lPKT1_lilSA_lilS7_lPT3_lili,"axG",@progbits,_ZL34rocblas_gemvn_sm_mn_batched_kernelILi32ELi24EPK16rocblas_bfloat16PKfKPS0_EviiT2_lPKT1_lilSA_lilS7_lPT3_lili,comdat
	.globl	_ZL34rocblas_gemvn_sm_mn_batched_kernelILi32ELi24EPK16rocblas_bfloat16PKfKPS0_EviiT2_lPKT1_lilSA_lilS7_lPT3_lili ; -- Begin function _ZL34rocblas_gemvn_sm_mn_batched_kernelILi32ELi24EPK16rocblas_bfloat16PKfKPS0_EviiT2_lPKT1_lilSA_lilS7_lPT3_lili
	.p2align	8
	.type	_ZL34rocblas_gemvn_sm_mn_batched_kernelILi32ELi24EPK16rocblas_bfloat16PKfKPS0_EviiT2_lPKT1_lilSA_lilS7_lPT3_lili,@function
_ZL34rocblas_gemvn_sm_mn_batched_kernelILi32ELi24EPK16rocblas_bfloat16PKfKPS0_EviiT2_lPKT1_lilSA_lilS7_lPT3_lili: ; @_ZL34rocblas_gemvn_sm_mn_batched_kernelILi32ELi24EPK16rocblas_bfloat16PKfKPS0_EviiT2_lPKT1_lilSA_lilS7_lPT3_lili
; %bb.0:
	s_endpgm
	.section	.rodata,"a",@progbits
	.p2align	6, 0x0
	.amdhsa_kernel _ZL34rocblas_gemvn_sm_mn_batched_kernelILi32ELi24EPK16rocblas_bfloat16PKfKPS0_EviiT2_lPKT1_lilSA_lilS7_lPT3_lili
		.amdhsa_group_segment_fixed_size 0
		.amdhsa_private_segment_fixed_size 0
		.amdhsa_kernarg_size 140
		.amdhsa_user_sgpr_count 2
		.amdhsa_user_sgpr_dispatch_ptr 0
		.amdhsa_user_sgpr_queue_ptr 0
		.amdhsa_user_sgpr_kernarg_segment_ptr 1
		.amdhsa_user_sgpr_dispatch_id 0
		.amdhsa_user_sgpr_kernarg_preload_length 0
		.amdhsa_user_sgpr_kernarg_preload_offset 0
		.amdhsa_user_sgpr_private_segment_size 0
		.amdhsa_wavefront_size32 1
		.amdhsa_uses_dynamic_stack 0
		.amdhsa_enable_private_segment 0
		.amdhsa_system_sgpr_workgroup_id_x 1
		.amdhsa_system_sgpr_workgroup_id_y 0
		.amdhsa_system_sgpr_workgroup_id_z 0
		.amdhsa_system_sgpr_workgroup_info 0
		.amdhsa_system_vgpr_workitem_id 0
		.amdhsa_next_free_vgpr 1
		.amdhsa_next_free_sgpr 1
		.amdhsa_named_barrier_count 0
		.amdhsa_reserve_vcc 0
		.amdhsa_float_round_mode_32 0
		.amdhsa_float_round_mode_16_64 0
		.amdhsa_float_denorm_mode_32 3
		.amdhsa_float_denorm_mode_16_64 3
		.amdhsa_fp16_overflow 0
		.amdhsa_memory_ordered 1
		.amdhsa_forward_progress 1
		.amdhsa_inst_pref_size 1
		.amdhsa_round_robin_scheduling 0
		.amdhsa_exception_fp_ieee_invalid_op 0
		.amdhsa_exception_fp_denorm_src 0
		.amdhsa_exception_fp_ieee_div_zero 0
		.amdhsa_exception_fp_ieee_overflow 0
		.amdhsa_exception_fp_ieee_underflow 0
		.amdhsa_exception_fp_ieee_inexact 0
		.amdhsa_exception_int_div_zero 0
	.end_amdhsa_kernel
	.section	.text._ZL34rocblas_gemvn_sm_mn_batched_kernelILi32ELi24EPK16rocblas_bfloat16PKfKPS0_EviiT2_lPKT1_lilSA_lilS7_lPT3_lili,"axG",@progbits,_ZL34rocblas_gemvn_sm_mn_batched_kernelILi32ELi24EPK16rocblas_bfloat16PKfKPS0_EviiT2_lPKT1_lilSA_lilS7_lPT3_lili,comdat
.Lfunc_end584:
	.size	_ZL34rocblas_gemvn_sm_mn_batched_kernelILi32ELi24EPK16rocblas_bfloat16PKfKPS0_EviiT2_lPKT1_lilSA_lilS7_lPT3_lili, .Lfunc_end584-_ZL34rocblas_gemvn_sm_mn_batched_kernelILi32ELi24EPK16rocblas_bfloat16PKfKPS0_EviiT2_lPKT1_lilSA_lilS7_lPT3_lili
                                        ; -- End function
	.set _ZL34rocblas_gemvn_sm_mn_batched_kernelILi32ELi24EPK16rocblas_bfloat16PKfKPS0_EviiT2_lPKT1_lilSA_lilS7_lPT3_lili.num_vgpr, 0
	.set _ZL34rocblas_gemvn_sm_mn_batched_kernelILi32ELi24EPK16rocblas_bfloat16PKfKPS0_EviiT2_lPKT1_lilSA_lilS7_lPT3_lili.num_agpr, 0
	.set _ZL34rocblas_gemvn_sm_mn_batched_kernelILi32ELi24EPK16rocblas_bfloat16PKfKPS0_EviiT2_lPKT1_lilSA_lilS7_lPT3_lili.numbered_sgpr, 0
	.set _ZL34rocblas_gemvn_sm_mn_batched_kernelILi32ELi24EPK16rocblas_bfloat16PKfKPS0_EviiT2_lPKT1_lilSA_lilS7_lPT3_lili.num_named_barrier, 0
	.set _ZL34rocblas_gemvn_sm_mn_batched_kernelILi32ELi24EPK16rocblas_bfloat16PKfKPS0_EviiT2_lPKT1_lilSA_lilS7_lPT3_lili.private_seg_size, 0
	.set _ZL34rocblas_gemvn_sm_mn_batched_kernelILi32ELi24EPK16rocblas_bfloat16PKfKPS0_EviiT2_lPKT1_lilSA_lilS7_lPT3_lili.uses_vcc, 0
	.set _ZL34rocblas_gemvn_sm_mn_batched_kernelILi32ELi24EPK16rocblas_bfloat16PKfKPS0_EviiT2_lPKT1_lilSA_lilS7_lPT3_lili.uses_flat_scratch, 0
	.set _ZL34rocblas_gemvn_sm_mn_batched_kernelILi32ELi24EPK16rocblas_bfloat16PKfKPS0_EviiT2_lPKT1_lilSA_lilS7_lPT3_lili.has_dyn_sized_stack, 0
	.set _ZL34rocblas_gemvn_sm_mn_batched_kernelILi32ELi24EPK16rocblas_bfloat16PKfKPS0_EviiT2_lPKT1_lilSA_lilS7_lPT3_lili.has_recursion, 0
	.set _ZL34rocblas_gemvn_sm_mn_batched_kernelILi32ELi24EPK16rocblas_bfloat16PKfKPS0_EviiT2_lPKT1_lilSA_lilS7_lPT3_lili.has_indirect_call, 0
	.section	.AMDGPU.csdata,"",@progbits
; Kernel info:
; codeLenInByte = 4
; TotalNumSgprs: 0
; NumVgprs: 0
; ScratchSize: 0
; MemoryBound: 0
; FloatMode: 240
; IeeeMode: 1
; LDSByteSize: 0 bytes/workgroup (compile time only)
; SGPRBlocks: 0
; VGPRBlocks: 0
; NumSGPRsForWavesPerEU: 1
; NumVGPRsForWavesPerEU: 1
; NamedBarCnt: 0
; Occupancy: 16
; WaveLimiterHint : 0
; COMPUTE_PGM_RSRC2:SCRATCH_EN: 0
; COMPUTE_PGM_RSRC2:USER_SGPR: 2
; COMPUTE_PGM_RSRC2:TRAP_HANDLER: 0
; COMPUTE_PGM_RSRC2:TGID_X_EN: 1
; COMPUTE_PGM_RSRC2:TGID_Y_EN: 0
; COMPUTE_PGM_RSRC2:TGID_Z_EN: 0
; COMPUTE_PGM_RSRC2:TIDIG_COMP_CNT: 0
	.section	.text._ZL34rocblas_gemvn_sm_mn_batched_kernelILi32ELi24EPK16rocblas_bfloat16fKPS0_EviiT2_lPKT1_lilS8_lilS5_lPT3_lili,"axG",@progbits,_ZL34rocblas_gemvn_sm_mn_batched_kernelILi32ELi24EPK16rocblas_bfloat16fKPS0_EviiT2_lPKT1_lilS8_lilS5_lPT3_lili,comdat
	.globl	_ZL34rocblas_gemvn_sm_mn_batched_kernelILi32ELi24EPK16rocblas_bfloat16fKPS0_EviiT2_lPKT1_lilS8_lilS5_lPT3_lili ; -- Begin function _ZL34rocblas_gemvn_sm_mn_batched_kernelILi32ELi24EPK16rocblas_bfloat16fKPS0_EviiT2_lPKT1_lilS8_lilS5_lPT3_lili
	.p2align	8
	.type	_ZL34rocblas_gemvn_sm_mn_batched_kernelILi32ELi24EPK16rocblas_bfloat16fKPS0_EviiT2_lPKT1_lilS8_lilS5_lPT3_lili,@function
_ZL34rocblas_gemvn_sm_mn_batched_kernelILi32ELi24EPK16rocblas_bfloat16fKPS0_EviiT2_lPKT1_lilS8_lilS5_lPT3_lili: ; @_ZL34rocblas_gemvn_sm_mn_batched_kernelILi32ELi24EPK16rocblas_bfloat16fKPS0_EviiT2_lPKT1_lilS8_lilS5_lPT3_lili
; %bb.0:
	s_endpgm
	.section	.rodata,"a",@progbits
	.p2align	6, 0x0
	.amdhsa_kernel _ZL34rocblas_gemvn_sm_mn_batched_kernelILi32ELi24EPK16rocblas_bfloat16fKPS0_EviiT2_lPKT1_lilS8_lilS5_lPT3_lili
		.amdhsa_group_segment_fixed_size 0
		.amdhsa_private_segment_fixed_size 0
		.amdhsa_kernarg_size 140
		.amdhsa_user_sgpr_count 2
		.amdhsa_user_sgpr_dispatch_ptr 0
		.amdhsa_user_sgpr_queue_ptr 0
		.amdhsa_user_sgpr_kernarg_segment_ptr 1
		.amdhsa_user_sgpr_dispatch_id 0
		.amdhsa_user_sgpr_kernarg_preload_length 0
		.amdhsa_user_sgpr_kernarg_preload_offset 0
		.amdhsa_user_sgpr_private_segment_size 0
		.amdhsa_wavefront_size32 1
		.amdhsa_uses_dynamic_stack 0
		.amdhsa_enable_private_segment 0
		.amdhsa_system_sgpr_workgroup_id_x 1
		.amdhsa_system_sgpr_workgroup_id_y 0
		.amdhsa_system_sgpr_workgroup_id_z 0
		.amdhsa_system_sgpr_workgroup_info 0
		.amdhsa_system_vgpr_workitem_id 0
		.amdhsa_next_free_vgpr 1
		.amdhsa_next_free_sgpr 1
		.amdhsa_named_barrier_count 0
		.amdhsa_reserve_vcc 0
		.amdhsa_float_round_mode_32 0
		.amdhsa_float_round_mode_16_64 0
		.amdhsa_float_denorm_mode_32 3
		.amdhsa_float_denorm_mode_16_64 3
		.amdhsa_fp16_overflow 0
		.amdhsa_memory_ordered 1
		.amdhsa_forward_progress 1
		.amdhsa_inst_pref_size 1
		.amdhsa_round_robin_scheduling 0
		.amdhsa_exception_fp_ieee_invalid_op 0
		.amdhsa_exception_fp_denorm_src 0
		.amdhsa_exception_fp_ieee_div_zero 0
		.amdhsa_exception_fp_ieee_overflow 0
		.amdhsa_exception_fp_ieee_underflow 0
		.amdhsa_exception_fp_ieee_inexact 0
		.amdhsa_exception_int_div_zero 0
	.end_amdhsa_kernel
	.section	.text._ZL34rocblas_gemvn_sm_mn_batched_kernelILi32ELi24EPK16rocblas_bfloat16fKPS0_EviiT2_lPKT1_lilS8_lilS5_lPT3_lili,"axG",@progbits,_ZL34rocblas_gemvn_sm_mn_batched_kernelILi32ELi24EPK16rocblas_bfloat16fKPS0_EviiT2_lPKT1_lilS8_lilS5_lPT3_lili,comdat
.Lfunc_end585:
	.size	_ZL34rocblas_gemvn_sm_mn_batched_kernelILi32ELi24EPK16rocblas_bfloat16fKPS0_EviiT2_lPKT1_lilS8_lilS5_lPT3_lili, .Lfunc_end585-_ZL34rocblas_gemvn_sm_mn_batched_kernelILi32ELi24EPK16rocblas_bfloat16fKPS0_EviiT2_lPKT1_lilS8_lilS5_lPT3_lili
                                        ; -- End function
	.set _ZL34rocblas_gemvn_sm_mn_batched_kernelILi32ELi24EPK16rocblas_bfloat16fKPS0_EviiT2_lPKT1_lilS8_lilS5_lPT3_lili.num_vgpr, 0
	.set _ZL34rocblas_gemvn_sm_mn_batched_kernelILi32ELi24EPK16rocblas_bfloat16fKPS0_EviiT2_lPKT1_lilS8_lilS5_lPT3_lili.num_agpr, 0
	.set _ZL34rocblas_gemvn_sm_mn_batched_kernelILi32ELi24EPK16rocblas_bfloat16fKPS0_EviiT2_lPKT1_lilS8_lilS5_lPT3_lili.numbered_sgpr, 0
	.set _ZL34rocblas_gemvn_sm_mn_batched_kernelILi32ELi24EPK16rocblas_bfloat16fKPS0_EviiT2_lPKT1_lilS8_lilS5_lPT3_lili.num_named_barrier, 0
	.set _ZL34rocblas_gemvn_sm_mn_batched_kernelILi32ELi24EPK16rocblas_bfloat16fKPS0_EviiT2_lPKT1_lilS8_lilS5_lPT3_lili.private_seg_size, 0
	.set _ZL34rocblas_gemvn_sm_mn_batched_kernelILi32ELi24EPK16rocblas_bfloat16fKPS0_EviiT2_lPKT1_lilS8_lilS5_lPT3_lili.uses_vcc, 0
	.set _ZL34rocblas_gemvn_sm_mn_batched_kernelILi32ELi24EPK16rocblas_bfloat16fKPS0_EviiT2_lPKT1_lilS8_lilS5_lPT3_lili.uses_flat_scratch, 0
	.set _ZL34rocblas_gemvn_sm_mn_batched_kernelILi32ELi24EPK16rocblas_bfloat16fKPS0_EviiT2_lPKT1_lilS8_lilS5_lPT3_lili.has_dyn_sized_stack, 0
	.set _ZL34rocblas_gemvn_sm_mn_batched_kernelILi32ELi24EPK16rocblas_bfloat16fKPS0_EviiT2_lPKT1_lilS8_lilS5_lPT3_lili.has_recursion, 0
	.set _ZL34rocblas_gemvn_sm_mn_batched_kernelILi32ELi24EPK16rocblas_bfloat16fKPS0_EviiT2_lPKT1_lilS8_lilS5_lPT3_lili.has_indirect_call, 0
	.section	.AMDGPU.csdata,"",@progbits
; Kernel info:
; codeLenInByte = 4
; TotalNumSgprs: 0
; NumVgprs: 0
; ScratchSize: 0
; MemoryBound: 0
; FloatMode: 240
; IeeeMode: 1
; LDSByteSize: 0 bytes/workgroup (compile time only)
; SGPRBlocks: 0
; VGPRBlocks: 0
; NumSGPRsForWavesPerEU: 1
; NumVGPRsForWavesPerEU: 1
; NamedBarCnt: 0
; Occupancy: 16
; WaveLimiterHint : 0
; COMPUTE_PGM_RSRC2:SCRATCH_EN: 0
; COMPUTE_PGM_RSRC2:USER_SGPR: 2
; COMPUTE_PGM_RSRC2:TRAP_HANDLER: 0
; COMPUTE_PGM_RSRC2:TGID_X_EN: 1
; COMPUTE_PGM_RSRC2:TGID_Y_EN: 0
; COMPUTE_PGM_RSRC2:TGID_Z_EN: 0
; COMPUTE_PGM_RSRC2:TIDIG_COMP_CNT: 0
	.section	.text._ZL20rocblas_gemvn_kernelILi64ELi4EiPK16rocblas_bfloat16PKfKPS0_EviiT3_lPKT2_lT1_lSA_lSB_lS7_lPT4_lSB_li,"axG",@progbits,_ZL20rocblas_gemvn_kernelILi64ELi4EiPK16rocblas_bfloat16PKfKPS0_EviiT3_lPKT2_lT1_lSA_lSB_lS7_lPT4_lSB_li,comdat
	.globl	_ZL20rocblas_gemvn_kernelILi64ELi4EiPK16rocblas_bfloat16PKfKPS0_EviiT3_lPKT2_lT1_lSA_lSB_lS7_lPT4_lSB_li ; -- Begin function _ZL20rocblas_gemvn_kernelILi64ELi4EiPK16rocblas_bfloat16PKfKPS0_EviiT3_lPKT2_lT1_lSA_lSB_lS7_lPT4_lSB_li
	.p2align	8
	.type	_ZL20rocblas_gemvn_kernelILi64ELi4EiPK16rocblas_bfloat16PKfKPS0_EviiT3_lPKT2_lT1_lSA_lSB_lS7_lPT4_lSB_li,@function
_ZL20rocblas_gemvn_kernelILi64ELi4EiPK16rocblas_bfloat16PKfKPS0_EviiT3_lPKT2_lT1_lSA_lSB_lS7_lPT4_lSB_li: ; @_ZL20rocblas_gemvn_kernelILi64ELi4EiPK16rocblas_bfloat16PKfKPS0_EviiT3_lPKT2_lT1_lSA_lSB_lS7_lPT4_lSB_li
; %bb.0:
	s_clause 0x1
	s_load_b64 s[4:5], s[0:1], 0x9c
	s_load_b32 s33, s[0:1], 0x88
	s_bfe_u32 s2, ttmp6, 0x40014
	s_lshr_b32 s3, ttmp7, 16
	s_add_co_i32 s2, s2, 1
	s_bfe_u32 s6, ttmp6, 0x40008
	s_mul_i32 s7, s3, s2
	s_getreg_b32 s2, hwreg(HW_REG_IB_STS2, 6, 4)
	s_add_co_i32 s6, s6, s7
	s_mov_b32 s11, 0
	s_wait_kmcnt 0x0
	s_lshr_b32 s7, s4, 16
	s_and_b32 s4, s4, 0xffff
	s_and_b32 s5, s5, 0xffff
	s_mul_i32 s4, s7, s4
	s_cmp_eq_u32 s2, 0
	s_mul_i32 s4, s4, s5
	s_cselect_b32 s10, s3, s6
	s_cmp_lg_u32 s4, 0x100
	s_cselect_b32 s3, -1, 0
	s_cmp_ge_u32 s10, s33
	s_cselect_b32 s4, -1, 0
	s_delay_alu instid0(SALU_CYCLE_1) | instskip(NEXT) | instid1(SALU_CYCLE_1)
	s_or_b32 s3, s3, s4
	s_and_b32 vcc_lo, exec_lo, s3
	s_cbranch_vccnz .LBB586_73
; %bb.1:
	s_clause 0x6
	s_load_b32 s4, s[0:1], 0x78
	s_load_b64 s[8:9], s[0:1], 0x0
	s_load_b256 s[12:19], s[0:1], 0x8
	s_load_b32 s34, s[0:1], 0x28
	s_load_b128 s[28:31], s[0:1], 0x38
	s_load_b32 s35, s[0:1], 0x48
	s_load_b256 s[20:27], s[0:1], 0x58
	s_wait_xcnt 0x0
	s_bfe_u32 s0, ttmp6, 0x4000c
	v_and_b32_e32 v6, 0x3ff, v0
	s_add_co_i32 s0, s0, 1
	v_bfe_u32 v7, v0, 10, 10
	s_and_b32 s1, ttmp6, 15
	s_mul_i32 s0, ttmp9, s0
	v_mov_b32_e32 v1, 0
	s_add_co_i32 s1, s1, s0
	v_lshl_add_u32 v5, v7, 6, v6
	v_lshlrev_b32_e32 v26, 2, v7
	s_wait_kmcnt 0x0
	s_ashr_i32 s5, s4, 31
	s_cmp_eq_u32 s2, 0
	s_mov_b32 s2, s8
	s_cselect_b32 s0, ttmp9, s1
	s_ashr_i32 s3, s8, 31
	s_lshl_b32 s36, s0, 8
	s_ashr_i32 s1, s9, 31
	v_dual_add_nc_u32 v0, s36, v5 :: v_dual_bitop2_b32 v27, s36, v6 bitop3:0x54
	v_or_b32_e32 v8, s36, v5
	s_lshr_b32 s0, s1, 28
	v_mul_lo_u32 v11, v7, s34
	s_delay_alu instid0(VALU_DEP_3)
	v_cmp_gt_i64_e32 vcc_lo, s[2:3], v[0:1]
	v_add_nc_u32_e32 v4, 64, v27
	v_add_nc_u32_e32 v9, 0x80, v27
	v_mul_u64_e32 v[2:3], s[4:5], v[0:1]
	v_add_nc_u32_e32 v0, 0xc0, v27
	s_add_co_i32 s0, s9, s0
	v_cmp_gt_i32_e64 s2, s8, v4
	v_mul_lo_u32 v4, s4, v8
	v_cmp_gt_i32_e64 s3, s8, v9
	v_lshlrev_b32_e32 v9, 2, v6
	v_cmp_gt_i32_e64 s4, s8, v0
	v_cmp_gt_u32_e64 s5, 0x100, v5
	s_and_b32 s37, s0, -16
	v_or_b32_e32 v10, 3, v26
	s_sub_co_i32 s6, s9, s37
	v_mad_u32 v31, s35, v26, s35
	s_cmp_gt_i32 s6, 0
	v_cmp_gt_i32_e64 s6, s8, v8
	v_ashrrev_i32_e32 v5, 31, v4
	v_lshl_add_u32 v0, v7, 10, v9
	v_lshl_add_u32 v28, v7, 8, v9
	v_mul_lo_u32 v7, v7, s35
	v_mul_lo_u32 v8, s34, v26
	v_or_b32_e32 v9, 2, v26
	v_mad_u32 v30, s34, v10, v6
	v_mul_lo_u32 v33, s35, v10
	v_cmp_gt_i32_e64 s0, s37, v26
	v_cmp_gt_i32_e64 s1, s8, v27
	v_lshl_add_u32 v35, v11, 2, v6
	s_cselect_b32 s38, -1, 0
	s_and_b32 s39, s5, vcc_lo
	s_lshl_b32 s40, s34, 4
	v_lshlrev_b32_e32 v36, 2, v7
	v_mad_u32 v29, s34, v9, v6
	v_mul_lo_u32 v32, s35, v9
	v_add3_u32 v34, v8, s34, v6
	s_lshl_b32 s41, s35, 4
	s_lshl_b64 s[18:19], s[18:19], 1
	s_lshl_b64 s[30:31], s[30:31], 1
	;; [unrolled: 1-line block ×3, first 2 shown]
	s_branch .LBB586_4
.LBB586_2:                              ;   in Loop: Header=BB586_4 Depth=1
	s_wait_xcnt 0x0
	s_or_b32 exec_lo, exec_lo, s7
.LBB586_3:                              ;   in Loop: Header=BB586_4 Depth=1
	s_add_co_i32 s10, s10, 0x10000
	s_delay_alu instid0(SALU_CYCLE_1)
	s_cmp_lt_u32 s10, s33
	s_cbranch_scc0 .LBB586_73
.LBB586_4:                              ; =>This Loop Header: Depth=1
                                        ;     Child Loop BB586_25 Depth 2
	s_mul_u64 s[42:43], s[14:15], s[10:11]
	s_wait_xcnt 0x0
	s_mul_u64 s[44:45], s[22:23], s[10:11]
	s_lshl_b64 s[42:43], s[42:43], 2
	s_lshl_b64 s[44:45], s[44:45], 2
	s_add_nc_u64 s[42:43], s[12:13], s[42:43]
	s_add_nc_u64 s[44:45], s[20:21], s[44:45]
	s_clause 0x1
	global_load_b32 v37, v1, s[42:43]
	global_load_b32 v6, v1, s[44:45]
	s_wait_loadcnt 0x1
	v_cmp_eq_f32_e64 s7, 0, v37
	s_wait_loadcnt 0x0
	v_cmp_eq_f32_e32 vcc_lo, 1.0, v6
	s_wait_xcnt 0x1
	v_readfirstlane_b32 s42, v6
	s_and_b32 s8, s7, vcc_lo
	s_delay_alu instid0(SALU_CYCLE_1)
	s_and_b32 vcc_lo, exec_lo, s8
	s_cbranch_vccnz .LBB586_3
; %bb.5:                                ;   in Loop: Header=BB586_4 Depth=1
	v_mov_b64_e32 v[10:11], 0
	v_mov_b64_e32 v[8:9], 0
	v_cmp_neq_f32_e64 s8, 0, v37
	s_and_b32 vcc_lo, exec_lo, s7
	s_cbranch_vccnz .LBB586_7
; %bb.6:                                ;   in Loop: Header=BB586_4 Depth=1
	s_wait_xcnt 0x0
	s_lshl_b64 s[44:45], s[10:11], 3
	s_delay_alu instid0(SALU_CYCLE_1)
	s_add_nc_u64 s[44:45], s[16:17], s[44:45]
	global_load_b64 v[6:7], v1, s[44:45]
	s_wait_loadcnt 0x0
	v_add_nc_u64_e32 v[8:9], s[18:19], v[6:7]
.LBB586_7:                              ;   in Loop: Header=BB586_4 Depth=1
	s_and_not1_b32 vcc_lo, exec_lo, s8
	s_cbranch_vccnz .LBB586_9
; %bb.8:                                ;   in Loop: Header=BB586_4 Depth=1
	s_wait_xcnt 0x0
	s_lshl_b64 s[44:45], s[10:11], 3
	s_delay_alu instid0(SALU_CYCLE_1)
	s_add_nc_u64 s[44:45], s[28:29], s[44:45]
	global_load_b64 v[6:7], v1, s[44:45]
	s_wait_loadcnt 0x0
	v_add_nc_u64_e32 v[10:11], s[30:31], v[6:7]
.LBB586_9:                              ;   in Loop: Header=BB586_4 Depth=1
	s_wait_xcnt 0x0
	s_lshl_b64 s[44:45], s[10:11], 3
	s_and_not1_b32 vcc_lo, exec_lo, s7
	s_add_nc_u64 s[44:45], s[24:25], s[44:45]
	global_load_b64 v[6:7], v1, s[44:45]
	s_wait_loadcnt 0x0
	v_add_nc_u64_e32 v[6:7], s[26:27], v[6:7]
	s_cbranch_vccnz .LBB586_17
; %bb.10:                               ;   in Loop: Header=BB586_4 Depth=1
	s_mov_b32 s7, 0
	s_mov_b32 s8, 0
                                        ; implicit-def: $vgpr12
	s_wait_xcnt 0x0
	s_and_saveexec_b32 s43, s39
	s_cbranch_execz .LBB586_18
; %bb.11:                               ;   in Loop: Header=BB586_4 Depth=1
	s_cmp_eq_f32 s42, 0
	s_cbranch_scc1 .LBB586_57
; %bb.12:                               ;   in Loop: Header=BB586_4 Depth=1
	v_lshl_add_u64 v[12:13], v[2:3], 1, v[6:7]
	flat_load_u16 v12, v[12:13]
	s_wait_loadcnt_dscnt 0x0
	s_wait_xcnt 0x0
	v_lshlrev_b32_e32 v12, 16, v12
	s_delay_alu instid0(VALU_DEP_1) | instskip(NEXT) | instid1(VALU_DEP_1)
	v_mul_f32_e32 v12, s42, v12
	v_and_b32_e32 v13, 0x7f800000, v12
	s_delay_alu instid0(VALU_DEP_1) | instskip(SKIP_1) | instid1(SALU_CYCLE_1)
	v_cmp_ne_u32_e32 vcc_lo, 0x7f800000, v13
                                        ; implicit-def: $vgpr13
	s_and_saveexec_b32 s8, vcc_lo
	s_xor_b32 s8, exec_lo, s8
; %bb.13:                               ;   in Loop: Header=BB586_4 Depth=1
	v_bfe_u32 v13, v12, 16, 1
	s_delay_alu instid0(VALU_DEP_1)
	v_add3_u32 v13, v12, v13, 0x7fff
                                        ; implicit-def: $vgpr12
; %bb.14:                               ;   in Loop: Header=BB586_4 Depth=1
	s_and_not1_saveexec_b32 s8, s8
; %bb.15:                               ;   in Loop: Header=BB586_4 Depth=1
	v_and_b32_e32 v13, 0xffff, v12
	v_or_b32_e32 v14, 0x10000, v12
	s_delay_alu instid0(VALU_DEP_2) | instskip(NEXT) | instid1(VALU_DEP_2)
	v_cmp_eq_u32_e32 vcc_lo, 0, v13
	v_cndmask_b32_e32 v13, v14, v12, vcc_lo
; %bb.16:                               ;   in Loop: Header=BB586_4 Depth=1
	s_or_b32 exec_lo, exec_lo, s8
	s_delay_alu instid0(VALU_DEP_1) | instskip(SKIP_2) | instid1(SALU_CYCLE_1)
	v_lshrrev_b32_e32 v12, 16, v13
	s_mov_b32 s8, exec_lo
	s_or_b32 exec_lo, exec_lo, s43
	s_and_b32 vcc_lo, exec_lo, s7
	s_cbranch_vccnz .LBB586_19
	s_branch .LBB586_58
.LBB586_17:                             ;   in Loop: Header=BB586_4 Depth=1
	s_mov_b32 s8, 0
                                        ; implicit-def: $vgpr12
	s_cbranch_execnz .LBB586_19
	s_branch .LBB586_58
.LBB586_18:                             ;   in Loop: Header=BB586_4 Depth=1
	s_or_b32 exec_lo, exec_lo, s43
	s_delay_alu instid0(SALU_CYCLE_1)
	s_and_b32 vcc_lo, exec_lo, s7
	s_cbranch_vccz .LBB586_58
.LBB586_19:                             ;   in Loop: Header=BB586_4 Depth=1
	v_dual_mov_b32 v38, 0 :: v_dual_mov_b32 v42, v26
	v_dual_mov_b32 v39, 0 :: v_dual_mov_b32 v40, 0
	v_mov_b32_e32 v41, 0
	s_wait_xcnt 0x0
	s_and_saveexec_b32 s7, s0
	s_cbranch_execz .LBB586_31
; %bb.20:                               ;   in Loop: Header=BB586_4 Depth=1
	v_dual_mov_b32 v38, 0 :: v_dual_mov_b32 v43, v35
	v_dual_mov_b32 v44, v30 :: v_dual_mov_b32 v45, v29
	;; [unrolled: 1-line block ×4, first 2 shown]
	v_mov_b32_e32 v41, 0
	s_mov_b32 s43, 0
	s_mov_b32 s44, 0
	s_branch .LBB586_25
.LBB586_21:                             ;   in Loop: Header=BB586_25 Depth=2
	s_or_b32 exec_lo, exec_lo, s48
	s_wait_loadcnt_dscnt 0x202
	v_dual_lshlrev_b32 v17, 16, v56 :: v_dual_lshlrev_b32 v16, 16, v55
	s_delay_alu instid0(VALU_DEP_1) | instskip(SKIP_1) | instid1(VALU_DEP_1)
	v_pk_mul_f32 v[16:17], v[14:15], v[16:17]
	s_wait_loadcnt_dscnt 0x0
	v_dual_add_f32 v16, v40, v16 :: v_dual_lshlrev_b32 v19, 16, v54
	s_delay_alu instid0(VALU_DEP_1) | instskip(SKIP_1) | instid1(VALU_DEP_1)
	v_add_f32_e32 v20, v16, v17
	v_lshlrev_b32_e32 v18, 16, v53
	v_pk_mul_f32 v[16:17], v[12:13], v[18:19]
	s_delay_alu instid0(VALU_DEP_1) | instskip(NEXT) | instid1(VALU_DEP_1)
	v_add_f32_e32 v16, v20, v16
	v_add_f32_e32 v40, v16, v17
.LBB586_22:                             ;   in Loop: Header=BB586_25 Depth=2
	s_or_b32 exec_lo, exec_lo, s47
	s_wait_loadcnt_dscnt 0x202
	v_dual_lshlrev_b32 v17, 16, v52 :: v_dual_lshlrev_b32 v16, 16, v51
	s_delay_alu instid0(VALU_DEP_1) | instskip(SKIP_1) | instid1(VALU_DEP_1)
	v_pk_mul_f32 v[16:17], v[14:15], v[16:17]
	s_wait_loadcnt_dscnt 0x0
	v_dual_add_f32 v16, v39, v16 :: v_dual_lshlrev_b32 v19, 16, v25
	s_delay_alu instid0(VALU_DEP_1) | instskip(NEXT) | instid1(VALU_DEP_1)
	v_dual_lshlrev_b32 v18, 16, v24 :: v_dual_add_f32 v20, v16, v17
	v_pk_mul_f32 v[16:17], v[12:13], v[18:19]
	s_delay_alu instid0(VALU_DEP_1) | instskip(NEXT) | instid1(VALU_DEP_1)
	v_add_f32_e32 v16, v20, v16
	v_add_f32_e32 v39, v16, v17
.LBB586_23:                             ;   in Loop: Header=BB586_25 Depth=2
	s_or_b32 exec_lo, exec_lo, s46
	s_wait_loadcnt_dscnt 0x202
	v_dual_lshlrev_b32 v17, 16, v50 :: v_dual_lshlrev_b32 v16, 16, v49
	s_delay_alu instid0(VALU_DEP_1) | instskip(SKIP_1) | instid1(VALU_DEP_1)
	v_pk_mul_f32 v[14:15], v[14:15], v[16:17]
	s_wait_loadcnt_dscnt 0x0
	v_dual_add_f32 v14, v38, v14 :: v_dual_lshlrev_b32 v17, 16, v48
	s_delay_alu instid0(VALU_DEP_1) | instskip(SKIP_1) | instid1(VALU_DEP_1)
	v_add_f32_e32 v14, v14, v15
	v_lshlrev_b32_e32 v16, 16, v47
	v_pk_mul_f32 v[12:13], v[12:13], v[16:17]
	s_delay_alu instid0(VALU_DEP_1) | instskip(NEXT) | instid1(VALU_DEP_1)
	v_add_f32_e32 v12, v14, v12
	v_add_f32_e32 v38, v12, v13
.LBB586_24:                             ;   in Loop: Header=BB586_25 Depth=2
	s_or_b32 exec_lo, exec_lo, s45
	v_dual_add_nc_u32 v42, 16, v42 :: v_dual_add_nc_u32 v45, s40, v45
	v_dual_add_nc_u32 v46, s40, v46 :: v_dual_add_nc_u32 v44, s40, v44
	v_add_nc_u32_e32 v43, s40, v43
	s_delay_alu instid0(VALU_DEP_3) | instskip(SKIP_2) | instid1(SALU_CYCLE_1)
	v_cmp_le_i32_e32 vcc_lo, s37, v42
	s_add_co_i32 s44, s44, s41
	s_or_b32 s43, vcc_lo, s43
	s_and_not1_b32 exec_lo, exec_lo, s43
	s_cbranch_execz .LBB586_30
.LBB586_25:                             ;   Parent Loop BB586_4 Depth=1
                                        ; =>  This Inner Loop Header: Depth=2
	s_and_saveexec_b32 s45, s1
	s_cbranch_execz .LBB586_24
; %bb.26:                               ;   in Loop: Header=BB586_25 Depth=2
	v_dual_add_nc_u32 v12, s44, v36 :: v_dual_add_nc_u32 v13, s44, v31
	v_readfirstlane_b32 s46, v10
	v_readfirstlane_b32 s47, v11
	v_dual_add_nc_u32 v14, s44, v32 :: v_dual_add_nc_u32 v15, s44, v33
	s_clause 0x3
	flat_load_u16 v17, v12, s[46:47] scale_offset
	flat_load_u16 v18, v13, s[46:47] scale_offset
	;; [unrolled: 1-line block ×4, first 2 shown]
	v_dual_add_nc_u32 v16, s36, v43 :: v_dual_add_nc_u32 v20, s36, v46
	s_wait_xcnt 0x0
	v_readfirstlane_b32 s46, v8
	v_readfirstlane_b32 s47, v9
	v_dual_add_nc_u32 v24, s36, v45 :: v_dual_add_nc_u32 v22, s36, v44
	s_clause 0x3
	flat_load_u16 v49, v16, s[46:47] scale_offset
	flat_load_u16 v50, v20, s[46:47] scale_offset
	;; [unrolled: 1-line block ×4, first 2 shown]
	s_wait_loadcnt_dscnt 0x606
	v_dual_lshlrev_b32 v14, 16, v17 :: v_dual_lshlrev_b32 v15, 16, v18
	s_wait_loadcnt_dscnt 0x404
	v_dual_lshlrev_b32 v12, 16, v19 :: v_dual_lshlrev_b32 v13, 16, v21
	s_wait_xcnt 0x0
	s_and_saveexec_b32 s46, s2
	s_cbranch_execz .LBB586_23
; %bb.27:                               ;   in Loop: Header=BB586_25 Depth=2
	v_dual_ashrrev_i32 v17, 31, v16 :: v_dual_ashrrev_i32 v23, 31, v22
	v_ashrrev_i32_e32 v21, 31, v20
	v_ashrrev_i32_e32 v25, 31, v24
	s_delay_alu instid0(VALU_DEP_3) | instskip(NEXT) | instid1(VALU_DEP_4)
	v_lshl_add_u64 v[18:19], v[16:17], 1, v[8:9]
	v_lshl_add_u64 v[22:23], v[22:23], 1, v[8:9]
	s_delay_alu instid0(VALU_DEP_4) | instskip(NEXT) | instid1(VALU_DEP_4)
	v_lshl_add_u64 v[16:17], v[20:21], 1, v[8:9]
	v_lshl_add_u64 v[20:21], v[24:25], 1, v[8:9]
	s_clause 0x3
	flat_load_u16 v51, v[18:19] offset:128
	flat_load_u16 v52, v[16:17] offset:128
	;; [unrolled: 1-line block ×4, first 2 shown]
	s_wait_xcnt 0x0
	s_and_saveexec_b32 s47, s3
	s_cbranch_execz .LBB586_22
; %bb.28:                               ;   in Loop: Header=BB586_25 Depth=2
	s_clause 0x3
	flat_load_u16 v55, v[18:19] offset:256
	flat_load_u16 v56, v[16:17] offset:256
	flat_load_u16 v53, v[20:21] offset:256
	flat_load_u16 v54, v[22:23] offset:256
	s_wait_xcnt 0x0
	s_and_saveexec_b32 s48, s4
	s_cbranch_execz .LBB586_21
; %bb.29:                               ;   in Loop: Header=BB586_25 Depth=2
	s_clause 0x3
	flat_load_u16 v57, v[16:17] offset:384
	flat_load_u16 v58, v[18:19] offset:384
	;; [unrolled: 1-line block ×4, first 2 shown]
	s_wait_loadcnt_dscnt 0x202
	s_wait_xcnt 0x3
	v_dual_lshlrev_b32 v17, 16, v57 :: v_dual_lshlrev_b32 v16, 16, v58
	s_delay_alu instid0(VALU_DEP_1) | instskip(SKIP_2) | instid1(VALU_DEP_1)
	v_pk_mul_f32 v[16:17], v[14:15], v[16:17]
	s_wait_loadcnt_dscnt 0x101
	s_wait_xcnt 0x2
	v_dual_add_f32 v16, v41, v16 :: v_dual_lshlrev_b32 v19, 16, v59
	s_wait_loadcnt_dscnt 0x0
	s_wait_xcnt 0x0
	s_delay_alu instid0(VALU_DEP_1) | instskip(NEXT) | instid1(VALU_DEP_1)
	v_dual_lshlrev_b32 v18, 16, v60 :: v_dual_add_f32 v20, v16, v17
	v_pk_mul_f32 v[16:17], v[12:13], v[18:19]
	s_delay_alu instid0(VALU_DEP_1) | instskip(NEXT) | instid1(VALU_DEP_1)
	v_add_f32_e32 v16, v20, v16
	v_add_f32_e32 v41, v16, v17
	s_branch .LBB586_21
.LBB586_30:                             ;   in Loop: Header=BB586_4 Depth=1
	s_or_b32 exec_lo, exec_lo, s43
.LBB586_31:                             ;   in Loop: Header=BB586_4 Depth=1
	s_delay_alu instid0(SALU_CYCLE_1) | instskip(NEXT) | instid1(SALU_CYCLE_1)
	s_or_b32 exec_lo, exec_lo, s7
	s_and_not1_b32 vcc_lo, exec_lo, s38
	s_cbranch_vccnz .LBB586_49
; %bb.32:                               ;   in Loop: Header=BB586_4 Depth=1
	v_dual_mov_b32 v12, 0 :: v_dual_bitop2_b32 v16, 1, v42 bitop3:0x54
	v_cmp_gt_i32_e32 vcc_lo, s9, v42
	s_delay_alu instid0(VALU_DEP_2)
	v_dual_mov_b32 v13, v12 :: v_dual_mov_b32 v14, v12
	v_mov_b32_e32 v15, v12
	s_and_saveexec_b32 s43, vcc_lo
	s_cbranch_execz .LBB586_40
; %bb.33:                               ;   in Loop: Header=BB586_4 Depth=1
	v_mul_lo_u32 v12, v42, s35
	v_readfirstlane_b32 s44, v10
	v_readfirstlane_b32 s45, v11
	v_dual_mov_b32 v15, 0 :: v_dual_mov_b32 v13, 0
	flat_load_u16 v14, v12, s[44:45] scale_offset
	s_wait_xcnt 0x0
	v_mov_b32_e32 v12, 0
	s_mov_b32 s44, exec_lo
	v_cmpx_gt_i32_e64 s9, v16
	s_cbranch_execz .LBB586_39
; %bb.34:                               ;   in Loop: Header=BB586_4 Depth=1
	v_mul_lo_u32 v12, v16, s35
	v_readfirstlane_b32 s46, v10
	v_readfirstlane_b32 s47, v11
	v_dual_mov_b32 v13, 0 :: v_dual_bitop2_b32 v17, 2, v42 bitop3:0x54
	s_mov_b32 s45, exec_lo
	flat_load_u16 v15, v12, s[46:47] scale_offset
	s_wait_xcnt 0x0
	v_mov_b32_e32 v12, 0
	v_cmpx_gt_i32_e64 s9, v17
	s_cbranch_execz .LBB586_38
; %bb.35:                               ;   in Loop: Header=BB586_4 Depth=1
	v_mul_lo_u32 v12, v17, s35
	v_readfirstlane_b32 s46, v10
	v_readfirstlane_b32 s47, v11
	v_dual_mov_b32 v13, 0 :: v_dual_bitop2_b32 v17, 3, v42 bitop3:0x54
	flat_load_u16 v12, v12, s[46:47] scale_offset
	s_wait_xcnt 0x0
	s_mov_b32 s46, exec_lo
	v_cmpx_gt_i32_e64 s9, v17
	s_cbranch_execz .LBB586_37
; %bb.36:                               ;   in Loop: Header=BB586_4 Depth=1
	v_mul_lo_u32 v13, v17, s35
	v_readfirstlane_b32 s48, v10
	v_readfirstlane_b32 s49, v11
	flat_load_u16 v10, v13, s[48:49] scale_offset
	s_wait_loadcnt_dscnt 0x0
	s_wait_xcnt 0x0
	v_lshlrev_b32_e32 v13, 16, v10
.LBB586_37:                             ;   in Loop: Header=BB586_4 Depth=1
	s_or_b32 exec_lo, exec_lo, s46
	s_wait_loadcnt_dscnt 0x0
	v_lshlrev_b32_e32 v12, 16, v12
.LBB586_38:                             ;   in Loop: Header=BB586_4 Depth=1
	s_or_b32 exec_lo, exec_lo, s45
	s_wait_loadcnt_dscnt 0x0
	v_lshlrev_b32_e32 v15, 16, v15
.LBB586_39:                             ;   in Loop: Header=BB586_4 Depth=1
	s_or_b32 exec_lo, exec_lo, s44
	s_wait_loadcnt_dscnt 0x0
	v_lshlrev_b32_e32 v14, 16, v14
.LBB586_40:                             ;   in Loop: Header=BB586_4 Depth=1
	s_or_b32 exec_lo, exec_lo, s43
	s_and_saveexec_b32 s43, s1
	s_cbranch_execz .LBB586_48
; %bb.41:                               ;   in Loop: Header=BB586_4 Depth=1
	v_mul_lo_u32 v17, v16, s34
	v_mul_lo_u32 v20, v42, s34
	v_cmp_gt_i32_e64 s7, s9, v16
	v_or_b32_e32 v10, 2, v42
	v_or_b32_e32 v11, 3, v42
	v_readfirstlane_b32 s44, v8
	v_readfirstlane_b32 s45, v9
	v_cndmask_b32_e64 v16, 0, v17, s7
	v_mul_lo_u32 v18, v10, s34
	v_cndmask_b32_e32 v17, 0, v20, vcc_lo
	v_mul_lo_u32 v19, v11, s34
	v_cmp_gt_i32_e64 s7, s9, v10
	s_delay_alu instid0(VALU_DEP_1) | instskip(SKIP_1) | instid1(VALU_DEP_1)
	v_cndmask_b32_e64 v10, 0, v18, s7
	v_cmp_gt_i32_e64 s7, s9, v11
	v_cndmask_b32_e64 v11, 0, v19, s7
	s_delay_alu instid0(VALU_DEP_3) | instskip(NEXT) | instid1(VALU_DEP_2)
	v_dual_add_nc_u32 v16, v16, v27 :: v_dual_add_nc_u32 v18, v10, v27
	v_dual_add_nc_u32 v10, v17, v27 :: v_dual_add_nc_u32 v20, v11, v27
	s_clause 0x3
	flat_load_u16 v24, v16, s[44:45] scale_offset
	flat_load_u16 v22, v18, s[44:45] scale_offset
	;; [unrolled: 1-line block ×4, first 2 shown]
	s_wait_xcnt 0x0
	s_and_saveexec_b32 s7, s2
	s_cbranch_execz .LBB586_47
; %bb.42:                               ;   in Loop: Header=BB586_4 Depth=1
	v_dual_ashrrev_i32 v11, 31, v10 :: v_dual_ashrrev_i32 v17, 31, v16
	v_dual_ashrrev_i32 v19, 31, v18 :: v_dual_ashrrev_i32 v21, 31, v20
	s_delay_alu instid0(VALU_DEP_2) | instskip(NEXT) | instid1(VALU_DEP_3)
	v_lshl_add_u64 v[10:11], v[10:11], 1, v[8:9]
	v_lshl_add_u64 v[16:17], v[16:17], 1, v[8:9]
	s_delay_alu instid0(VALU_DEP_3) | instskip(NEXT) | instid1(VALU_DEP_4)
	v_lshl_add_u64 v[18:19], v[18:19], 1, v[8:9]
	v_lshl_add_u64 v[8:9], v[20:21], 1, v[8:9]
	s_clause 0x3
	flat_load_u16 v42, v[10:11] offset:128
	flat_load_u16 v43, v[16:17] offset:128
	;; [unrolled: 1-line block ×4, first 2 shown]
	s_wait_xcnt 0x0
	s_and_saveexec_b32 s44, s3
	s_cbranch_execz .LBB586_46
; %bb.43:                               ;   in Loop: Header=BB586_4 Depth=1
	s_clause 0x3
	flat_load_u16 v46, v[10:11] offset:256
	flat_load_u16 v47, v[16:17] offset:256
	;; [unrolled: 1-line block ×4, first 2 shown]
	s_wait_xcnt 0x0
	s_and_saveexec_b32 s45, s4
	s_cbranch_execz .LBB586_45
; %bb.44:                               ;   in Loop: Header=BB586_4 Depth=1
	s_clause 0x3
	flat_load_u16 v48, v[16:17] offset:384
	flat_load_u16 v49, v[10:11] offset:384
	;; [unrolled: 1-line block ×4, first 2 shown]
	s_wait_loadcnt_dscnt 0x202
	s_wait_xcnt 0x1
	v_dual_lshlrev_b32 v9, 16, v48 :: v_dual_lshlrev_b32 v8, 16, v49
	s_delay_alu instid0(VALU_DEP_1) | instskip(SKIP_1) | instid1(VALU_DEP_1)
	v_pk_mul_f32 v[8:9], v[14:15], v[8:9]
	s_wait_loadcnt_dscnt 0x101
	v_dual_add_f32 v8, v41, v8 :: v_dual_lshlrev_b32 v11, 16, v50
	s_wait_loadcnt_dscnt 0x0
	s_delay_alu instid0(VALU_DEP_1) | instskip(NEXT) | instid1(VALU_DEP_1)
	v_dual_lshlrev_b32 v10, 16, v51 :: v_dual_add_f32 v16, v8, v9
	v_pk_mul_f32 v[8:9], v[12:13], v[10:11]
	s_delay_alu instid0(VALU_DEP_1) | instskip(NEXT) | instid1(VALU_DEP_1)
	v_add_f32_e32 v8, v16, v8
	v_add_f32_e32 v41, v8, v9
.LBB586_45:                             ;   in Loop: Header=BB586_4 Depth=1
	s_wait_xcnt 0x0
	s_or_b32 exec_lo, exec_lo, s45
	s_wait_loadcnt_dscnt 0x202
	v_dual_lshlrev_b32 v9, 16, v47 :: v_dual_lshlrev_b32 v8, 16, v46
	s_delay_alu instid0(VALU_DEP_1) | instskip(SKIP_1) | instid1(VALU_DEP_1)
	v_pk_mul_f32 v[8:9], v[14:15], v[8:9]
	s_wait_loadcnt_dscnt 0x0
	v_dual_add_f32 v8, v40, v8 :: v_dual_lshlrev_b32 v11, 16, v45
	s_delay_alu instid0(VALU_DEP_1) | instskip(NEXT) | instid1(VALU_DEP_1)
	v_dual_lshlrev_b32 v10, 16, v44 :: v_dual_add_f32 v16, v8, v9
	v_pk_mul_f32 v[8:9], v[12:13], v[10:11]
	s_delay_alu instid0(VALU_DEP_1) | instskip(NEXT) | instid1(VALU_DEP_1)
	v_add_f32_e32 v8, v16, v8
	v_add_f32_e32 v40, v8, v9
.LBB586_46:                             ;   in Loop: Header=BB586_4 Depth=1
	s_or_b32 exec_lo, exec_lo, s44
	s_wait_loadcnt_dscnt 0x202
	v_dual_lshlrev_b32 v9, 16, v43 :: v_dual_lshlrev_b32 v8, 16, v42
	s_delay_alu instid0(VALU_DEP_1) | instskip(SKIP_1) | instid1(VALU_DEP_1)
	v_pk_mul_f32 v[8:9], v[14:15], v[8:9]
	s_wait_loadcnt_dscnt 0x0
	v_dual_add_f32 v8, v39, v8 :: v_dual_lshlrev_b32 v11, 16, v21
	s_delay_alu instid0(VALU_DEP_1) | instskip(NEXT) | instid1(VALU_DEP_1)
	v_dual_lshlrev_b32 v10, 16, v20 :: v_dual_add_f32 v16, v8, v9
	v_pk_mul_f32 v[8:9], v[12:13], v[10:11]
	s_delay_alu instid0(VALU_DEP_1) | instskip(NEXT) | instid1(VALU_DEP_1)
	v_add_f32_e32 v8, v16, v8
	v_add_f32_e32 v39, v8, v9
.LBB586_47:                             ;   in Loop: Header=BB586_4 Depth=1
	s_or_b32 exec_lo, exec_lo, s7
	s_wait_loadcnt_dscnt 0x0
	v_dual_lshlrev_b32 v9, 16, v24 :: v_dual_lshlrev_b32 v8, 16, v25
	s_delay_alu instid0(VALU_DEP_1) | instskip(NEXT) | instid1(VALU_DEP_1)
	v_pk_mul_f32 v[8:9], v[14:15], v[8:9]
	v_dual_add_f32 v8, v38, v8 :: v_dual_lshlrev_b32 v11, 16, v23
	s_delay_alu instid0(VALU_DEP_1) | instskip(NEXT) | instid1(VALU_DEP_1)
	v_dual_lshlrev_b32 v10, 16, v22 :: v_dual_add_f32 v14, v8, v9
	v_pk_mul_f32 v[8:9], v[12:13], v[10:11]
	s_delay_alu instid0(VALU_DEP_1) | instskip(NEXT) | instid1(VALU_DEP_1)
	v_add_f32_e32 v8, v14, v8
	v_add_f32_e32 v38, v8, v9
.LBB586_48:                             ;   in Loop: Header=BB586_4 Depth=1
	s_or_b32 exec_lo, exec_lo, s43
.LBB586_49:                             ;   in Loop: Header=BB586_4 Depth=1
	ds_store_2addr_stride64_b32 v0, v38, v39 offset1:1
	ds_store_2addr_stride64_b32 v0, v40, v41 offset0:2 offset1:3
	s_wait_dscnt 0x0
	s_barrier_signal -1
	s_barrier_wait -1
                                        ; implicit-def: $vgpr12
	s_and_saveexec_b32 s7, s5
	s_cbranch_execz .LBB586_71
; %bb.50:                               ;   in Loop: Header=BB586_4 Depth=1
	ds_load_2addr_stride64_b32 v[8:9], v28 offset1:4
	ds_load_2addr_stride64_b32 v[10:11], v28 offset0:8 offset1:12
	s_mov_b32 s44, s8
                                        ; implicit-def: $vgpr12
	s_wait_dscnt 0x1
	v_add_f32_e32 v8, v8, v9
	s_wait_dscnt 0x0
	s_delay_alu instid0(VALU_DEP_1) | instskip(NEXT) | instid1(VALU_DEP_1)
	v_add_f32_e32 v8, v10, v8
	v_add_f32_e32 v8, v11, v8
	ds_store_b32 v28, v8
	s_and_saveexec_b32 s43, s6
	s_cbranch_execz .LBB586_70
; %bb.51:                               ;   in Loop: Header=BB586_4 Depth=1
	v_mul_f32_e32 v8, v37, v8
	s_cmp_eq_f32 s42, 0
	s_cbranch_scc0 .LBB586_59
; %bb.52:                               ;   in Loop: Header=BB586_4 Depth=1
	s_delay_alu instid0(VALU_DEP_1) | instskip(NEXT) | instid1(VALU_DEP_1)
	v_and_b32_e32 v9, 0x7f800000, v8
	v_cmp_ne_u32_e32 vcc_lo, 0x7f800000, v9
                                        ; implicit-def: $vgpr9
	s_and_saveexec_b32 s44, vcc_lo
	s_delay_alu instid0(SALU_CYCLE_1)
	s_xor_b32 s44, exec_lo, s44
; %bb.53:                               ;   in Loop: Header=BB586_4 Depth=1
	v_bfe_u32 v9, v8, 16, 1
	s_delay_alu instid0(VALU_DEP_1)
	v_add3_u32 v9, v8, v9, 0x7fff
; %bb.54:                               ;   in Loop: Header=BB586_4 Depth=1
	s_and_not1_saveexec_b32 s44, s44
; %bb.55:                               ;   in Loop: Header=BB586_4 Depth=1
	v_and_b32_e32 v9, 0xffff, v8
	v_or_b32_e32 v10, 0x10000, v8
	s_delay_alu instid0(VALU_DEP_2) | instskip(NEXT) | instid1(VALU_DEP_2)
	v_cmp_eq_u32_e32 vcc_lo, 0, v9
	v_cndmask_b32_e32 v9, v10, v8, vcc_lo
; %bb.56:                               ;   in Loop: Header=BB586_4 Depth=1
	s_or_b32 exec_lo, exec_lo, s44
	s_cbranch_execz .LBB586_60
	s_branch .LBB586_69
.LBB586_57:                             ;   in Loop: Header=BB586_4 Depth=1
	v_mov_b32_e32 v12, 0
	s_mov_b32 s8, exec_lo
	s_or_b32 exec_lo, exec_lo, s43
	s_delay_alu instid0(SALU_CYCLE_1)
	s_and_b32 vcc_lo, exec_lo, s7
	s_cbranch_vccnz .LBB586_19
.LBB586_58:                             ;   in Loop: Header=BB586_4 Depth=1
	v_mov_b64_e32 v[8:9], v[2:3]
	s_wait_xcnt 0x0
	s_and_saveexec_b32 s7, s8
	s_cbranch_execz .LBB586_2
	s_branch .LBB586_72
.LBB586_59:                             ;   in Loop: Header=BB586_4 Depth=1
                                        ; implicit-def: $vgpr9
.LBB586_60:                             ;   in Loop: Header=BB586_4 Depth=1
	v_lshl_add_u64 v[10:11], v[4:5], 1, v[6:7]
	flat_load_u16 v9, v[10:11]
	s_wait_loadcnt_dscnt 0x0
	v_lshlrev_b32_e32 v9, 16, v9
	s_delay_alu instid0(VALU_DEP_1) | instskip(SKIP_1) | instid1(VALU_DEP_1)
	v_mul_f32_e32 v9, s42, v9
	s_wait_xcnt 0x0
	v_and_b32_e32 v10, 0x7f800000, v9
	s_delay_alu instid0(VALU_DEP_1) | instskip(SKIP_1) | instid1(SALU_CYCLE_1)
	v_cmp_ne_u32_e32 vcc_lo, 0x7f800000, v10
                                        ; implicit-def: $vgpr10
	s_and_saveexec_b32 s42, vcc_lo
	s_xor_b32 s42, exec_lo, s42
; %bb.61:                               ;   in Loop: Header=BB586_4 Depth=1
	v_bfe_u32 v10, v9, 16, 1
	s_delay_alu instid0(VALU_DEP_1)
	v_add3_u32 v10, v9, v10, 0x7fff
                                        ; implicit-def: $vgpr9
; %bb.62:                               ;   in Loop: Header=BB586_4 Depth=1
	s_and_not1_saveexec_b32 s42, s42
; %bb.63:                               ;   in Loop: Header=BB586_4 Depth=1
	v_and_b32_e32 v10, 0xffff, v9
	v_or_b32_e32 v11, 0x10000, v9
	s_delay_alu instid0(VALU_DEP_2) | instskip(NEXT) | instid1(VALU_DEP_2)
	v_cmp_eq_u32_e32 vcc_lo, 0, v10
	v_cndmask_b32_e32 v10, v11, v9, vcc_lo
; %bb.64:                               ;   in Loop: Header=BB586_4 Depth=1
	s_or_b32 exec_lo, exec_lo, s42
	s_delay_alu instid0(VALU_DEP_1) | instskip(NEXT) | instid1(VALU_DEP_1)
	v_and_b32_e32 v9, 0xffff0000, v10
	v_add_f32_e32 v8, v8, v9
	s_delay_alu instid0(VALU_DEP_1) | instskip(NEXT) | instid1(VALU_DEP_1)
	v_and_b32_e32 v9, 0x7f800000, v8
	v_cmp_ne_u32_e32 vcc_lo, 0x7f800000, v9
                                        ; implicit-def: $vgpr9
	s_and_saveexec_b32 s42, vcc_lo
	s_delay_alu instid0(SALU_CYCLE_1)
	s_xor_b32 s42, exec_lo, s42
; %bb.65:                               ;   in Loop: Header=BB586_4 Depth=1
	v_bfe_u32 v9, v8, 16, 1
	s_delay_alu instid0(VALU_DEP_1)
	v_add3_u32 v9, v8, v9, 0x7fff
                                        ; implicit-def: $vgpr8
; %bb.66:                               ;   in Loop: Header=BB586_4 Depth=1
	s_and_not1_saveexec_b32 s42, s42
; %bb.67:                               ;   in Loop: Header=BB586_4 Depth=1
	v_and_b32_e32 v9, 0xffff, v8
	v_or_b32_e32 v10, 0x10000, v8
	s_delay_alu instid0(VALU_DEP_2) | instskip(NEXT) | instid1(VALU_DEP_2)
	v_cmp_eq_u32_e32 vcc_lo, 0, v9
	v_cndmask_b32_e32 v9, v10, v8, vcc_lo
; %bb.68:                               ;   in Loop: Header=BB586_4 Depth=1
	s_or_b32 exec_lo, exec_lo, s42
.LBB586_69:                             ;   in Loop: Header=BB586_4 Depth=1
	s_delay_alu instid0(VALU_DEP_1)
	v_lshrrev_b32_e32 v12, 16, v9
	s_or_b32 s44, s8, exec_lo
.LBB586_70:                             ;   in Loop: Header=BB586_4 Depth=1
	s_or_b32 exec_lo, exec_lo, s43
	s_delay_alu instid0(SALU_CYCLE_1) | instskip(SKIP_1) | instid1(SALU_CYCLE_1)
	s_and_not1_b32 s8, s8, exec_lo
	s_and_b32 s42, s44, exec_lo
	s_or_b32 s8, s8, s42
.LBB586_71:                             ;   in Loop: Header=BB586_4 Depth=1
	s_or_b32 exec_lo, exec_lo, s7
	v_mov_b64_e32 v[8:9], v[4:5]
	s_and_saveexec_b32 s7, s8
	s_cbranch_execz .LBB586_2
.LBB586_72:                             ;   in Loop: Header=BB586_4 Depth=1
	s_delay_alu instid0(VALU_DEP_1)
	v_lshl_add_u64 v[6:7], v[8:9], 1, v[6:7]
	flat_store_b16 v[6:7], v12
	s_branch .LBB586_2
.LBB586_73:
	s_endpgm
	.section	.rodata,"a",@progbits
	.p2align	6, 0x0
	.amdhsa_kernel _ZL20rocblas_gemvn_kernelILi64ELi4EiPK16rocblas_bfloat16PKfKPS0_EviiT3_lPKT2_lT1_lSA_lSB_lS7_lPT4_lSB_li
		.amdhsa_group_segment_fixed_size 4096
		.amdhsa_private_segment_fixed_size 0
		.amdhsa_kernarg_size 400
		.amdhsa_user_sgpr_count 2
		.amdhsa_user_sgpr_dispatch_ptr 0
		.amdhsa_user_sgpr_queue_ptr 0
		.amdhsa_user_sgpr_kernarg_segment_ptr 1
		.amdhsa_user_sgpr_dispatch_id 0
		.amdhsa_user_sgpr_kernarg_preload_length 0
		.amdhsa_user_sgpr_kernarg_preload_offset 0
		.amdhsa_user_sgpr_private_segment_size 0
		.amdhsa_wavefront_size32 1
		.amdhsa_uses_dynamic_stack 0
		.amdhsa_enable_private_segment 0
		.amdhsa_system_sgpr_workgroup_id_x 1
		.amdhsa_system_sgpr_workgroup_id_y 0
		.amdhsa_system_sgpr_workgroup_id_z 1
		.amdhsa_system_sgpr_workgroup_info 0
		.amdhsa_system_vgpr_workitem_id 1
		.amdhsa_next_free_vgpr 61
		.amdhsa_next_free_sgpr 50
		.amdhsa_named_barrier_count 0
		.amdhsa_reserve_vcc 1
		.amdhsa_float_round_mode_32 0
		.amdhsa_float_round_mode_16_64 0
		.amdhsa_float_denorm_mode_32 3
		.amdhsa_float_denorm_mode_16_64 3
		.amdhsa_fp16_overflow 0
		.amdhsa_memory_ordered 1
		.amdhsa_forward_progress 1
		.amdhsa_inst_pref_size 29
		.amdhsa_round_robin_scheduling 0
		.amdhsa_exception_fp_ieee_invalid_op 0
		.amdhsa_exception_fp_denorm_src 0
		.amdhsa_exception_fp_ieee_div_zero 0
		.amdhsa_exception_fp_ieee_overflow 0
		.amdhsa_exception_fp_ieee_underflow 0
		.amdhsa_exception_fp_ieee_inexact 0
		.amdhsa_exception_int_div_zero 0
	.end_amdhsa_kernel
	.section	.text._ZL20rocblas_gemvn_kernelILi64ELi4EiPK16rocblas_bfloat16PKfKPS0_EviiT3_lPKT2_lT1_lSA_lSB_lS7_lPT4_lSB_li,"axG",@progbits,_ZL20rocblas_gemvn_kernelILi64ELi4EiPK16rocblas_bfloat16PKfKPS0_EviiT3_lPKT2_lT1_lSA_lSB_lS7_lPT4_lSB_li,comdat
.Lfunc_end586:
	.size	_ZL20rocblas_gemvn_kernelILi64ELi4EiPK16rocblas_bfloat16PKfKPS0_EviiT3_lPKT2_lT1_lSA_lSB_lS7_lPT4_lSB_li, .Lfunc_end586-_ZL20rocblas_gemvn_kernelILi64ELi4EiPK16rocblas_bfloat16PKfKPS0_EviiT3_lPKT2_lT1_lSA_lSB_lS7_lPT4_lSB_li
                                        ; -- End function
	.set _ZL20rocblas_gemvn_kernelILi64ELi4EiPK16rocblas_bfloat16PKfKPS0_EviiT3_lPKT2_lT1_lSA_lSB_lS7_lPT4_lSB_li.num_vgpr, 61
	.set _ZL20rocblas_gemvn_kernelILi64ELi4EiPK16rocblas_bfloat16PKfKPS0_EviiT3_lPKT2_lT1_lSA_lSB_lS7_lPT4_lSB_li.num_agpr, 0
	.set _ZL20rocblas_gemvn_kernelILi64ELi4EiPK16rocblas_bfloat16PKfKPS0_EviiT3_lPKT2_lT1_lSA_lSB_lS7_lPT4_lSB_li.numbered_sgpr, 50
	.set _ZL20rocblas_gemvn_kernelILi64ELi4EiPK16rocblas_bfloat16PKfKPS0_EviiT3_lPKT2_lT1_lSA_lSB_lS7_lPT4_lSB_li.num_named_barrier, 0
	.set _ZL20rocblas_gemvn_kernelILi64ELi4EiPK16rocblas_bfloat16PKfKPS0_EviiT3_lPKT2_lT1_lSA_lSB_lS7_lPT4_lSB_li.private_seg_size, 0
	.set _ZL20rocblas_gemvn_kernelILi64ELi4EiPK16rocblas_bfloat16PKfKPS0_EviiT3_lPKT2_lT1_lSA_lSB_lS7_lPT4_lSB_li.uses_vcc, 1
	.set _ZL20rocblas_gemvn_kernelILi64ELi4EiPK16rocblas_bfloat16PKfKPS0_EviiT3_lPKT2_lT1_lSA_lSB_lS7_lPT4_lSB_li.uses_flat_scratch, 1
	.set _ZL20rocblas_gemvn_kernelILi64ELi4EiPK16rocblas_bfloat16PKfKPS0_EviiT3_lPKT2_lT1_lSA_lSB_lS7_lPT4_lSB_li.has_dyn_sized_stack, 0
	.set _ZL20rocblas_gemvn_kernelILi64ELi4EiPK16rocblas_bfloat16PKfKPS0_EviiT3_lPKT2_lT1_lSA_lSB_lS7_lPT4_lSB_li.has_recursion, 0
	.set _ZL20rocblas_gemvn_kernelILi64ELi4EiPK16rocblas_bfloat16PKfKPS0_EviiT3_lPKT2_lT1_lSA_lSB_lS7_lPT4_lSB_li.has_indirect_call, 0
	.section	.AMDGPU.csdata,"",@progbits
; Kernel info:
; codeLenInByte = 3664
; TotalNumSgprs: 52
; NumVgprs: 61
; ScratchSize: 0
; MemoryBound: 0
; FloatMode: 240
; IeeeMode: 1
; LDSByteSize: 4096 bytes/workgroup (compile time only)
; SGPRBlocks: 0
; VGPRBlocks: 3
; NumSGPRsForWavesPerEU: 52
; NumVGPRsForWavesPerEU: 61
; NamedBarCnt: 0
; Occupancy: 16
; WaveLimiterHint : 1
; COMPUTE_PGM_RSRC2:SCRATCH_EN: 0
; COMPUTE_PGM_RSRC2:USER_SGPR: 2
; COMPUTE_PGM_RSRC2:TRAP_HANDLER: 0
; COMPUTE_PGM_RSRC2:TGID_X_EN: 1
; COMPUTE_PGM_RSRC2:TGID_Y_EN: 0
; COMPUTE_PGM_RSRC2:TGID_Z_EN: 1
; COMPUTE_PGM_RSRC2:TIDIG_COMP_CNT: 1
	.section	.text._ZL20rocblas_gemvn_kernelILi64ELi4ElPK16rocblas_bfloat16PKfKPS0_EviiT3_lPKT2_lT1_lSA_lSB_lS7_lPT4_lSB_li,"axG",@progbits,_ZL20rocblas_gemvn_kernelILi64ELi4ElPK16rocblas_bfloat16PKfKPS0_EviiT3_lPKT2_lT1_lSA_lSB_lS7_lPT4_lSB_li,comdat
	.globl	_ZL20rocblas_gemvn_kernelILi64ELi4ElPK16rocblas_bfloat16PKfKPS0_EviiT3_lPKT2_lT1_lSA_lSB_lS7_lPT4_lSB_li ; -- Begin function _ZL20rocblas_gemvn_kernelILi64ELi4ElPK16rocblas_bfloat16PKfKPS0_EviiT3_lPKT2_lT1_lSA_lSB_lS7_lPT4_lSB_li
	.p2align	8
	.type	_ZL20rocblas_gemvn_kernelILi64ELi4ElPK16rocblas_bfloat16PKfKPS0_EviiT3_lPKT2_lT1_lSA_lSB_lS7_lPT4_lSB_li,@function
_ZL20rocblas_gemvn_kernelILi64ELi4ElPK16rocblas_bfloat16PKfKPS0_EviiT3_lPKT2_lT1_lSA_lSB_lS7_lPT4_lSB_li: ; @_ZL20rocblas_gemvn_kernelILi64ELi4ElPK16rocblas_bfloat16PKfKPS0_EviiT3_lPKT2_lT1_lSA_lSB_lS7_lPT4_lSB_li
; %bb.0:
	s_clause 0x1
	s_load_b64 s[2:3], s[0:1], 0x9c
	s_load_b32 s33, s[0:1], 0x88
	s_bfe_u32 s4, ttmp6, 0x40014
	s_lshr_b32 s5, ttmp7, 16
	s_add_co_i32 s4, s4, 1
	s_bfe_u32 s6, ttmp6, 0x40008
	s_mul_i32 s7, s5, s4
	s_getreg_b32 s4, hwreg(HW_REG_IB_STS2, 6, 4)
	s_add_co_i32 s6, s6, s7
	s_mov_b32 s11, 0
	s_wait_kmcnt 0x0
	s_lshr_b32 s7, s2, 16
	s_and_b32 s2, s2, 0xffff
	s_and_b32 s3, s3, 0xffff
	s_mul_i32 s2, s7, s2
	s_cmp_eq_u32 s4, 0
	s_mul_i32 s2, s2, s3
	s_cselect_b32 s10, s5, s6
	s_cmp_lg_u32 s2, 0x100
	s_cselect_b32 s2, -1, 0
	s_cmp_ge_u32 s10, s33
	s_cselect_b32 s3, -1, 0
	s_delay_alu instid0(SALU_CYCLE_1) | instskip(NEXT) | instid1(SALU_CYCLE_1)
	s_or_b32 s2, s2, s3
	s_and_b32 vcc_lo, exec_lo, s2
	s_cbranch_vccnz .LBB587_73
; %bb.1:
	s_clause 0x2
	s_load_b64 s[34:35], s[0:1], 0x0
	s_load_b64 s[36:37], s[0:1], 0x28
	;; [unrolled: 1-line block ×3, first 2 shown]
	s_bfe_u32 s5, ttmp6, 0x4000c
	v_and_b32_e32 v28, 0x3ff, v0
	s_add_co_i32 s5, s5, 1
	v_bfe_u32 v6, v0, 10, 10
	s_clause 0x1
	s_load_b64 s[38:39], s[0:1], 0x48
	s_load_b128 s[28:31], s[0:1], 0x38
	s_and_b32 s6, ttmp6, 15
	s_mul_i32 s5, ttmp9, s5
	v_lshl_add_u32 v29, v6, 6, v28
	s_add_co_i32 s6, s6, s5
	s_cmp_eq_u32 s4, 0
	s_load_b256 s[12:19], s[0:1], 0x8
	s_cselect_b32 s4, ttmp9, s6
	s_load_b256 s[20:27], s[0:1], 0x58
	s_lshl_b32 s6, s4, 8
	s_delay_alu instid0(SALU_CYCLE_1)
	v_dual_mov_b32 v1, 0 :: v_dual_add_nc_u32 v0, s6, v29
	v_lshlrev_b32_e32 v52, 2, v6
	s_wait_kmcnt 0x0
	s_ashr_i32 s5, s34, 31
	s_mov_b32 s4, s34
	v_mov_b32_e32 v7, v1
	v_mul_u64_e32 v[2:3], s[2:3], v[0:1]
	v_cmp_gt_i64_e32 vcc_lo, s[4:5], v[0:1]
	v_or_b32_e32 v14, s6, v28
	v_or_b32_e32 v0, 3, v52
	;; [unrolled: 1-line block ×3, first 2 shown]
	v_mul_u64_e32 v[8:9], s[38:39], v[6:7]
	v_mul_u64_e32 v[18:19], s[36:37], v[6:7]
	v_ashrrev_i32_e32 v15, 31, v14
	v_mul_u64_e32 v[10:11], s[36:37], v[0:1]
	v_mul_u64_e32 v[12:13], s[38:39], v[0:1]
	v_or_b32_e32 v0, 2, v52
	v_mad_nc_u64_u32 v[24:25], s38, v52, s[38:39]
	v_mad_nc_u64_u32 v[26:27], s36, v52, s[36:37]
	s_ashr_i32 s4, s35, 31
	v_cmp_gt_u32_e64 s5, 0x100, v29
	v_mul_u64_e32 v[20:21], s[36:37], v[0:1]
	v_mul_u64_e32 v[22:23], s[38:39], v[0:1]
	v_dual_add_nc_u32 v0, 64, v14 :: v_dual_ashrrev_i32 v17, 31, v16
	s_lshr_b32 s4, s4, 28
	v_cmp_gt_i32_e64 s6, s34, v16
	s_add_co_i32 s4, s35, s4
	v_mad_u32 v25, s39, v52, v25
	v_mul_u64_e32 v[4:5], s[2:3], v[16:17]
	v_mad_u32 v27, s37, v52, v27
	v_cmp_gt_i32_e64 s2, s34, v0
	v_lshlrev_b32_e32 v0, 2, v28
	v_add_nc_u32_e32 v7, 0x80, v14
	v_add_nc_u32_e32 v17, 0xc0, v14
	s_and_b32 s44, s4, -16
	v_cmp_gt_i32_e64 s1, s34, v14
	s_sub_co_i32 s4, s35, s44
	v_cmp_gt_i32_e64 s3, s34, v7
	s_cmp_gt_i32 s4, 0
	v_cmp_gt_i32_e64 s4, s34, v17
	v_lshl_add_u32 v53, v6, 10, v0
	v_lshl_add_u32 v54, v6, 8, v0
	v_lshlrev_b64_e32 v[6:7], 3, v[8:9]
	v_lshlrev_b64_e32 v[8:9], 1, v[14:15]
	;; [unrolled: 1-line block ×5, first 2 shown]
	v_cmp_gt_i32_e64 s0, s44, v52
	s_cselect_b32 s45, -1, 0
	s_and_b32 s34, s5, vcc_lo
	s_lshl_b64 s[40:41], s[38:39], 5
	s_lshl_b64 s[42:43], s[36:37], 5
	v_lshlrev_b64_e32 v[16:17], 1, v[20:21]
	v_lshlrev_b64_e32 v[18:19], 1, v[22:23]
	;; [unrolled: 1-line block ×4, first 2 shown]
	s_lshl_b64 s[18:19], s[18:19], 1
	s_lshl_b64 s[30:31], s[30:31], 1
	;; [unrolled: 1-line block ×3, first 2 shown]
	s_branch .LBB587_4
.LBB587_2:                              ;   in Loop: Header=BB587_4 Depth=1
	s_wait_xcnt 0x0
	s_or_b32 exec_lo, exec_lo, s7
.LBB587_3:                              ;   in Loop: Header=BB587_4 Depth=1
	s_add_co_i32 s10, s10, 0x10000
	s_delay_alu instid0(SALU_CYCLE_1)
	s_cmp_lt_u32 s10, s33
	s_cbranch_scc0 .LBB587_73
.LBB587_4:                              ; =>This Loop Header: Depth=1
                                        ;     Child Loop BB587_25 Depth 2
	s_mul_u64 s[8:9], s[14:15], s[10:11]
	s_mul_u64 s[46:47], s[22:23], s[10:11]
	s_lshl_b64 s[8:9], s[8:9], 2
	s_lshl_b64 s[46:47], s[46:47], 2
	s_add_nc_u64 s[8:9], s[12:13], s[8:9]
	s_add_nc_u64 s[46:47], s[20:21], s[46:47]
	s_clause 0x1
	global_load_b32 v55, v1, s[8:9]
	global_load_b32 v0, v1, s[46:47]
	s_wait_loadcnt 0x1
	v_cmp_eq_f32_e64 s7, 0, v55
	s_wait_loadcnt 0x0
	v_cmp_eq_f32_e32 vcc_lo, 1.0, v0
	s_wait_xcnt 0x0
	v_readfirstlane_b32 s47, v0
	s_and_b32 s8, s7, vcc_lo
	s_delay_alu instid0(SALU_CYCLE_1)
	s_and_b32 vcc_lo, exec_lo, s8
	s_cbranch_vccnz .LBB587_3
; %bb.5:                                ;   in Loop: Header=BB587_4 Depth=1
	v_mov_b64_e32 v[28:29], 0
	v_mov_b64_e32 v[26:27], 0
	v_cmp_neq_f32_e64 s8, 0, v55
	s_and_b32 vcc_lo, exec_lo, s7
	s_cbranch_vccnz .LBB587_7
; %bb.6:                                ;   in Loop: Header=BB587_4 Depth=1
	s_lshl_b64 s[48:49], s[10:11], 3
	s_delay_alu instid0(SALU_CYCLE_1)
	s_add_nc_u64 s[48:49], s[16:17], s[48:49]
	global_load_b64 v[24:25], v1, s[48:49]
	s_wait_loadcnt 0x0
	v_add_nc_u64_e32 v[26:27], s[18:19], v[24:25]
.LBB587_7:                              ;   in Loop: Header=BB587_4 Depth=1
	s_and_not1_b32 vcc_lo, exec_lo, s8
	s_cbranch_vccnz .LBB587_9
; %bb.8:                                ;   in Loop: Header=BB587_4 Depth=1
	s_lshl_b64 s[8:9], s[10:11], 3
	s_delay_alu instid0(SALU_CYCLE_1)
	s_add_nc_u64 s[8:9], s[28:29], s[8:9]
	global_load_b64 v[24:25], v1, s[8:9]
	s_wait_loadcnt 0x0
	v_add_nc_u64_e32 v[28:29], s[30:31], v[24:25]
.LBB587_9:                              ;   in Loop: Header=BB587_4 Depth=1
	s_wait_xcnt 0x0
	s_lshl_b64 s[8:9], s[10:11], 3
	s_and_not1_b32 vcc_lo, exec_lo, s7
	s_add_nc_u64 s[8:9], s[24:25], s[8:9]
	global_load_b64 v[24:25], v1, s[8:9]
	s_wait_loadcnt 0x0
	v_add_nc_u64_e32 v[24:25], s[26:27], v[24:25]
	s_cbranch_vccnz .LBB587_17
; %bb.10:                               ;   in Loop: Header=BB587_4 Depth=1
	s_mov_b32 s7, 0
	s_mov_b32 s46, 0
                                        ; implicit-def: $vgpr0
	s_wait_xcnt 0x0
	s_and_saveexec_b32 s8, s34
	s_cbranch_execz .LBB587_18
; %bb.11:                               ;   in Loop: Header=BB587_4 Depth=1
	s_cmp_eq_f32 s47, 0
	s_cbranch_scc1 .LBB587_57
; %bb.12:                               ;   in Loop: Header=BB587_4 Depth=1
	v_lshl_add_u64 v[30:31], v[2:3], 1, v[24:25]
	flat_load_u16 v0, v[30:31]
	s_wait_loadcnt_dscnt 0x0
	v_lshlrev_b32_e32 v0, 16, v0
	s_delay_alu instid0(VALU_DEP_1) | instskip(SKIP_1) | instid1(VALU_DEP_1)
	v_mul_f32_e32 v0, s47, v0
	s_wait_xcnt 0x0
	v_and_b32_e32 v30, 0x7f800000, v0
	s_delay_alu instid0(VALU_DEP_1) | instskip(SKIP_1) | instid1(SALU_CYCLE_1)
	v_cmp_ne_u32_e32 vcc_lo, 0x7f800000, v30
                                        ; implicit-def: $vgpr30
	s_and_saveexec_b32 s9, vcc_lo
	s_xor_b32 s9, exec_lo, s9
; %bb.13:                               ;   in Loop: Header=BB587_4 Depth=1
	v_bfe_u32 v30, v0, 16, 1
	s_delay_alu instid0(VALU_DEP_1)
	v_add3_u32 v30, v0, v30, 0x7fff
                                        ; implicit-def: $vgpr0
; %bb.14:                               ;   in Loop: Header=BB587_4 Depth=1
	s_and_not1_saveexec_b32 s9, s9
; %bb.15:                               ;   in Loop: Header=BB587_4 Depth=1
	v_and_b32_e32 v30, 0xffff, v0
	v_or_b32_e32 v31, 0x10000, v0
	s_delay_alu instid0(VALU_DEP_2) | instskip(NEXT) | instid1(VALU_DEP_2)
	v_cmp_eq_u32_e32 vcc_lo, 0, v30
	v_cndmask_b32_e32 v30, v31, v0, vcc_lo
; %bb.16:                               ;   in Loop: Header=BB587_4 Depth=1
	s_or_b32 exec_lo, exec_lo, s9
	s_delay_alu instid0(VALU_DEP_1) | instskip(SKIP_2) | instid1(SALU_CYCLE_1)
	v_lshrrev_b32_e32 v0, 16, v30
	s_mov_b32 s46, exec_lo
	s_or_b32 exec_lo, exec_lo, s8
	s_and_b32 vcc_lo, exec_lo, s7
	s_cbranch_vccnz .LBB587_19
	s_branch .LBB587_58
.LBB587_17:                             ;   in Loop: Header=BB587_4 Depth=1
	s_mov_b32 s46, 0
                                        ; implicit-def: $vgpr0
	s_cbranch_execnz .LBB587_19
	s_branch .LBB587_58
.LBB587_18:                             ;   in Loop: Header=BB587_4 Depth=1
	s_or_b32 exec_lo, exec_lo, s8
	s_delay_alu instid0(SALU_CYCLE_1)
	s_and_b32 vcc_lo, exec_lo, s7
	s_cbranch_vccz .LBB587_58
.LBB587_19:                             ;   in Loop: Header=BB587_4 Depth=1
	v_dual_mov_b32 v56, 0 :: v_dual_mov_b32 v0, v52
	v_dual_mov_b32 v57, 0 :: v_dual_mov_b32 v58, 0
	v_mov_b32_e32 v59, 0
	s_wait_xcnt 0x0
	s_and_saveexec_b32 s7, s0
	s_cbranch_execz .LBB587_31
; %bb.20:                               ;   in Loop: Header=BB587_4 Depth=1
	v_add_nc_u64_e32 v[30:31], v[26:27], v[10:11]
	v_add_nc_u64_e32 v[32:33], v[26:27], v[14:15]
	;; [unrolled: 1-line block ×4, first 2 shown]
	v_mov_b64_e32 v[38:39], v[28:29]
	v_dual_mov_b32 v56, 0 :: v_dual_mov_b32 v0, v52
	v_dual_mov_b32 v57, 0 :: v_dual_mov_b32 v58, 0
	v_mov_b32_e32 v59, 0
	s_mov_b32 s8, 0
	s_branch .LBB587_25
.LBB587_21:                             ;   in Loop: Header=BB587_25 Depth=2
	s_wait_xcnt 0x0
	s_or_b32 exec_lo, exec_lo, s50
	s_wait_loadcnt_dscnt 0x202
	v_dual_lshlrev_b32 v45, 16, v71 :: v_dual_lshlrev_b32 v44, 16, v70
	s_delay_alu instid0(VALU_DEP_1) | instskip(SKIP_1) | instid1(VALU_DEP_1)
	v_pk_mul_f32 v[44:45], v[42:43], v[44:45]
	s_wait_loadcnt_dscnt 0x0
	v_dual_add_f32 v44, v58, v44 :: v_dual_lshlrev_b32 v47, 16, v69
	s_delay_alu instid0(VALU_DEP_1) | instskip(NEXT) | instid1(VALU_DEP_1)
	v_dual_lshlrev_b32 v46, 16, v68 :: v_dual_add_f32 v48, v44, v45
	v_pk_mul_f32 v[44:45], v[40:41], v[46:47]
	s_delay_alu instid0(VALU_DEP_1) | instskip(NEXT) | instid1(VALU_DEP_1)
	v_add_f32_e32 v44, v48, v44
	v_add_f32_e32 v58, v44, v45
.LBB587_22:                             ;   in Loop: Header=BB587_25 Depth=2
	s_or_b32 exec_lo, exec_lo, s49
	s_wait_loadcnt_dscnt 0x202
	v_dual_lshlrev_b32 v45, 16, v67 :: v_dual_lshlrev_b32 v44, 16, v66
	s_delay_alu instid0(VALU_DEP_1) | instskip(SKIP_1) | instid1(VALU_DEP_1)
	v_pk_mul_f32 v[44:45], v[42:43], v[44:45]
	s_wait_loadcnt_dscnt 0x0
	v_dual_add_f32 v44, v57, v44 :: v_dual_lshlrev_b32 v47, 16, v65
	s_delay_alu instid0(VALU_DEP_1) | instskip(NEXT) | instid1(VALU_DEP_1)
	v_dual_lshlrev_b32 v46, 16, v64 :: v_dual_add_f32 v48, v44, v45
	v_pk_mul_f32 v[44:45], v[40:41], v[46:47]
	s_delay_alu instid0(VALU_DEP_1) | instskip(NEXT) | instid1(VALU_DEP_1)
	v_add_f32_e32 v44, v48, v44
	v_add_f32_e32 v57, v44, v45
.LBB587_23:                             ;   in Loop: Header=BB587_25 Depth=2
	s_or_b32 exec_lo, exec_lo, s48
	s_wait_loadcnt_dscnt 0x202
	v_dual_lshlrev_b32 v45, 16, v63 :: v_dual_lshlrev_b32 v44, 16, v62
	s_delay_alu instid0(VALU_DEP_1) | instskip(SKIP_1) | instid1(VALU_DEP_1)
	v_pk_mul_f32 v[42:43], v[42:43], v[44:45]
	s_wait_loadcnt_dscnt 0x0
	v_dual_add_f32 v42, v56, v42 :: v_dual_lshlrev_b32 v45, 16, v61
	s_delay_alu instid0(VALU_DEP_1) | instskip(NEXT) | instid1(VALU_DEP_1)
	v_dual_lshlrev_b32 v44, 16, v60 :: v_dual_add_f32 v42, v42, v43
	v_pk_mul_f32 v[40:41], v[40:41], v[44:45]
	s_delay_alu instid0(VALU_DEP_1) | instskip(NEXT) | instid1(VALU_DEP_1)
	v_add_f32_e32 v40, v42, v40
	v_add_f32_e32 v56, v40, v41
.LBB587_24:                             ;   in Loop: Header=BB587_25 Depth=2
	s_or_b32 exec_lo, exec_lo, s9
	v_add_nc_u32_e32 v0, 16, v0
	v_add_nc_u64_e32 v[38:39], s[40:41], v[38:39]
	v_add_nc_u64_e32 v[30:31], s[42:43], v[30:31]
	;; [unrolled: 1-line block ×4, first 2 shown]
	v_cmp_le_i32_e32 vcc_lo, s44, v0
	v_add_nc_u64_e32 v[36:37], s[42:43], v[36:37]
	s_or_b32 s8, vcc_lo, s8
	s_delay_alu instid0(SALU_CYCLE_1)
	s_and_not1_b32 exec_lo, exec_lo, s8
	s_cbranch_execz .LBB587_30
.LBB587_25:                             ;   Parent Loop BB587_4 Depth=1
                                        ; =>  This Inner Loop Header: Depth=2
	s_and_saveexec_b32 s9, s1
	s_cbranch_execz .LBB587_24
; %bb.26:                               ;   in Loop: Header=BB587_25 Depth=2
	v_add_nc_u64_e32 v[42:43], v[38:39], v[20:21]
	v_add_nc_u64_e32 v[40:41], v[38:39], v[6:7]
	v_add_nc_u64_e32 v[66:67], v[38:39], v[12:13]
	v_add_nc_u64_e32 v[64:65], v[38:39], v[18:19]
	v_add_nc_u64_e32 v[46:47], v[32:33], v[8:9]
	v_add_nc_u64_e32 v[44:45], v[36:37], v[8:9]
	v_add_nc_u64_e32 v[50:51], v[34:35], v[8:9]
	v_add_nc_u64_e32 v[48:49], v[30:31], v[8:9]
	s_clause 0x3
	flat_load_u16 v68, v[42:43]
	flat_load_u16 v69, v[40:41]
	;; [unrolled: 1-line block ×8, first 2 shown]
	s_wait_loadcnt_dscnt 0x606
	s_wait_xcnt 0x7
	v_dual_lshlrev_b32 v43, 16, v68 :: v_dual_lshlrev_b32 v42, 16, v69
	s_wait_loadcnt_dscnt 0x404
	s_wait_xcnt 0x6
	v_dual_lshlrev_b32 v41, 16, v70 :: v_dual_lshlrev_b32 v40, 16, v71
	s_wait_xcnt 0x0
	s_and_saveexec_b32 s48, s2
	s_cbranch_execz .LBB587_23
; %bb.27:                               ;   in Loop: Header=BB587_25 Depth=2
	flat_load_u16 v66, v[46:47] offset:128
	flat_load_u16 v67, v[44:45] offset:128
	flat_load_u16 v64, v[50:51] offset:128
	flat_load_u16 v65, v[48:49] offset:128
	s_wait_xcnt 0x0
	s_and_saveexec_b32 s49, s3
	s_cbranch_execz .LBB587_22
; %bb.28:                               ;   in Loop: Header=BB587_25 Depth=2
	flat_load_u16 v70, v[46:47] offset:256
	flat_load_u16 v71, v[44:45] offset:256
	flat_load_u16 v68, v[50:51] offset:256
	flat_load_u16 v69, v[48:49] offset:256
	;; [unrolled: 8-line block ×3, first 2 shown]
	s_wait_loadcnt_dscnt 0x202
	s_wait_xcnt 0x3
	v_dual_lshlrev_b32 v45, 16, v72 :: v_dual_lshlrev_b32 v44, 16, v73
	s_delay_alu instid0(VALU_DEP_1) | instskip(SKIP_2) | instid1(VALU_DEP_1)
	v_pk_mul_f32 v[44:45], v[42:43], v[44:45]
	s_wait_loadcnt_dscnt 0x101
	s_wait_xcnt 0x2
	v_dual_add_f32 v44, v59, v44 :: v_dual_lshlrev_b32 v47, 16, v74
	s_wait_loadcnt_dscnt 0x0
	s_wait_xcnt 0x1
	s_delay_alu instid0(VALU_DEP_1) | instskip(NEXT) | instid1(VALU_DEP_1)
	v_dual_lshlrev_b32 v46, 16, v75 :: v_dual_add_f32 v48, v44, v45
	v_pk_mul_f32 v[44:45], v[40:41], v[46:47]
	s_delay_alu instid0(VALU_DEP_1) | instskip(NEXT) | instid1(VALU_DEP_1)
	v_add_f32_e32 v44, v48, v44
	v_add_f32_e32 v59, v44, v45
	s_branch .LBB587_21
.LBB587_30:                             ;   in Loop: Header=BB587_4 Depth=1
	s_or_b32 exec_lo, exec_lo, s8
.LBB587_31:                             ;   in Loop: Header=BB587_4 Depth=1
	s_delay_alu instid0(SALU_CYCLE_1) | instskip(NEXT) | instid1(SALU_CYCLE_1)
	s_or_b32 exec_lo, exec_lo, s7
	s_and_not1_b32 vcc_lo, exec_lo, s45
	s_cbranch_vccnz .LBB587_49
; %bb.32:                               ;   in Loop: Header=BB587_4 Depth=1
	v_dual_mov_b32 v30, 0 :: v_dual_bitop2_b32 v34, 1, v0 bitop3:0x54
	v_cmp_gt_i32_e32 vcc_lo, s35, v0
	s_delay_alu instid0(VALU_DEP_2)
	v_dual_mov_b32 v31, v30 :: v_dual_mov_b32 v32, v30
	v_mov_b32_e32 v33, v30
	s_and_saveexec_b32 s8, vcc_lo
	s_cbranch_execz .LBB587_40
; %bb.33:                               ;   in Loop: Header=BB587_4 Depth=1
	v_mul_u64_e32 v[30:31], s[38:39], v[0:1]
	v_mov_b32_e32 v33, 0
	s_mov_b32 s9, exec_lo
	s_delay_alu instid0(VALU_DEP_2)
	v_lshl_add_u64 v[30:31], v[30:31], 1, v[28:29]
	flat_load_u16 v36, v[30:31]
	s_wait_xcnt 0x0
	v_dual_mov_b32 v31, 0 :: v_dual_mov_b32 v30, 0
	v_cmpx_gt_i32_e64 s35, v34
	s_cbranch_execz .LBB587_39
; %bb.34:                               ;   in Loop: Header=BB587_4 Depth=1
	v_dual_mov_b32 v35, v1 :: v_dual_bitop2_b32 v32, 2, v0 bitop3:0x54
	s_mov_b32 s48, exec_lo
	s_delay_alu instid0(VALU_DEP_1) | instskip(NEXT) | instid1(VALU_DEP_1)
	v_mul_u64_e32 v[30:31], s[38:39], v[34:35]
	v_lshl_add_u64 v[30:31], v[30:31], 1, v[28:29]
	flat_load_u16 v35, v[30:31]
	s_wait_xcnt 0x0
	v_dual_mov_b32 v31, 0 :: v_dual_mov_b32 v30, 0
	v_cmpx_gt_i32_e64 s35, v32
	s_cbranch_execz .LBB587_38
; %bb.35:                               ;   in Loop: Header=BB587_4 Depth=1
	v_mov_b32_e32 v33, v1
	s_mov_b32 s49, exec_lo
	s_delay_alu instid0(VALU_DEP_1) | instskip(NEXT) | instid1(VALU_DEP_1)
	v_mul_u64_e32 v[30:31], s[38:39], v[32:33]
	v_lshl_add_u64 v[30:31], v[30:31], 1, v[28:29]
	flat_load_u16 v32, v[30:31]
	s_wait_xcnt 0x0
	v_dual_mov_b32 v31, 0 :: v_dual_bitop2_b32 v30, 3, v0 bitop3:0x54
	s_delay_alu instid0(VALU_DEP_1)
	v_cmpx_gt_i32_e64 s35, v30
	s_cbranch_execz .LBB587_37
; %bb.36:                               ;   in Loop: Header=BB587_4 Depth=1
	v_mov_b32_e32 v31, v1
	s_delay_alu instid0(VALU_DEP_1) | instskip(NEXT) | instid1(VALU_DEP_1)
	v_mul_u64_e32 v[30:31], s[38:39], v[30:31]
	v_lshl_add_u64 v[28:29], v[30:31], 1, v[28:29]
	flat_load_u16 v28, v[28:29]
	s_wait_loadcnt_dscnt 0x0
	v_lshlrev_b32_e32 v31, 16, v28
.LBB587_37:                             ;   in Loop: Header=BB587_4 Depth=1
	s_wait_xcnt 0x0
	s_or_b32 exec_lo, exec_lo, s49
	s_wait_loadcnt_dscnt 0x0
	v_lshlrev_b32_e32 v30, 16, v32
.LBB587_38:                             ;   in Loop: Header=BB587_4 Depth=1
	s_or_b32 exec_lo, exec_lo, s48
	s_wait_loadcnt_dscnt 0x0
	v_lshlrev_b32_e32 v33, 16, v35
.LBB587_39:                             ;   in Loop: Header=BB587_4 Depth=1
	s_or_b32 exec_lo, exec_lo, s9
	s_wait_loadcnt_dscnt 0x0
	v_lshlrev_b32_e32 v32, 16, v36
.LBB587_40:                             ;   in Loop: Header=BB587_4 Depth=1
	s_or_b32 exec_lo, exec_lo, s8
	s_and_saveexec_b32 s48, s1
	s_cbranch_execz .LBB587_48
; %bb.41:                               ;   in Loop: Header=BB587_4 Depth=1
	v_dual_mov_b32 v35, v1 :: v_dual_bitop2_b32 v28, 2, v0 bitop3:0x54
	v_mov_b32_e32 v29, v1
	v_mul_u64_e32 v[36:37], s[36:37], v[0:1]
	v_or_b32_e32 v0, 3, v0
	s_delay_alu instid0(VALU_DEP_4)
	v_mul_u64_e32 v[38:39], s[36:37], v[34:35]
	v_cmp_gt_i32_e64 s7, s35, v34
	v_mul_u64_e32 v[40:41], s[36:37], v[28:29]
	v_cmp_gt_i32_e64 s8, s35, v28
	;; [unrolled: 2-line block ×3, first 2 shown]
	v_dual_cndmask_b32 v29, 0, v37 :: v_dual_cndmask_b32 v28, 0, v36
	v_dual_cndmask_b32 v35, 0, v39, s7 :: v_dual_cndmask_b32 v34, 0, v38, s7
	v_dual_cndmask_b32 v39, 0, v41, s8 :: v_dual_cndmask_b32 v38, 0, v40, s8
	s_delay_alu instid0(VALU_DEP_4) | instskip(NEXT) | instid1(VALU_DEP_3)
	v_dual_cndmask_b32 v41, 0, v43, s9 :: v_dual_cndmask_b32 v40, 0, v42, s9
	v_lshl_add_u64 v[34:35], v[34:35], 1, v[26:27]
	s_delay_alu instid0(VALU_DEP_3) | instskip(NEXT) | instid1(VALU_DEP_3)
	v_lshl_add_u64 v[36:37], v[38:39], 1, v[26:27]
	v_lshl_add_u64 v[38:39], v[40:41], 1, v[26:27]
	;; [unrolled: 1-line block ×3, first 2 shown]
	s_delay_alu instid0(VALU_DEP_4) | instskip(NEXT) | instid1(VALU_DEP_4)
	v_add_nc_u64_e32 v[26:27], v[34:35], v[8:9]
	v_add_nc_u64_e32 v[34:35], v[36:37], v[8:9]
	s_delay_alu instid0(VALU_DEP_4) | instskip(NEXT) | instid1(VALU_DEP_4)
	v_add_nc_u64_e32 v[28:29], v[38:39], v[8:9]
	v_add_nc_u64_e32 v[36:37], v[40:41], v[8:9]
	s_clause 0x3
	flat_load_u16 v39, v[26:27]
	flat_load_u16 v0, v[34:35]
	flat_load_u16 v38, v[28:29]
	flat_load_u16 v40, v[36:37]
	s_wait_xcnt 0x0
	s_and_saveexec_b32 s7, s2
	s_cbranch_execz .LBB587_47
; %bb.42:                               ;   in Loop: Header=BB587_4 Depth=1
	s_clause 0x3
	flat_load_u16 v43, v[36:37] offset:128
	flat_load_u16 v44, v[26:27] offset:128
	flat_load_u16 v41, v[34:35] offset:128
	flat_load_u16 v42, v[28:29] offset:128
	s_wait_xcnt 0x0
	s_and_saveexec_b32 s8, s3
	s_cbranch_execz .LBB587_46
; %bb.43:                               ;   in Loop: Header=BB587_4 Depth=1
	s_clause 0x3
	flat_load_u16 v47, v[36:37] offset:256
	flat_load_u16 v48, v[26:27] offset:256
	flat_load_u16 v45, v[34:35] offset:256
	flat_load_u16 v46, v[28:29] offset:256
	;; [unrolled: 9-line block ×3, first 2 shown]
	s_wait_loadcnt_dscnt 0x202
	s_wait_xcnt 0x3
	v_dual_lshlrev_b32 v27, 16, v49 :: v_dual_lshlrev_b32 v26, 16, v50
	s_delay_alu instid0(VALU_DEP_1) | instskip(SKIP_2) | instid1(VALU_DEP_1)
	v_pk_mul_f32 v[26:27], v[32:33], v[26:27]
	s_wait_loadcnt_dscnt 0x101
	s_wait_xcnt 0x1
	v_dual_add_f32 v26, v59, v26 :: v_dual_lshlrev_b32 v29, 16, v51
	s_wait_loadcnt_dscnt 0x0
	s_wait_xcnt 0x0
	s_delay_alu instid0(VALU_DEP_1) | instskip(NEXT) | instid1(VALU_DEP_1)
	v_dual_lshlrev_b32 v28, 16, v60 :: v_dual_add_f32 v34, v26, v27
	v_pk_mul_f32 v[26:27], v[30:31], v[28:29]
	s_delay_alu instid0(VALU_DEP_1) | instskip(NEXT) | instid1(VALU_DEP_1)
	v_add_f32_e32 v26, v34, v26
	v_add_f32_e32 v59, v26, v27
.LBB587_45:                             ;   in Loop: Header=BB587_4 Depth=1
	s_or_b32 exec_lo, exec_lo, s9
	s_wait_loadcnt_dscnt 0x202
	v_dual_lshlrev_b32 v27, 16, v48 :: v_dual_lshlrev_b32 v26, 16, v47
	s_wait_loadcnt_dscnt 0x0
	v_dual_lshlrev_b32 v29, 16, v46 :: v_dual_lshlrev_b32 v28, 16, v45
	s_delay_alu instid0(VALU_DEP_2) | instskip(NEXT) | instid1(VALU_DEP_1)
	v_pk_mul_f32 v[26:27], v[32:33], v[26:27]
	v_add_f32_e32 v26, v58, v26
	s_delay_alu instid0(VALU_DEP_1) | instskip(NEXT) | instid1(VALU_DEP_4)
	v_add_f32_e32 v34, v26, v27
	v_pk_mul_f32 v[26:27], v[30:31], v[28:29]
	s_delay_alu instid0(VALU_DEP_1) | instskip(NEXT) | instid1(VALU_DEP_1)
	v_add_f32_e32 v26, v34, v26
	v_add_f32_e32 v58, v26, v27
.LBB587_46:                             ;   in Loop: Header=BB587_4 Depth=1
	s_or_b32 exec_lo, exec_lo, s8
	s_wait_loadcnt_dscnt 0x202
	v_dual_lshlrev_b32 v27, 16, v44 :: v_dual_lshlrev_b32 v26, 16, v43
	s_wait_loadcnt_dscnt 0x0
	v_dual_lshlrev_b32 v29, 16, v42 :: v_dual_lshlrev_b32 v28, 16, v41
	s_delay_alu instid0(VALU_DEP_2) | instskip(NEXT) | instid1(VALU_DEP_1)
	v_pk_mul_f32 v[26:27], v[32:33], v[26:27]
	v_add_f32_e32 v26, v57, v26
	s_delay_alu instid0(VALU_DEP_1) | instskip(NEXT) | instid1(VALU_DEP_4)
	v_add_f32_e32 v34, v26, v27
	v_pk_mul_f32 v[26:27], v[30:31], v[28:29]
	s_delay_alu instid0(VALU_DEP_1) | instskip(NEXT) | instid1(VALU_DEP_1)
	v_add_f32_e32 v26, v34, v26
	v_add_f32_e32 v57, v26, v27
.LBB587_47:                             ;   in Loop: Header=BB587_4 Depth=1
	s_or_b32 exec_lo, exec_lo, s7
	s_wait_loadcnt_dscnt 0x0
	v_dual_lshlrev_b32 v27, 16, v39 :: v_dual_lshlrev_b32 v26, 16, v40
	v_dual_lshlrev_b32 v29, 16, v38 :: v_dual_lshlrev_b32 v28, 16, v0
	s_delay_alu instid0(VALU_DEP_2) | instskip(NEXT) | instid1(VALU_DEP_1)
	v_pk_mul_f32 v[26:27], v[32:33], v[26:27]
	v_add_f32_e32 v26, v56, v26
	s_delay_alu instid0(VALU_DEP_1) | instskip(NEXT) | instid1(VALU_DEP_4)
	v_add_f32_e32 v0, v26, v27
	v_pk_mul_f32 v[26:27], v[30:31], v[28:29]
	s_delay_alu instid0(VALU_DEP_1) | instskip(NEXT) | instid1(VALU_DEP_1)
	v_add_f32_e32 v0, v0, v26
	v_add_f32_e32 v56, v0, v27
.LBB587_48:                             ;   in Loop: Header=BB587_4 Depth=1
	s_or_b32 exec_lo, exec_lo, s48
.LBB587_49:                             ;   in Loop: Header=BB587_4 Depth=1
	ds_store_2addr_stride64_b32 v53, v56, v57 offset1:1
	ds_store_2addr_stride64_b32 v53, v58, v59 offset0:2 offset1:3
	s_wait_dscnt 0x0
	s_barrier_signal -1
	s_barrier_wait -1
                                        ; implicit-def: $vgpr0
	s_and_saveexec_b32 s7, s5
	s_cbranch_execz .LBB587_71
; %bb.50:                               ;   in Loop: Header=BB587_4 Depth=1
	ds_load_2addr_stride64_b32 v[26:27], v54 offset1:4
	ds_load_2addr_stride64_b32 v[28:29], v54 offset0:8 offset1:12
	s_mov_b32 s9, s46
	s_wait_dscnt 0x1
	v_add_f32_e32 v0, v26, v27
	s_wait_dscnt 0x0
	s_delay_alu instid0(VALU_DEP_1) | instskip(NEXT) | instid1(VALU_DEP_1)
	v_add_f32_e32 v0, v28, v0
	v_add_f32_e32 v26, v29, v0
                                        ; implicit-def: $vgpr0
	ds_store_b32 v54, v26
	s_and_saveexec_b32 s8, s6
	s_cbranch_execz .LBB587_70
; %bb.51:                               ;   in Loop: Header=BB587_4 Depth=1
	v_mul_f32_e32 v0, v55, v26
	s_cmp_eq_f32 s47, 0
	s_cbranch_scc0 .LBB587_59
; %bb.52:                               ;   in Loop: Header=BB587_4 Depth=1
	s_delay_alu instid0(VALU_DEP_1) | instskip(NEXT) | instid1(VALU_DEP_1)
	v_and_b32_e32 v26, 0x7f800000, v0
	v_cmp_ne_u32_e32 vcc_lo, 0x7f800000, v26
                                        ; implicit-def: $vgpr26
	s_and_saveexec_b32 s9, vcc_lo
	s_delay_alu instid0(SALU_CYCLE_1)
	s_xor_b32 s9, exec_lo, s9
; %bb.53:                               ;   in Loop: Header=BB587_4 Depth=1
	v_bfe_u32 v26, v0, 16, 1
	s_delay_alu instid0(VALU_DEP_1)
	v_add3_u32 v26, v0, v26, 0x7fff
; %bb.54:                               ;   in Loop: Header=BB587_4 Depth=1
	s_and_not1_saveexec_b32 s9, s9
; %bb.55:                               ;   in Loop: Header=BB587_4 Depth=1
	v_and_b32_e32 v26, 0xffff, v0
	v_or_b32_e32 v27, 0x10000, v0
	s_delay_alu instid0(VALU_DEP_2) | instskip(NEXT) | instid1(VALU_DEP_2)
	v_cmp_eq_u32_e32 vcc_lo, 0, v26
	v_cndmask_b32_e32 v26, v27, v0, vcc_lo
; %bb.56:                               ;   in Loop: Header=BB587_4 Depth=1
	s_or_b32 exec_lo, exec_lo, s9
	s_cbranch_execz .LBB587_60
	s_branch .LBB587_69
.LBB587_57:                             ;   in Loop: Header=BB587_4 Depth=1
	v_mov_b32_e32 v0, 0
	s_mov_b32 s46, exec_lo
	s_or_b32 exec_lo, exec_lo, s8
	s_delay_alu instid0(SALU_CYCLE_1)
	s_and_b32 vcc_lo, exec_lo, s7
	s_cbranch_vccnz .LBB587_19
.LBB587_58:                             ;   in Loop: Header=BB587_4 Depth=1
	v_mov_b64_e32 v[26:27], v[2:3]
	s_wait_xcnt 0x0
	s_and_saveexec_b32 s7, s46
	s_cbranch_execz .LBB587_2
	s_branch .LBB587_72
.LBB587_59:                             ;   in Loop: Header=BB587_4 Depth=1
                                        ; implicit-def: $vgpr26
.LBB587_60:                             ;   in Loop: Header=BB587_4 Depth=1
	v_lshl_add_u64 v[26:27], v[4:5], 1, v[24:25]
	flat_load_u16 v26, v[26:27]
	s_wait_loadcnt_dscnt 0x0
	s_wait_xcnt 0x0
	v_lshlrev_b32_e32 v26, 16, v26
	s_delay_alu instid0(VALU_DEP_1) | instskip(NEXT) | instid1(VALU_DEP_1)
	v_mul_f32_e32 v26, s47, v26
	v_and_b32_e32 v27, 0x7f800000, v26
	s_delay_alu instid0(VALU_DEP_1) | instskip(SKIP_1) | instid1(SALU_CYCLE_1)
	v_cmp_ne_u32_e32 vcc_lo, 0x7f800000, v27
                                        ; implicit-def: $vgpr27
	s_and_saveexec_b32 s9, vcc_lo
	s_xor_b32 s9, exec_lo, s9
; %bb.61:                               ;   in Loop: Header=BB587_4 Depth=1
	v_bfe_u32 v27, v26, 16, 1
	s_delay_alu instid0(VALU_DEP_1)
	v_add3_u32 v27, v26, v27, 0x7fff
                                        ; implicit-def: $vgpr26
; %bb.62:                               ;   in Loop: Header=BB587_4 Depth=1
	s_and_not1_saveexec_b32 s9, s9
; %bb.63:                               ;   in Loop: Header=BB587_4 Depth=1
	v_and_b32_e32 v27, 0xffff, v26
	v_or_b32_e32 v28, 0x10000, v26
	s_delay_alu instid0(VALU_DEP_2) | instskip(NEXT) | instid1(VALU_DEP_2)
	v_cmp_eq_u32_e32 vcc_lo, 0, v27
	v_cndmask_b32_e32 v27, v28, v26, vcc_lo
; %bb.64:                               ;   in Loop: Header=BB587_4 Depth=1
	s_or_b32 exec_lo, exec_lo, s9
	s_delay_alu instid0(VALU_DEP_1) | instskip(NEXT) | instid1(VALU_DEP_1)
	v_and_b32_e32 v26, 0xffff0000, v27
	v_add_f32_e32 v0, v0, v26
	s_delay_alu instid0(VALU_DEP_1) | instskip(NEXT) | instid1(VALU_DEP_1)
	v_and_b32_e32 v26, 0x7f800000, v0
	v_cmp_ne_u32_e32 vcc_lo, 0x7f800000, v26
                                        ; implicit-def: $vgpr26
	s_and_saveexec_b32 s9, vcc_lo
	s_delay_alu instid0(SALU_CYCLE_1)
	s_xor_b32 s9, exec_lo, s9
; %bb.65:                               ;   in Loop: Header=BB587_4 Depth=1
	v_bfe_u32 v26, v0, 16, 1
	s_delay_alu instid0(VALU_DEP_1)
	v_add3_u32 v26, v0, v26, 0x7fff
                                        ; implicit-def: $vgpr0
; %bb.66:                               ;   in Loop: Header=BB587_4 Depth=1
	s_and_not1_saveexec_b32 s9, s9
; %bb.67:                               ;   in Loop: Header=BB587_4 Depth=1
	v_and_b32_e32 v26, 0xffff, v0
	v_or_b32_e32 v27, 0x10000, v0
	s_delay_alu instid0(VALU_DEP_2) | instskip(NEXT) | instid1(VALU_DEP_2)
	v_cmp_eq_u32_e32 vcc_lo, 0, v26
	v_cndmask_b32_e32 v26, v27, v0, vcc_lo
; %bb.68:                               ;   in Loop: Header=BB587_4 Depth=1
	s_or_b32 exec_lo, exec_lo, s9
.LBB587_69:                             ;   in Loop: Header=BB587_4 Depth=1
	s_delay_alu instid0(VALU_DEP_1)
	v_lshrrev_b32_e32 v0, 16, v26
	s_or_b32 s9, s46, exec_lo
.LBB587_70:                             ;   in Loop: Header=BB587_4 Depth=1
	s_or_b32 exec_lo, exec_lo, s8
	s_delay_alu instid0(SALU_CYCLE_1) | instskip(SKIP_1) | instid1(SALU_CYCLE_1)
	s_and_not1_b32 s8, s46, exec_lo
	s_and_b32 s9, s9, exec_lo
	s_or_b32 s46, s8, s9
.LBB587_71:                             ;   in Loop: Header=BB587_4 Depth=1
	s_or_b32 exec_lo, exec_lo, s7
	v_mov_b64_e32 v[26:27], v[4:5]
	s_and_saveexec_b32 s7, s46
	s_cbranch_execz .LBB587_2
.LBB587_72:                             ;   in Loop: Header=BB587_4 Depth=1
	s_delay_alu instid0(VALU_DEP_1)
	v_lshl_add_u64 v[24:25], v[26:27], 1, v[24:25]
	flat_store_b16 v[24:25], v0
	s_branch .LBB587_2
.LBB587_73:
	s_sendmsg sendmsg(MSG_DEALLOC_VGPRS)
	s_endpgm
	.section	.rodata,"a",@progbits
	.p2align	6, 0x0
	.amdhsa_kernel _ZL20rocblas_gemvn_kernelILi64ELi4ElPK16rocblas_bfloat16PKfKPS0_EviiT3_lPKT2_lT1_lSA_lSB_lS7_lPT4_lSB_li
		.amdhsa_group_segment_fixed_size 4096
		.amdhsa_private_segment_fixed_size 0
		.amdhsa_kernarg_size 400
		.amdhsa_user_sgpr_count 2
		.amdhsa_user_sgpr_dispatch_ptr 0
		.amdhsa_user_sgpr_queue_ptr 0
		.amdhsa_user_sgpr_kernarg_segment_ptr 1
		.amdhsa_user_sgpr_dispatch_id 0
		.amdhsa_user_sgpr_kernarg_preload_length 0
		.amdhsa_user_sgpr_kernarg_preload_offset 0
		.amdhsa_user_sgpr_private_segment_size 0
		.amdhsa_wavefront_size32 1
		.amdhsa_uses_dynamic_stack 0
		.amdhsa_enable_private_segment 0
		.amdhsa_system_sgpr_workgroup_id_x 1
		.amdhsa_system_sgpr_workgroup_id_y 0
		.amdhsa_system_sgpr_workgroup_id_z 1
		.amdhsa_system_sgpr_workgroup_info 0
		.amdhsa_system_vgpr_workitem_id 1
		.amdhsa_next_free_vgpr 76
		.amdhsa_next_free_sgpr 51
		.amdhsa_named_barrier_count 0
		.amdhsa_reserve_vcc 1
		.amdhsa_float_round_mode_32 0
		.amdhsa_float_round_mode_16_64 0
		.amdhsa_float_denorm_mode_32 3
		.amdhsa_float_denorm_mode_16_64 3
		.amdhsa_fp16_overflow 0
		.amdhsa_memory_ordered 1
		.amdhsa_forward_progress 1
		.amdhsa_inst_pref_size 28
		.amdhsa_round_robin_scheduling 0
		.amdhsa_exception_fp_ieee_invalid_op 0
		.amdhsa_exception_fp_denorm_src 0
		.amdhsa_exception_fp_ieee_div_zero 0
		.amdhsa_exception_fp_ieee_overflow 0
		.amdhsa_exception_fp_ieee_underflow 0
		.amdhsa_exception_fp_ieee_inexact 0
		.amdhsa_exception_int_div_zero 0
	.end_amdhsa_kernel
	.section	.text._ZL20rocblas_gemvn_kernelILi64ELi4ElPK16rocblas_bfloat16PKfKPS0_EviiT3_lPKT2_lT1_lSA_lSB_lS7_lPT4_lSB_li,"axG",@progbits,_ZL20rocblas_gemvn_kernelILi64ELi4ElPK16rocblas_bfloat16PKfKPS0_EviiT3_lPKT2_lT1_lSA_lSB_lS7_lPT4_lSB_li,comdat
.Lfunc_end587:
	.size	_ZL20rocblas_gemvn_kernelILi64ELi4ElPK16rocblas_bfloat16PKfKPS0_EviiT3_lPKT2_lT1_lSA_lSB_lS7_lPT4_lSB_li, .Lfunc_end587-_ZL20rocblas_gemvn_kernelILi64ELi4ElPK16rocblas_bfloat16PKfKPS0_EviiT3_lPKT2_lT1_lSA_lSB_lS7_lPT4_lSB_li
                                        ; -- End function
	.set _ZL20rocblas_gemvn_kernelILi64ELi4ElPK16rocblas_bfloat16PKfKPS0_EviiT3_lPKT2_lT1_lSA_lSB_lS7_lPT4_lSB_li.num_vgpr, 76
	.set _ZL20rocblas_gemvn_kernelILi64ELi4ElPK16rocblas_bfloat16PKfKPS0_EviiT3_lPKT2_lT1_lSA_lSB_lS7_lPT4_lSB_li.num_agpr, 0
	.set _ZL20rocblas_gemvn_kernelILi64ELi4ElPK16rocblas_bfloat16PKfKPS0_EviiT3_lPKT2_lT1_lSA_lSB_lS7_lPT4_lSB_li.numbered_sgpr, 51
	.set _ZL20rocblas_gemvn_kernelILi64ELi4ElPK16rocblas_bfloat16PKfKPS0_EviiT3_lPKT2_lT1_lSA_lSB_lS7_lPT4_lSB_li.num_named_barrier, 0
	.set _ZL20rocblas_gemvn_kernelILi64ELi4ElPK16rocblas_bfloat16PKfKPS0_EviiT3_lPKT2_lT1_lSA_lSB_lS7_lPT4_lSB_li.private_seg_size, 0
	.set _ZL20rocblas_gemvn_kernelILi64ELi4ElPK16rocblas_bfloat16PKfKPS0_EviiT3_lPKT2_lT1_lSA_lSB_lS7_lPT4_lSB_li.uses_vcc, 1
	.set _ZL20rocblas_gemvn_kernelILi64ELi4ElPK16rocblas_bfloat16PKfKPS0_EviiT3_lPKT2_lT1_lSA_lSB_lS7_lPT4_lSB_li.uses_flat_scratch, 1
	.set _ZL20rocblas_gemvn_kernelILi64ELi4ElPK16rocblas_bfloat16PKfKPS0_EviiT3_lPKT2_lT1_lSA_lSB_lS7_lPT4_lSB_li.has_dyn_sized_stack, 0
	.set _ZL20rocblas_gemvn_kernelILi64ELi4ElPK16rocblas_bfloat16PKfKPS0_EviiT3_lPKT2_lT1_lSA_lSB_lS7_lPT4_lSB_li.has_recursion, 0
	.set _ZL20rocblas_gemvn_kernelILi64ELi4ElPK16rocblas_bfloat16PKfKPS0_EviiT3_lPKT2_lT1_lSA_lSB_lS7_lPT4_lSB_li.has_indirect_call, 0
	.section	.AMDGPU.csdata,"",@progbits
; Kernel info:
; codeLenInByte = 3556
; TotalNumSgprs: 53
; NumVgprs: 76
; ScratchSize: 0
; MemoryBound: 0
; FloatMode: 240
; IeeeMode: 1
; LDSByteSize: 4096 bytes/workgroup (compile time only)
; SGPRBlocks: 0
; VGPRBlocks: 4
; NumSGPRsForWavesPerEU: 53
; NumVGPRsForWavesPerEU: 76
; NamedBarCnt: 0
; Occupancy: 12
; WaveLimiterHint : 1
; COMPUTE_PGM_RSRC2:SCRATCH_EN: 0
; COMPUTE_PGM_RSRC2:USER_SGPR: 2
; COMPUTE_PGM_RSRC2:TRAP_HANDLER: 0
; COMPUTE_PGM_RSRC2:TGID_X_EN: 1
; COMPUTE_PGM_RSRC2:TGID_Y_EN: 0
; COMPUTE_PGM_RSRC2:TGID_Z_EN: 1
; COMPUTE_PGM_RSRC2:TIDIG_COMP_CNT: 1
	.section	.text._ZL20rocblas_gemvn_kernelILi64ELi4EiPK16rocblas_bfloat16fKPS0_EviiT3_lPKT2_lT1_lS8_lS9_lS5_lPT4_lS9_li,"axG",@progbits,_ZL20rocblas_gemvn_kernelILi64ELi4EiPK16rocblas_bfloat16fKPS0_EviiT3_lPKT2_lT1_lS8_lS9_lS5_lPT4_lS9_li,comdat
	.globl	_ZL20rocblas_gemvn_kernelILi64ELi4EiPK16rocblas_bfloat16fKPS0_EviiT3_lPKT2_lT1_lS8_lS9_lS5_lPT4_lS9_li ; -- Begin function _ZL20rocblas_gemvn_kernelILi64ELi4EiPK16rocblas_bfloat16fKPS0_EviiT3_lPKT2_lT1_lS8_lS9_lS5_lPT4_lS9_li
	.p2align	8
	.type	_ZL20rocblas_gemvn_kernelILi64ELi4EiPK16rocblas_bfloat16fKPS0_EviiT3_lPKT2_lT1_lS8_lS9_lS5_lPT4_lS9_li,@function
_ZL20rocblas_gemvn_kernelILi64ELi4EiPK16rocblas_bfloat16fKPS0_EviiT3_lPKT2_lT1_lS8_lS9_lS5_lPT4_lS9_li: ; @_ZL20rocblas_gemvn_kernelILi64ELi4EiPK16rocblas_bfloat16fKPS0_EviiT3_lPKT2_lT1_lS8_lS9_lS5_lPT4_lS9_li
; %bb.0:
	s_clause 0x1
	s_load_b64 s[2:3], s[0:1], 0x9c
	s_load_b32 s23, s[0:1], 0x88
	s_bfe_u32 s4, ttmp6, 0x40014
	s_lshr_b32 s5, ttmp7, 16
	s_add_co_i32 s4, s4, 1
	s_bfe_u32 s6, ttmp6, 0x40008
	s_mul_i32 s7, s5, s4
	s_getreg_b32 s4, hwreg(HW_REG_IB_STS2, 6, 4)
	s_add_co_i32 s6, s6, s7
	s_mov_b32 s25, 0
	s_wait_kmcnt 0x0
	s_lshr_b32 s7, s2, 16
	s_and_b32 s2, s2, 0xffff
	s_and_b32 s3, s3, 0xffff
	s_mul_i32 s2, s7, s2
	s_cmp_eq_u32 s4, 0
	s_mul_i32 s2, s2, s3
	s_cselect_b32 s24, s5, s6
	s_cmp_lg_u32 s2, 0x100
	s_cselect_b32 s2, -1, 0
	s_cmp_ge_u32 s24, s23
	s_cselect_b32 s3, -1, 0
	s_delay_alu instid0(SALU_CYCLE_1) | instskip(NEXT) | instid1(SALU_CYCLE_1)
	s_or_b32 s2, s2, s3
	s_and_b32 vcc_lo, exec_lo, s2
	s_cbranch_vccnz .LBB588_75
; %bb.1:
	s_clause 0x7
	s_load_b32 s2, s[0:1], 0x78
	s_load_b96 s[20:22], s[0:1], 0x0
	s_load_b32 s26, s[0:1], 0x58
	s_load_b128 s[8:11], s[0:1], 0x68
	s_load_b32 s27, s[0:1], 0x28
	s_load_b128 s[12:15], s[0:1], 0x38
	;; [unrolled: 2-line block ×3, first 2 shown]
	v_and_b32_e32 v6, 0x3ff, v0
	v_bfe_u32 v7, v0, 10, 10
	s_delay_alu instid0(VALU_DEP_2) | instskip(NEXT) | instid1(VALU_DEP_2)
	v_dual_mov_b32 v1, 0 :: v_dual_lshlrev_b32 v0, 2, v6
	v_lshl_add_u32 v2, v7, 6, v6
	s_delay_alu instid0(VALU_DEP_2)
	v_lshl_add_u32 v27, v7, 10, v0
	v_lshl_add_u32 v28, v7, 8, v0
	s_wait_kmcnt 0x0
	s_ashr_i32 s3, s2, 31
	s_cmp_eq_f32 s22, 0
	v_cmp_gt_u32_e64 s0, 0x100, v2
	s_mov_b32 s6, s20
	v_mul_lo_u32 v10, v7, s27
	s_cselect_b32 s29, -1, 0
	s_cmp_neq_f32 s26, 1.0
	s_cselect_b32 s1, -1, 0
	s_cmp_neq_f32 s22, 0
	s_cselect_b32 s5, -1, 0
	s_bfe_u32 s7, ttmp6, 0x4000c
	s_and_b32 s31, ttmp6, 15
	s_add_co_i32 s7, s7, 1
	s_or_b32 s30, s5, s1
	s_mul_i32 s7, ttmp9, s7
	v_cndmask_b32_e64 v29, 0, 1, s5
	s_add_co_i32 s31, s31, s7
	s_cmp_eq_u32 s4, 0
	v_lshl_add_u32 v36, v10, 2, v6
	s_cselect_b32 s1, ttmp9, s31
	s_ashr_i32 s7, s20, 31
	s_lshl_b32 s31, s1, 8
	s_delay_alu instid0(SALU_CYCLE_1)
	v_dual_lshlrev_b32 v26, 2, v7 :: v_dual_add_nc_u32 v0, s31, v2
	v_or_b32_e32 v5, s31, v2
	v_mul_lo_u32 v7, v7, s28
	s_cmp_neq_f32 s26, 0
	v_or_b32_e32 v30, s31, v6
	v_mul_u64_e32 v[2:3], s[2:3], v[0:1]
	v_mul_lo_u32 v4, s2, v5
	s_cselect_b32 s33, -1, 0
	s_cmp_eq_f32 s26, 0
	v_or_b32_e32 v8, 2, v26
	v_mul_lo_u32 v9, s27, v26
	v_cmp_gt_i32_e64 s2, s20, v5
	s_cselect_b32 s34, -1, 0
	v_lshlrev_b32_e32 v37, 2, v7
	v_add_nc_u32_e32 v11, 0x80, v30
	s_ashr_i32 s3, s21, 31
	v_mad_u32 v33, s28, v26, s28
	s_lshr_b32 s4, s3, 28
	v_ashrrev_i32_e32 v5, 31, v4
	s_add_co_i32 s5, s21, s4
	v_cmp_gt_i32_e64 s4, s20, v11
	v_or_b32_e32 v11, 3, v26
	v_mad_u32 v31, s27, v8, v6
	v_mul_lo_u32 v34, s28, v8
	v_cmp_gt_i64_e32 vcc_lo, s[6:7], v[0:1]
	v_add_nc_u32_e32 v0, 64, v30
	v_mad_u32 v32, s27, v11, v6
	v_mul_lo_u32 v35, s28, v11
	v_add_nc_u32_e32 v12, 0xc0, v30
	s_and_b32 s35, s5, -16
	v_cmp_gt_i32_e64 s1, s20, v30
	s_sub_co_i32 s7, s21, s35
	v_cmp_gt_i32_e64 s3, s20, v0
	v_cmp_gt_i32_e64 s5, s20, v12
	;; [unrolled: 1-line block ×3, first 2 shown]
	v_add3_u32 v0, v9, s27, v6
	s_cmp_gt_i32 s7, 0
	s_cselect_b32 s20, -1, 0
	s_and_b32 s36, s0, vcc_lo
	s_lshl_b32 s37, s27, 4
	s_lshl_b32 s38, s28, 4
	s_lshl_b64 s[18:19], s[18:19], 1
	s_lshl_b64 s[14:15], s[14:15], 1
	;; [unrolled: 1-line block ×3, first 2 shown]
	s_branch .LBB588_4
.LBB588_2:                              ;   in Loop: Header=BB588_4 Depth=1
	s_wait_xcnt 0x0
	s_or_b32 exec_lo, exec_lo, s7
.LBB588_3:                              ;   in Loop: Header=BB588_4 Depth=1
	s_add_co_i32 s24, s24, 0x10000
	s_delay_alu instid0(SALU_CYCLE_1)
	s_cmp_lt_u32 s24, s23
	s_cbranch_scc0 .LBB588_75
.LBB588_4:                              ; =>This Loop Header: Depth=1
                                        ;     Child Loop BB588_27 Depth 2
	s_and_not1_b32 vcc_lo, exec_lo, s30
	s_cbranch_vccnz .LBB588_3
; %bb.5:                                ;   in Loop: Header=BB588_4 Depth=1
	s_and_not1_b32 vcc_lo, exec_lo, s29
	s_cbranch_vccnz .LBB588_7
; %bb.6:                                ;   in Loop: Header=BB588_4 Depth=1
	v_mov_b64_e32 v[10:11], 0
	v_mov_b64_e32 v[8:9], 0
	s_cbranch_execz .LBB588_8
	s_branch .LBB588_9
.LBB588_7:                              ;   in Loop: Header=BB588_4 Depth=1
	v_mov_b64_e32 v[10:11], 0
	v_mov_b64_e32 v[8:9], 0
.LBB588_8:                              ;   in Loop: Header=BB588_4 Depth=1
	s_lshl_b64 s[40:41], s[24:25], 3
	s_delay_alu instid0(SALU_CYCLE_1)
	s_add_nc_u64 s[40:41], s[16:17], s[40:41]
	global_load_b64 v[6:7], v1, s[40:41]
	s_wait_loadcnt 0x0
	v_add_nc_u64_e32 v[8:9], s[18:19], v[6:7]
.LBB588_9:                              ;   in Loop: Header=BB588_4 Depth=1
	v_cmp_ne_u32_e32 vcc_lo, 1, v29
	s_cbranch_vccnz .LBB588_11
; %bb.10:                               ;   in Loop: Header=BB588_4 Depth=1
	s_wait_xcnt 0x0
	s_lshl_b64 s[40:41], s[24:25], 3
	s_delay_alu instid0(SALU_CYCLE_1)
	s_add_nc_u64 s[40:41], s[12:13], s[40:41]
	global_load_b64 v[6:7], v1, s[40:41]
	s_wait_loadcnt 0x0
	v_add_nc_u64_e32 v[10:11], s[14:15], v[6:7]
.LBB588_11:                             ;   in Loop: Header=BB588_4 Depth=1
	s_wait_xcnt 0x0
	s_lshl_b64 s[40:41], s[24:25], 3
	s_and_not1_b32 vcc_lo, exec_lo, s29
	s_add_nc_u64 s[40:41], s[8:9], s[40:41]
	global_load_b64 v[6:7], v1, s[40:41]
	s_wait_loadcnt 0x0
	v_add_nc_u64_e32 v[6:7], s[10:11], v[6:7]
	s_cbranch_vccnz .LBB588_19
; %bb.12:                               ;   in Loop: Header=BB588_4 Depth=1
	s_mov_b32 s7, 0
	s_mov_b32 s39, 0
                                        ; implicit-def: $vgpr12
	s_wait_xcnt 0x0
	s_and_saveexec_b32 s40, s36
	s_cbranch_execz .LBB588_20
; %bb.13:                               ;   in Loop: Header=BB588_4 Depth=1
	s_and_not1_b32 vcc_lo, exec_lo, s33
	s_cbranch_vccnz .LBB588_72
; %bb.14:                               ;   in Loop: Header=BB588_4 Depth=1
	v_lshl_add_u64 v[12:13], v[2:3], 1, v[6:7]
	flat_load_u16 v12, v[12:13]
	s_wait_loadcnt_dscnt 0x0
	s_wait_xcnt 0x0
	v_lshlrev_b32_e32 v12, 16, v12
	s_delay_alu instid0(VALU_DEP_1) | instskip(NEXT) | instid1(VALU_DEP_1)
	v_mul_f32_e32 v12, s26, v12
	v_and_b32_e32 v13, 0x7f800000, v12
	s_delay_alu instid0(VALU_DEP_1) | instskip(SKIP_1) | instid1(SALU_CYCLE_1)
	v_cmp_ne_u32_e32 vcc_lo, 0x7f800000, v13
                                        ; implicit-def: $vgpr13
	s_and_saveexec_b32 s39, vcc_lo
	s_xor_b32 s39, exec_lo, s39
; %bb.15:                               ;   in Loop: Header=BB588_4 Depth=1
	v_bfe_u32 v13, v12, 16, 1
	s_delay_alu instid0(VALU_DEP_1)
	v_add3_u32 v13, v12, v13, 0x7fff
                                        ; implicit-def: $vgpr12
; %bb.16:                               ;   in Loop: Header=BB588_4 Depth=1
	s_and_not1_saveexec_b32 s39, s39
; %bb.17:                               ;   in Loop: Header=BB588_4 Depth=1
	v_and_b32_e32 v13, 0xffff, v12
	v_or_b32_e32 v14, 0x10000, v12
	s_delay_alu instid0(VALU_DEP_2) | instskip(NEXT) | instid1(VALU_DEP_2)
	v_cmp_eq_u32_e32 vcc_lo, 0, v13
	v_cndmask_b32_e32 v13, v14, v12, vcc_lo
; %bb.18:                               ;   in Loop: Header=BB588_4 Depth=1
	s_or_b32 exec_lo, exec_lo, s39
	s_delay_alu instid0(VALU_DEP_1) | instskip(SKIP_2) | instid1(SALU_CYCLE_1)
	v_lshrrev_b32_e32 v12, 16, v13
	s_mov_b32 s39, exec_lo
	s_or_b32 exec_lo, exec_lo, s40
	s_and_b32 vcc_lo, exec_lo, s7
	s_cbranch_vccnz .LBB588_21
	s_branch .LBB588_73
.LBB588_19:                             ;   in Loop: Header=BB588_4 Depth=1
	s_mov_b32 s39, 0
                                        ; implicit-def: $vgpr12
	s_cbranch_execnz .LBB588_21
	s_branch .LBB588_73
.LBB588_20:                             ;   in Loop: Header=BB588_4 Depth=1
	s_or_b32 exec_lo, exec_lo, s40
	s_delay_alu instid0(SALU_CYCLE_1)
	s_and_b32 vcc_lo, exec_lo, s7
	s_cbranch_vccz .LBB588_73
.LBB588_21:                             ;   in Loop: Header=BB588_4 Depth=1
	v_dual_mov_b32 v38, 0 :: v_dual_mov_b32 v42, v26
	v_dual_mov_b32 v39, 0 :: v_dual_mov_b32 v40, 0
	v_mov_b32_e32 v41, 0
	s_wait_xcnt 0x0
	s_and_saveexec_b32 s7, s6
	s_cbranch_execz .LBB588_33
; %bb.22:                               ;   in Loop: Header=BB588_4 Depth=1
	v_dual_mov_b32 v38, 0 :: v_dual_mov_b32 v43, v36
	v_dual_mov_b32 v44, v32 :: v_dual_mov_b32 v45, v31
	;; [unrolled: 1-line block ×4, first 2 shown]
	v_mov_b32_e32 v41, 0
	s_mov_b32 s40, 0
	s_mov_b32 s41, 0
	s_branch .LBB588_27
.LBB588_23:                             ;   in Loop: Header=BB588_27 Depth=2
	s_or_b32 exec_lo, exec_lo, s45
	s_wait_loadcnt_dscnt 0x202
	v_dual_lshlrev_b32 v17, 16, v56 :: v_dual_lshlrev_b32 v16, 16, v55
	s_delay_alu instid0(VALU_DEP_1) | instskip(SKIP_1) | instid1(VALU_DEP_1)
	v_pk_mul_f32 v[16:17], v[14:15], v[16:17]
	s_wait_loadcnt_dscnt 0x0
	v_dual_add_f32 v16, v40, v16 :: v_dual_lshlrev_b32 v19, 16, v54
	s_delay_alu instid0(VALU_DEP_1) | instskip(SKIP_1) | instid1(VALU_DEP_1)
	v_add_f32_e32 v20, v16, v17
	v_lshlrev_b32_e32 v18, 16, v53
	v_pk_mul_f32 v[16:17], v[12:13], v[18:19]
	s_delay_alu instid0(VALU_DEP_1) | instskip(NEXT) | instid1(VALU_DEP_1)
	v_add_f32_e32 v16, v20, v16
	v_add_f32_e32 v40, v16, v17
.LBB588_24:                             ;   in Loop: Header=BB588_27 Depth=2
	s_or_b32 exec_lo, exec_lo, s44
	s_wait_loadcnt_dscnt 0x202
	v_dual_lshlrev_b32 v17, 16, v52 :: v_dual_lshlrev_b32 v16, 16, v51
	s_delay_alu instid0(VALU_DEP_1) | instskip(SKIP_1) | instid1(VALU_DEP_1)
	v_pk_mul_f32 v[16:17], v[14:15], v[16:17]
	s_wait_loadcnt_dscnt 0x0
	v_dual_add_f32 v16, v39, v16 :: v_dual_lshlrev_b32 v19, 16, v25
	s_delay_alu instid0(VALU_DEP_1) | instskip(NEXT) | instid1(VALU_DEP_1)
	v_dual_lshlrev_b32 v18, 16, v24 :: v_dual_add_f32 v20, v16, v17
	v_pk_mul_f32 v[16:17], v[12:13], v[18:19]
	s_delay_alu instid0(VALU_DEP_1) | instskip(NEXT) | instid1(VALU_DEP_1)
	v_add_f32_e32 v16, v20, v16
	v_add_f32_e32 v39, v16, v17
.LBB588_25:                             ;   in Loop: Header=BB588_27 Depth=2
	s_or_b32 exec_lo, exec_lo, s43
	s_wait_loadcnt_dscnt 0x202
	v_dual_lshlrev_b32 v17, 16, v50 :: v_dual_lshlrev_b32 v16, 16, v49
	s_delay_alu instid0(VALU_DEP_1) | instskip(SKIP_1) | instid1(VALU_DEP_1)
	v_pk_mul_f32 v[14:15], v[14:15], v[16:17]
	s_wait_loadcnt_dscnt 0x0
	v_dual_add_f32 v14, v38, v14 :: v_dual_lshlrev_b32 v17, 16, v48
	s_delay_alu instid0(VALU_DEP_1) | instskip(SKIP_1) | instid1(VALU_DEP_1)
	v_add_f32_e32 v14, v14, v15
	v_lshlrev_b32_e32 v16, 16, v47
	v_pk_mul_f32 v[12:13], v[12:13], v[16:17]
	s_delay_alu instid0(VALU_DEP_1) | instskip(NEXT) | instid1(VALU_DEP_1)
	v_add_f32_e32 v12, v14, v12
	v_add_f32_e32 v38, v12, v13
.LBB588_26:                             ;   in Loop: Header=BB588_27 Depth=2
	s_or_b32 exec_lo, exec_lo, s42
	v_dual_add_nc_u32 v42, 16, v42 :: v_dual_add_nc_u32 v45, s37, v45
	v_dual_add_nc_u32 v46, s37, v46 :: v_dual_add_nc_u32 v44, s37, v44
	v_add_nc_u32_e32 v43, s37, v43
	s_delay_alu instid0(VALU_DEP_3) | instskip(SKIP_2) | instid1(SALU_CYCLE_1)
	v_cmp_le_i32_e32 vcc_lo, s35, v42
	s_add_co_i32 s41, s41, s38
	s_or_b32 s40, vcc_lo, s40
	s_and_not1_b32 exec_lo, exec_lo, s40
	s_cbranch_execz .LBB588_32
.LBB588_27:                             ;   Parent Loop BB588_4 Depth=1
                                        ; =>  This Inner Loop Header: Depth=2
	s_and_saveexec_b32 s42, s1
	s_cbranch_execz .LBB588_26
; %bb.28:                               ;   in Loop: Header=BB588_27 Depth=2
	v_dual_add_nc_u32 v12, s41, v37 :: v_dual_add_nc_u32 v14, s41, v34
	v_readfirstlane_b32 s44, v10
	v_readfirstlane_b32 s45, v11
	v_dual_add_nc_u32 v13, s41, v33 :: v_dual_add_nc_u32 v15, s41, v35
	s_clause 0x3
	flat_load_u16 v17, v12, s[44:45] scale_offset
	flat_load_u16 v18, v13, s[44:45] scale_offset
	;; [unrolled: 1-line block ×4, first 2 shown]
	v_dual_add_nc_u32 v16, s31, v43 :: v_dual_add_nc_u32 v20, s31, v46
	s_wait_xcnt 0x0
	v_readfirstlane_b32 s44, v8
	v_readfirstlane_b32 s45, v9
	v_dual_add_nc_u32 v24, s31, v45 :: v_dual_add_nc_u32 v22, s31, v44
	s_clause 0x3
	flat_load_u16 v49, v16, s[44:45] scale_offset
	flat_load_u16 v50, v20, s[44:45] scale_offset
	;; [unrolled: 1-line block ×4, first 2 shown]
	s_wait_loadcnt_dscnt 0x606
	v_dual_lshlrev_b32 v14, 16, v17 :: v_dual_lshlrev_b32 v15, 16, v18
	s_wait_loadcnt_dscnt 0x404
	v_dual_lshlrev_b32 v12, 16, v19 :: v_dual_lshlrev_b32 v13, 16, v21
	s_wait_xcnt 0x0
	s_and_saveexec_b32 s43, s3
	s_cbranch_execz .LBB588_25
; %bb.29:                               ;   in Loop: Header=BB588_27 Depth=2
	v_dual_ashrrev_i32 v17, 31, v16 :: v_dual_ashrrev_i32 v23, 31, v22
	v_ashrrev_i32_e32 v21, 31, v20
	v_ashrrev_i32_e32 v25, 31, v24
	s_delay_alu instid0(VALU_DEP_3) | instskip(NEXT) | instid1(VALU_DEP_4)
	v_lshl_add_u64 v[18:19], v[16:17], 1, v[8:9]
	v_lshl_add_u64 v[22:23], v[22:23], 1, v[8:9]
	s_delay_alu instid0(VALU_DEP_4) | instskip(NEXT) | instid1(VALU_DEP_4)
	v_lshl_add_u64 v[16:17], v[20:21], 1, v[8:9]
	v_lshl_add_u64 v[20:21], v[24:25], 1, v[8:9]
	s_clause 0x3
	flat_load_u16 v51, v[18:19] offset:128
	flat_load_u16 v52, v[16:17] offset:128
	;; [unrolled: 1-line block ×4, first 2 shown]
	s_wait_xcnt 0x0
	s_and_saveexec_b32 s44, s4
	s_cbranch_execz .LBB588_24
; %bb.30:                               ;   in Loop: Header=BB588_27 Depth=2
	s_clause 0x3
	flat_load_u16 v55, v[18:19] offset:256
	flat_load_u16 v56, v[16:17] offset:256
	;; [unrolled: 1-line block ×4, first 2 shown]
	s_wait_xcnt 0x0
	s_and_saveexec_b32 s45, s5
	s_cbranch_execz .LBB588_23
; %bb.31:                               ;   in Loop: Header=BB588_27 Depth=2
	s_clause 0x3
	flat_load_u16 v57, v[16:17] offset:384
	flat_load_u16 v58, v[18:19] offset:384
	;; [unrolled: 1-line block ×4, first 2 shown]
	s_wait_loadcnt_dscnt 0x202
	s_wait_xcnt 0x3
	v_dual_lshlrev_b32 v17, 16, v57 :: v_dual_lshlrev_b32 v16, 16, v58
	s_delay_alu instid0(VALU_DEP_1) | instskip(SKIP_2) | instid1(VALU_DEP_1)
	v_pk_mul_f32 v[16:17], v[14:15], v[16:17]
	s_wait_loadcnt_dscnt 0x101
	s_wait_xcnt 0x2
	v_dual_add_f32 v16, v41, v16 :: v_dual_lshlrev_b32 v19, 16, v59
	s_wait_loadcnt_dscnt 0x0
	s_wait_xcnt 0x0
	s_delay_alu instid0(VALU_DEP_1) | instskip(NEXT) | instid1(VALU_DEP_1)
	v_dual_lshlrev_b32 v18, 16, v60 :: v_dual_add_f32 v20, v16, v17
	v_pk_mul_f32 v[16:17], v[12:13], v[18:19]
	s_delay_alu instid0(VALU_DEP_1) | instskip(NEXT) | instid1(VALU_DEP_1)
	v_add_f32_e32 v16, v20, v16
	v_add_f32_e32 v41, v16, v17
	s_branch .LBB588_23
.LBB588_32:                             ;   in Loop: Header=BB588_4 Depth=1
	s_or_b32 exec_lo, exec_lo, s40
.LBB588_33:                             ;   in Loop: Header=BB588_4 Depth=1
	s_delay_alu instid0(SALU_CYCLE_1) | instskip(NEXT) | instid1(SALU_CYCLE_1)
	s_or_b32 exec_lo, exec_lo, s7
	s_and_not1_b32 vcc_lo, exec_lo, s20
	s_cbranch_vccnz .LBB588_51
; %bb.34:                               ;   in Loop: Header=BB588_4 Depth=1
	v_dual_mov_b32 v12, 0 :: v_dual_bitop2_b32 v16, 1, v42 bitop3:0x54
	v_cmp_gt_i32_e32 vcc_lo, s21, v42
	s_delay_alu instid0(VALU_DEP_2)
	v_dual_mov_b32 v13, v12 :: v_dual_mov_b32 v14, v12
	v_mov_b32_e32 v15, v12
	s_and_saveexec_b32 s40, vcc_lo
	s_cbranch_execz .LBB588_42
; %bb.35:                               ;   in Loop: Header=BB588_4 Depth=1
	v_mul_lo_u32 v12, v42, s28
	v_readfirstlane_b32 s42, v10
	v_readfirstlane_b32 s43, v11
	v_dual_mov_b32 v15, 0 :: v_dual_mov_b32 v13, 0
	s_mov_b32 s41, exec_lo
	flat_load_u16 v14, v12, s[42:43] scale_offset
	s_wait_xcnt 0x0
	v_mov_b32_e32 v12, 0
	v_cmpx_gt_i32_e64 s21, v16
	s_cbranch_execz .LBB588_41
; %bb.36:                               ;   in Loop: Header=BB588_4 Depth=1
	v_mul_lo_u32 v12, v16, s28
	v_readfirstlane_b32 s42, v10
	v_readfirstlane_b32 s43, v11
	v_dual_mov_b32 v13, 0 :: v_dual_bitop2_b32 v17, 2, v42 bitop3:0x54
	flat_load_u16 v15, v12, s[42:43] scale_offset
	s_wait_xcnt 0x0
	v_mov_b32_e32 v12, 0
	s_mov_b32 s42, exec_lo
	v_cmpx_gt_i32_e64 s21, v17
	s_cbranch_execz .LBB588_40
; %bb.37:                               ;   in Loop: Header=BB588_4 Depth=1
	v_mul_lo_u32 v12, v17, s28
	v_readfirstlane_b32 s44, v10
	v_readfirstlane_b32 s45, v11
	v_dual_mov_b32 v13, 0 :: v_dual_bitop2_b32 v17, 3, v42 bitop3:0x54
	s_mov_b32 s43, exec_lo
	flat_load_u16 v12, v12, s[44:45] scale_offset
	s_wait_xcnt 0x0
	v_cmpx_gt_i32_e64 s21, v17
	s_cbranch_execz .LBB588_39
; %bb.38:                               ;   in Loop: Header=BB588_4 Depth=1
	v_mul_lo_u32 v13, v17, s28
	v_readfirstlane_b32 s44, v10
	v_readfirstlane_b32 s45, v11
	flat_load_u16 v10, v13, s[44:45] scale_offset
	s_wait_loadcnt_dscnt 0x0
	s_wait_xcnt 0x0
	v_lshlrev_b32_e32 v13, 16, v10
.LBB588_39:                             ;   in Loop: Header=BB588_4 Depth=1
	s_or_b32 exec_lo, exec_lo, s43
	s_wait_loadcnt_dscnt 0x0
	v_lshlrev_b32_e32 v12, 16, v12
.LBB588_40:                             ;   in Loop: Header=BB588_4 Depth=1
	s_or_b32 exec_lo, exec_lo, s42
	s_wait_loadcnt_dscnt 0x0
	v_lshlrev_b32_e32 v15, 16, v15
.LBB588_41:                             ;   in Loop: Header=BB588_4 Depth=1
	s_or_b32 exec_lo, exec_lo, s41
	s_wait_loadcnt_dscnt 0x0
	v_lshlrev_b32_e32 v14, 16, v14
.LBB588_42:                             ;   in Loop: Header=BB588_4 Depth=1
	s_or_b32 exec_lo, exec_lo, s40
	s_and_saveexec_b32 s40, s1
	s_cbranch_execz .LBB588_50
; %bb.43:                               ;   in Loop: Header=BB588_4 Depth=1
	v_mul_lo_u32 v17, v16, s27
	v_mul_lo_u32 v20, v42, s27
	v_cmp_gt_i32_e64 s7, s21, v16
	v_or_b32_e32 v10, 2, v42
	v_or_b32_e32 v11, 3, v42
	v_readfirstlane_b32 s42, v8
	v_readfirstlane_b32 s43, v9
	v_cndmask_b32_e64 v16, 0, v17, s7
	v_mul_lo_u32 v18, v10, s27
	v_cndmask_b32_e32 v17, 0, v20, vcc_lo
	v_mul_lo_u32 v19, v11, s27
	v_cmp_gt_i32_e64 s7, s21, v10
	s_delay_alu instid0(VALU_DEP_1) | instskip(SKIP_1) | instid1(VALU_DEP_1)
	v_cndmask_b32_e64 v10, 0, v18, s7
	v_cmp_gt_i32_e64 s7, s21, v11
	v_dual_cndmask_b32 v11, 0, v19, s7 :: v_dual_add_nc_u32 v16, v16, v30
	s_delay_alu instid0(VALU_DEP_3) | instskip(NEXT) | instid1(VALU_DEP_2)
	v_dual_add_nc_u32 v18, v10, v30 :: v_dual_add_nc_u32 v10, v17, v30
	v_add_nc_u32_e32 v20, v11, v30
	s_clause 0x3
	flat_load_u16 v24, v16, s[42:43] scale_offset
	flat_load_u16 v22, v18, s[42:43] scale_offset
	;; [unrolled: 1-line block ×4, first 2 shown]
	s_wait_xcnt 0x0
	s_and_saveexec_b32 s7, s3
	s_cbranch_execz .LBB588_49
; %bb.44:                               ;   in Loop: Header=BB588_4 Depth=1
	v_dual_ashrrev_i32 v11, 31, v10 :: v_dual_ashrrev_i32 v17, 31, v16
	v_dual_ashrrev_i32 v19, 31, v18 :: v_dual_ashrrev_i32 v21, 31, v20
	s_delay_alu instid0(VALU_DEP_2) | instskip(NEXT) | instid1(VALU_DEP_3)
	v_lshl_add_u64 v[10:11], v[10:11], 1, v[8:9]
	v_lshl_add_u64 v[16:17], v[16:17], 1, v[8:9]
	s_delay_alu instid0(VALU_DEP_3) | instskip(NEXT) | instid1(VALU_DEP_4)
	v_lshl_add_u64 v[18:19], v[18:19], 1, v[8:9]
	v_lshl_add_u64 v[8:9], v[20:21], 1, v[8:9]
	s_clause 0x3
	flat_load_u16 v42, v[10:11] offset:128
	flat_load_u16 v43, v[16:17] offset:128
	;; [unrolled: 1-line block ×4, first 2 shown]
	s_wait_xcnt 0x0
	s_and_saveexec_b32 s41, s4
	s_cbranch_execz .LBB588_48
; %bb.45:                               ;   in Loop: Header=BB588_4 Depth=1
	s_clause 0x3
	flat_load_u16 v46, v[10:11] offset:256
	flat_load_u16 v47, v[16:17] offset:256
	;; [unrolled: 1-line block ×4, first 2 shown]
	s_wait_xcnt 0x0
	s_and_saveexec_b32 s42, s5
	s_cbranch_execz .LBB588_47
; %bb.46:                               ;   in Loop: Header=BB588_4 Depth=1
	s_clause 0x3
	flat_load_u16 v48, v[16:17] offset:384
	flat_load_u16 v49, v[10:11] offset:384
	flat_load_u16 v50, v[8:9] offset:384
	flat_load_u16 v51, v[18:19] offset:384
	s_wait_loadcnt_dscnt 0x202
	s_wait_xcnt 0x1
	v_dual_lshlrev_b32 v9, 16, v48 :: v_dual_lshlrev_b32 v8, 16, v49
	s_delay_alu instid0(VALU_DEP_1) | instskip(SKIP_1) | instid1(VALU_DEP_1)
	v_pk_mul_f32 v[8:9], v[14:15], v[8:9]
	s_wait_loadcnt_dscnt 0x101
	v_dual_add_f32 v8, v41, v8 :: v_dual_lshlrev_b32 v11, 16, v50
	s_wait_loadcnt_dscnt 0x0
	s_delay_alu instid0(VALU_DEP_1) | instskip(NEXT) | instid1(VALU_DEP_1)
	v_dual_lshlrev_b32 v10, 16, v51 :: v_dual_add_f32 v16, v8, v9
	v_pk_mul_f32 v[8:9], v[12:13], v[10:11]
	s_delay_alu instid0(VALU_DEP_1) | instskip(NEXT) | instid1(VALU_DEP_1)
	v_add_f32_e32 v8, v16, v8
	v_add_f32_e32 v41, v8, v9
.LBB588_47:                             ;   in Loop: Header=BB588_4 Depth=1
	s_wait_xcnt 0x0
	s_or_b32 exec_lo, exec_lo, s42
	s_wait_loadcnt_dscnt 0x202
	v_dual_lshlrev_b32 v9, 16, v47 :: v_dual_lshlrev_b32 v8, 16, v46
	s_delay_alu instid0(VALU_DEP_1) | instskip(SKIP_1) | instid1(VALU_DEP_1)
	v_pk_mul_f32 v[8:9], v[14:15], v[8:9]
	s_wait_loadcnt_dscnt 0x0
	v_dual_add_f32 v8, v40, v8 :: v_dual_lshlrev_b32 v11, 16, v45
	s_delay_alu instid0(VALU_DEP_1) | instskip(NEXT) | instid1(VALU_DEP_1)
	v_dual_lshlrev_b32 v10, 16, v44 :: v_dual_add_f32 v16, v8, v9
	v_pk_mul_f32 v[8:9], v[12:13], v[10:11]
	s_delay_alu instid0(VALU_DEP_1) | instskip(NEXT) | instid1(VALU_DEP_1)
	v_add_f32_e32 v8, v16, v8
	v_add_f32_e32 v40, v8, v9
.LBB588_48:                             ;   in Loop: Header=BB588_4 Depth=1
	s_or_b32 exec_lo, exec_lo, s41
	s_wait_loadcnt_dscnt 0x202
	v_dual_lshlrev_b32 v9, 16, v43 :: v_dual_lshlrev_b32 v8, 16, v42
	s_delay_alu instid0(VALU_DEP_1) | instskip(SKIP_1) | instid1(VALU_DEP_1)
	v_pk_mul_f32 v[8:9], v[14:15], v[8:9]
	s_wait_loadcnt_dscnt 0x0
	v_dual_add_f32 v8, v39, v8 :: v_dual_lshlrev_b32 v11, 16, v21
	s_delay_alu instid0(VALU_DEP_1) | instskip(NEXT) | instid1(VALU_DEP_1)
	v_dual_lshlrev_b32 v10, 16, v20 :: v_dual_add_f32 v16, v8, v9
	v_pk_mul_f32 v[8:9], v[12:13], v[10:11]
	s_delay_alu instid0(VALU_DEP_1) | instskip(NEXT) | instid1(VALU_DEP_1)
	v_add_f32_e32 v8, v16, v8
	v_add_f32_e32 v39, v8, v9
.LBB588_49:                             ;   in Loop: Header=BB588_4 Depth=1
	s_or_b32 exec_lo, exec_lo, s7
	s_wait_loadcnt_dscnt 0x0
	v_dual_lshlrev_b32 v9, 16, v24 :: v_dual_lshlrev_b32 v8, 16, v25
	s_delay_alu instid0(VALU_DEP_1) | instskip(NEXT) | instid1(VALU_DEP_1)
	v_pk_mul_f32 v[8:9], v[14:15], v[8:9]
	v_dual_add_f32 v8, v38, v8 :: v_dual_lshlrev_b32 v11, 16, v23
	s_delay_alu instid0(VALU_DEP_1) | instskip(NEXT) | instid1(VALU_DEP_1)
	v_dual_lshlrev_b32 v10, 16, v22 :: v_dual_add_f32 v14, v8, v9
	v_pk_mul_f32 v[8:9], v[12:13], v[10:11]
	s_delay_alu instid0(VALU_DEP_1) | instskip(NEXT) | instid1(VALU_DEP_1)
	v_add_f32_e32 v8, v14, v8
	v_add_f32_e32 v38, v8, v9
.LBB588_50:                             ;   in Loop: Header=BB588_4 Depth=1
	s_or_b32 exec_lo, exec_lo, s40
.LBB588_51:                             ;   in Loop: Header=BB588_4 Depth=1
	ds_store_2addr_stride64_b32 v27, v38, v39 offset1:1
	ds_store_2addr_stride64_b32 v27, v40, v41 offset0:2 offset1:3
	s_wait_dscnt 0x0
	s_barrier_signal -1
	s_barrier_wait -1
                                        ; implicit-def: $vgpr12
	s_and_saveexec_b32 s7, s0
	s_cbranch_execz .LBB588_71
; %bb.52:                               ;   in Loop: Header=BB588_4 Depth=1
	ds_load_2addr_stride64_b32 v[8:9], v28 offset1:4
	ds_load_2addr_stride64_b32 v[10:11], v28 offset0:8 offset1:12
	s_mov_b32 s41, s39
                                        ; implicit-def: $vgpr12
	s_wait_dscnt 0x1
	v_add_f32_e32 v8, v8, v9
	s_wait_dscnt 0x0
	s_delay_alu instid0(VALU_DEP_1) | instskip(NEXT) | instid1(VALU_DEP_1)
	v_add_f32_e32 v8, v10, v8
	v_add_f32_e32 v8, v11, v8
	ds_store_b32 v28, v8
	s_and_saveexec_b32 s40, s2
	s_cbranch_execz .LBB588_70
; %bb.53:                               ;   in Loop: Header=BB588_4 Depth=1
	v_mul_f32_e32 v8, s22, v8
	s_and_b32 vcc_lo, exec_lo, s34
	s_mov_b32 s41, -1
                                        ; implicit-def: $vgpr9
	s_cbranch_vccz .LBB588_59
; %bb.54:                               ;   in Loop: Header=BB588_4 Depth=1
	s_delay_alu instid0(VALU_DEP_1) | instskip(NEXT) | instid1(VALU_DEP_1)
	v_and_b32_e32 v9, 0x7f800000, v8
	v_cmp_ne_u32_e32 vcc_lo, 0x7f800000, v9
                                        ; implicit-def: $vgpr9
	s_and_saveexec_b32 s41, vcc_lo
	s_delay_alu instid0(SALU_CYCLE_1)
	s_xor_b32 s41, exec_lo, s41
; %bb.55:                               ;   in Loop: Header=BB588_4 Depth=1
	v_bfe_u32 v9, v8, 16, 1
	s_delay_alu instid0(VALU_DEP_1)
	v_add3_u32 v9, v8, v9, 0x7fff
; %bb.56:                               ;   in Loop: Header=BB588_4 Depth=1
	s_and_not1_saveexec_b32 s41, s41
; %bb.57:                               ;   in Loop: Header=BB588_4 Depth=1
	v_and_b32_e32 v9, 0xffff, v8
	v_or_b32_e32 v10, 0x10000, v8
	s_delay_alu instid0(VALU_DEP_2) | instskip(NEXT) | instid1(VALU_DEP_2)
	v_cmp_eq_u32_e32 vcc_lo, 0, v9
	v_cndmask_b32_e32 v9, v10, v8, vcc_lo
; %bb.58:                               ;   in Loop: Header=BB588_4 Depth=1
	s_or_b32 exec_lo, exec_lo, s41
	s_mov_b32 s41, 0
.LBB588_59:                             ;   in Loop: Header=BB588_4 Depth=1
	s_delay_alu instid0(SALU_CYCLE_1)
	s_and_not1_b32 vcc_lo, exec_lo, s41
	s_cbranch_vccnz .LBB588_69
; %bb.60:                               ;   in Loop: Header=BB588_4 Depth=1
	v_lshl_add_u64 v[10:11], v[4:5], 1, v[6:7]
	flat_load_u16 v9, v[10:11]
	s_wait_loadcnt_dscnt 0x0
	v_lshlrev_b32_e32 v9, 16, v9
	s_delay_alu instid0(VALU_DEP_1) | instskip(SKIP_1) | instid1(VALU_DEP_1)
	v_mul_f32_e32 v9, s26, v9
	s_wait_xcnt 0x0
	v_and_b32_e32 v10, 0x7f800000, v9
	s_delay_alu instid0(VALU_DEP_1) | instskip(SKIP_1) | instid1(SALU_CYCLE_1)
	v_cmp_ne_u32_e32 vcc_lo, 0x7f800000, v10
                                        ; implicit-def: $vgpr10
	s_and_saveexec_b32 s41, vcc_lo
	s_xor_b32 s41, exec_lo, s41
; %bb.61:                               ;   in Loop: Header=BB588_4 Depth=1
	v_bfe_u32 v10, v9, 16, 1
	s_delay_alu instid0(VALU_DEP_1)
	v_add3_u32 v10, v9, v10, 0x7fff
                                        ; implicit-def: $vgpr9
; %bb.62:                               ;   in Loop: Header=BB588_4 Depth=1
	s_and_not1_saveexec_b32 s41, s41
; %bb.63:                               ;   in Loop: Header=BB588_4 Depth=1
	v_and_b32_e32 v10, 0xffff, v9
	v_or_b32_e32 v11, 0x10000, v9
	s_delay_alu instid0(VALU_DEP_2) | instskip(NEXT) | instid1(VALU_DEP_2)
	v_cmp_eq_u32_e32 vcc_lo, 0, v10
	v_cndmask_b32_e32 v10, v11, v9, vcc_lo
; %bb.64:                               ;   in Loop: Header=BB588_4 Depth=1
	s_or_b32 exec_lo, exec_lo, s41
	s_delay_alu instid0(VALU_DEP_1) | instskip(NEXT) | instid1(VALU_DEP_1)
	v_and_b32_e32 v9, 0xffff0000, v10
	v_add_f32_e32 v8, v8, v9
	s_delay_alu instid0(VALU_DEP_1) | instskip(NEXT) | instid1(VALU_DEP_1)
	v_and_b32_e32 v9, 0x7f800000, v8
	v_cmp_ne_u32_e32 vcc_lo, 0x7f800000, v9
                                        ; implicit-def: $vgpr9
	s_and_saveexec_b32 s41, vcc_lo
	s_delay_alu instid0(SALU_CYCLE_1)
	s_xor_b32 s41, exec_lo, s41
; %bb.65:                               ;   in Loop: Header=BB588_4 Depth=1
	v_bfe_u32 v9, v8, 16, 1
	s_delay_alu instid0(VALU_DEP_1)
	v_add3_u32 v9, v8, v9, 0x7fff
                                        ; implicit-def: $vgpr8
; %bb.66:                               ;   in Loop: Header=BB588_4 Depth=1
	s_and_not1_saveexec_b32 s41, s41
; %bb.67:                               ;   in Loop: Header=BB588_4 Depth=1
	v_and_b32_e32 v9, 0xffff, v8
	v_or_b32_e32 v10, 0x10000, v8
	s_delay_alu instid0(VALU_DEP_2) | instskip(NEXT) | instid1(VALU_DEP_2)
	v_cmp_eq_u32_e32 vcc_lo, 0, v9
	v_cndmask_b32_e32 v9, v10, v8, vcc_lo
; %bb.68:                               ;   in Loop: Header=BB588_4 Depth=1
	s_or_b32 exec_lo, exec_lo, s41
.LBB588_69:                             ;   in Loop: Header=BB588_4 Depth=1
	s_delay_alu instid0(VALU_DEP_1)
	v_lshrrev_b32_e32 v12, 16, v9
	s_or_b32 s41, s39, exec_lo
.LBB588_70:                             ;   in Loop: Header=BB588_4 Depth=1
	s_or_b32 exec_lo, exec_lo, s40
	s_delay_alu instid0(SALU_CYCLE_1) | instskip(SKIP_1) | instid1(SALU_CYCLE_1)
	s_and_not1_b32 s39, s39, exec_lo
	s_and_b32 s40, s41, exec_lo
	s_or_b32 s39, s39, s40
.LBB588_71:                             ;   in Loop: Header=BB588_4 Depth=1
	s_or_b32 exec_lo, exec_lo, s7
	v_mov_b64_e32 v[8:9], v[4:5]
	s_and_saveexec_b32 s7, s39
	s_cbranch_execz .LBB588_2
	s_branch .LBB588_74
.LBB588_72:                             ;   in Loop: Header=BB588_4 Depth=1
	v_mov_b32_e32 v12, 0
	s_mov_b32 s39, exec_lo
	s_or_b32 exec_lo, exec_lo, s40
	s_delay_alu instid0(SALU_CYCLE_1)
	s_and_b32 vcc_lo, exec_lo, s7
	s_cbranch_vccnz .LBB588_21
.LBB588_73:                             ;   in Loop: Header=BB588_4 Depth=1
	v_mov_b64_e32 v[8:9], v[2:3]
	s_wait_xcnt 0x0
	s_and_saveexec_b32 s7, s39
	s_cbranch_execz .LBB588_2
.LBB588_74:                             ;   in Loop: Header=BB588_4 Depth=1
	s_delay_alu instid0(VALU_DEP_1)
	v_lshl_add_u64 v[6:7], v[8:9], 1, v[6:7]
	flat_store_b16 v[6:7], v12
	s_branch .LBB588_2
.LBB588_75:
	s_endpgm
	.section	.rodata,"a",@progbits
	.p2align	6, 0x0
	.amdhsa_kernel _ZL20rocblas_gemvn_kernelILi64ELi4EiPK16rocblas_bfloat16fKPS0_EviiT3_lPKT2_lT1_lS8_lS9_lS5_lPT4_lS9_li
		.amdhsa_group_segment_fixed_size 4096
		.amdhsa_private_segment_fixed_size 0
		.amdhsa_kernarg_size 400
		.amdhsa_user_sgpr_count 2
		.amdhsa_user_sgpr_dispatch_ptr 0
		.amdhsa_user_sgpr_queue_ptr 0
		.amdhsa_user_sgpr_kernarg_segment_ptr 1
		.amdhsa_user_sgpr_dispatch_id 0
		.amdhsa_user_sgpr_kernarg_preload_length 0
		.amdhsa_user_sgpr_kernarg_preload_offset 0
		.amdhsa_user_sgpr_private_segment_size 0
		.amdhsa_wavefront_size32 1
		.amdhsa_uses_dynamic_stack 0
		.amdhsa_enable_private_segment 0
		.amdhsa_system_sgpr_workgroup_id_x 1
		.amdhsa_system_sgpr_workgroup_id_y 0
		.amdhsa_system_sgpr_workgroup_id_z 1
		.amdhsa_system_sgpr_workgroup_info 0
		.amdhsa_system_vgpr_workitem_id 1
		.amdhsa_next_free_vgpr 61
		.amdhsa_next_free_sgpr 46
		.amdhsa_named_barrier_count 0
		.amdhsa_reserve_vcc 1
		.amdhsa_float_round_mode_32 0
		.amdhsa_float_round_mode_16_64 0
		.amdhsa_float_denorm_mode_32 3
		.amdhsa_float_denorm_mode_16_64 3
		.amdhsa_fp16_overflow 0
		.amdhsa_memory_ordered 1
		.amdhsa_forward_progress 1
		.amdhsa_inst_pref_size 29
		.amdhsa_round_robin_scheduling 0
		.amdhsa_exception_fp_ieee_invalid_op 0
		.amdhsa_exception_fp_denorm_src 0
		.amdhsa_exception_fp_ieee_div_zero 0
		.amdhsa_exception_fp_ieee_overflow 0
		.amdhsa_exception_fp_ieee_underflow 0
		.amdhsa_exception_fp_ieee_inexact 0
		.amdhsa_exception_int_div_zero 0
	.end_amdhsa_kernel
	.section	.text._ZL20rocblas_gemvn_kernelILi64ELi4EiPK16rocblas_bfloat16fKPS0_EviiT3_lPKT2_lT1_lS8_lS9_lS5_lPT4_lS9_li,"axG",@progbits,_ZL20rocblas_gemvn_kernelILi64ELi4EiPK16rocblas_bfloat16fKPS0_EviiT3_lPKT2_lT1_lS8_lS9_lS5_lPT4_lS9_li,comdat
.Lfunc_end588:
	.size	_ZL20rocblas_gemvn_kernelILi64ELi4EiPK16rocblas_bfloat16fKPS0_EviiT3_lPKT2_lT1_lS8_lS9_lS5_lPT4_lS9_li, .Lfunc_end588-_ZL20rocblas_gemvn_kernelILi64ELi4EiPK16rocblas_bfloat16fKPS0_EviiT3_lPKT2_lT1_lS8_lS9_lS5_lPT4_lS9_li
                                        ; -- End function
	.set _ZL20rocblas_gemvn_kernelILi64ELi4EiPK16rocblas_bfloat16fKPS0_EviiT3_lPKT2_lT1_lS8_lS9_lS5_lPT4_lS9_li.num_vgpr, 61
	.set _ZL20rocblas_gemvn_kernelILi64ELi4EiPK16rocblas_bfloat16fKPS0_EviiT3_lPKT2_lT1_lS8_lS9_lS5_lPT4_lS9_li.num_agpr, 0
	.set _ZL20rocblas_gemvn_kernelILi64ELi4EiPK16rocblas_bfloat16fKPS0_EviiT3_lPKT2_lT1_lS8_lS9_lS5_lPT4_lS9_li.numbered_sgpr, 46
	.set _ZL20rocblas_gemvn_kernelILi64ELi4EiPK16rocblas_bfloat16fKPS0_EviiT3_lPKT2_lT1_lS8_lS9_lS5_lPT4_lS9_li.num_named_barrier, 0
	.set _ZL20rocblas_gemvn_kernelILi64ELi4EiPK16rocblas_bfloat16fKPS0_EviiT3_lPKT2_lT1_lS8_lS9_lS5_lPT4_lS9_li.private_seg_size, 0
	.set _ZL20rocblas_gemvn_kernelILi64ELi4EiPK16rocblas_bfloat16fKPS0_EviiT3_lPKT2_lT1_lS8_lS9_lS5_lPT4_lS9_li.uses_vcc, 1
	.set _ZL20rocblas_gemvn_kernelILi64ELi4EiPK16rocblas_bfloat16fKPS0_EviiT3_lPKT2_lT1_lS8_lS9_lS5_lPT4_lS9_li.uses_flat_scratch, 1
	.set _ZL20rocblas_gemvn_kernelILi64ELi4EiPK16rocblas_bfloat16fKPS0_EviiT3_lPKT2_lT1_lS8_lS9_lS5_lPT4_lS9_li.has_dyn_sized_stack, 0
	.set _ZL20rocblas_gemvn_kernelILi64ELi4EiPK16rocblas_bfloat16fKPS0_EviiT3_lPKT2_lT1_lS8_lS9_lS5_lPT4_lS9_li.has_recursion, 0
	.set _ZL20rocblas_gemvn_kernelILi64ELi4EiPK16rocblas_bfloat16fKPS0_EviiT3_lPKT2_lT1_lS8_lS9_lS5_lPT4_lS9_li.has_indirect_call, 0
	.section	.AMDGPU.csdata,"",@progbits
; Kernel info:
; codeLenInByte = 3648
; TotalNumSgprs: 48
; NumVgprs: 61
; ScratchSize: 0
; MemoryBound: 0
; FloatMode: 240
; IeeeMode: 1
; LDSByteSize: 4096 bytes/workgroup (compile time only)
; SGPRBlocks: 0
; VGPRBlocks: 3
; NumSGPRsForWavesPerEU: 48
; NumVGPRsForWavesPerEU: 61
; NamedBarCnt: 0
; Occupancy: 16
; WaveLimiterHint : 1
; COMPUTE_PGM_RSRC2:SCRATCH_EN: 0
; COMPUTE_PGM_RSRC2:USER_SGPR: 2
; COMPUTE_PGM_RSRC2:TRAP_HANDLER: 0
; COMPUTE_PGM_RSRC2:TGID_X_EN: 1
; COMPUTE_PGM_RSRC2:TGID_Y_EN: 0
; COMPUTE_PGM_RSRC2:TGID_Z_EN: 1
; COMPUTE_PGM_RSRC2:TIDIG_COMP_CNT: 1
	.section	.text._ZL20rocblas_gemvn_kernelILi64ELi4ElPK16rocblas_bfloat16fKPS0_EviiT3_lPKT2_lT1_lS8_lS9_lS5_lPT4_lS9_li,"axG",@progbits,_ZL20rocblas_gemvn_kernelILi64ELi4ElPK16rocblas_bfloat16fKPS0_EviiT3_lPKT2_lT1_lS8_lS9_lS5_lPT4_lS9_li,comdat
	.globl	_ZL20rocblas_gemvn_kernelILi64ELi4ElPK16rocblas_bfloat16fKPS0_EviiT3_lPKT2_lT1_lS8_lS9_lS5_lPT4_lS9_li ; -- Begin function _ZL20rocblas_gemvn_kernelILi64ELi4ElPK16rocblas_bfloat16fKPS0_EviiT3_lPKT2_lT1_lS8_lS9_lS5_lPT4_lS9_li
	.p2align	8
	.type	_ZL20rocblas_gemvn_kernelILi64ELi4ElPK16rocblas_bfloat16fKPS0_EviiT3_lPKT2_lT1_lS8_lS9_lS5_lPT4_lS9_li,@function
_ZL20rocblas_gemvn_kernelILi64ELi4ElPK16rocblas_bfloat16fKPS0_EviiT3_lPKT2_lT1_lS8_lS9_lS5_lPT4_lS9_li: ; @_ZL20rocblas_gemvn_kernelILi64ELi4ElPK16rocblas_bfloat16fKPS0_EviiT3_lPKT2_lT1_lS8_lS9_lS5_lPT4_lS9_li
; %bb.0:
	s_clause 0x1
	s_load_b64 s[2:3], s[0:1], 0x9c
	s_load_b32 s27, s[0:1], 0x88
	s_bfe_u32 s4, ttmp6, 0x40014
	s_lshr_b32 s5, ttmp7, 16
	s_add_co_i32 s4, s4, 1
	s_bfe_u32 s6, ttmp6, 0x40008
	s_mul_i32 s7, s5, s4
	s_getreg_b32 s4, hwreg(HW_REG_IB_STS2, 6, 4)
	s_add_co_i32 s6, s6, s7
	s_mov_b32 s11, 0
	s_wait_kmcnt 0x0
	s_lshr_b32 s7, s2, 16
	s_and_b32 s2, s2, 0xffff
	s_and_b32 s3, s3, 0xffff
	s_mul_i32 s2, s7, s2
	s_cmp_eq_u32 s4, 0
	s_mul_i32 s2, s2, s3
	s_cselect_b32 s10, s5, s6
	s_cmp_lg_u32 s2, 0x100
	s_cselect_b32 s2, -1, 0
	s_cmp_ge_u32 s10, s27
	s_cselect_b32 s3, -1, 0
	s_delay_alu instid0(SALU_CYCLE_1) | instskip(NEXT) | instid1(SALU_CYCLE_1)
	s_or_b32 s2, s2, s3
	s_and_b32 vcc_lo, exec_lo, s2
	s_cbranch_vccnz .LBB589_75
; %bb.1:
	s_clause 0x7
	s_load_b96 s[24:26], s[0:1], 0x0
	s_load_b32 s33, s[0:1], 0x58
	s_load_b64 s[28:29], s[0:1], 0x48
	s_load_b64 s[30:31], s[0:1], 0x28
	s_load_b128 s[12:15], s[0:1], 0x18
	s_load_b128 s[16:19], s[0:1], 0x38
	s_load_b64 s[2:3], s[0:1], 0x78
	s_load_b128 s[20:23], s[0:1], 0x68
	v_bfe_u32 v4, v0, 10, 10
	v_and_b32_e32 v14, 0x3ff, v0
	s_delay_alu instid0(VALU_DEP_2) | instskip(NEXT) | instid1(VALU_DEP_2)
	v_dual_mov_b32 v1, 0 :: v_dual_lshlrev_b32 v52, 2, v4
	v_lshl_add_u32 v15, v4, 6, v14
	s_delay_alu instid0(VALU_DEP_2) | instskip(NEXT) | instid1(VALU_DEP_1)
	v_dual_mov_b32 v5, v1 :: v_dual_lshlrev_b32 v16, 2, v14
	v_lshl_add_u32 v54, v4, 10, v16
	s_wait_kmcnt 0x0
	s_cmp_eq_f32 s26, 0
	v_lshl_add_u32 v55, v4, 8, v16
	v_mad_nc_u64_u32 v[6:7], s28, v52, s[28:29]
	v_mad_nc_u64_u32 v[8:9], s30, v52, s[30:31]
	s_cselect_b32 s38, -1, 0
	s_cmp_neq_f32 s33, 1.0
	v_mul_u64_e32 v[10:11], s[28:29], v[4:5]
	v_mul_u64_e32 v[12:13], s[30:31], v[4:5]
	s_cselect_b32 s0, -1, 0
	s_cmp_neq_f32 s26, 0
	s_delay_alu instid0(VALU_DEP_4)
	v_mad_u32 v7, s29, v52, v7
	s_cselect_b32 s1, -1, 0
	s_bfe_u32 s5, ttmp6, 0x4000c
	s_and_b32 s6, ttmp6, 15
	s_add_co_i32 s5, s5, 1
	s_or_b32 s39, s1, s0
	s_mul_i32 s5, ttmp9, s5
	v_cndmask_b32_e64 v53, 0, 1, s1
	s_add_co_i32 s6, s6, s5
	s_cmp_eq_u32 s4, 0
	s_mov_b32 s0, s24
	s_cselect_b32 s1, ttmp9, s6
	v_mad_u32 v9, s31, v52, v9
	s_lshl_b32 s4, s1, 8
	s_ashr_i32 s1, s24, 31
	v_dual_add_nc_u32 v0, s4, v15 :: v_dual_bitop2_b32 v14, s4, v14 bitop3:0x54
	v_or_b32_e32 v20, s4, v15
	v_lshlrev_b64_e32 v[4:5], 1, v[6:7]
	s_cmp_neq_f32 s33, 0
	s_delay_alu instid0(VALU_DEP_3)
	v_cmp_gt_i64_e32 vcc_lo, s[0:1], v[0:1]
	v_mul_u64_e32 v[2:3], s[2:3], v[0:1]
	v_or_b32_e32 v0, 3, v52
	v_cmp_gt_u32_e64 s0, 0x100, v15
	v_ashrrev_i32_e32 v15, 31, v14
	v_lshlrev_b64_e32 v[6:7], 1, v[8:9]
	s_cselect_b32 s40, -1, 0
	v_mul_u64_e32 v[16:17], s[30:31], v[0:1]
	v_mul_u64_e32 v[18:19], s[28:29], v[0:1]
	v_or_b32_e32 v0, 2, v52
	s_cmp_eq_f32 s33, 0
	v_add_nc_u32_e32 v26, 0x80, v14
	v_cmp_gt_i32_e64 s1, s24, v14
	v_lshlrev_b64_e32 v[10:11], 3, v[10:11]
	v_mul_u64_e32 v[22:23], s[30:31], v[0:1]
	v_mul_u64_e32 v[24:25], s[28:29], v[0:1]
	v_dual_add_nc_u32 v0, 64, v14 :: v_dual_ashrrev_i32 v21, 31, v20
	s_cselect_b32 s41, -1, 0
	v_lshlrev_b64_e32 v[12:13], 3, v[12:13]
	s_delay_alu instid0(VALU_DEP_2)
	v_mul_u64_e32 v[8:9], s[2:3], v[20:21]
	s_ashr_i32 s3, s25, 31
	v_add_nc_u32_e32 v21, 0xc0, v14
	s_lshr_b32 s4, s3, 28
	v_cmp_gt_i32_e64 s2, s24, v20
	s_add_co_i32 s5, s25, s4
	v_lshlrev_b64_e32 v[14:15], 1, v[14:15]
	s_and_b32 s42, s5, -16
	v_cmp_gt_i32_e64 s5, s24, v21
	s_sub_co_i32 s6, s25, s42
	v_cmp_gt_i32_e64 s3, s24, v0
	v_cmp_gt_i32_e64 s4, s24, v26
	s_cmp_gt_i32 s6, 0
	v_cmp_gt_i32_e64 s6, s42, v52
	s_cselect_b32 s24, -1, 0
	s_and_b32 s43, s0, vcc_lo
	s_lshl_b64 s[34:35], s[28:29], 5
	v_lshlrev_b64_e32 v[16:17], 1, v[16:17]
	v_lshlrev_b64_e32 v[18:19], 1, v[18:19]
	s_lshl_b64 s[36:37], s[30:31], 5
	s_lshl_b64 s[14:15], s[14:15], 1
	;; [unrolled: 1-line block ×4, first 2 shown]
	v_lshlrev_b64_e32 v[20:21], 1, v[22:23]
	v_lshlrev_b64_e32 v[22:23], 1, v[24:25]
	s_branch .LBB589_4
.LBB589_2:                              ;   in Loop: Header=BB589_4 Depth=1
	s_wait_xcnt 0x0
	s_or_b32 exec_lo, exec_lo, s7
.LBB589_3:                              ;   in Loop: Header=BB589_4 Depth=1
	s_add_co_i32 s10, s10, 0x10000
	s_delay_alu instid0(SALU_CYCLE_1)
	s_cmp_lt_u32 s10, s27
	s_cbranch_scc0 .LBB589_75
.LBB589_4:                              ; =>This Loop Header: Depth=1
                                        ;     Child Loop BB589_27 Depth 2
	s_and_not1_b32 vcc_lo, exec_lo, s39
	s_cbranch_vccnz .LBB589_3
; %bb.5:                                ;   in Loop: Header=BB589_4 Depth=1
	s_and_not1_b32 vcc_lo, exec_lo, s38
	s_cbranch_vccnz .LBB589_7
; %bb.6:                                ;   in Loop: Header=BB589_4 Depth=1
	v_mov_b64_e32 v[28:29], 0
	v_mov_b64_e32 v[26:27], 0
	s_cbranch_execz .LBB589_8
	s_branch .LBB589_9
.LBB589_7:                              ;   in Loop: Header=BB589_4 Depth=1
	v_mov_b64_e32 v[28:29], 0
	v_mov_b64_e32 v[26:27], 0
.LBB589_8:                              ;   in Loop: Header=BB589_4 Depth=1
	s_lshl_b64 s[8:9], s[10:11], 3
	s_delay_alu instid0(SALU_CYCLE_1)
	s_add_nc_u64 s[8:9], s[12:13], s[8:9]
	global_load_b64 v[24:25], v1, s[8:9]
	s_wait_loadcnt 0x0
	v_add_nc_u64_e32 v[26:27], s[14:15], v[24:25]
.LBB589_9:                              ;   in Loop: Header=BB589_4 Depth=1
	v_cmp_ne_u32_e32 vcc_lo, 1, v53
	s_cbranch_vccnz .LBB589_11
; %bb.10:                               ;   in Loop: Header=BB589_4 Depth=1
	s_wait_xcnt 0x0
	s_lshl_b64 s[8:9], s[10:11], 3
	s_delay_alu instid0(SALU_CYCLE_1)
	s_add_nc_u64 s[8:9], s[16:17], s[8:9]
	global_load_b64 v[24:25], v1, s[8:9]
	s_wait_loadcnt 0x0
	v_add_nc_u64_e32 v[28:29], s[18:19], v[24:25]
.LBB589_11:                             ;   in Loop: Header=BB589_4 Depth=1
	s_wait_xcnt 0x0
	s_lshl_b64 s[8:9], s[10:11], 3
	s_and_not1_b32 vcc_lo, exec_lo, s38
	s_add_nc_u64 s[8:9], s[20:21], s[8:9]
	global_load_b64 v[24:25], v1, s[8:9]
	s_wait_loadcnt 0x0
	v_add_nc_u64_e32 v[24:25], s[22:23], v[24:25]
	s_cbranch_vccnz .LBB589_19
; %bb.12:                               ;   in Loop: Header=BB589_4 Depth=1
	s_mov_b32 s7, 0
	s_mov_b32 s44, 0
                                        ; implicit-def: $vgpr0
	s_wait_xcnt 0x0
	s_and_saveexec_b32 s8, s43
	s_cbranch_execz .LBB589_20
; %bb.13:                               ;   in Loop: Header=BB589_4 Depth=1
	s_and_not1_b32 vcc_lo, exec_lo, s40
	s_cbranch_vccnz .LBB589_72
; %bb.14:                               ;   in Loop: Header=BB589_4 Depth=1
	v_lshl_add_u64 v[30:31], v[2:3], 1, v[24:25]
	flat_load_u16 v0, v[30:31]
	s_wait_loadcnt_dscnt 0x0
	v_lshlrev_b32_e32 v0, 16, v0
	s_delay_alu instid0(VALU_DEP_1) | instskip(SKIP_1) | instid1(VALU_DEP_1)
	v_mul_f32_e32 v0, s33, v0
	s_wait_xcnt 0x0
	v_and_b32_e32 v30, 0x7f800000, v0
	s_delay_alu instid0(VALU_DEP_1) | instskip(SKIP_1) | instid1(SALU_CYCLE_1)
	v_cmp_ne_u32_e32 vcc_lo, 0x7f800000, v30
                                        ; implicit-def: $vgpr30
	s_and_saveexec_b32 s9, vcc_lo
	s_xor_b32 s9, exec_lo, s9
; %bb.15:                               ;   in Loop: Header=BB589_4 Depth=1
	v_bfe_u32 v30, v0, 16, 1
	s_delay_alu instid0(VALU_DEP_1)
	v_add3_u32 v30, v0, v30, 0x7fff
                                        ; implicit-def: $vgpr0
; %bb.16:                               ;   in Loop: Header=BB589_4 Depth=1
	s_and_not1_saveexec_b32 s9, s9
; %bb.17:                               ;   in Loop: Header=BB589_4 Depth=1
	v_and_b32_e32 v30, 0xffff, v0
	v_or_b32_e32 v31, 0x10000, v0
	s_delay_alu instid0(VALU_DEP_2) | instskip(NEXT) | instid1(VALU_DEP_2)
	v_cmp_eq_u32_e32 vcc_lo, 0, v30
	v_cndmask_b32_e32 v30, v31, v0, vcc_lo
; %bb.18:                               ;   in Loop: Header=BB589_4 Depth=1
	s_or_b32 exec_lo, exec_lo, s9
	s_delay_alu instid0(VALU_DEP_1) | instskip(SKIP_2) | instid1(SALU_CYCLE_1)
	v_lshrrev_b32_e32 v0, 16, v30
	s_mov_b32 s44, exec_lo
	s_or_b32 exec_lo, exec_lo, s8
	s_and_b32 vcc_lo, exec_lo, s7
	s_cbranch_vccnz .LBB589_21
	s_branch .LBB589_73
.LBB589_19:                             ;   in Loop: Header=BB589_4 Depth=1
	s_mov_b32 s44, 0
                                        ; implicit-def: $vgpr0
	s_cbranch_execnz .LBB589_21
	s_branch .LBB589_73
.LBB589_20:                             ;   in Loop: Header=BB589_4 Depth=1
	s_or_b32 exec_lo, exec_lo, s8
	s_delay_alu instid0(SALU_CYCLE_1)
	s_and_b32 vcc_lo, exec_lo, s7
	s_cbranch_vccz .LBB589_73
.LBB589_21:                             ;   in Loop: Header=BB589_4 Depth=1
	v_dual_mov_b32 v56, 0 :: v_dual_mov_b32 v0, v52
	v_dual_mov_b32 v57, 0 :: v_dual_mov_b32 v58, 0
	v_mov_b32_e32 v59, 0
	s_wait_xcnt 0x0
	s_and_saveexec_b32 s7, s6
	s_cbranch_execz .LBB589_33
; %bb.22:                               ;   in Loop: Header=BB589_4 Depth=1
	v_add_nc_u64_e32 v[30:31], v[26:27], v[16:17]
	v_add_nc_u64_e32 v[32:33], v[26:27], v[12:13]
	;; [unrolled: 1-line block ×4, first 2 shown]
	v_mov_b64_e32 v[38:39], v[28:29]
	v_dual_mov_b32 v56, 0 :: v_dual_mov_b32 v0, v52
	v_dual_mov_b32 v57, 0 :: v_dual_mov_b32 v58, 0
	v_mov_b32_e32 v59, 0
	s_mov_b32 s8, 0
	s_branch .LBB589_27
.LBB589_23:                             ;   in Loop: Header=BB589_27 Depth=2
	s_or_b32 exec_lo, exec_lo, s47
	s_wait_loadcnt_dscnt 0x202
	v_dual_lshlrev_b32 v45, 16, v71 :: v_dual_lshlrev_b32 v44, 16, v70
	s_delay_alu instid0(VALU_DEP_1) | instskip(SKIP_1) | instid1(VALU_DEP_1)
	v_pk_mul_f32 v[44:45], v[42:43], v[44:45]
	s_wait_loadcnt_dscnt 0x0
	v_dual_add_f32 v44, v58, v44 :: v_dual_lshlrev_b32 v47, 16, v69
	s_delay_alu instid0(VALU_DEP_1) | instskip(NEXT) | instid1(VALU_DEP_1)
	v_dual_lshlrev_b32 v46, 16, v68 :: v_dual_add_f32 v48, v44, v45
	v_pk_mul_f32 v[44:45], v[40:41], v[46:47]
	s_delay_alu instid0(VALU_DEP_1) | instskip(NEXT) | instid1(VALU_DEP_1)
	v_add_f32_e32 v44, v48, v44
	v_add_f32_e32 v58, v44, v45
.LBB589_24:                             ;   in Loop: Header=BB589_27 Depth=2
	s_or_b32 exec_lo, exec_lo, s46
	s_wait_loadcnt_dscnt 0x202
	v_dual_lshlrev_b32 v45, 16, v67 :: v_dual_lshlrev_b32 v44, 16, v66
	s_delay_alu instid0(VALU_DEP_1) | instskip(SKIP_1) | instid1(VALU_DEP_1)
	v_pk_mul_f32 v[44:45], v[42:43], v[44:45]
	s_wait_loadcnt_dscnt 0x0
	v_dual_add_f32 v44, v57, v44 :: v_dual_lshlrev_b32 v47, 16, v65
	s_delay_alu instid0(VALU_DEP_1) | instskip(NEXT) | instid1(VALU_DEP_1)
	v_dual_lshlrev_b32 v46, 16, v64 :: v_dual_add_f32 v48, v44, v45
	v_pk_mul_f32 v[44:45], v[40:41], v[46:47]
	s_delay_alu instid0(VALU_DEP_1) | instskip(NEXT) | instid1(VALU_DEP_1)
	v_add_f32_e32 v44, v48, v44
	v_add_f32_e32 v57, v44, v45
.LBB589_25:                             ;   in Loop: Header=BB589_27 Depth=2
	s_or_b32 exec_lo, exec_lo, s45
	s_wait_loadcnt_dscnt 0x202
	v_dual_lshlrev_b32 v45, 16, v63 :: v_dual_lshlrev_b32 v44, 16, v62
	s_delay_alu instid0(VALU_DEP_1) | instskip(SKIP_1) | instid1(VALU_DEP_1)
	v_pk_mul_f32 v[42:43], v[42:43], v[44:45]
	s_wait_loadcnt_dscnt 0x0
	v_dual_add_f32 v42, v56, v42 :: v_dual_lshlrev_b32 v45, 16, v61
	s_delay_alu instid0(VALU_DEP_1) | instskip(NEXT) | instid1(VALU_DEP_1)
	v_dual_lshlrev_b32 v44, 16, v60 :: v_dual_add_f32 v42, v42, v43
	v_pk_mul_f32 v[40:41], v[40:41], v[44:45]
	s_delay_alu instid0(VALU_DEP_1) | instskip(NEXT) | instid1(VALU_DEP_1)
	v_add_f32_e32 v40, v42, v40
	v_add_f32_e32 v56, v40, v41
.LBB589_26:                             ;   in Loop: Header=BB589_27 Depth=2
	s_or_b32 exec_lo, exec_lo, s9
	v_add_nc_u32_e32 v0, 16, v0
	v_add_nc_u64_e32 v[38:39], s[34:35], v[38:39]
	v_add_nc_u64_e32 v[30:31], s[36:37], v[30:31]
	;; [unrolled: 1-line block ×4, first 2 shown]
	v_cmp_le_i32_e32 vcc_lo, s42, v0
	v_add_nc_u64_e32 v[36:37], s[36:37], v[36:37]
	s_or_b32 s8, vcc_lo, s8
	s_delay_alu instid0(SALU_CYCLE_1)
	s_and_not1_b32 exec_lo, exec_lo, s8
	s_cbranch_execz .LBB589_32
.LBB589_27:                             ;   Parent Loop BB589_4 Depth=1
                                        ; =>  This Inner Loop Header: Depth=2
	s_and_saveexec_b32 s9, s1
	s_cbranch_execz .LBB589_26
; %bb.28:                               ;   in Loop: Header=BB589_27 Depth=2
	v_add_nc_u64_e32 v[42:43], v[38:39], v[4:5]
	v_add_nc_u64_e32 v[40:41], v[38:39], v[10:11]
	;; [unrolled: 1-line block ×8, first 2 shown]
	s_clause 0x3
	flat_load_u16 v68, v[42:43]
	flat_load_u16 v69, v[40:41]
	;; [unrolled: 1-line block ×8, first 2 shown]
	s_wait_loadcnt_dscnt 0x606
	s_wait_xcnt 0x7
	v_dual_lshlrev_b32 v43, 16, v68 :: v_dual_lshlrev_b32 v42, 16, v69
	s_wait_loadcnt_dscnt 0x404
	s_wait_xcnt 0x6
	v_dual_lshlrev_b32 v41, 16, v70 :: v_dual_lshlrev_b32 v40, 16, v71
	s_wait_xcnt 0x0
	s_and_saveexec_b32 s45, s3
	s_cbranch_execz .LBB589_25
; %bb.29:                               ;   in Loop: Header=BB589_27 Depth=2
	flat_load_u16 v66, v[46:47] offset:128
	flat_load_u16 v67, v[44:45] offset:128
	flat_load_u16 v64, v[48:49] offset:128
	flat_load_u16 v65, v[50:51] offset:128
	s_wait_xcnt 0x0
	s_and_saveexec_b32 s46, s4
	s_cbranch_execz .LBB589_24
; %bb.30:                               ;   in Loop: Header=BB589_27 Depth=2
	flat_load_u16 v70, v[46:47] offset:256
	flat_load_u16 v71, v[44:45] offset:256
	flat_load_u16 v68, v[48:49] offset:256
	flat_load_u16 v69, v[50:51] offset:256
	;; [unrolled: 8-line block ×3, first 2 shown]
	s_wait_loadcnt_dscnt 0x202
	s_wait_xcnt 0x3
	v_dual_lshlrev_b32 v45, 16, v72 :: v_dual_lshlrev_b32 v44, 16, v73
	s_delay_alu instid0(VALU_DEP_1) | instskip(SKIP_2) | instid1(VALU_DEP_1)
	v_pk_mul_f32 v[44:45], v[42:43], v[44:45]
	s_wait_loadcnt_dscnt 0x101
	s_wait_xcnt 0x2
	v_dual_add_f32 v44, v59, v44 :: v_dual_lshlrev_b32 v47, 16, v74
	s_wait_loadcnt_dscnt 0x0
	s_wait_xcnt 0x0
	s_delay_alu instid0(VALU_DEP_1) | instskip(NEXT) | instid1(VALU_DEP_1)
	v_dual_lshlrev_b32 v46, 16, v75 :: v_dual_add_f32 v48, v44, v45
	v_pk_mul_f32 v[44:45], v[40:41], v[46:47]
	s_delay_alu instid0(VALU_DEP_1) | instskip(NEXT) | instid1(VALU_DEP_1)
	v_add_f32_e32 v44, v48, v44
	v_add_f32_e32 v59, v44, v45
	s_branch .LBB589_23
.LBB589_32:                             ;   in Loop: Header=BB589_4 Depth=1
	s_or_b32 exec_lo, exec_lo, s8
.LBB589_33:                             ;   in Loop: Header=BB589_4 Depth=1
	s_delay_alu instid0(SALU_CYCLE_1) | instskip(NEXT) | instid1(SALU_CYCLE_1)
	s_or_b32 exec_lo, exec_lo, s7
	s_and_not1_b32 vcc_lo, exec_lo, s24
	s_cbranch_vccnz .LBB589_51
; %bb.34:                               ;   in Loop: Header=BB589_4 Depth=1
	v_dual_mov_b32 v30, 0 :: v_dual_bitop2_b32 v34, 1, v0 bitop3:0x54
	v_cmp_gt_i32_e32 vcc_lo, s25, v0
	s_delay_alu instid0(VALU_DEP_2)
	v_dual_mov_b32 v31, v30 :: v_dual_mov_b32 v32, v30
	v_mov_b32_e32 v33, v30
	s_and_saveexec_b32 s8, vcc_lo
	s_cbranch_execz .LBB589_42
; %bb.35:                               ;   in Loop: Header=BB589_4 Depth=1
	v_mul_u64_e32 v[30:31], s[28:29], v[0:1]
	v_mov_b32_e32 v33, 0
	s_mov_b32 s9, exec_lo
	s_delay_alu instid0(VALU_DEP_2)
	v_lshl_add_u64 v[30:31], v[30:31], 1, v[28:29]
	flat_load_u16 v36, v[30:31]
	s_wait_xcnt 0x0
	v_dual_mov_b32 v31, 0 :: v_dual_mov_b32 v30, 0
	v_cmpx_gt_i32_e64 s25, v34
	s_cbranch_execz .LBB589_41
; %bb.36:                               ;   in Loop: Header=BB589_4 Depth=1
	v_dual_mov_b32 v35, v1 :: v_dual_bitop2_b32 v32, 2, v0 bitop3:0x54
	s_mov_b32 s45, exec_lo
	s_delay_alu instid0(VALU_DEP_1) | instskip(NEXT) | instid1(VALU_DEP_1)
	v_mul_u64_e32 v[30:31], s[28:29], v[34:35]
	v_lshl_add_u64 v[30:31], v[30:31], 1, v[28:29]
	flat_load_u16 v35, v[30:31]
	s_wait_xcnt 0x0
	v_dual_mov_b32 v31, 0 :: v_dual_mov_b32 v30, 0
	v_cmpx_gt_i32_e64 s25, v32
	s_cbranch_execz .LBB589_40
; %bb.37:                               ;   in Loop: Header=BB589_4 Depth=1
	v_mov_b32_e32 v33, v1
	s_mov_b32 s46, exec_lo
	s_delay_alu instid0(VALU_DEP_1) | instskip(NEXT) | instid1(VALU_DEP_1)
	v_mul_u64_e32 v[30:31], s[28:29], v[32:33]
	v_lshl_add_u64 v[30:31], v[30:31], 1, v[28:29]
	flat_load_u16 v32, v[30:31]
	s_wait_xcnt 0x0
	v_dual_mov_b32 v31, 0 :: v_dual_bitop2_b32 v30, 3, v0 bitop3:0x54
	s_delay_alu instid0(VALU_DEP_1)
	v_cmpx_gt_i32_e64 s25, v30
	s_cbranch_execz .LBB589_39
; %bb.38:                               ;   in Loop: Header=BB589_4 Depth=1
	v_mov_b32_e32 v31, v1
	s_delay_alu instid0(VALU_DEP_1) | instskip(NEXT) | instid1(VALU_DEP_1)
	v_mul_u64_e32 v[30:31], s[28:29], v[30:31]
	v_lshl_add_u64 v[28:29], v[30:31], 1, v[28:29]
	flat_load_u16 v28, v[28:29]
	s_wait_loadcnt_dscnt 0x0
	v_lshlrev_b32_e32 v31, 16, v28
.LBB589_39:                             ;   in Loop: Header=BB589_4 Depth=1
	s_wait_xcnt 0x0
	s_or_b32 exec_lo, exec_lo, s46
	s_wait_loadcnt_dscnt 0x0
	v_lshlrev_b32_e32 v30, 16, v32
.LBB589_40:                             ;   in Loop: Header=BB589_4 Depth=1
	s_or_b32 exec_lo, exec_lo, s45
	s_wait_loadcnt_dscnt 0x0
	v_lshlrev_b32_e32 v33, 16, v35
.LBB589_41:                             ;   in Loop: Header=BB589_4 Depth=1
	s_or_b32 exec_lo, exec_lo, s9
	s_wait_loadcnt_dscnt 0x0
	v_lshlrev_b32_e32 v32, 16, v36
.LBB589_42:                             ;   in Loop: Header=BB589_4 Depth=1
	s_or_b32 exec_lo, exec_lo, s8
	s_and_saveexec_b32 s45, s1
	s_cbranch_execz .LBB589_50
; %bb.43:                               ;   in Loop: Header=BB589_4 Depth=1
	v_dual_mov_b32 v35, v1 :: v_dual_bitop2_b32 v28, 2, v0 bitop3:0x54
	v_mov_b32_e32 v29, v1
	v_mul_u64_e32 v[36:37], s[30:31], v[0:1]
	v_or_b32_e32 v0, 3, v0
	s_delay_alu instid0(VALU_DEP_4)
	v_mul_u64_e32 v[38:39], s[30:31], v[34:35]
	v_cmp_gt_i32_e64 s7, s25, v34
	v_mul_u64_e32 v[40:41], s[30:31], v[28:29]
	v_cmp_gt_i32_e64 s8, s25, v28
	;; [unrolled: 2-line block ×3, first 2 shown]
	v_dual_cndmask_b32 v29, 0, v37 :: v_dual_cndmask_b32 v28, 0, v36
	v_dual_cndmask_b32 v35, 0, v39, s7 :: v_dual_cndmask_b32 v34, 0, v38, s7
	v_dual_cndmask_b32 v39, 0, v41, s8 :: v_dual_cndmask_b32 v38, 0, v40, s8
	s_delay_alu instid0(VALU_DEP_4) | instskip(NEXT) | instid1(VALU_DEP_3)
	v_dual_cndmask_b32 v41, 0, v43, s9 :: v_dual_cndmask_b32 v40, 0, v42, s9
	v_lshl_add_u64 v[34:35], v[34:35], 1, v[26:27]
	s_delay_alu instid0(VALU_DEP_3) | instskip(NEXT) | instid1(VALU_DEP_3)
	v_lshl_add_u64 v[36:37], v[38:39], 1, v[26:27]
	v_lshl_add_u64 v[38:39], v[40:41], 1, v[26:27]
	;; [unrolled: 1-line block ×3, first 2 shown]
	s_delay_alu instid0(VALU_DEP_4) | instskip(NEXT) | instid1(VALU_DEP_4)
	v_add_nc_u64_e32 v[26:27], v[34:35], v[14:15]
	v_add_nc_u64_e32 v[34:35], v[36:37], v[14:15]
	s_delay_alu instid0(VALU_DEP_4) | instskip(NEXT) | instid1(VALU_DEP_4)
	v_add_nc_u64_e32 v[28:29], v[38:39], v[14:15]
	v_add_nc_u64_e32 v[36:37], v[40:41], v[14:15]
	s_clause 0x3
	flat_load_u16 v39, v[26:27]
	flat_load_u16 v0, v[34:35]
	;; [unrolled: 1-line block ×4, first 2 shown]
	s_wait_xcnt 0x0
	s_and_saveexec_b32 s7, s3
	s_cbranch_execz .LBB589_49
; %bb.44:                               ;   in Loop: Header=BB589_4 Depth=1
	s_clause 0x3
	flat_load_u16 v43, v[36:37] offset:128
	flat_load_u16 v44, v[26:27] offset:128
	flat_load_u16 v41, v[34:35] offset:128
	flat_load_u16 v42, v[28:29] offset:128
	s_wait_xcnt 0x0
	s_and_saveexec_b32 s8, s4
	s_cbranch_execz .LBB589_48
; %bb.45:                               ;   in Loop: Header=BB589_4 Depth=1
	s_clause 0x3
	flat_load_u16 v47, v[36:37] offset:256
	flat_load_u16 v48, v[26:27] offset:256
	flat_load_u16 v45, v[34:35] offset:256
	flat_load_u16 v46, v[28:29] offset:256
	;; [unrolled: 9-line block ×3, first 2 shown]
	s_wait_loadcnt_dscnt 0x202
	s_wait_xcnt 0x3
	v_dual_lshlrev_b32 v27, 16, v49 :: v_dual_lshlrev_b32 v26, 16, v50
	s_delay_alu instid0(VALU_DEP_1) | instskip(SKIP_2) | instid1(VALU_DEP_1)
	v_pk_mul_f32 v[26:27], v[32:33], v[26:27]
	s_wait_loadcnt_dscnt 0x101
	s_wait_xcnt 0x1
	v_dual_add_f32 v26, v59, v26 :: v_dual_lshlrev_b32 v29, 16, v51
	s_wait_loadcnt_dscnt 0x0
	s_wait_xcnt 0x0
	s_delay_alu instid0(VALU_DEP_1) | instskip(NEXT) | instid1(VALU_DEP_1)
	v_dual_lshlrev_b32 v28, 16, v60 :: v_dual_add_f32 v34, v26, v27
	v_pk_mul_f32 v[26:27], v[30:31], v[28:29]
	s_delay_alu instid0(VALU_DEP_1) | instskip(NEXT) | instid1(VALU_DEP_1)
	v_add_f32_e32 v26, v34, v26
	v_add_f32_e32 v59, v26, v27
.LBB589_47:                             ;   in Loop: Header=BB589_4 Depth=1
	s_or_b32 exec_lo, exec_lo, s9
	s_wait_loadcnt_dscnt 0x202
	v_dual_lshlrev_b32 v27, 16, v48 :: v_dual_lshlrev_b32 v26, 16, v47
	s_wait_loadcnt_dscnt 0x0
	v_dual_lshlrev_b32 v29, 16, v46 :: v_dual_lshlrev_b32 v28, 16, v45
	s_delay_alu instid0(VALU_DEP_2) | instskip(NEXT) | instid1(VALU_DEP_1)
	v_pk_mul_f32 v[26:27], v[32:33], v[26:27]
	v_add_f32_e32 v26, v58, v26
	s_delay_alu instid0(VALU_DEP_1) | instskip(NEXT) | instid1(VALU_DEP_4)
	v_add_f32_e32 v34, v26, v27
	v_pk_mul_f32 v[26:27], v[30:31], v[28:29]
	s_delay_alu instid0(VALU_DEP_1) | instskip(NEXT) | instid1(VALU_DEP_1)
	v_add_f32_e32 v26, v34, v26
	v_add_f32_e32 v58, v26, v27
.LBB589_48:                             ;   in Loop: Header=BB589_4 Depth=1
	s_or_b32 exec_lo, exec_lo, s8
	s_wait_loadcnt_dscnt 0x202
	v_dual_lshlrev_b32 v27, 16, v44 :: v_dual_lshlrev_b32 v26, 16, v43
	s_wait_loadcnt_dscnt 0x0
	v_dual_lshlrev_b32 v29, 16, v42 :: v_dual_lshlrev_b32 v28, 16, v41
	s_delay_alu instid0(VALU_DEP_2) | instskip(NEXT) | instid1(VALU_DEP_1)
	v_pk_mul_f32 v[26:27], v[32:33], v[26:27]
	v_add_f32_e32 v26, v57, v26
	s_delay_alu instid0(VALU_DEP_1) | instskip(NEXT) | instid1(VALU_DEP_4)
	v_add_f32_e32 v34, v26, v27
	v_pk_mul_f32 v[26:27], v[30:31], v[28:29]
	s_delay_alu instid0(VALU_DEP_1) | instskip(NEXT) | instid1(VALU_DEP_1)
	v_add_f32_e32 v26, v34, v26
	v_add_f32_e32 v57, v26, v27
.LBB589_49:                             ;   in Loop: Header=BB589_4 Depth=1
	s_or_b32 exec_lo, exec_lo, s7
	s_wait_loadcnt_dscnt 0x0
	v_dual_lshlrev_b32 v27, 16, v39 :: v_dual_lshlrev_b32 v26, 16, v40
	v_dual_lshlrev_b32 v29, 16, v38 :: v_dual_lshlrev_b32 v28, 16, v0
	s_delay_alu instid0(VALU_DEP_2) | instskip(NEXT) | instid1(VALU_DEP_1)
	v_pk_mul_f32 v[26:27], v[32:33], v[26:27]
	v_add_f32_e32 v26, v56, v26
	s_delay_alu instid0(VALU_DEP_1) | instskip(NEXT) | instid1(VALU_DEP_4)
	v_add_f32_e32 v0, v26, v27
	v_pk_mul_f32 v[26:27], v[30:31], v[28:29]
	s_delay_alu instid0(VALU_DEP_1) | instskip(NEXT) | instid1(VALU_DEP_1)
	v_add_f32_e32 v0, v0, v26
	v_add_f32_e32 v56, v0, v27
.LBB589_50:                             ;   in Loop: Header=BB589_4 Depth=1
	s_or_b32 exec_lo, exec_lo, s45
.LBB589_51:                             ;   in Loop: Header=BB589_4 Depth=1
	ds_store_2addr_stride64_b32 v54, v56, v57 offset1:1
	ds_store_2addr_stride64_b32 v54, v58, v59 offset0:2 offset1:3
	s_wait_dscnt 0x0
	s_barrier_signal -1
	s_barrier_wait -1
                                        ; implicit-def: $vgpr0
	s_and_saveexec_b32 s7, s0
	s_cbranch_execz .LBB589_71
; %bb.52:                               ;   in Loop: Header=BB589_4 Depth=1
	ds_load_2addr_stride64_b32 v[26:27], v55 offset1:4
	ds_load_2addr_stride64_b32 v[28:29], v55 offset0:8 offset1:12
	s_mov_b32 s9, s44
	s_wait_dscnt 0x1
	v_add_f32_e32 v0, v26, v27
	s_wait_dscnt 0x0
	s_delay_alu instid0(VALU_DEP_1) | instskip(NEXT) | instid1(VALU_DEP_1)
	v_add_f32_e32 v0, v28, v0
	v_add_f32_e32 v26, v29, v0
                                        ; implicit-def: $vgpr0
	ds_store_b32 v55, v26
	s_and_saveexec_b32 s8, s2
	s_cbranch_execz .LBB589_70
; %bb.53:                               ;   in Loop: Header=BB589_4 Depth=1
	v_mul_f32_e32 v0, s26, v26
	s_and_b32 vcc_lo, exec_lo, s41
	s_mov_b32 s9, -1
                                        ; implicit-def: $vgpr26
	s_cbranch_vccz .LBB589_59
; %bb.54:                               ;   in Loop: Header=BB589_4 Depth=1
	s_delay_alu instid0(VALU_DEP_1) | instskip(NEXT) | instid1(VALU_DEP_1)
	v_and_b32_e32 v26, 0x7f800000, v0
	v_cmp_ne_u32_e32 vcc_lo, 0x7f800000, v26
                                        ; implicit-def: $vgpr26
	s_and_saveexec_b32 s9, vcc_lo
	s_delay_alu instid0(SALU_CYCLE_1)
	s_xor_b32 s9, exec_lo, s9
; %bb.55:                               ;   in Loop: Header=BB589_4 Depth=1
	v_bfe_u32 v26, v0, 16, 1
	s_delay_alu instid0(VALU_DEP_1)
	v_add3_u32 v26, v0, v26, 0x7fff
; %bb.56:                               ;   in Loop: Header=BB589_4 Depth=1
	s_and_not1_saveexec_b32 s9, s9
; %bb.57:                               ;   in Loop: Header=BB589_4 Depth=1
	v_and_b32_e32 v26, 0xffff, v0
	v_or_b32_e32 v27, 0x10000, v0
	s_delay_alu instid0(VALU_DEP_2) | instskip(NEXT) | instid1(VALU_DEP_2)
	v_cmp_eq_u32_e32 vcc_lo, 0, v26
	v_cndmask_b32_e32 v26, v27, v0, vcc_lo
; %bb.58:                               ;   in Loop: Header=BB589_4 Depth=1
	s_or_b32 exec_lo, exec_lo, s9
	s_mov_b32 s9, 0
.LBB589_59:                             ;   in Loop: Header=BB589_4 Depth=1
	s_delay_alu instid0(SALU_CYCLE_1)
	s_and_not1_b32 vcc_lo, exec_lo, s9
	s_cbranch_vccnz .LBB589_69
; %bb.60:                               ;   in Loop: Header=BB589_4 Depth=1
	v_lshl_add_u64 v[26:27], v[8:9], 1, v[24:25]
	flat_load_u16 v26, v[26:27]
	s_wait_loadcnt_dscnt 0x0
	s_wait_xcnt 0x0
	v_lshlrev_b32_e32 v26, 16, v26
	s_delay_alu instid0(VALU_DEP_1) | instskip(NEXT) | instid1(VALU_DEP_1)
	v_mul_f32_e32 v26, s33, v26
	v_and_b32_e32 v27, 0x7f800000, v26
	s_delay_alu instid0(VALU_DEP_1) | instskip(SKIP_1) | instid1(SALU_CYCLE_1)
	v_cmp_ne_u32_e32 vcc_lo, 0x7f800000, v27
                                        ; implicit-def: $vgpr27
	s_and_saveexec_b32 s9, vcc_lo
	s_xor_b32 s9, exec_lo, s9
; %bb.61:                               ;   in Loop: Header=BB589_4 Depth=1
	v_bfe_u32 v27, v26, 16, 1
	s_delay_alu instid0(VALU_DEP_1)
	v_add3_u32 v27, v26, v27, 0x7fff
                                        ; implicit-def: $vgpr26
; %bb.62:                               ;   in Loop: Header=BB589_4 Depth=1
	s_and_not1_saveexec_b32 s9, s9
; %bb.63:                               ;   in Loop: Header=BB589_4 Depth=1
	v_and_b32_e32 v27, 0xffff, v26
	v_or_b32_e32 v28, 0x10000, v26
	s_delay_alu instid0(VALU_DEP_2) | instskip(NEXT) | instid1(VALU_DEP_2)
	v_cmp_eq_u32_e32 vcc_lo, 0, v27
	v_cndmask_b32_e32 v27, v28, v26, vcc_lo
; %bb.64:                               ;   in Loop: Header=BB589_4 Depth=1
	s_or_b32 exec_lo, exec_lo, s9
	s_delay_alu instid0(VALU_DEP_1) | instskip(NEXT) | instid1(VALU_DEP_1)
	v_and_b32_e32 v26, 0xffff0000, v27
	v_add_f32_e32 v0, v0, v26
	s_delay_alu instid0(VALU_DEP_1) | instskip(NEXT) | instid1(VALU_DEP_1)
	v_and_b32_e32 v26, 0x7f800000, v0
	v_cmp_ne_u32_e32 vcc_lo, 0x7f800000, v26
                                        ; implicit-def: $vgpr26
	s_and_saveexec_b32 s9, vcc_lo
	s_delay_alu instid0(SALU_CYCLE_1)
	s_xor_b32 s9, exec_lo, s9
; %bb.65:                               ;   in Loop: Header=BB589_4 Depth=1
	v_bfe_u32 v26, v0, 16, 1
	s_delay_alu instid0(VALU_DEP_1)
	v_add3_u32 v26, v0, v26, 0x7fff
                                        ; implicit-def: $vgpr0
; %bb.66:                               ;   in Loop: Header=BB589_4 Depth=1
	s_and_not1_saveexec_b32 s9, s9
; %bb.67:                               ;   in Loop: Header=BB589_4 Depth=1
	v_and_b32_e32 v26, 0xffff, v0
	v_or_b32_e32 v27, 0x10000, v0
	s_delay_alu instid0(VALU_DEP_2) | instskip(NEXT) | instid1(VALU_DEP_2)
	v_cmp_eq_u32_e32 vcc_lo, 0, v26
	v_cndmask_b32_e32 v26, v27, v0, vcc_lo
; %bb.68:                               ;   in Loop: Header=BB589_4 Depth=1
	s_or_b32 exec_lo, exec_lo, s9
.LBB589_69:                             ;   in Loop: Header=BB589_4 Depth=1
	s_delay_alu instid0(VALU_DEP_1)
	v_lshrrev_b32_e32 v0, 16, v26
	s_or_b32 s9, s44, exec_lo
.LBB589_70:                             ;   in Loop: Header=BB589_4 Depth=1
	s_or_b32 exec_lo, exec_lo, s8
	s_delay_alu instid0(SALU_CYCLE_1) | instskip(SKIP_1) | instid1(SALU_CYCLE_1)
	s_and_not1_b32 s8, s44, exec_lo
	s_and_b32 s9, s9, exec_lo
	s_or_b32 s44, s8, s9
.LBB589_71:                             ;   in Loop: Header=BB589_4 Depth=1
	s_or_b32 exec_lo, exec_lo, s7
	v_mov_b64_e32 v[26:27], v[8:9]
	s_and_saveexec_b32 s7, s44
	s_cbranch_execz .LBB589_2
	s_branch .LBB589_74
.LBB589_72:                             ;   in Loop: Header=BB589_4 Depth=1
	v_mov_b32_e32 v0, 0
	s_mov_b32 s44, exec_lo
	s_or_b32 exec_lo, exec_lo, s8
	s_delay_alu instid0(SALU_CYCLE_1)
	s_and_b32 vcc_lo, exec_lo, s7
	s_cbranch_vccnz .LBB589_21
.LBB589_73:                             ;   in Loop: Header=BB589_4 Depth=1
	v_mov_b64_e32 v[26:27], v[2:3]
	s_wait_xcnt 0x0
	s_and_saveexec_b32 s7, s44
	s_cbranch_execz .LBB589_2
.LBB589_74:                             ;   in Loop: Header=BB589_4 Depth=1
	s_delay_alu instid0(VALU_DEP_1)
	v_lshl_add_u64 v[24:25], v[26:27], 1, v[24:25]
	flat_store_b16 v[24:25], v0
	s_branch .LBB589_2
.LBB589_75:
	s_sendmsg sendmsg(MSG_DEALLOC_VGPRS)
	s_endpgm
	.section	.rodata,"a",@progbits
	.p2align	6, 0x0
	.amdhsa_kernel _ZL20rocblas_gemvn_kernelILi64ELi4ElPK16rocblas_bfloat16fKPS0_EviiT3_lPKT2_lT1_lS8_lS9_lS5_lPT4_lS9_li
		.amdhsa_group_segment_fixed_size 4096
		.amdhsa_private_segment_fixed_size 0
		.amdhsa_kernarg_size 400
		.amdhsa_user_sgpr_count 2
		.amdhsa_user_sgpr_dispatch_ptr 0
		.amdhsa_user_sgpr_queue_ptr 0
		.amdhsa_user_sgpr_kernarg_segment_ptr 1
		.amdhsa_user_sgpr_dispatch_id 0
		.amdhsa_user_sgpr_kernarg_preload_length 0
		.amdhsa_user_sgpr_kernarg_preload_offset 0
		.amdhsa_user_sgpr_private_segment_size 0
		.amdhsa_wavefront_size32 1
		.amdhsa_uses_dynamic_stack 0
		.amdhsa_enable_private_segment 0
		.amdhsa_system_sgpr_workgroup_id_x 1
		.amdhsa_system_sgpr_workgroup_id_y 0
		.amdhsa_system_sgpr_workgroup_id_z 1
		.amdhsa_system_sgpr_workgroup_info 0
		.amdhsa_system_vgpr_workitem_id 1
		.amdhsa_next_free_vgpr 76
		.amdhsa_next_free_sgpr 48
		.amdhsa_named_barrier_count 0
		.amdhsa_reserve_vcc 1
		.amdhsa_float_round_mode_32 0
		.amdhsa_float_round_mode_16_64 0
		.amdhsa_float_denorm_mode_32 3
		.amdhsa_float_denorm_mode_16_64 3
		.amdhsa_fp16_overflow 0
		.amdhsa_memory_ordered 1
		.amdhsa_forward_progress 1
		.amdhsa_inst_pref_size 28
		.amdhsa_round_robin_scheduling 0
		.amdhsa_exception_fp_ieee_invalid_op 0
		.amdhsa_exception_fp_denorm_src 0
		.amdhsa_exception_fp_ieee_div_zero 0
		.amdhsa_exception_fp_ieee_overflow 0
		.amdhsa_exception_fp_ieee_underflow 0
		.amdhsa_exception_fp_ieee_inexact 0
		.amdhsa_exception_int_div_zero 0
	.end_amdhsa_kernel
	.section	.text._ZL20rocblas_gemvn_kernelILi64ELi4ElPK16rocblas_bfloat16fKPS0_EviiT3_lPKT2_lT1_lS8_lS9_lS5_lPT4_lS9_li,"axG",@progbits,_ZL20rocblas_gemvn_kernelILi64ELi4ElPK16rocblas_bfloat16fKPS0_EviiT3_lPKT2_lT1_lS8_lS9_lS5_lPT4_lS9_li,comdat
.Lfunc_end589:
	.size	_ZL20rocblas_gemvn_kernelILi64ELi4ElPK16rocblas_bfloat16fKPS0_EviiT3_lPKT2_lT1_lS8_lS9_lS5_lPT4_lS9_li, .Lfunc_end589-_ZL20rocblas_gemvn_kernelILi64ELi4ElPK16rocblas_bfloat16fKPS0_EviiT3_lPKT2_lT1_lS8_lS9_lS5_lPT4_lS9_li
                                        ; -- End function
	.set _ZL20rocblas_gemvn_kernelILi64ELi4ElPK16rocblas_bfloat16fKPS0_EviiT3_lPKT2_lT1_lS8_lS9_lS5_lPT4_lS9_li.num_vgpr, 76
	.set _ZL20rocblas_gemvn_kernelILi64ELi4ElPK16rocblas_bfloat16fKPS0_EviiT3_lPKT2_lT1_lS8_lS9_lS5_lPT4_lS9_li.num_agpr, 0
	.set _ZL20rocblas_gemvn_kernelILi64ELi4ElPK16rocblas_bfloat16fKPS0_EviiT3_lPKT2_lT1_lS8_lS9_lS5_lPT4_lS9_li.numbered_sgpr, 48
	.set _ZL20rocblas_gemvn_kernelILi64ELi4ElPK16rocblas_bfloat16fKPS0_EviiT3_lPKT2_lT1_lS8_lS9_lS5_lPT4_lS9_li.num_named_barrier, 0
	.set _ZL20rocblas_gemvn_kernelILi64ELi4ElPK16rocblas_bfloat16fKPS0_EviiT3_lPKT2_lT1_lS8_lS9_lS5_lPT4_lS9_li.private_seg_size, 0
	.set _ZL20rocblas_gemvn_kernelILi64ELi4ElPK16rocblas_bfloat16fKPS0_EviiT3_lPKT2_lT1_lS8_lS9_lS5_lPT4_lS9_li.uses_vcc, 1
	.set _ZL20rocblas_gemvn_kernelILi64ELi4ElPK16rocblas_bfloat16fKPS0_EviiT3_lPKT2_lT1_lS8_lS9_lS5_lPT4_lS9_li.uses_flat_scratch, 1
	.set _ZL20rocblas_gemvn_kernelILi64ELi4ElPK16rocblas_bfloat16fKPS0_EviiT3_lPKT2_lT1_lS8_lS9_lS5_lPT4_lS9_li.has_dyn_sized_stack, 0
	.set _ZL20rocblas_gemvn_kernelILi64ELi4ElPK16rocblas_bfloat16fKPS0_EviiT3_lPKT2_lT1_lS8_lS9_lS5_lPT4_lS9_li.has_recursion, 0
	.set _ZL20rocblas_gemvn_kernelILi64ELi4ElPK16rocblas_bfloat16fKPS0_EviiT3_lPKT2_lT1_lS8_lS9_lS5_lPT4_lS9_li.has_indirect_call, 0
	.section	.AMDGPU.csdata,"",@progbits
; Kernel info:
; codeLenInByte = 3564
; TotalNumSgprs: 50
; NumVgprs: 76
; ScratchSize: 0
; MemoryBound: 0
; FloatMode: 240
; IeeeMode: 1
; LDSByteSize: 4096 bytes/workgroup (compile time only)
; SGPRBlocks: 0
; VGPRBlocks: 4
; NumSGPRsForWavesPerEU: 50
; NumVGPRsForWavesPerEU: 76
; NamedBarCnt: 0
; Occupancy: 12
; WaveLimiterHint : 1
; COMPUTE_PGM_RSRC2:SCRATCH_EN: 0
; COMPUTE_PGM_RSRC2:USER_SGPR: 2
; COMPUTE_PGM_RSRC2:TRAP_HANDLER: 0
; COMPUTE_PGM_RSRC2:TGID_X_EN: 1
; COMPUTE_PGM_RSRC2:TGID_Y_EN: 0
; COMPUTE_PGM_RSRC2:TGID_Z_EN: 1
; COMPUTE_PGM_RSRC2:TIDIG_COMP_CNT: 1
	.section	.text._ZL20rocblas_gemvn_kernelILi32ELi16EiPK16rocblas_bfloat16PKfKPS0_EviiT3_lPKT2_lT1_lSA_lSB_lS7_lPT4_lSB_li,"axG",@progbits,_ZL20rocblas_gemvn_kernelILi32ELi16EiPK16rocblas_bfloat16PKfKPS0_EviiT3_lPKT2_lT1_lSA_lSB_lS7_lPT4_lSB_li,comdat
	.globl	_ZL20rocblas_gemvn_kernelILi32ELi16EiPK16rocblas_bfloat16PKfKPS0_EviiT3_lPKT2_lT1_lSA_lSB_lS7_lPT4_lSB_li ; -- Begin function _ZL20rocblas_gemvn_kernelILi32ELi16EiPK16rocblas_bfloat16PKfKPS0_EviiT3_lPKT2_lT1_lSA_lSB_lS7_lPT4_lSB_li
	.p2align	8
	.type	_ZL20rocblas_gemvn_kernelILi32ELi16EiPK16rocblas_bfloat16PKfKPS0_EviiT3_lPKT2_lT1_lSA_lSB_lS7_lPT4_lSB_li,@function
_ZL20rocblas_gemvn_kernelILi32ELi16EiPK16rocblas_bfloat16PKfKPS0_EviiT3_lPKT2_lT1_lSA_lSB_lS7_lPT4_lSB_li: ; @_ZL20rocblas_gemvn_kernelILi32ELi16EiPK16rocblas_bfloat16PKfKPS0_EviiT3_lPKT2_lT1_lSA_lSB_lS7_lPT4_lSB_li
; %bb.0:
	s_clause 0x1
	s_load_b64 s[4:5], s[0:1], 0x9c
	s_load_b32 s33, s[0:1], 0x88
	s_bfe_u32 s2, ttmp6, 0x40014
	s_lshr_b32 s3, ttmp7, 16
	s_add_co_i32 s2, s2, 1
	s_bfe_u32 s6, ttmp6, 0x40008
	s_mul_i32 s7, s3, s2
	s_getreg_b32 s2, hwreg(HW_REG_IB_STS2, 6, 4)
	s_add_co_i32 s6, s6, s7
	s_mov_b32 s11, 0
	s_wait_kmcnt 0x0
	s_lshr_b32 s7, s4, 16
	s_and_b32 s4, s4, 0xffff
	s_and_b32 s5, s5, 0xffff
	s_mul_i32 s4, s7, s4
	s_cmp_eq_u32 s2, 0
	s_mul_i32 s4, s4, s5
	s_cselect_b32 s10, s3, s6
	s_cmp_lg_u32 s4, 0x200
	s_cselect_b32 s3, -1, 0
	s_cmp_ge_u32 s10, s33
	s_cselect_b32 s4, -1, 0
	s_delay_alu instid0(SALU_CYCLE_1) | instskip(NEXT) | instid1(SALU_CYCLE_1)
	s_or_b32 s3, s3, s4
	s_and_b32 vcc_lo, exec_lo, s3
	s_cbranch_vccnz .LBB590_73
; %bb.1:
	s_clause 0x6
	s_load_b32 s4, s[0:1], 0x78
	s_load_b64 s[8:9], s[0:1], 0x0
	s_load_b256 s[12:19], s[0:1], 0x8
	s_load_b32 s34, s[0:1], 0x28
	s_load_b128 s[28:31], s[0:1], 0x38
	s_load_b32 s35, s[0:1], 0x48
	s_load_b256 s[20:27], s[0:1], 0x58
	s_wait_xcnt 0x0
	s_bfe_u32 s0, ttmp6, 0x4000c
	v_and_b32_e32 v6, 0x3ff, v0
	s_add_co_i32 s0, s0, 1
	v_bfe_u32 v7, v0, 10, 10
	s_and_b32 s1, ttmp6, 15
	s_mul_i32 s0, ttmp9, s0
	v_mov_b32_e32 v1, 0
	s_add_co_i32 s1, s1, s0
	v_lshl_add_u32 v5, v7, 5, v6
	v_lshlrev_b32_e32 v26, 2, v7
	s_wait_kmcnt 0x0
	s_ashr_i32 s5, s4, 31
	s_cmp_eq_u32 s2, 0
	s_mov_b32 s2, s8
	s_cselect_b32 s0, ttmp9, s1
	s_ashr_i32 s3, s8, 31
	s_lshl_b32 s36, s0, 7
	s_ashr_i32 s1, s9, 31
	v_dual_add_nc_u32 v0, s36, v5 :: v_dual_add_nc_u32 v27, s36, v6
	v_or_b32_e32 v8, s36, v5
	s_lshr_b32 s0, s1, 26
	v_mul_lo_u32 v11, v7, s34
	s_delay_alu instid0(VALU_DEP_3) | instskip(SKIP_4) | instid1(VALU_DEP_4)
	v_cmp_gt_i64_e32 vcc_lo, s[2:3], v[0:1]
	v_dual_add_nc_u32 v4, 32, v27 :: v_dual_add_nc_u32 v9, 64, v27
	v_or_b32_e32 v10, 3, v26
	v_mul_u64_e32 v[2:3], s[4:5], v[0:1]
	v_add_nc_u32_e32 v0, 0x60, v27
	v_cmp_gt_i32_e64 s2, s8, v4
	v_mul_lo_u32 v4, s4, v8
	v_cmp_gt_i32_e64 s3, s8, v9
	v_lshlrev_b32_e32 v9, 2, v6
	s_add_co_i32 s37, s9, s0
	v_cmp_gt_i32_e64 s4, s8, v0
	v_cmp_gt_u32_e64 s5, 0x80, v5
	s_and_not1_b32 s37, s37, 63
	v_mad_u32 v30, s34, v10, v6
	s_sub_co_i32 s6, s9, s37
	v_mad_u32 v31, s35, v26, s35
	s_cmp_gt_i32 s6, 0
	v_ashrrev_i32_e32 v5, 31, v4
	v_lshl_add_u32 v0, v7, 9, v9
	v_lshl_add_u32 v28, v7, 7, v9
	v_mul_lo_u32 v7, v7, s35
	v_cmp_gt_i32_e64 s6, s8, v8
	v_mul_lo_u32 v8, s34, v26
	v_or_b32_e32 v9, 2, v26
	v_mul_lo_u32 v33, s35, v10
	v_cmp_gt_i32_e64 s0, s37, v26
	v_cmp_gt_i32_e64 s1, s8, v27
	v_lshl_add_u32 v35, v11, 2, v6
	s_cselect_b32 s38, -1, 0
	s_and_b32 s39, s5, vcc_lo
	s_lshl_b32 s40, s34, 6
	v_lshlrev_b32_e32 v36, 2, v7
	v_mad_u32 v29, s34, v9, v6
	v_mul_lo_u32 v32, s35, v9
	v_add3_u32 v34, v8, s34, v6
	s_lshl_b32 s41, s35, 6
	s_lshl_b64 s[18:19], s[18:19], 1
	s_lshl_b64 s[30:31], s[30:31], 1
	;; [unrolled: 1-line block ×3, first 2 shown]
	s_branch .LBB590_4
.LBB590_2:                              ;   in Loop: Header=BB590_4 Depth=1
	s_wait_xcnt 0x0
	s_or_b32 exec_lo, exec_lo, s7
.LBB590_3:                              ;   in Loop: Header=BB590_4 Depth=1
	s_add_co_i32 s10, s10, 0x10000
	s_delay_alu instid0(SALU_CYCLE_1)
	s_cmp_lt_u32 s10, s33
	s_cbranch_scc0 .LBB590_73
.LBB590_4:                              ; =>This Loop Header: Depth=1
                                        ;     Child Loop BB590_25 Depth 2
	s_mul_u64 s[42:43], s[14:15], s[10:11]
	s_wait_xcnt 0x0
	s_mul_u64 s[44:45], s[22:23], s[10:11]
	s_lshl_b64 s[42:43], s[42:43], 2
	s_lshl_b64 s[44:45], s[44:45], 2
	s_add_nc_u64 s[42:43], s[12:13], s[42:43]
	s_add_nc_u64 s[44:45], s[20:21], s[44:45]
	s_clause 0x1
	global_load_b32 v37, v1, s[42:43]
	global_load_b32 v6, v1, s[44:45]
	s_wait_loadcnt 0x1
	v_cmp_eq_f32_e64 s7, 0, v37
	s_wait_loadcnt 0x0
	v_cmp_eq_f32_e32 vcc_lo, 1.0, v6
	s_wait_xcnt 0x1
	v_readfirstlane_b32 s42, v6
	s_and_b32 s8, s7, vcc_lo
	s_delay_alu instid0(SALU_CYCLE_1)
	s_and_b32 vcc_lo, exec_lo, s8
	s_cbranch_vccnz .LBB590_3
; %bb.5:                                ;   in Loop: Header=BB590_4 Depth=1
	v_mov_b64_e32 v[10:11], 0
	v_mov_b64_e32 v[8:9], 0
	v_cmp_neq_f32_e64 s8, 0, v37
	s_and_b32 vcc_lo, exec_lo, s7
	s_cbranch_vccnz .LBB590_7
; %bb.6:                                ;   in Loop: Header=BB590_4 Depth=1
	s_wait_xcnt 0x0
	s_lshl_b64 s[44:45], s[10:11], 3
	s_delay_alu instid0(SALU_CYCLE_1)
	s_add_nc_u64 s[44:45], s[16:17], s[44:45]
	global_load_b64 v[6:7], v1, s[44:45]
	s_wait_loadcnt 0x0
	v_add_nc_u64_e32 v[8:9], s[18:19], v[6:7]
.LBB590_7:                              ;   in Loop: Header=BB590_4 Depth=1
	s_and_not1_b32 vcc_lo, exec_lo, s8
	s_cbranch_vccnz .LBB590_9
; %bb.8:                                ;   in Loop: Header=BB590_4 Depth=1
	s_wait_xcnt 0x0
	s_lshl_b64 s[44:45], s[10:11], 3
	s_delay_alu instid0(SALU_CYCLE_1)
	s_add_nc_u64 s[44:45], s[28:29], s[44:45]
	global_load_b64 v[6:7], v1, s[44:45]
	s_wait_loadcnt 0x0
	v_add_nc_u64_e32 v[10:11], s[30:31], v[6:7]
.LBB590_9:                              ;   in Loop: Header=BB590_4 Depth=1
	s_wait_xcnt 0x0
	s_lshl_b64 s[44:45], s[10:11], 3
	s_and_not1_b32 vcc_lo, exec_lo, s7
	s_add_nc_u64 s[44:45], s[24:25], s[44:45]
	global_load_b64 v[6:7], v1, s[44:45]
	s_wait_loadcnt 0x0
	v_add_nc_u64_e32 v[6:7], s[26:27], v[6:7]
	s_cbranch_vccnz .LBB590_17
; %bb.10:                               ;   in Loop: Header=BB590_4 Depth=1
	s_mov_b32 s7, 0
	s_mov_b32 s8, 0
                                        ; implicit-def: $vgpr12
	s_wait_xcnt 0x0
	s_and_saveexec_b32 s43, s39
	s_cbranch_execz .LBB590_18
; %bb.11:                               ;   in Loop: Header=BB590_4 Depth=1
	s_cmp_eq_f32 s42, 0
	s_cbranch_scc1 .LBB590_57
; %bb.12:                               ;   in Loop: Header=BB590_4 Depth=1
	v_lshl_add_u64 v[12:13], v[2:3], 1, v[6:7]
	flat_load_u16 v12, v[12:13]
	s_wait_loadcnt_dscnt 0x0
	s_wait_xcnt 0x0
	v_lshlrev_b32_e32 v12, 16, v12
	s_delay_alu instid0(VALU_DEP_1) | instskip(NEXT) | instid1(VALU_DEP_1)
	v_mul_f32_e32 v12, s42, v12
	v_and_b32_e32 v13, 0x7f800000, v12
	s_delay_alu instid0(VALU_DEP_1) | instskip(SKIP_1) | instid1(SALU_CYCLE_1)
	v_cmp_ne_u32_e32 vcc_lo, 0x7f800000, v13
                                        ; implicit-def: $vgpr13
	s_and_saveexec_b32 s8, vcc_lo
	s_xor_b32 s8, exec_lo, s8
; %bb.13:                               ;   in Loop: Header=BB590_4 Depth=1
	v_bfe_u32 v13, v12, 16, 1
	s_delay_alu instid0(VALU_DEP_1)
	v_add3_u32 v13, v12, v13, 0x7fff
                                        ; implicit-def: $vgpr12
; %bb.14:                               ;   in Loop: Header=BB590_4 Depth=1
	s_and_not1_saveexec_b32 s8, s8
; %bb.15:                               ;   in Loop: Header=BB590_4 Depth=1
	v_and_b32_e32 v13, 0xffff, v12
	v_or_b32_e32 v14, 0x10000, v12
	s_delay_alu instid0(VALU_DEP_2) | instskip(NEXT) | instid1(VALU_DEP_2)
	v_cmp_eq_u32_e32 vcc_lo, 0, v13
	v_cndmask_b32_e32 v13, v14, v12, vcc_lo
; %bb.16:                               ;   in Loop: Header=BB590_4 Depth=1
	s_or_b32 exec_lo, exec_lo, s8
	s_delay_alu instid0(VALU_DEP_1) | instskip(SKIP_2) | instid1(SALU_CYCLE_1)
	v_lshrrev_b32_e32 v12, 16, v13
	s_mov_b32 s8, exec_lo
	s_or_b32 exec_lo, exec_lo, s43
	s_and_b32 vcc_lo, exec_lo, s7
	s_cbranch_vccnz .LBB590_19
	s_branch .LBB590_58
.LBB590_17:                             ;   in Loop: Header=BB590_4 Depth=1
	s_mov_b32 s8, 0
                                        ; implicit-def: $vgpr12
	s_cbranch_execnz .LBB590_19
	s_branch .LBB590_58
.LBB590_18:                             ;   in Loop: Header=BB590_4 Depth=1
	s_or_b32 exec_lo, exec_lo, s43
	s_delay_alu instid0(SALU_CYCLE_1)
	s_and_b32 vcc_lo, exec_lo, s7
	s_cbranch_vccz .LBB590_58
.LBB590_19:                             ;   in Loop: Header=BB590_4 Depth=1
	v_dual_mov_b32 v38, 0 :: v_dual_mov_b32 v42, v26
	v_dual_mov_b32 v39, 0 :: v_dual_mov_b32 v40, 0
	v_mov_b32_e32 v41, 0
	s_wait_xcnt 0x0
	s_and_saveexec_b32 s7, s0
	s_cbranch_execz .LBB590_31
; %bb.20:                               ;   in Loop: Header=BB590_4 Depth=1
	v_dual_mov_b32 v38, 0 :: v_dual_mov_b32 v43, v35
	v_dual_mov_b32 v44, v30 :: v_dual_mov_b32 v45, v29
	;; [unrolled: 1-line block ×4, first 2 shown]
	v_mov_b32_e32 v41, 0
	s_mov_b32 s43, 0
	s_mov_b32 s44, 0
	s_branch .LBB590_25
.LBB590_21:                             ;   in Loop: Header=BB590_25 Depth=2
	s_or_b32 exec_lo, exec_lo, s48
	s_wait_loadcnt_dscnt 0x202
	v_dual_lshlrev_b32 v17, 16, v56 :: v_dual_lshlrev_b32 v16, 16, v55
	s_delay_alu instid0(VALU_DEP_1) | instskip(SKIP_1) | instid1(VALU_DEP_1)
	v_pk_mul_f32 v[16:17], v[14:15], v[16:17]
	s_wait_loadcnt_dscnt 0x0
	v_dual_add_f32 v16, v40, v16 :: v_dual_lshlrev_b32 v19, 16, v54
	s_delay_alu instid0(VALU_DEP_1) | instskip(SKIP_1) | instid1(VALU_DEP_1)
	v_add_f32_e32 v20, v16, v17
	v_lshlrev_b32_e32 v18, 16, v53
	v_pk_mul_f32 v[16:17], v[12:13], v[18:19]
	s_delay_alu instid0(VALU_DEP_1) | instskip(NEXT) | instid1(VALU_DEP_1)
	v_add_f32_e32 v16, v20, v16
	v_add_f32_e32 v40, v16, v17
.LBB590_22:                             ;   in Loop: Header=BB590_25 Depth=2
	s_or_b32 exec_lo, exec_lo, s47
	s_wait_loadcnt_dscnt 0x202
	v_dual_lshlrev_b32 v17, 16, v52 :: v_dual_lshlrev_b32 v16, 16, v51
	s_delay_alu instid0(VALU_DEP_1) | instskip(SKIP_1) | instid1(VALU_DEP_1)
	v_pk_mul_f32 v[16:17], v[14:15], v[16:17]
	s_wait_loadcnt_dscnt 0x0
	v_dual_add_f32 v16, v39, v16 :: v_dual_lshlrev_b32 v19, 16, v25
	s_delay_alu instid0(VALU_DEP_1) | instskip(NEXT) | instid1(VALU_DEP_1)
	v_dual_lshlrev_b32 v18, 16, v24 :: v_dual_add_f32 v20, v16, v17
	v_pk_mul_f32 v[16:17], v[12:13], v[18:19]
	s_delay_alu instid0(VALU_DEP_1) | instskip(NEXT) | instid1(VALU_DEP_1)
	v_add_f32_e32 v16, v20, v16
	v_add_f32_e32 v39, v16, v17
.LBB590_23:                             ;   in Loop: Header=BB590_25 Depth=2
	s_or_b32 exec_lo, exec_lo, s46
	s_wait_loadcnt_dscnt 0x202
	v_dual_lshlrev_b32 v17, 16, v50 :: v_dual_lshlrev_b32 v16, 16, v49
	s_delay_alu instid0(VALU_DEP_1) | instskip(SKIP_1) | instid1(VALU_DEP_1)
	v_pk_mul_f32 v[14:15], v[14:15], v[16:17]
	s_wait_loadcnt_dscnt 0x0
	v_dual_add_f32 v14, v38, v14 :: v_dual_lshlrev_b32 v17, 16, v48
	s_delay_alu instid0(VALU_DEP_1) | instskip(SKIP_1) | instid1(VALU_DEP_1)
	v_add_f32_e32 v14, v14, v15
	v_lshlrev_b32_e32 v16, 16, v47
	v_pk_mul_f32 v[12:13], v[12:13], v[16:17]
	s_delay_alu instid0(VALU_DEP_1) | instskip(NEXT) | instid1(VALU_DEP_1)
	v_add_f32_e32 v12, v14, v12
	v_add_f32_e32 v38, v12, v13
.LBB590_24:                             ;   in Loop: Header=BB590_25 Depth=2
	s_or_b32 exec_lo, exec_lo, s45
	v_dual_add_nc_u32 v42, 64, v42 :: v_dual_add_nc_u32 v45, s40, v45
	v_dual_add_nc_u32 v46, s40, v46 :: v_dual_add_nc_u32 v44, s40, v44
	v_add_nc_u32_e32 v43, s40, v43
	s_delay_alu instid0(VALU_DEP_3) | instskip(SKIP_2) | instid1(SALU_CYCLE_1)
	v_cmp_le_i32_e32 vcc_lo, s37, v42
	s_add_co_i32 s44, s44, s41
	s_or_b32 s43, vcc_lo, s43
	s_and_not1_b32 exec_lo, exec_lo, s43
	s_cbranch_execz .LBB590_30
.LBB590_25:                             ;   Parent Loop BB590_4 Depth=1
                                        ; =>  This Inner Loop Header: Depth=2
	s_and_saveexec_b32 s45, s1
	s_cbranch_execz .LBB590_24
; %bb.26:                               ;   in Loop: Header=BB590_25 Depth=2
	v_dual_add_nc_u32 v12, s44, v36 :: v_dual_add_nc_u32 v13, s44, v31
	v_readfirstlane_b32 s46, v10
	v_readfirstlane_b32 s47, v11
	v_dual_add_nc_u32 v14, s44, v32 :: v_dual_add_nc_u32 v15, s44, v33
	s_clause 0x3
	flat_load_u16 v17, v12, s[46:47] scale_offset
	flat_load_u16 v18, v13, s[46:47] scale_offset
	;; [unrolled: 1-line block ×4, first 2 shown]
	v_dual_add_nc_u32 v16, s36, v43 :: v_dual_add_nc_u32 v20, s36, v46
	s_wait_xcnt 0x0
	v_readfirstlane_b32 s46, v8
	v_readfirstlane_b32 s47, v9
	v_dual_add_nc_u32 v24, s36, v45 :: v_dual_add_nc_u32 v22, s36, v44
	s_clause 0x3
	flat_load_u16 v49, v16, s[46:47] scale_offset
	flat_load_u16 v50, v20, s[46:47] scale_offset
	;; [unrolled: 1-line block ×4, first 2 shown]
	s_wait_loadcnt_dscnt 0x606
	v_dual_lshlrev_b32 v14, 16, v17 :: v_dual_lshlrev_b32 v15, 16, v18
	s_wait_loadcnt_dscnt 0x404
	v_dual_lshlrev_b32 v12, 16, v19 :: v_dual_lshlrev_b32 v13, 16, v21
	s_wait_xcnt 0x0
	s_and_saveexec_b32 s46, s2
	s_cbranch_execz .LBB590_23
; %bb.27:                               ;   in Loop: Header=BB590_25 Depth=2
	v_dual_ashrrev_i32 v17, 31, v16 :: v_dual_ashrrev_i32 v23, 31, v22
	v_ashrrev_i32_e32 v21, 31, v20
	v_ashrrev_i32_e32 v25, 31, v24
	s_delay_alu instid0(VALU_DEP_3) | instskip(NEXT) | instid1(VALU_DEP_4)
	v_lshl_add_u64 v[18:19], v[16:17], 1, v[8:9]
	v_lshl_add_u64 v[22:23], v[22:23], 1, v[8:9]
	s_delay_alu instid0(VALU_DEP_4) | instskip(NEXT) | instid1(VALU_DEP_4)
	v_lshl_add_u64 v[16:17], v[20:21], 1, v[8:9]
	v_lshl_add_u64 v[20:21], v[24:25], 1, v[8:9]
	s_clause 0x3
	flat_load_u16 v51, v[18:19] offset:64
	flat_load_u16 v52, v[16:17] offset:64
	flat_load_u16 v24, v[20:21] offset:64
	flat_load_u16 v25, v[22:23] offset:64
	s_wait_xcnt 0x0
	s_and_saveexec_b32 s47, s3
	s_cbranch_execz .LBB590_22
; %bb.28:                               ;   in Loop: Header=BB590_25 Depth=2
	s_clause 0x3
	flat_load_u16 v55, v[18:19] offset:128
	flat_load_u16 v56, v[16:17] offset:128
	;; [unrolled: 1-line block ×4, first 2 shown]
	s_wait_xcnt 0x0
	s_and_saveexec_b32 s48, s4
	s_cbranch_execz .LBB590_21
; %bb.29:                               ;   in Loop: Header=BB590_25 Depth=2
	s_clause 0x3
	flat_load_u16 v57, v[16:17] offset:192
	flat_load_u16 v58, v[18:19] offset:192
	;; [unrolled: 1-line block ×4, first 2 shown]
	s_wait_loadcnt_dscnt 0x202
	s_wait_xcnt 0x3
	v_dual_lshlrev_b32 v17, 16, v57 :: v_dual_lshlrev_b32 v16, 16, v58
	s_delay_alu instid0(VALU_DEP_1) | instskip(SKIP_2) | instid1(VALU_DEP_1)
	v_pk_mul_f32 v[16:17], v[14:15], v[16:17]
	s_wait_loadcnt_dscnt 0x101
	s_wait_xcnt 0x2
	v_dual_add_f32 v16, v41, v16 :: v_dual_lshlrev_b32 v19, 16, v59
	s_wait_loadcnt_dscnt 0x0
	s_wait_xcnt 0x0
	s_delay_alu instid0(VALU_DEP_1) | instskip(NEXT) | instid1(VALU_DEP_1)
	v_dual_lshlrev_b32 v18, 16, v60 :: v_dual_add_f32 v20, v16, v17
	v_pk_mul_f32 v[16:17], v[12:13], v[18:19]
	s_delay_alu instid0(VALU_DEP_1) | instskip(NEXT) | instid1(VALU_DEP_1)
	v_add_f32_e32 v16, v20, v16
	v_add_f32_e32 v41, v16, v17
	s_branch .LBB590_21
.LBB590_30:                             ;   in Loop: Header=BB590_4 Depth=1
	s_or_b32 exec_lo, exec_lo, s43
.LBB590_31:                             ;   in Loop: Header=BB590_4 Depth=1
	s_delay_alu instid0(SALU_CYCLE_1) | instskip(NEXT) | instid1(SALU_CYCLE_1)
	s_or_b32 exec_lo, exec_lo, s7
	s_and_not1_b32 vcc_lo, exec_lo, s38
	s_cbranch_vccnz .LBB590_49
; %bb.32:                               ;   in Loop: Header=BB590_4 Depth=1
	v_dual_mov_b32 v12, 0 :: v_dual_bitop2_b32 v16, 1, v42 bitop3:0x54
	v_cmp_gt_i32_e32 vcc_lo, s9, v42
	s_delay_alu instid0(VALU_DEP_2)
	v_dual_mov_b32 v13, v12 :: v_dual_mov_b32 v14, v12
	v_mov_b32_e32 v15, v12
	s_and_saveexec_b32 s43, vcc_lo
	s_cbranch_execz .LBB590_40
; %bb.33:                               ;   in Loop: Header=BB590_4 Depth=1
	v_mul_lo_u32 v12, v42, s35
	v_readfirstlane_b32 s44, v10
	v_readfirstlane_b32 s45, v11
	v_dual_mov_b32 v15, 0 :: v_dual_mov_b32 v13, 0
	flat_load_u16 v14, v12, s[44:45] scale_offset
	s_wait_xcnt 0x0
	v_mov_b32_e32 v12, 0
	s_mov_b32 s44, exec_lo
	v_cmpx_gt_i32_e64 s9, v16
	s_cbranch_execz .LBB590_39
; %bb.34:                               ;   in Loop: Header=BB590_4 Depth=1
	v_mul_lo_u32 v12, v16, s35
	v_readfirstlane_b32 s46, v10
	v_readfirstlane_b32 s47, v11
	v_dual_mov_b32 v13, 0 :: v_dual_bitop2_b32 v17, 2, v42 bitop3:0x54
	s_mov_b32 s45, exec_lo
	flat_load_u16 v15, v12, s[46:47] scale_offset
	s_wait_xcnt 0x0
	v_mov_b32_e32 v12, 0
	v_cmpx_gt_i32_e64 s9, v17
	s_cbranch_execz .LBB590_38
; %bb.35:                               ;   in Loop: Header=BB590_4 Depth=1
	v_mul_lo_u32 v12, v17, s35
	v_readfirstlane_b32 s46, v10
	v_readfirstlane_b32 s47, v11
	v_dual_mov_b32 v13, 0 :: v_dual_bitop2_b32 v17, 3, v42 bitop3:0x54
	flat_load_u16 v12, v12, s[46:47] scale_offset
	s_wait_xcnt 0x0
	s_mov_b32 s46, exec_lo
	v_cmpx_gt_i32_e64 s9, v17
	s_cbranch_execz .LBB590_37
; %bb.36:                               ;   in Loop: Header=BB590_4 Depth=1
	v_mul_lo_u32 v13, v17, s35
	v_readfirstlane_b32 s48, v10
	v_readfirstlane_b32 s49, v11
	flat_load_u16 v10, v13, s[48:49] scale_offset
	s_wait_loadcnt_dscnt 0x0
	s_wait_xcnt 0x0
	v_lshlrev_b32_e32 v13, 16, v10
.LBB590_37:                             ;   in Loop: Header=BB590_4 Depth=1
	s_or_b32 exec_lo, exec_lo, s46
	s_wait_loadcnt_dscnt 0x0
	v_lshlrev_b32_e32 v12, 16, v12
.LBB590_38:                             ;   in Loop: Header=BB590_4 Depth=1
	s_or_b32 exec_lo, exec_lo, s45
	s_wait_loadcnt_dscnt 0x0
	v_lshlrev_b32_e32 v15, 16, v15
.LBB590_39:                             ;   in Loop: Header=BB590_4 Depth=1
	s_or_b32 exec_lo, exec_lo, s44
	s_wait_loadcnt_dscnt 0x0
	v_lshlrev_b32_e32 v14, 16, v14
.LBB590_40:                             ;   in Loop: Header=BB590_4 Depth=1
	s_or_b32 exec_lo, exec_lo, s43
	s_and_saveexec_b32 s43, s1
	s_cbranch_execz .LBB590_48
; %bb.41:                               ;   in Loop: Header=BB590_4 Depth=1
	v_mul_lo_u32 v17, v16, s34
	v_mul_lo_u32 v20, v42, s34
	v_cmp_gt_i32_e64 s7, s9, v16
	v_or_b32_e32 v10, 2, v42
	v_or_b32_e32 v11, 3, v42
	v_readfirstlane_b32 s44, v8
	v_readfirstlane_b32 s45, v9
	v_cndmask_b32_e64 v16, 0, v17, s7
	v_mul_lo_u32 v18, v10, s34
	v_cndmask_b32_e32 v17, 0, v20, vcc_lo
	v_mul_lo_u32 v19, v11, s34
	v_cmp_gt_i32_e64 s7, s9, v10
	s_delay_alu instid0(VALU_DEP_1) | instskip(SKIP_1) | instid1(VALU_DEP_1)
	v_cndmask_b32_e64 v10, 0, v18, s7
	v_cmp_gt_i32_e64 s7, s9, v11
	v_cndmask_b32_e64 v11, 0, v19, s7
	s_delay_alu instid0(VALU_DEP_3) | instskip(NEXT) | instid1(VALU_DEP_2)
	v_dual_add_nc_u32 v16, v16, v27 :: v_dual_add_nc_u32 v18, v10, v27
	v_dual_add_nc_u32 v10, v17, v27 :: v_dual_add_nc_u32 v20, v11, v27
	s_clause 0x3
	flat_load_u16 v24, v16, s[44:45] scale_offset
	flat_load_u16 v22, v18, s[44:45] scale_offset
	;; [unrolled: 1-line block ×4, first 2 shown]
	s_wait_xcnt 0x0
	s_and_saveexec_b32 s7, s2
	s_cbranch_execz .LBB590_47
; %bb.42:                               ;   in Loop: Header=BB590_4 Depth=1
	v_dual_ashrrev_i32 v11, 31, v10 :: v_dual_ashrrev_i32 v17, 31, v16
	v_dual_ashrrev_i32 v19, 31, v18 :: v_dual_ashrrev_i32 v21, 31, v20
	s_delay_alu instid0(VALU_DEP_2) | instskip(NEXT) | instid1(VALU_DEP_3)
	v_lshl_add_u64 v[10:11], v[10:11], 1, v[8:9]
	v_lshl_add_u64 v[16:17], v[16:17], 1, v[8:9]
	s_delay_alu instid0(VALU_DEP_3) | instskip(NEXT) | instid1(VALU_DEP_4)
	v_lshl_add_u64 v[18:19], v[18:19], 1, v[8:9]
	v_lshl_add_u64 v[8:9], v[20:21], 1, v[8:9]
	s_clause 0x3
	flat_load_u16 v42, v[10:11] offset:64
	flat_load_u16 v43, v[16:17] offset:64
	;; [unrolled: 1-line block ×4, first 2 shown]
	s_wait_xcnt 0x0
	s_and_saveexec_b32 s44, s3
	s_cbranch_execz .LBB590_46
; %bb.43:                               ;   in Loop: Header=BB590_4 Depth=1
	s_clause 0x3
	flat_load_u16 v46, v[10:11] offset:128
	flat_load_u16 v47, v[16:17] offset:128
	;; [unrolled: 1-line block ×4, first 2 shown]
	s_wait_xcnt 0x0
	s_and_saveexec_b32 s45, s4
	s_cbranch_execz .LBB590_45
; %bb.44:                               ;   in Loop: Header=BB590_4 Depth=1
	s_clause 0x3
	flat_load_u16 v48, v[16:17] offset:192
	flat_load_u16 v49, v[10:11] offset:192
	;; [unrolled: 1-line block ×4, first 2 shown]
	s_wait_loadcnt_dscnt 0x202
	s_wait_xcnt 0x1
	v_dual_lshlrev_b32 v9, 16, v48 :: v_dual_lshlrev_b32 v8, 16, v49
	s_delay_alu instid0(VALU_DEP_1) | instskip(SKIP_1) | instid1(VALU_DEP_1)
	v_pk_mul_f32 v[8:9], v[14:15], v[8:9]
	s_wait_loadcnt_dscnt 0x101
	v_dual_add_f32 v8, v41, v8 :: v_dual_lshlrev_b32 v11, 16, v50
	s_wait_loadcnt_dscnt 0x0
	s_delay_alu instid0(VALU_DEP_1) | instskip(NEXT) | instid1(VALU_DEP_1)
	v_dual_lshlrev_b32 v10, 16, v51 :: v_dual_add_f32 v16, v8, v9
	v_pk_mul_f32 v[8:9], v[12:13], v[10:11]
	s_delay_alu instid0(VALU_DEP_1) | instskip(NEXT) | instid1(VALU_DEP_1)
	v_add_f32_e32 v8, v16, v8
	v_add_f32_e32 v41, v8, v9
.LBB590_45:                             ;   in Loop: Header=BB590_4 Depth=1
	s_wait_xcnt 0x0
	s_or_b32 exec_lo, exec_lo, s45
	s_wait_loadcnt_dscnt 0x202
	v_dual_lshlrev_b32 v9, 16, v47 :: v_dual_lshlrev_b32 v8, 16, v46
	s_delay_alu instid0(VALU_DEP_1) | instskip(SKIP_1) | instid1(VALU_DEP_1)
	v_pk_mul_f32 v[8:9], v[14:15], v[8:9]
	s_wait_loadcnt_dscnt 0x0
	v_dual_add_f32 v8, v40, v8 :: v_dual_lshlrev_b32 v11, 16, v45
	s_delay_alu instid0(VALU_DEP_1) | instskip(NEXT) | instid1(VALU_DEP_1)
	v_dual_lshlrev_b32 v10, 16, v44 :: v_dual_add_f32 v16, v8, v9
	v_pk_mul_f32 v[8:9], v[12:13], v[10:11]
	s_delay_alu instid0(VALU_DEP_1) | instskip(NEXT) | instid1(VALU_DEP_1)
	v_add_f32_e32 v8, v16, v8
	v_add_f32_e32 v40, v8, v9
.LBB590_46:                             ;   in Loop: Header=BB590_4 Depth=1
	s_or_b32 exec_lo, exec_lo, s44
	s_wait_loadcnt_dscnt 0x202
	v_dual_lshlrev_b32 v9, 16, v43 :: v_dual_lshlrev_b32 v8, 16, v42
	s_delay_alu instid0(VALU_DEP_1) | instskip(SKIP_1) | instid1(VALU_DEP_1)
	v_pk_mul_f32 v[8:9], v[14:15], v[8:9]
	s_wait_loadcnt_dscnt 0x0
	v_dual_add_f32 v8, v39, v8 :: v_dual_lshlrev_b32 v11, 16, v21
	s_delay_alu instid0(VALU_DEP_1) | instskip(NEXT) | instid1(VALU_DEP_1)
	v_dual_lshlrev_b32 v10, 16, v20 :: v_dual_add_f32 v16, v8, v9
	v_pk_mul_f32 v[8:9], v[12:13], v[10:11]
	s_delay_alu instid0(VALU_DEP_1) | instskip(NEXT) | instid1(VALU_DEP_1)
	v_add_f32_e32 v8, v16, v8
	v_add_f32_e32 v39, v8, v9
.LBB590_47:                             ;   in Loop: Header=BB590_4 Depth=1
	s_or_b32 exec_lo, exec_lo, s7
	s_wait_loadcnt_dscnt 0x0
	v_dual_lshlrev_b32 v9, 16, v24 :: v_dual_lshlrev_b32 v8, 16, v25
	s_delay_alu instid0(VALU_DEP_1) | instskip(NEXT) | instid1(VALU_DEP_1)
	v_pk_mul_f32 v[8:9], v[14:15], v[8:9]
	v_dual_add_f32 v8, v38, v8 :: v_dual_lshlrev_b32 v11, 16, v23
	s_delay_alu instid0(VALU_DEP_1) | instskip(NEXT) | instid1(VALU_DEP_1)
	v_dual_lshlrev_b32 v10, 16, v22 :: v_dual_add_f32 v14, v8, v9
	v_pk_mul_f32 v[8:9], v[12:13], v[10:11]
	s_delay_alu instid0(VALU_DEP_1) | instskip(NEXT) | instid1(VALU_DEP_1)
	v_add_f32_e32 v8, v14, v8
	v_add_f32_e32 v38, v8, v9
.LBB590_48:                             ;   in Loop: Header=BB590_4 Depth=1
	s_or_b32 exec_lo, exec_lo, s43
.LBB590_49:                             ;   in Loop: Header=BB590_4 Depth=1
	ds_store_2addr_b32 v0, v38, v39 offset1:32
	ds_store_2addr_b32 v0, v40, v41 offset0:64 offset1:96
	s_wait_dscnt 0x0
	s_barrier_signal -1
	s_barrier_wait -1
                                        ; implicit-def: $vgpr12
	s_and_saveexec_b32 s7, s5
	s_cbranch_execz .LBB590_71
; %bb.50:                               ;   in Loop: Header=BB590_4 Depth=1
	ds_load_2addr_stride64_b32 v[8:9], v28 offset1:2
	ds_load_2addr_stride64_b32 v[10:11], v28 offset0:4 offset1:6
	ds_load_2addr_stride64_b32 v[12:13], v28 offset0:8 offset1:10
	s_mov_b32 s44, s8
	s_wait_dscnt 0x2
	v_add_f32_e32 v14, v8, v9
	ds_load_2addr_stride64_b32 v[8:9], v28 offset0:12 offset1:14
	s_wait_dscnt 0x2
	v_add_f32_e32 v10, v10, v14
	s_delay_alu instid0(VALU_DEP_1) | instskip(SKIP_3) | instid1(VALU_DEP_1)
	v_add_f32_e32 v14, v11, v10
	ds_load_2addr_stride64_b32 v[10:11], v28 offset0:16 offset1:18
	s_wait_dscnt 0x2
	v_add_f32_e32 v12, v12, v14
	v_add_f32_e32 v14, v13, v12
	ds_load_2addr_stride64_b32 v[12:13], v28 offset0:20 offset1:22
	s_wait_dscnt 0x2
	v_add_f32_e32 v8, v8, v14
	s_delay_alu instid0(VALU_DEP_1) | instskip(SKIP_1) | instid1(VALU_DEP_1)
	v_add_f32_e32 v8, v9, v8
	s_wait_dscnt 0x1
	v_add_f32_e32 v10, v10, v8
	ds_load_2addr_stride64_b32 v[8:9], v28 offset0:24 offset1:26
	v_add_f32_e32 v10, v11, v10
	s_wait_dscnt 0x1
	s_delay_alu instid0(VALU_DEP_1) | instskip(SKIP_3) | instid1(VALU_DEP_1)
	v_add_f32_e32 v12, v12, v10
	ds_load_2addr_stride64_b32 v[10:11], v28 offset0:28 offset1:30
	v_add_f32_e32 v12, v13, v12
	s_wait_dscnt 0x1
	v_add_f32_e32 v8, v8, v12
                                        ; implicit-def: $vgpr12
	s_delay_alu instid0(VALU_DEP_1) | instskip(SKIP_1) | instid1(VALU_DEP_1)
	v_add_f32_e32 v8, v9, v8
	s_wait_dscnt 0x0
	v_add_f32_e32 v8, v10, v8
	s_delay_alu instid0(VALU_DEP_1)
	v_add_f32_e32 v8, v11, v8
	ds_store_b32 v28, v8
	s_and_saveexec_b32 s43, s6
	s_cbranch_execz .LBB590_70
; %bb.51:                               ;   in Loop: Header=BB590_4 Depth=1
	v_mul_f32_e32 v8, v37, v8
	s_cmp_eq_f32 s42, 0
	s_cbranch_scc0 .LBB590_59
; %bb.52:                               ;   in Loop: Header=BB590_4 Depth=1
	s_delay_alu instid0(VALU_DEP_1) | instskip(NEXT) | instid1(VALU_DEP_1)
	v_and_b32_e32 v9, 0x7f800000, v8
	v_cmp_ne_u32_e32 vcc_lo, 0x7f800000, v9
                                        ; implicit-def: $vgpr9
	s_and_saveexec_b32 s44, vcc_lo
	s_delay_alu instid0(SALU_CYCLE_1)
	s_xor_b32 s44, exec_lo, s44
; %bb.53:                               ;   in Loop: Header=BB590_4 Depth=1
	v_bfe_u32 v9, v8, 16, 1
	s_delay_alu instid0(VALU_DEP_1)
	v_add3_u32 v9, v8, v9, 0x7fff
; %bb.54:                               ;   in Loop: Header=BB590_4 Depth=1
	s_and_not1_saveexec_b32 s44, s44
; %bb.55:                               ;   in Loop: Header=BB590_4 Depth=1
	v_and_b32_e32 v9, 0xffff, v8
	v_or_b32_e32 v10, 0x10000, v8
	s_delay_alu instid0(VALU_DEP_2) | instskip(NEXT) | instid1(VALU_DEP_2)
	v_cmp_eq_u32_e32 vcc_lo, 0, v9
	v_cndmask_b32_e32 v9, v10, v8, vcc_lo
; %bb.56:                               ;   in Loop: Header=BB590_4 Depth=1
	s_or_b32 exec_lo, exec_lo, s44
	s_cbranch_execz .LBB590_60
	s_branch .LBB590_69
.LBB590_57:                             ;   in Loop: Header=BB590_4 Depth=1
	v_mov_b32_e32 v12, 0
	s_mov_b32 s8, exec_lo
	s_or_b32 exec_lo, exec_lo, s43
	s_delay_alu instid0(SALU_CYCLE_1)
	s_and_b32 vcc_lo, exec_lo, s7
	s_cbranch_vccnz .LBB590_19
.LBB590_58:                             ;   in Loop: Header=BB590_4 Depth=1
	v_mov_b64_e32 v[8:9], v[2:3]
	s_wait_xcnt 0x0
	s_and_saveexec_b32 s7, s8
	s_cbranch_execz .LBB590_2
	s_branch .LBB590_72
.LBB590_59:                             ;   in Loop: Header=BB590_4 Depth=1
                                        ; implicit-def: $vgpr9
.LBB590_60:                             ;   in Loop: Header=BB590_4 Depth=1
	v_lshl_add_u64 v[10:11], v[4:5], 1, v[6:7]
	flat_load_u16 v9, v[10:11]
	s_wait_loadcnt_dscnt 0x0
	v_lshlrev_b32_e32 v9, 16, v9
	s_delay_alu instid0(VALU_DEP_1) | instskip(SKIP_1) | instid1(VALU_DEP_1)
	v_mul_f32_e32 v9, s42, v9
	s_wait_xcnt 0x0
	v_and_b32_e32 v10, 0x7f800000, v9
	s_delay_alu instid0(VALU_DEP_1) | instskip(SKIP_1) | instid1(SALU_CYCLE_1)
	v_cmp_ne_u32_e32 vcc_lo, 0x7f800000, v10
                                        ; implicit-def: $vgpr10
	s_and_saveexec_b32 s42, vcc_lo
	s_xor_b32 s42, exec_lo, s42
; %bb.61:                               ;   in Loop: Header=BB590_4 Depth=1
	v_bfe_u32 v10, v9, 16, 1
	s_delay_alu instid0(VALU_DEP_1)
	v_add3_u32 v10, v9, v10, 0x7fff
                                        ; implicit-def: $vgpr9
; %bb.62:                               ;   in Loop: Header=BB590_4 Depth=1
	s_and_not1_saveexec_b32 s42, s42
; %bb.63:                               ;   in Loop: Header=BB590_4 Depth=1
	v_and_b32_e32 v10, 0xffff, v9
	v_or_b32_e32 v11, 0x10000, v9
	s_delay_alu instid0(VALU_DEP_2) | instskip(NEXT) | instid1(VALU_DEP_2)
	v_cmp_eq_u32_e32 vcc_lo, 0, v10
	v_cndmask_b32_e32 v10, v11, v9, vcc_lo
; %bb.64:                               ;   in Loop: Header=BB590_4 Depth=1
	s_or_b32 exec_lo, exec_lo, s42
	s_delay_alu instid0(VALU_DEP_1) | instskip(NEXT) | instid1(VALU_DEP_1)
	v_and_b32_e32 v9, 0xffff0000, v10
	v_add_f32_e32 v8, v8, v9
	s_delay_alu instid0(VALU_DEP_1) | instskip(NEXT) | instid1(VALU_DEP_1)
	v_and_b32_e32 v9, 0x7f800000, v8
	v_cmp_ne_u32_e32 vcc_lo, 0x7f800000, v9
                                        ; implicit-def: $vgpr9
	s_and_saveexec_b32 s42, vcc_lo
	s_delay_alu instid0(SALU_CYCLE_1)
	s_xor_b32 s42, exec_lo, s42
; %bb.65:                               ;   in Loop: Header=BB590_4 Depth=1
	v_bfe_u32 v9, v8, 16, 1
	s_delay_alu instid0(VALU_DEP_1)
	v_add3_u32 v9, v8, v9, 0x7fff
                                        ; implicit-def: $vgpr8
; %bb.66:                               ;   in Loop: Header=BB590_4 Depth=1
	s_and_not1_saveexec_b32 s42, s42
; %bb.67:                               ;   in Loop: Header=BB590_4 Depth=1
	v_and_b32_e32 v9, 0xffff, v8
	v_or_b32_e32 v10, 0x10000, v8
	s_delay_alu instid0(VALU_DEP_2) | instskip(NEXT) | instid1(VALU_DEP_2)
	v_cmp_eq_u32_e32 vcc_lo, 0, v9
	v_cndmask_b32_e32 v9, v10, v8, vcc_lo
; %bb.68:                               ;   in Loop: Header=BB590_4 Depth=1
	s_or_b32 exec_lo, exec_lo, s42
.LBB590_69:                             ;   in Loop: Header=BB590_4 Depth=1
	s_delay_alu instid0(VALU_DEP_1)
	v_lshrrev_b32_e32 v12, 16, v9
	s_or_b32 s44, s8, exec_lo
.LBB590_70:                             ;   in Loop: Header=BB590_4 Depth=1
	s_or_b32 exec_lo, exec_lo, s43
	s_delay_alu instid0(SALU_CYCLE_1) | instskip(SKIP_1) | instid1(SALU_CYCLE_1)
	s_and_not1_b32 s8, s8, exec_lo
	s_and_b32 s42, s44, exec_lo
	s_or_b32 s8, s8, s42
.LBB590_71:                             ;   in Loop: Header=BB590_4 Depth=1
	s_or_b32 exec_lo, exec_lo, s7
	v_mov_b64_e32 v[8:9], v[4:5]
	s_and_saveexec_b32 s7, s8
	s_cbranch_execz .LBB590_2
.LBB590_72:                             ;   in Loop: Header=BB590_4 Depth=1
	s_delay_alu instid0(VALU_DEP_1)
	v_lshl_add_u64 v[6:7], v[8:9], 1, v[6:7]
	flat_store_b16 v[6:7], v12
	s_branch .LBB590_2
.LBB590_73:
	s_endpgm
	.section	.rodata,"a",@progbits
	.p2align	6, 0x0
	.amdhsa_kernel _ZL20rocblas_gemvn_kernelILi32ELi16EiPK16rocblas_bfloat16PKfKPS0_EviiT3_lPKT2_lT1_lSA_lSB_lS7_lPT4_lSB_li
		.amdhsa_group_segment_fixed_size 8192
		.amdhsa_private_segment_fixed_size 0
		.amdhsa_kernarg_size 400
		.amdhsa_user_sgpr_count 2
		.amdhsa_user_sgpr_dispatch_ptr 0
		.amdhsa_user_sgpr_queue_ptr 0
		.amdhsa_user_sgpr_kernarg_segment_ptr 1
		.amdhsa_user_sgpr_dispatch_id 0
		.amdhsa_user_sgpr_kernarg_preload_length 0
		.amdhsa_user_sgpr_kernarg_preload_offset 0
		.amdhsa_user_sgpr_private_segment_size 0
		.amdhsa_wavefront_size32 1
		.amdhsa_uses_dynamic_stack 0
		.amdhsa_enable_private_segment 0
		.amdhsa_system_sgpr_workgroup_id_x 1
		.amdhsa_system_sgpr_workgroup_id_y 0
		.amdhsa_system_sgpr_workgroup_id_z 1
		.amdhsa_system_sgpr_workgroup_info 0
		.amdhsa_system_vgpr_workitem_id 1
		.amdhsa_next_free_vgpr 61
		.amdhsa_next_free_sgpr 50
		.amdhsa_named_barrier_count 0
		.amdhsa_reserve_vcc 1
		.amdhsa_float_round_mode_32 0
		.amdhsa_float_round_mode_16_64 0
		.amdhsa_float_denorm_mode_32 3
		.amdhsa_float_denorm_mode_16_64 3
		.amdhsa_fp16_overflow 0
		.amdhsa_memory_ordered 1
		.amdhsa_forward_progress 1
		.amdhsa_inst_pref_size 30
		.amdhsa_round_robin_scheduling 0
		.amdhsa_exception_fp_ieee_invalid_op 0
		.amdhsa_exception_fp_denorm_src 0
		.amdhsa_exception_fp_ieee_div_zero 0
		.amdhsa_exception_fp_ieee_overflow 0
		.amdhsa_exception_fp_ieee_underflow 0
		.amdhsa_exception_fp_ieee_inexact 0
		.amdhsa_exception_int_div_zero 0
	.end_amdhsa_kernel
	.section	.text._ZL20rocblas_gemvn_kernelILi32ELi16EiPK16rocblas_bfloat16PKfKPS0_EviiT3_lPKT2_lT1_lSA_lSB_lS7_lPT4_lSB_li,"axG",@progbits,_ZL20rocblas_gemvn_kernelILi32ELi16EiPK16rocblas_bfloat16PKfKPS0_EviiT3_lPKT2_lT1_lSA_lSB_lS7_lPT4_lSB_li,comdat
.Lfunc_end590:
	.size	_ZL20rocblas_gemvn_kernelILi32ELi16EiPK16rocblas_bfloat16PKfKPS0_EviiT3_lPKT2_lT1_lSA_lSB_lS7_lPT4_lSB_li, .Lfunc_end590-_ZL20rocblas_gemvn_kernelILi32ELi16EiPK16rocblas_bfloat16PKfKPS0_EviiT3_lPKT2_lT1_lSA_lSB_lS7_lPT4_lSB_li
                                        ; -- End function
	.set _ZL20rocblas_gemvn_kernelILi32ELi16EiPK16rocblas_bfloat16PKfKPS0_EviiT3_lPKT2_lT1_lSA_lSB_lS7_lPT4_lSB_li.num_vgpr, 61
	.set _ZL20rocblas_gemvn_kernelILi32ELi16EiPK16rocblas_bfloat16PKfKPS0_EviiT3_lPKT2_lT1_lSA_lSB_lS7_lPT4_lSB_li.num_agpr, 0
	.set _ZL20rocblas_gemvn_kernelILi32ELi16EiPK16rocblas_bfloat16PKfKPS0_EviiT3_lPKT2_lT1_lSA_lSB_lS7_lPT4_lSB_li.numbered_sgpr, 50
	.set _ZL20rocblas_gemvn_kernelILi32ELi16EiPK16rocblas_bfloat16PKfKPS0_EviiT3_lPKT2_lT1_lSA_lSB_lS7_lPT4_lSB_li.num_named_barrier, 0
	.set _ZL20rocblas_gemvn_kernelILi32ELi16EiPK16rocblas_bfloat16PKfKPS0_EviiT3_lPKT2_lT1_lSA_lSB_lS7_lPT4_lSB_li.private_seg_size, 0
	.set _ZL20rocblas_gemvn_kernelILi32ELi16EiPK16rocblas_bfloat16PKfKPS0_EviiT3_lPKT2_lT1_lSA_lSB_lS7_lPT4_lSB_li.uses_vcc, 1
	.set _ZL20rocblas_gemvn_kernelILi32ELi16EiPK16rocblas_bfloat16PKfKPS0_EviiT3_lPKT2_lT1_lSA_lSB_lS7_lPT4_lSB_li.uses_flat_scratch, 1
	.set _ZL20rocblas_gemvn_kernelILi32ELi16EiPK16rocblas_bfloat16PKfKPS0_EviiT3_lPKT2_lT1_lSA_lSB_lS7_lPT4_lSB_li.has_dyn_sized_stack, 0
	.set _ZL20rocblas_gemvn_kernelILi32ELi16EiPK16rocblas_bfloat16PKfKPS0_EviiT3_lPKT2_lT1_lSA_lSB_lS7_lPT4_lSB_li.has_recursion, 0
	.set _ZL20rocblas_gemvn_kernelILi32ELi16EiPK16rocblas_bfloat16PKfKPS0_EviiT3_lPKT2_lT1_lSA_lSB_lS7_lPT4_lSB_li.has_indirect_call, 0
	.section	.AMDGPU.csdata,"",@progbits
; Kernel info:
; codeLenInByte = 3800
; TotalNumSgprs: 52
; NumVgprs: 61
; ScratchSize: 0
; MemoryBound: 0
; FloatMode: 240
; IeeeMode: 1
; LDSByteSize: 8192 bytes/workgroup (compile time only)
; SGPRBlocks: 0
; VGPRBlocks: 3
; NumSGPRsForWavesPerEU: 52
; NumVGPRsForWavesPerEU: 61
; NamedBarCnt: 0
; Occupancy: 16
; WaveLimiterHint : 1
; COMPUTE_PGM_RSRC2:SCRATCH_EN: 0
; COMPUTE_PGM_RSRC2:USER_SGPR: 2
; COMPUTE_PGM_RSRC2:TRAP_HANDLER: 0
; COMPUTE_PGM_RSRC2:TGID_X_EN: 1
; COMPUTE_PGM_RSRC2:TGID_Y_EN: 0
; COMPUTE_PGM_RSRC2:TGID_Z_EN: 1
; COMPUTE_PGM_RSRC2:TIDIG_COMP_CNT: 1
	.section	.text._ZL20rocblas_gemvn_kernelILi32ELi16ElPK16rocblas_bfloat16PKfKPS0_EviiT3_lPKT2_lT1_lSA_lSB_lS7_lPT4_lSB_li,"axG",@progbits,_ZL20rocblas_gemvn_kernelILi32ELi16ElPK16rocblas_bfloat16PKfKPS0_EviiT3_lPKT2_lT1_lSA_lSB_lS7_lPT4_lSB_li,comdat
	.globl	_ZL20rocblas_gemvn_kernelILi32ELi16ElPK16rocblas_bfloat16PKfKPS0_EviiT3_lPKT2_lT1_lSA_lSB_lS7_lPT4_lSB_li ; -- Begin function _ZL20rocblas_gemvn_kernelILi32ELi16ElPK16rocblas_bfloat16PKfKPS0_EviiT3_lPKT2_lT1_lSA_lSB_lS7_lPT4_lSB_li
	.p2align	8
	.type	_ZL20rocblas_gemvn_kernelILi32ELi16ElPK16rocblas_bfloat16PKfKPS0_EviiT3_lPKT2_lT1_lSA_lSB_lS7_lPT4_lSB_li,@function
_ZL20rocblas_gemvn_kernelILi32ELi16ElPK16rocblas_bfloat16PKfKPS0_EviiT3_lPKT2_lT1_lSA_lSB_lS7_lPT4_lSB_li: ; @_ZL20rocblas_gemvn_kernelILi32ELi16ElPK16rocblas_bfloat16PKfKPS0_EviiT3_lPKT2_lT1_lSA_lSB_lS7_lPT4_lSB_li
; %bb.0:
	s_clause 0x1
	s_load_b64 s[2:3], s[0:1], 0x9c
	s_load_b32 s33, s[0:1], 0x88
	s_bfe_u32 s4, ttmp6, 0x40014
	s_lshr_b32 s5, ttmp7, 16
	s_add_co_i32 s4, s4, 1
	s_bfe_u32 s6, ttmp6, 0x40008
	s_mul_i32 s7, s5, s4
	s_getreg_b32 s4, hwreg(HW_REG_IB_STS2, 6, 4)
	s_add_co_i32 s6, s6, s7
	s_mov_b32 s11, 0
	s_wait_kmcnt 0x0
	s_lshr_b32 s7, s2, 16
	s_and_b32 s2, s2, 0xffff
	s_and_b32 s3, s3, 0xffff
	s_mul_i32 s2, s7, s2
	s_cmp_eq_u32 s4, 0
	s_mul_i32 s2, s2, s3
	s_cselect_b32 s10, s5, s6
	s_cmp_lg_u32 s2, 0x200
	s_cselect_b32 s2, -1, 0
	s_cmp_ge_u32 s10, s33
	s_cselect_b32 s3, -1, 0
	s_delay_alu instid0(SALU_CYCLE_1) | instskip(NEXT) | instid1(SALU_CYCLE_1)
	s_or_b32 s2, s2, s3
	s_and_b32 vcc_lo, exec_lo, s2
	s_cbranch_vccnz .LBB591_73
; %bb.1:
	s_clause 0x2
	s_load_b64 s[34:35], s[0:1], 0x0
	s_load_b64 s[36:37], s[0:1], 0x28
	;; [unrolled: 1-line block ×3, first 2 shown]
	s_bfe_u32 s5, ttmp6, 0x4000c
	v_and_b32_e32 v28, 0x3ff, v0
	s_add_co_i32 s5, s5, 1
	v_bfe_u32 v6, v0, 10, 10
	s_clause 0x1
	s_load_b64 s[38:39], s[0:1], 0x48
	s_load_b128 s[28:31], s[0:1], 0x38
	s_and_b32 s6, ttmp6, 15
	s_mul_i32 s5, ttmp9, s5
	v_lshl_add_u32 v29, v6, 5, v28
	s_add_co_i32 s6, s6, s5
	s_cmp_eq_u32 s4, 0
	s_load_b256 s[12:19], s[0:1], 0x8
	s_cselect_b32 s4, ttmp9, s6
	s_load_b256 s[20:27], s[0:1], 0x58
	s_lshl_b32 s6, s4, 7
	s_delay_alu instid0(SALU_CYCLE_1)
	v_dual_mov_b32 v1, 0 :: v_dual_add_nc_u32 v0, s6, v29
	v_lshlrev_b32_e32 v52, 2, v6
	s_wait_kmcnt 0x0
	s_ashr_i32 s5, s34, 31
	s_mov_b32 s4, s34
	v_mov_b32_e32 v7, v1
	v_mul_u64_e32 v[2:3], s[2:3], v[0:1]
	v_cmp_gt_i64_e32 vcc_lo, s[4:5], v[0:1]
	v_dual_add_nc_u32 v14, s6, v28 :: v_dual_bitop2_b32 v16, s6, v29 bitop3:0x54
	v_or_b32_e32 v0, 3, v52
	v_mul_u64_e32 v[8:9], s[38:39], v[6:7]
	v_mul_u64_e32 v[18:19], s[36:37], v[6:7]
	s_delay_alu instid0(VALU_DEP_4) | instskip(NEXT) | instid1(VALU_DEP_4)
	v_dual_ashrrev_i32 v15, 31, v14 :: v_dual_add_nc_u32 v7, 64, v14
	v_mul_u64_e32 v[10:11], s[36:37], v[0:1]
	v_mul_u64_e32 v[12:13], s[38:39], v[0:1]
	v_or_b32_e32 v0, 2, v52
	v_ashrrev_i32_e32 v17, 31, v16
	v_mad_nc_u64_u32 v[24:25], s38, v52, s[38:39]
	v_mad_nc_u64_u32 v[26:27], s36, v52, s[36:37]
	s_ashr_i32 s4, s35, 31
	v_mul_u64_e32 v[20:21], s[36:37], v[0:1]
	v_mul_u64_e32 v[22:23], s[38:39], v[0:1]
	v_add_nc_u32_e32 v0, 32, v14
	v_mul_u64_e32 v[4:5], s[2:3], v[16:17]
	s_lshr_b32 s4, s4, 26
	v_add_nc_u32_e32 v17, 0x60, v14
	s_add_co_i32 s44, s35, s4
	v_cmp_gt_i32_e64 s2, s34, v0
	v_mad_u32 v25, s39, v52, v25
	v_mad_u32 v27, s37, v52, v27
	v_lshlrev_b32_e32 v0, 2, v28
	s_and_not1_b32 s44, s44, 63
	v_cmp_gt_i32_e64 s1, s34, v14
	s_sub_co_i32 s4, s35, s44
	v_cmp_gt_i32_e64 s3, s34, v7
	s_cmp_gt_i32 s4, 0
	v_cmp_gt_i32_e64 s4, s34, v17
	v_lshl_add_u32 v53, v6, 9, v0
	v_cmp_gt_u32_e64 s5, 0x80, v29
	v_lshl_add_u32 v54, v6, 7, v0
	v_cmp_gt_i32_e64 s6, s34, v16
	v_lshlrev_b64_e32 v[6:7], 3, v[8:9]
	v_lshlrev_b64_e32 v[8:9], 1, v[14:15]
	;; [unrolled: 1-line block ×3, first 2 shown]
	v_cmp_gt_i32_e64 s0, s44, v52
	v_lshlrev_b64_e32 v[10:11], 1, v[10:11]
	v_lshlrev_b64_e32 v[12:13], 1, v[12:13]
	s_cselect_b32 s45, -1, 0
	s_and_b32 s34, s5, vcc_lo
	s_lshl_b64 s[40:41], s[38:39], 7
	s_lshl_b64 s[42:43], s[36:37], 7
	;; [unrolled: 1-line block ×3, first 2 shown]
	v_lshlrev_b64_e32 v[16:17], 1, v[20:21]
	v_lshlrev_b64_e32 v[18:19], 1, v[22:23]
	v_lshlrev_b64_e32 v[20:21], 1, v[24:25]
	v_lshlrev_b64_e32 v[22:23], 1, v[26:27]
	s_lshl_b64 s[30:31], s[30:31], 1
	s_lshl_b64 s[26:27], s[26:27], 1
	s_branch .LBB591_4
.LBB591_2:                              ;   in Loop: Header=BB591_4 Depth=1
	s_wait_xcnt 0x0
	s_or_b32 exec_lo, exec_lo, s7
.LBB591_3:                              ;   in Loop: Header=BB591_4 Depth=1
	s_add_co_i32 s10, s10, 0x10000
	s_delay_alu instid0(SALU_CYCLE_1)
	s_cmp_lt_u32 s10, s33
	s_cbranch_scc0 .LBB591_73
.LBB591_4:                              ; =>This Loop Header: Depth=1
                                        ;     Child Loop BB591_25 Depth 2
	s_mul_u64 s[8:9], s[14:15], s[10:11]
	s_mul_u64 s[46:47], s[22:23], s[10:11]
	s_lshl_b64 s[8:9], s[8:9], 2
	s_lshl_b64 s[46:47], s[46:47], 2
	s_add_nc_u64 s[8:9], s[12:13], s[8:9]
	s_add_nc_u64 s[46:47], s[20:21], s[46:47]
	s_clause 0x1
	global_load_b32 v55, v1, s[8:9]
	global_load_b32 v0, v1, s[46:47]
	s_wait_loadcnt 0x1
	v_cmp_eq_f32_e64 s7, 0, v55
	s_wait_loadcnt 0x0
	v_cmp_eq_f32_e32 vcc_lo, 1.0, v0
	s_wait_xcnt 0x0
	v_readfirstlane_b32 s47, v0
	s_and_b32 s8, s7, vcc_lo
	s_delay_alu instid0(SALU_CYCLE_1)
	s_and_b32 vcc_lo, exec_lo, s8
	s_cbranch_vccnz .LBB591_3
; %bb.5:                                ;   in Loop: Header=BB591_4 Depth=1
	v_mov_b64_e32 v[28:29], 0
	v_mov_b64_e32 v[26:27], 0
	v_cmp_neq_f32_e64 s8, 0, v55
	s_and_b32 vcc_lo, exec_lo, s7
	s_cbranch_vccnz .LBB591_7
; %bb.6:                                ;   in Loop: Header=BB591_4 Depth=1
	s_lshl_b64 s[48:49], s[10:11], 3
	s_delay_alu instid0(SALU_CYCLE_1)
	s_add_nc_u64 s[48:49], s[16:17], s[48:49]
	global_load_b64 v[24:25], v1, s[48:49]
	s_wait_loadcnt 0x0
	v_add_nc_u64_e32 v[26:27], s[18:19], v[24:25]
.LBB591_7:                              ;   in Loop: Header=BB591_4 Depth=1
	s_and_not1_b32 vcc_lo, exec_lo, s8
	s_cbranch_vccnz .LBB591_9
; %bb.8:                                ;   in Loop: Header=BB591_4 Depth=1
	s_lshl_b64 s[8:9], s[10:11], 3
	s_delay_alu instid0(SALU_CYCLE_1)
	s_add_nc_u64 s[8:9], s[28:29], s[8:9]
	global_load_b64 v[24:25], v1, s[8:9]
	s_wait_loadcnt 0x0
	v_add_nc_u64_e32 v[28:29], s[30:31], v[24:25]
.LBB591_9:                              ;   in Loop: Header=BB591_4 Depth=1
	s_wait_xcnt 0x0
	s_lshl_b64 s[8:9], s[10:11], 3
	s_and_not1_b32 vcc_lo, exec_lo, s7
	s_add_nc_u64 s[8:9], s[24:25], s[8:9]
	global_load_b64 v[24:25], v1, s[8:9]
	s_wait_loadcnt 0x0
	v_add_nc_u64_e32 v[24:25], s[26:27], v[24:25]
	s_cbranch_vccnz .LBB591_17
; %bb.10:                               ;   in Loop: Header=BB591_4 Depth=1
	s_mov_b32 s7, 0
	s_mov_b32 s46, 0
                                        ; implicit-def: $vgpr0
	s_wait_xcnt 0x0
	s_and_saveexec_b32 s8, s34
	s_cbranch_execz .LBB591_18
; %bb.11:                               ;   in Loop: Header=BB591_4 Depth=1
	s_cmp_eq_f32 s47, 0
	s_cbranch_scc1 .LBB591_57
; %bb.12:                               ;   in Loop: Header=BB591_4 Depth=1
	v_lshl_add_u64 v[30:31], v[2:3], 1, v[24:25]
	flat_load_u16 v0, v[30:31]
	s_wait_loadcnt_dscnt 0x0
	v_lshlrev_b32_e32 v0, 16, v0
	s_delay_alu instid0(VALU_DEP_1) | instskip(SKIP_1) | instid1(VALU_DEP_1)
	v_mul_f32_e32 v0, s47, v0
	s_wait_xcnt 0x0
	v_and_b32_e32 v30, 0x7f800000, v0
	s_delay_alu instid0(VALU_DEP_1) | instskip(SKIP_1) | instid1(SALU_CYCLE_1)
	v_cmp_ne_u32_e32 vcc_lo, 0x7f800000, v30
                                        ; implicit-def: $vgpr30
	s_and_saveexec_b32 s9, vcc_lo
	s_xor_b32 s9, exec_lo, s9
; %bb.13:                               ;   in Loop: Header=BB591_4 Depth=1
	v_bfe_u32 v30, v0, 16, 1
	s_delay_alu instid0(VALU_DEP_1)
	v_add3_u32 v30, v0, v30, 0x7fff
                                        ; implicit-def: $vgpr0
; %bb.14:                               ;   in Loop: Header=BB591_4 Depth=1
	s_and_not1_saveexec_b32 s9, s9
; %bb.15:                               ;   in Loop: Header=BB591_4 Depth=1
	v_and_b32_e32 v30, 0xffff, v0
	v_or_b32_e32 v31, 0x10000, v0
	s_delay_alu instid0(VALU_DEP_2) | instskip(NEXT) | instid1(VALU_DEP_2)
	v_cmp_eq_u32_e32 vcc_lo, 0, v30
	v_cndmask_b32_e32 v30, v31, v0, vcc_lo
; %bb.16:                               ;   in Loop: Header=BB591_4 Depth=1
	s_or_b32 exec_lo, exec_lo, s9
	s_delay_alu instid0(VALU_DEP_1) | instskip(SKIP_2) | instid1(SALU_CYCLE_1)
	v_lshrrev_b32_e32 v0, 16, v30
	s_mov_b32 s46, exec_lo
	s_or_b32 exec_lo, exec_lo, s8
	s_and_b32 vcc_lo, exec_lo, s7
	s_cbranch_vccnz .LBB591_19
	s_branch .LBB591_58
.LBB591_17:                             ;   in Loop: Header=BB591_4 Depth=1
	s_mov_b32 s46, 0
                                        ; implicit-def: $vgpr0
	s_cbranch_execnz .LBB591_19
	s_branch .LBB591_58
.LBB591_18:                             ;   in Loop: Header=BB591_4 Depth=1
	s_or_b32 exec_lo, exec_lo, s8
	s_delay_alu instid0(SALU_CYCLE_1)
	s_and_b32 vcc_lo, exec_lo, s7
	s_cbranch_vccz .LBB591_58
.LBB591_19:                             ;   in Loop: Header=BB591_4 Depth=1
	v_dual_mov_b32 v56, 0 :: v_dual_mov_b32 v0, v52
	v_dual_mov_b32 v57, 0 :: v_dual_mov_b32 v58, 0
	v_mov_b32_e32 v59, 0
	s_wait_xcnt 0x0
	s_and_saveexec_b32 s7, s0
	s_cbranch_execz .LBB591_31
; %bb.20:                               ;   in Loop: Header=BB591_4 Depth=1
	v_add_nc_u64_e32 v[30:31], v[26:27], v[10:11]
	v_add_nc_u64_e32 v[32:33], v[26:27], v[14:15]
	;; [unrolled: 1-line block ×4, first 2 shown]
	v_mov_b64_e32 v[38:39], v[28:29]
	v_dual_mov_b32 v56, 0 :: v_dual_mov_b32 v0, v52
	v_dual_mov_b32 v57, 0 :: v_dual_mov_b32 v58, 0
	v_mov_b32_e32 v59, 0
	s_mov_b32 s8, 0
	s_branch .LBB591_25
.LBB591_21:                             ;   in Loop: Header=BB591_25 Depth=2
	s_wait_xcnt 0x0
	s_or_b32 exec_lo, exec_lo, s50
	s_wait_loadcnt_dscnt 0x202
	v_dual_lshlrev_b32 v45, 16, v71 :: v_dual_lshlrev_b32 v44, 16, v70
	s_delay_alu instid0(VALU_DEP_1) | instskip(SKIP_1) | instid1(VALU_DEP_1)
	v_pk_mul_f32 v[44:45], v[42:43], v[44:45]
	s_wait_loadcnt_dscnt 0x0
	v_dual_add_f32 v44, v58, v44 :: v_dual_lshlrev_b32 v47, 16, v69
	s_delay_alu instid0(VALU_DEP_1) | instskip(NEXT) | instid1(VALU_DEP_1)
	v_dual_lshlrev_b32 v46, 16, v68 :: v_dual_add_f32 v48, v44, v45
	v_pk_mul_f32 v[44:45], v[40:41], v[46:47]
	s_delay_alu instid0(VALU_DEP_1) | instskip(NEXT) | instid1(VALU_DEP_1)
	v_add_f32_e32 v44, v48, v44
	v_add_f32_e32 v58, v44, v45
.LBB591_22:                             ;   in Loop: Header=BB591_25 Depth=2
	s_or_b32 exec_lo, exec_lo, s49
	s_wait_loadcnt_dscnt 0x202
	v_dual_lshlrev_b32 v45, 16, v67 :: v_dual_lshlrev_b32 v44, 16, v66
	s_delay_alu instid0(VALU_DEP_1) | instskip(SKIP_1) | instid1(VALU_DEP_1)
	v_pk_mul_f32 v[44:45], v[42:43], v[44:45]
	s_wait_loadcnt_dscnt 0x0
	v_dual_add_f32 v44, v57, v44 :: v_dual_lshlrev_b32 v47, 16, v65
	s_delay_alu instid0(VALU_DEP_1) | instskip(NEXT) | instid1(VALU_DEP_1)
	v_dual_lshlrev_b32 v46, 16, v64 :: v_dual_add_f32 v48, v44, v45
	v_pk_mul_f32 v[44:45], v[40:41], v[46:47]
	s_delay_alu instid0(VALU_DEP_1) | instskip(NEXT) | instid1(VALU_DEP_1)
	v_add_f32_e32 v44, v48, v44
	v_add_f32_e32 v57, v44, v45
.LBB591_23:                             ;   in Loop: Header=BB591_25 Depth=2
	s_or_b32 exec_lo, exec_lo, s48
	s_wait_loadcnt_dscnt 0x202
	v_dual_lshlrev_b32 v45, 16, v63 :: v_dual_lshlrev_b32 v44, 16, v62
	s_delay_alu instid0(VALU_DEP_1) | instskip(SKIP_1) | instid1(VALU_DEP_1)
	v_pk_mul_f32 v[42:43], v[42:43], v[44:45]
	s_wait_loadcnt_dscnt 0x0
	v_dual_add_f32 v42, v56, v42 :: v_dual_lshlrev_b32 v45, 16, v61
	s_delay_alu instid0(VALU_DEP_1) | instskip(NEXT) | instid1(VALU_DEP_1)
	v_dual_lshlrev_b32 v44, 16, v60 :: v_dual_add_f32 v42, v42, v43
	v_pk_mul_f32 v[40:41], v[40:41], v[44:45]
	s_delay_alu instid0(VALU_DEP_1) | instskip(NEXT) | instid1(VALU_DEP_1)
	v_add_f32_e32 v40, v42, v40
	v_add_f32_e32 v56, v40, v41
.LBB591_24:                             ;   in Loop: Header=BB591_25 Depth=2
	s_or_b32 exec_lo, exec_lo, s9
	v_add_nc_u32_e32 v0, 64, v0
	v_add_nc_u64_e32 v[38:39], s[40:41], v[38:39]
	v_add_nc_u64_e32 v[30:31], s[42:43], v[30:31]
	;; [unrolled: 1-line block ×4, first 2 shown]
	v_cmp_le_i32_e32 vcc_lo, s44, v0
	v_add_nc_u64_e32 v[36:37], s[42:43], v[36:37]
	s_or_b32 s8, vcc_lo, s8
	s_delay_alu instid0(SALU_CYCLE_1)
	s_and_not1_b32 exec_lo, exec_lo, s8
	s_cbranch_execz .LBB591_30
.LBB591_25:                             ;   Parent Loop BB591_4 Depth=1
                                        ; =>  This Inner Loop Header: Depth=2
	s_and_saveexec_b32 s9, s1
	s_cbranch_execz .LBB591_24
; %bb.26:                               ;   in Loop: Header=BB591_25 Depth=2
	v_add_nc_u64_e32 v[42:43], v[38:39], v[20:21]
	v_add_nc_u64_e32 v[40:41], v[38:39], v[6:7]
	;; [unrolled: 1-line block ×8, first 2 shown]
	s_clause 0x3
	flat_load_u16 v68, v[42:43]
	flat_load_u16 v69, v[40:41]
	;; [unrolled: 1-line block ×8, first 2 shown]
	s_wait_loadcnt_dscnt 0x606
	s_wait_xcnt 0x7
	v_dual_lshlrev_b32 v43, 16, v68 :: v_dual_lshlrev_b32 v42, 16, v69
	s_wait_loadcnt_dscnt 0x404
	s_wait_xcnt 0x6
	v_dual_lshlrev_b32 v41, 16, v70 :: v_dual_lshlrev_b32 v40, 16, v71
	s_wait_xcnt 0x0
	s_and_saveexec_b32 s48, s2
	s_cbranch_execz .LBB591_23
; %bb.27:                               ;   in Loop: Header=BB591_25 Depth=2
	flat_load_u16 v66, v[46:47] offset:64
	flat_load_u16 v67, v[44:45] offset:64
	flat_load_u16 v64, v[50:51] offset:64
	flat_load_u16 v65, v[48:49] offset:64
	s_wait_xcnt 0x0
	s_and_saveexec_b32 s49, s3
	s_cbranch_execz .LBB591_22
; %bb.28:                               ;   in Loop: Header=BB591_25 Depth=2
	flat_load_u16 v70, v[46:47] offset:128
	flat_load_u16 v71, v[44:45] offset:128
	flat_load_u16 v68, v[50:51] offset:128
	flat_load_u16 v69, v[48:49] offset:128
	;; [unrolled: 8-line block ×3, first 2 shown]
	s_wait_loadcnt_dscnt 0x202
	s_wait_xcnt 0x3
	v_dual_lshlrev_b32 v45, 16, v72 :: v_dual_lshlrev_b32 v44, 16, v73
	s_delay_alu instid0(VALU_DEP_1) | instskip(SKIP_2) | instid1(VALU_DEP_1)
	v_pk_mul_f32 v[44:45], v[42:43], v[44:45]
	s_wait_loadcnt_dscnt 0x101
	s_wait_xcnt 0x2
	v_dual_add_f32 v44, v59, v44 :: v_dual_lshlrev_b32 v47, 16, v74
	s_wait_loadcnt_dscnt 0x0
	s_wait_xcnt 0x1
	s_delay_alu instid0(VALU_DEP_1) | instskip(NEXT) | instid1(VALU_DEP_1)
	v_dual_lshlrev_b32 v46, 16, v75 :: v_dual_add_f32 v48, v44, v45
	v_pk_mul_f32 v[44:45], v[40:41], v[46:47]
	s_delay_alu instid0(VALU_DEP_1) | instskip(NEXT) | instid1(VALU_DEP_1)
	v_add_f32_e32 v44, v48, v44
	v_add_f32_e32 v59, v44, v45
	s_branch .LBB591_21
.LBB591_30:                             ;   in Loop: Header=BB591_4 Depth=1
	s_or_b32 exec_lo, exec_lo, s8
.LBB591_31:                             ;   in Loop: Header=BB591_4 Depth=1
	s_delay_alu instid0(SALU_CYCLE_1) | instskip(NEXT) | instid1(SALU_CYCLE_1)
	s_or_b32 exec_lo, exec_lo, s7
	s_and_not1_b32 vcc_lo, exec_lo, s45
	s_cbranch_vccnz .LBB591_49
; %bb.32:                               ;   in Loop: Header=BB591_4 Depth=1
	v_dual_mov_b32 v30, 0 :: v_dual_bitop2_b32 v34, 1, v0 bitop3:0x54
	v_cmp_gt_i32_e32 vcc_lo, s35, v0
	s_delay_alu instid0(VALU_DEP_2)
	v_dual_mov_b32 v31, v30 :: v_dual_mov_b32 v32, v30
	v_mov_b32_e32 v33, v30
	s_and_saveexec_b32 s8, vcc_lo
	s_cbranch_execz .LBB591_40
; %bb.33:                               ;   in Loop: Header=BB591_4 Depth=1
	v_mul_u64_e32 v[30:31], s[38:39], v[0:1]
	v_mov_b32_e32 v33, 0
	s_mov_b32 s9, exec_lo
	s_delay_alu instid0(VALU_DEP_2)
	v_lshl_add_u64 v[30:31], v[30:31], 1, v[28:29]
	flat_load_u16 v36, v[30:31]
	s_wait_xcnt 0x0
	v_dual_mov_b32 v31, 0 :: v_dual_mov_b32 v30, 0
	v_cmpx_gt_i32_e64 s35, v34
	s_cbranch_execz .LBB591_39
; %bb.34:                               ;   in Loop: Header=BB591_4 Depth=1
	v_dual_mov_b32 v35, v1 :: v_dual_bitop2_b32 v32, 2, v0 bitop3:0x54
	s_mov_b32 s48, exec_lo
	s_delay_alu instid0(VALU_DEP_1) | instskip(NEXT) | instid1(VALU_DEP_1)
	v_mul_u64_e32 v[30:31], s[38:39], v[34:35]
	v_lshl_add_u64 v[30:31], v[30:31], 1, v[28:29]
	flat_load_u16 v35, v[30:31]
	s_wait_xcnt 0x0
	v_dual_mov_b32 v31, 0 :: v_dual_mov_b32 v30, 0
	v_cmpx_gt_i32_e64 s35, v32
	s_cbranch_execz .LBB591_38
; %bb.35:                               ;   in Loop: Header=BB591_4 Depth=1
	v_mov_b32_e32 v33, v1
	s_mov_b32 s49, exec_lo
	s_delay_alu instid0(VALU_DEP_1) | instskip(NEXT) | instid1(VALU_DEP_1)
	v_mul_u64_e32 v[30:31], s[38:39], v[32:33]
	v_lshl_add_u64 v[30:31], v[30:31], 1, v[28:29]
	flat_load_u16 v32, v[30:31]
	s_wait_xcnt 0x0
	v_dual_mov_b32 v31, 0 :: v_dual_bitop2_b32 v30, 3, v0 bitop3:0x54
	s_delay_alu instid0(VALU_DEP_1)
	v_cmpx_gt_i32_e64 s35, v30
	s_cbranch_execz .LBB591_37
; %bb.36:                               ;   in Loop: Header=BB591_4 Depth=1
	v_mov_b32_e32 v31, v1
	s_delay_alu instid0(VALU_DEP_1) | instskip(NEXT) | instid1(VALU_DEP_1)
	v_mul_u64_e32 v[30:31], s[38:39], v[30:31]
	v_lshl_add_u64 v[28:29], v[30:31], 1, v[28:29]
	flat_load_u16 v28, v[28:29]
	s_wait_loadcnt_dscnt 0x0
	v_lshlrev_b32_e32 v31, 16, v28
.LBB591_37:                             ;   in Loop: Header=BB591_4 Depth=1
	s_wait_xcnt 0x0
	s_or_b32 exec_lo, exec_lo, s49
	s_wait_loadcnt_dscnt 0x0
	v_lshlrev_b32_e32 v30, 16, v32
.LBB591_38:                             ;   in Loop: Header=BB591_4 Depth=1
	s_or_b32 exec_lo, exec_lo, s48
	s_wait_loadcnt_dscnt 0x0
	v_lshlrev_b32_e32 v33, 16, v35
.LBB591_39:                             ;   in Loop: Header=BB591_4 Depth=1
	s_or_b32 exec_lo, exec_lo, s9
	s_wait_loadcnt_dscnt 0x0
	v_lshlrev_b32_e32 v32, 16, v36
.LBB591_40:                             ;   in Loop: Header=BB591_4 Depth=1
	s_or_b32 exec_lo, exec_lo, s8
	s_and_saveexec_b32 s48, s1
	s_cbranch_execz .LBB591_48
; %bb.41:                               ;   in Loop: Header=BB591_4 Depth=1
	v_dual_mov_b32 v35, v1 :: v_dual_bitop2_b32 v28, 2, v0 bitop3:0x54
	v_mov_b32_e32 v29, v1
	v_mul_u64_e32 v[36:37], s[36:37], v[0:1]
	v_or_b32_e32 v0, 3, v0
	s_delay_alu instid0(VALU_DEP_4)
	v_mul_u64_e32 v[38:39], s[36:37], v[34:35]
	v_cmp_gt_i32_e64 s7, s35, v34
	v_mul_u64_e32 v[40:41], s[36:37], v[28:29]
	v_cmp_gt_i32_e64 s8, s35, v28
	;; [unrolled: 2-line block ×3, first 2 shown]
	v_dual_cndmask_b32 v29, 0, v37 :: v_dual_cndmask_b32 v28, 0, v36
	v_dual_cndmask_b32 v35, 0, v39, s7 :: v_dual_cndmask_b32 v34, 0, v38, s7
	v_dual_cndmask_b32 v39, 0, v41, s8 :: v_dual_cndmask_b32 v38, 0, v40, s8
	s_delay_alu instid0(VALU_DEP_4) | instskip(NEXT) | instid1(VALU_DEP_3)
	v_dual_cndmask_b32 v41, 0, v43, s9 :: v_dual_cndmask_b32 v40, 0, v42, s9
	v_lshl_add_u64 v[34:35], v[34:35], 1, v[26:27]
	s_delay_alu instid0(VALU_DEP_3) | instskip(NEXT) | instid1(VALU_DEP_3)
	v_lshl_add_u64 v[36:37], v[38:39], 1, v[26:27]
	v_lshl_add_u64 v[38:39], v[40:41], 1, v[26:27]
	;; [unrolled: 1-line block ×3, first 2 shown]
	s_delay_alu instid0(VALU_DEP_4) | instskip(NEXT) | instid1(VALU_DEP_4)
	v_add_nc_u64_e32 v[26:27], v[34:35], v[8:9]
	v_add_nc_u64_e32 v[34:35], v[36:37], v[8:9]
	s_delay_alu instid0(VALU_DEP_4) | instskip(NEXT) | instid1(VALU_DEP_4)
	v_add_nc_u64_e32 v[28:29], v[38:39], v[8:9]
	v_add_nc_u64_e32 v[36:37], v[40:41], v[8:9]
	s_clause 0x3
	flat_load_u16 v39, v[26:27]
	flat_load_u16 v0, v[34:35]
	;; [unrolled: 1-line block ×4, first 2 shown]
	s_wait_xcnt 0x0
	s_and_saveexec_b32 s7, s2
	s_cbranch_execz .LBB591_47
; %bb.42:                               ;   in Loop: Header=BB591_4 Depth=1
	s_clause 0x3
	flat_load_u16 v43, v[36:37] offset:64
	flat_load_u16 v44, v[26:27] offset:64
	flat_load_u16 v41, v[34:35] offset:64
	flat_load_u16 v42, v[28:29] offset:64
	s_wait_xcnt 0x0
	s_and_saveexec_b32 s8, s3
	s_cbranch_execz .LBB591_46
; %bb.43:                               ;   in Loop: Header=BB591_4 Depth=1
	s_clause 0x3
	flat_load_u16 v47, v[36:37] offset:128
	flat_load_u16 v48, v[26:27] offset:128
	flat_load_u16 v45, v[34:35] offset:128
	flat_load_u16 v46, v[28:29] offset:128
	;; [unrolled: 9-line block ×3, first 2 shown]
	s_wait_loadcnt_dscnt 0x202
	s_wait_xcnt 0x3
	v_dual_lshlrev_b32 v27, 16, v49 :: v_dual_lshlrev_b32 v26, 16, v50
	s_delay_alu instid0(VALU_DEP_1) | instskip(SKIP_2) | instid1(VALU_DEP_1)
	v_pk_mul_f32 v[26:27], v[32:33], v[26:27]
	s_wait_loadcnt_dscnt 0x101
	s_wait_xcnt 0x1
	v_dual_add_f32 v26, v59, v26 :: v_dual_lshlrev_b32 v29, 16, v51
	s_wait_loadcnt_dscnt 0x0
	s_wait_xcnt 0x0
	s_delay_alu instid0(VALU_DEP_1) | instskip(NEXT) | instid1(VALU_DEP_1)
	v_dual_lshlrev_b32 v28, 16, v60 :: v_dual_add_f32 v34, v26, v27
	v_pk_mul_f32 v[26:27], v[30:31], v[28:29]
	s_delay_alu instid0(VALU_DEP_1) | instskip(NEXT) | instid1(VALU_DEP_1)
	v_add_f32_e32 v26, v34, v26
	v_add_f32_e32 v59, v26, v27
.LBB591_45:                             ;   in Loop: Header=BB591_4 Depth=1
	s_or_b32 exec_lo, exec_lo, s9
	s_wait_loadcnt_dscnt 0x202
	v_dual_lshlrev_b32 v27, 16, v48 :: v_dual_lshlrev_b32 v26, 16, v47
	s_wait_loadcnt_dscnt 0x0
	v_dual_lshlrev_b32 v29, 16, v46 :: v_dual_lshlrev_b32 v28, 16, v45
	s_delay_alu instid0(VALU_DEP_2) | instskip(NEXT) | instid1(VALU_DEP_1)
	v_pk_mul_f32 v[26:27], v[32:33], v[26:27]
	v_add_f32_e32 v26, v58, v26
	s_delay_alu instid0(VALU_DEP_1) | instskip(NEXT) | instid1(VALU_DEP_4)
	v_add_f32_e32 v34, v26, v27
	v_pk_mul_f32 v[26:27], v[30:31], v[28:29]
	s_delay_alu instid0(VALU_DEP_1) | instskip(NEXT) | instid1(VALU_DEP_1)
	v_add_f32_e32 v26, v34, v26
	v_add_f32_e32 v58, v26, v27
.LBB591_46:                             ;   in Loop: Header=BB591_4 Depth=1
	s_or_b32 exec_lo, exec_lo, s8
	s_wait_loadcnt_dscnt 0x202
	v_dual_lshlrev_b32 v27, 16, v44 :: v_dual_lshlrev_b32 v26, 16, v43
	s_wait_loadcnt_dscnt 0x0
	v_dual_lshlrev_b32 v29, 16, v42 :: v_dual_lshlrev_b32 v28, 16, v41
	s_delay_alu instid0(VALU_DEP_2) | instskip(NEXT) | instid1(VALU_DEP_1)
	v_pk_mul_f32 v[26:27], v[32:33], v[26:27]
	v_add_f32_e32 v26, v57, v26
	s_delay_alu instid0(VALU_DEP_1) | instskip(NEXT) | instid1(VALU_DEP_4)
	v_add_f32_e32 v34, v26, v27
	v_pk_mul_f32 v[26:27], v[30:31], v[28:29]
	s_delay_alu instid0(VALU_DEP_1) | instskip(NEXT) | instid1(VALU_DEP_1)
	v_add_f32_e32 v26, v34, v26
	v_add_f32_e32 v57, v26, v27
.LBB591_47:                             ;   in Loop: Header=BB591_4 Depth=1
	s_or_b32 exec_lo, exec_lo, s7
	s_wait_loadcnt_dscnt 0x0
	v_dual_lshlrev_b32 v27, 16, v39 :: v_dual_lshlrev_b32 v26, 16, v40
	v_dual_lshlrev_b32 v29, 16, v38 :: v_dual_lshlrev_b32 v28, 16, v0
	s_delay_alu instid0(VALU_DEP_2) | instskip(NEXT) | instid1(VALU_DEP_1)
	v_pk_mul_f32 v[26:27], v[32:33], v[26:27]
	v_add_f32_e32 v26, v56, v26
	s_delay_alu instid0(VALU_DEP_1) | instskip(NEXT) | instid1(VALU_DEP_4)
	v_add_f32_e32 v0, v26, v27
	v_pk_mul_f32 v[26:27], v[30:31], v[28:29]
	s_delay_alu instid0(VALU_DEP_1) | instskip(NEXT) | instid1(VALU_DEP_1)
	v_add_f32_e32 v0, v0, v26
	v_add_f32_e32 v56, v0, v27
.LBB591_48:                             ;   in Loop: Header=BB591_4 Depth=1
	s_or_b32 exec_lo, exec_lo, s48
.LBB591_49:                             ;   in Loop: Header=BB591_4 Depth=1
	ds_store_2addr_b32 v53, v56, v57 offset1:32
	ds_store_2addr_b32 v53, v58, v59 offset0:64 offset1:96
	s_wait_dscnt 0x0
	s_barrier_signal -1
	s_barrier_wait -1
                                        ; implicit-def: $vgpr0
	s_and_saveexec_b32 s7, s5
	s_cbranch_execz .LBB591_71
; %bb.50:                               ;   in Loop: Header=BB591_4 Depth=1
	ds_load_2addr_stride64_b32 v[26:27], v54 offset1:2
	ds_load_2addr_stride64_b32 v[28:29], v54 offset0:4 offset1:6
	ds_load_2addr_stride64_b32 v[30:31], v54 offset0:8 offset1:10
	s_mov_b32 s9, s46
	s_wait_dscnt 0x2
	v_add_f32_e32 v0, v26, v27
	ds_load_2addr_stride64_b32 v[26:27], v54 offset0:12 offset1:14
	s_wait_dscnt 0x2
	v_add_f32_e32 v0, v28, v0
	s_delay_alu instid0(VALU_DEP_1) | instskip(SKIP_3) | instid1(VALU_DEP_1)
	v_add_f32_e32 v0, v29, v0
	ds_load_2addr_stride64_b32 v[28:29], v54 offset0:16 offset1:18
	s_wait_dscnt 0x2
	v_add_f32_e32 v0, v30, v0
	v_add_f32_e32 v0, v31, v0
	ds_load_2addr_stride64_b32 v[30:31], v54 offset0:20 offset1:22
	s_wait_dscnt 0x2
	v_add_f32_e32 v0, v26, v0
	s_delay_alu instid0(VALU_DEP_1) | instskip(SKIP_3) | instid1(VALU_DEP_1)
	v_add_f32_e32 v0, v27, v0
	ds_load_2addr_stride64_b32 v[26:27], v54 offset0:24 offset1:26
	s_wait_dscnt 0x2
	v_add_f32_e32 v0, v28, v0
	v_add_f32_e32 v0, v29, v0
	ds_load_2addr_stride64_b32 v[28:29], v54 offset0:28 offset1:30
	s_wait_dscnt 0x2
	v_add_f32_e32 v0, v30, v0
	s_delay_alu instid0(VALU_DEP_1) | instskip(SKIP_1) | instid1(VALU_DEP_1)
	v_add_f32_e32 v0, v31, v0
	s_wait_dscnt 0x1
	v_add_f32_e32 v0, v26, v0
	s_delay_alu instid0(VALU_DEP_1) | instskip(SKIP_1) | instid1(VALU_DEP_1)
	v_add_f32_e32 v0, v27, v0
	s_wait_dscnt 0x0
	v_add_f32_e32 v0, v28, v0
	s_delay_alu instid0(VALU_DEP_1)
	v_add_f32_e32 v26, v29, v0
                                        ; implicit-def: $vgpr0
	ds_store_b32 v54, v26
	s_and_saveexec_b32 s8, s6
	s_cbranch_execz .LBB591_70
; %bb.51:                               ;   in Loop: Header=BB591_4 Depth=1
	v_mul_f32_e32 v0, v55, v26
	s_cmp_eq_f32 s47, 0
	s_cbranch_scc0 .LBB591_59
; %bb.52:                               ;   in Loop: Header=BB591_4 Depth=1
	s_delay_alu instid0(VALU_DEP_1) | instskip(NEXT) | instid1(VALU_DEP_1)
	v_and_b32_e32 v26, 0x7f800000, v0
	v_cmp_ne_u32_e32 vcc_lo, 0x7f800000, v26
                                        ; implicit-def: $vgpr26
	s_and_saveexec_b32 s9, vcc_lo
	s_delay_alu instid0(SALU_CYCLE_1)
	s_xor_b32 s9, exec_lo, s9
; %bb.53:                               ;   in Loop: Header=BB591_4 Depth=1
	v_bfe_u32 v26, v0, 16, 1
	s_delay_alu instid0(VALU_DEP_1)
	v_add3_u32 v26, v0, v26, 0x7fff
; %bb.54:                               ;   in Loop: Header=BB591_4 Depth=1
	s_and_not1_saveexec_b32 s9, s9
; %bb.55:                               ;   in Loop: Header=BB591_4 Depth=1
	v_and_b32_e32 v26, 0xffff, v0
	v_or_b32_e32 v27, 0x10000, v0
	s_delay_alu instid0(VALU_DEP_2) | instskip(NEXT) | instid1(VALU_DEP_2)
	v_cmp_eq_u32_e32 vcc_lo, 0, v26
	v_cndmask_b32_e32 v26, v27, v0, vcc_lo
; %bb.56:                               ;   in Loop: Header=BB591_4 Depth=1
	s_or_b32 exec_lo, exec_lo, s9
	s_cbranch_execz .LBB591_60
	s_branch .LBB591_69
.LBB591_57:                             ;   in Loop: Header=BB591_4 Depth=1
	v_mov_b32_e32 v0, 0
	s_mov_b32 s46, exec_lo
	s_or_b32 exec_lo, exec_lo, s8
	s_delay_alu instid0(SALU_CYCLE_1)
	s_and_b32 vcc_lo, exec_lo, s7
	s_cbranch_vccnz .LBB591_19
.LBB591_58:                             ;   in Loop: Header=BB591_4 Depth=1
	v_mov_b64_e32 v[26:27], v[2:3]
	s_wait_xcnt 0x0
	s_and_saveexec_b32 s7, s46
	s_cbranch_execz .LBB591_2
	s_branch .LBB591_72
.LBB591_59:                             ;   in Loop: Header=BB591_4 Depth=1
                                        ; implicit-def: $vgpr26
.LBB591_60:                             ;   in Loop: Header=BB591_4 Depth=1
	v_lshl_add_u64 v[26:27], v[4:5], 1, v[24:25]
	flat_load_u16 v26, v[26:27]
	s_wait_loadcnt_dscnt 0x0
	s_wait_xcnt 0x0
	v_lshlrev_b32_e32 v26, 16, v26
	s_delay_alu instid0(VALU_DEP_1) | instskip(NEXT) | instid1(VALU_DEP_1)
	v_mul_f32_e32 v26, s47, v26
	v_and_b32_e32 v27, 0x7f800000, v26
	s_delay_alu instid0(VALU_DEP_1) | instskip(SKIP_1) | instid1(SALU_CYCLE_1)
	v_cmp_ne_u32_e32 vcc_lo, 0x7f800000, v27
                                        ; implicit-def: $vgpr27
	s_and_saveexec_b32 s9, vcc_lo
	s_xor_b32 s9, exec_lo, s9
; %bb.61:                               ;   in Loop: Header=BB591_4 Depth=1
	v_bfe_u32 v27, v26, 16, 1
	s_delay_alu instid0(VALU_DEP_1)
	v_add3_u32 v27, v26, v27, 0x7fff
                                        ; implicit-def: $vgpr26
; %bb.62:                               ;   in Loop: Header=BB591_4 Depth=1
	s_and_not1_saveexec_b32 s9, s9
; %bb.63:                               ;   in Loop: Header=BB591_4 Depth=1
	v_and_b32_e32 v27, 0xffff, v26
	v_or_b32_e32 v28, 0x10000, v26
	s_delay_alu instid0(VALU_DEP_2) | instskip(NEXT) | instid1(VALU_DEP_2)
	v_cmp_eq_u32_e32 vcc_lo, 0, v27
	v_cndmask_b32_e32 v27, v28, v26, vcc_lo
; %bb.64:                               ;   in Loop: Header=BB591_4 Depth=1
	s_or_b32 exec_lo, exec_lo, s9
	s_delay_alu instid0(VALU_DEP_1) | instskip(NEXT) | instid1(VALU_DEP_1)
	v_and_b32_e32 v26, 0xffff0000, v27
	v_add_f32_e32 v0, v0, v26
	s_delay_alu instid0(VALU_DEP_1) | instskip(NEXT) | instid1(VALU_DEP_1)
	v_and_b32_e32 v26, 0x7f800000, v0
	v_cmp_ne_u32_e32 vcc_lo, 0x7f800000, v26
                                        ; implicit-def: $vgpr26
	s_and_saveexec_b32 s9, vcc_lo
	s_delay_alu instid0(SALU_CYCLE_1)
	s_xor_b32 s9, exec_lo, s9
; %bb.65:                               ;   in Loop: Header=BB591_4 Depth=1
	v_bfe_u32 v26, v0, 16, 1
	s_delay_alu instid0(VALU_DEP_1)
	v_add3_u32 v26, v0, v26, 0x7fff
                                        ; implicit-def: $vgpr0
; %bb.66:                               ;   in Loop: Header=BB591_4 Depth=1
	s_and_not1_saveexec_b32 s9, s9
; %bb.67:                               ;   in Loop: Header=BB591_4 Depth=1
	v_and_b32_e32 v26, 0xffff, v0
	v_or_b32_e32 v27, 0x10000, v0
	s_delay_alu instid0(VALU_DEP_2) | instskip(NEXT) | instid1(VALU_DEP_2)
	v_cmp_eq_u32_e32 vcc_lo, 0, v26
	v_cndmask_b32_e32 v26, v27, v0, vcc_lo
; %bb.68:                               ;   in Loop: Header=BB591_4 Depth=1
	s_or_b32 exec_lo, exec_lo, s9
.LBB591_69:                             ;   in Loop: Header=BB591_4 Depth=1
	s_delay_alu instid0(VALU_DEP_1)
	v_lshrrev_b32_e32 v0, 16, v26
	s_or_b32 s9, s46, exec_lo
.LBB591_70:                             ;   in Loop: Header=BB591_4 Depth=1
	s_or_b32 exec_lo, exec_lo, s8
	s_delay_alu instid0(SALU_CYCLE_1) | instskip(SKIP_1) | instid1(SALU_CYCLE_1)
	s_and_not1_b32 s8, s46, exec_lo
	s_and_b32 s9, s9, exec_lo
	s_or_b32 s46, s8, s9
.LBB591_71:                             ;   in Loop: Header=BB591_4 Depth=1
	s_or_b32 exec_lo, exec_lo, s7
	v_mov_b64_e32 v[26:27], v[4:5]
	s_and_saveexec_b32 s7, s46
	s_cbranch_execz .LBB591_2
.LBB591_72:                             ;   in Loop: Header=BB591_4 Depth=1
	s_delay_alu instid0(VALU_DEP_1)
	v_lshl_add_u64 v[24:25], v[26:27], 1, v[24:25]
	flat_store_b16 v[24:25], v0
	s_branch .LBB591_2
.LBB591_73:
	s_sendmsg sendmsg(MSG_DEALLOC_VGPRS)
	s_endpgm
	.section	.rodata,"a",@progbits
	.p2align	6, 0x0
	.amdhsa_kernel _ZL20rocblas_gemvn_kernelILi32ELi16ElPK16rocblas_bfloat16PKfKPS0_EviiT3_lPKT2_lT1_lSA_lSB_lS7_lPT4_lSB_li
		.amdhsa_group_segment_fixed_size 8192
		.amdhsa_private_segment_fixed_size 0
		.amdhsa_kernarg_size 400
		.amdhsa_user_sgpr_count 2
		.amdhsa_user_sgpr_dispatch_ptr 0
		.amdhsa_user_sgpr_queue_ptr 0
		.amdhsa_user_sgpr_kernarg_segment_ptr 1
		.amdhsa_user_sgpr_dispatch_id 0
		.amdhsa_user_sgpr_kernarg_preload_length 0
		.amdhsa_user_sgpr_kernarg_preload_offset 0
		.amdhsa_user_sgpr_private_segment_size 0
		.amdhsa_wavefront_size32 1
		.amdhsa_uses_dynamic_stack 0
		.amdhsa_enable_private_segment 0
		.amdhsa_system_sgpr_workgroup_id_x 1
		.amdhsa_system_sgpr_workgroup_id_y 0
		.amdhsa_system_sgpr_workgroup_id_z 1
		.amdhsa_system_sgpr_workgroup_info 0
		.amdhsa_system_vgpr_workitem_id 1
		.amdhsa_next_free_vgpr 76
		.amdhsa_next_free_sgpr 51
		.amdhsa_named_barrier_count 0
		.amdhsa_reserve_vcc 1
		.amdhsa_float_round_mode_32 0
		.amdhsa_float_round_mode_16_64 0
		.amdhsa_float_denorm_mode_32 3
		.amdhsa_float_denorm_mode_16_64 3
		.amdhsa_fp16_overflow 0
		.amdhsa_memory_ordered 1
		.amdhsa_forward_progress 1
		.amdhsa_inst_pref_size 29
		.amdhsa_round_robin_scheduling 0
		.amdhsa_exception_fp_ieee_invalid_op 0
		.amdhsa_exception_fp_denorm_src 0
		.amdhsa_exception_fp_ieee_div_zero 0
		.amdhsa_exception_fp_ieee_overflow 0
		.amdhsa_exception_fp_ieee_underflow 0
		.amdhsa_exception_fp_ieee_inexact 0
		.amdhsa_exception_int_div_zero 0
	.end_amdhsa_kernel
	.section	.text._ZL20rocblas_gemvn_kernelILi32ELi16ElPK16rocblas_bfloat16PKfKPS0_EviiT3_lPKT2_lT1_lSA_lSB_lS7_lPT4_lSB_li,"axG",@progbits,_ZL20rocblas_gemvn_kernelILi32ELi16ElPK16rocblas_bfloat16PKfKPS0_EviiT3_lPKT2_lT1_lSA_lSB_lS7_lPT4_lSB_li,comdat
.Lfunc_end591:
	.size	_ZL20rocblas_gemvn_kernelILi32ELi16ElPK16rocblas_bfloat16PKfKPS0_EviiT3_lPKT2_lT1_lSA_lSB_lS7_lPT4_lSB_li, .Lfunc_end591-_ZL20rocblas_gemvn_kernelILi32ELi16ElPK16rocblas_bfloat16PKfKPS0_EviiT3_lPKT2_lT1_lSA_lSB_lS7_lPT4_lSB_li
                                        ; -- End function
	.set _ZL20rocblas_gemvn_kernelILi32ELi16ElPK16rocblas_bfloat16PKfKPS0_EviiT3_lPKT2_lT1_lSA_lSB_lS7_lPT4_lSB_li.num_vgpr, 76
	.set _ZL20rocblas_gemvn_kernelILi32ELi16ElPK16rocblas_bfloat16PKfKPS0_EviiT3_lPKT2_lT1_lSA_lSB_lS7_lPT4_lSB_li.num_agpr, 0
	.set _ZL20rocblas_gemvn_kernelILi32ELi16ElPK16rocblas_bfloat16PKfKPS0_EviiT3_lPKT2_lT1_lSA_lSB_lS7_lPT4_lSB_li.numbered_sgpr, 51
	.set _ZL20rocblas_gemvn_kernelILi32ELi16ElPK16rocblas_bfloat16PKfKPS0_EviiT3_lPKT2_lT1_lSA_lSB_lS7_lPT4_lSB_li.num_named_barrier, 0
	.set _ZL20rocblas_gemvn_kernelILi32ELi16ElPK16rocblas_bfloat16PKfKPS0_EviiT3_lPKT2_lT1_lSA_lSB_lS7_lPT4_lSB_li.private_seg_size, 0
	.set _ZL20rocblas_gemvn_kernelILi32ELi16ElPK16rocblas_bfloat16PKfKPS0_EviiT3_lPKT2_lT1_lSA_lSB_lS7_lPT4_lSB_li.uses_vcc, 1
	.set _ZL20rocblas_gemvn_kernelILi32ELi16ElPK16rocblas_bfloat16PKfKPS0_EviiT3_lPKT2_lT1_lSA_lSB_lS7_lPT4_lSB_li.uses_flat_scratch, 1
	.set _ZL20rocblas_gemvn_kernelILi32ELi16ElPK16rocblas_bfloat16PKfKPS0_EviiT3_lPKT2_lT1_lSA_lSB_lS7_lPT4_lSB_li.has_dyn_sized_stack, 0
	.set _ZL20rocblas_gemvn_kernelILi32ELi16ElPK16rocblas_bfloat16PKfKPS0_EviiT3_lPKT2_lT1_lSA_lSB_lS7_lPT4_lSB_li.has_recursion, 0
	.set _ZL20rocblas_gemvn_kernelILi32ELi16ElPK16rocblas_bfloat16PKfKPS0_EviiT3_lPKT2_lT1_lSA_lSB_lS7_lPT4_lSB_li.has_indirect_call, 0
	.section	.AMDGPU.csdata,"",@progbits
; Kernel info:
; codeLenInByte = 3696
; TotalNumSgprs: 53
; NumVgprs: 76
; ScratchSize: 0
; MemoryBound: 0
; FloatMode: 240
; IeeeMode: 1
; LDSByteSize: 8192 bytes/workgroup (compile time only)
; SGPRBlocks: 0
; VGPRBlocks: 4
; NumSGPRsForWavesPerEU: 53
; NumVGPRsForWavesPerEU: 76
; NamedBarCnt: 0
; Occupancy: 12
; WaveLimiterHint : 1
; COMPUTE_PGM_RSRC2:SCRATCH_EN: 0
; COMPUTE_PGM_RSRC2:USER_SGPR: 2
; COMPUTE_PGM_RSRC2:TRAP_HANDLER: 0
; COMPUTE_PGM_RSRC2:TGID_X_EN: 1
; COMPUTE_PGM_RSRC2:TGID_Y_EN: 0
; COMPUTE_PGM_RSRC2:TGID_Z_EN: 1
; COMPUTE_PGM_RSRC2:TIDIG_COMP_CNT: 1
	.section	.text._ZL20rocblas_gemvn_kernelILi32ELi16EiPK16rocblas_bfloat16fKPS0_EviiT3_lPKT2_lT1_lS8_lS9_lS5_lPT4_lS9_li,"axG",@progbits,_ZL20rocblas_gemvn_kernelILi32ELi16EiPK16rocblas_bfloat16fKPS0_EviiT3_lPKT2_lT1_lS8_lS9_lS5_lPT4_lS9_li,comdat
	.globl	_ZL20rocblas_gemvn_kernelILi32ELi16EiPK16rocblas_bfloat16fKPS0_EviiT3_lPKT2_lT1_lS8_lS9_lS5_lPT4_lS9_li ; -- Begin function _ZL20rocblas_gemvn_kernelILi32ELi16EiPK16rocblas_bfloat16fKPS0_EviiT3_lPKT2_lT1_lS8_lS9_lS5_lPT4_lS9_li
	.p2align	8
	.type	_ZL20rocblas_gemvn_kernelILi32ELi16EiPK16rocblas_bfloat16fKPS0_EviiT3_lPKT2_lT1_lS8_lS9_lS5_lPT4_lS9_li,@function
_ZL20rocblas_gemvn_kernelILi32ELi16EiPK16rocblas_bfloat16fKPS0_EviiT3_lPKT2_lT1_lS8_lS9_lS5_lPT4_lS9_li: ; @_ZL20rocblas_gemvn_kernelILi32ELi16EiPK16rocblas_bfloat16fKPS0_EviiT3_lPKT2_lT1_lS8_lS9_lS5_lPT4_lS9_li
; %bb.0:
	s_clause 0x1
	s_load_b64 s[2:3], s[0:1], 0x9c
	s_load_b32 s23, s[0:1], 0x88
	s_bfe_u32 s4, ttmp6, 0x40014
	s_lshr_b32 s5, ttmp7, 16
	s_add_co_i32 s4, s4, 1
	s_bfe_u32 s6, ttmp6, 0x40008
	s_mul_i32 s7, s5, s4
	s_getreg_b32 s4, hwreg(HW_REG_IB_STS2, 6, 4)
	s_add_co_i32 s6, s6, s7
	s_mov_b32 s25, 0
	s_wait_kmcnt 0x0
	s_lshr_b32 s7, s2, 16
	s_and_b32 s2, s2, 0xffff
	s_and_b32 s3, s3, 0xffff
	s_mul_i32 s2, s7, s2
	s_cmp_eq_u32 s4, 0
	s_mul_i32 s2, s2, s3
	s_cselect_b32 s24, s5, s6
	s_cmp_lg_u32 s2, 0x200
	s_cselect_b32 s2, -1, 0
	s_cmp_ge_u32 s24, s23
	s_cselect_b32 s3, -1, 0
	s_delay_alu instid0(SALU_CYCLE_1) | instskip(NEXT) | instid1(SALU_CYCLE_1)
	s_or_b32 s2, s2, s3
	s_and_b32 vcc_lo, exec_lo, s2
	s_cbranch_vccnz .LBB592_75
; %bb.1:
	s_clause 0x7
	s_load_b32 s2, s[0:1], 0x78
	s_load_b96 s[20:22], s[0:1], 0x0
	s_load_b32 s26, s[0:1], 0x58
	s_load_b128 s[8:11], s[0:1], 0x68
	s_load_b32 s27, s[0:1], 0x28
	s_load_b128 s[12:15], s[0:1], 0x38
	s_load_b32 s28, s[0:1], 0x48
	s_load_b128 s[16:19], s[0:1], 0x18
	v_and_b32_e32 v6, 0x3ff, v0
	v_bfe_u32 v7, v0, 10, 10
	s_delay_alu instid0(VALU_DEP_2) | instskip(NEXT) | instid1(VALU_DEP_2)
	v_dual_mov_b32 v1, 0 :: v_dual_lshlrev_b32 v0, 2, v6
	v_lshl_add_u32 v2, v7, 5, v6
	s_delay_alu instid0(VALU_DEP_2)
	v_lshl_add_u32 v27, v7, 9, v0
	v_lshl_add_u32 v28, v7, 7, v0
	s_wait_kmcnt 0x0
	s_ashr_i32 s3, s2, 31
	s_cmp_eq_f32 s22, 0
	v_cmp_gt_u32_e64 s0, 0x80, v2
	s_mov_b32 s6, s20
	v_mul_lo_u32 v10, v7, s27
	s_cselect_b32 s29, -1, 0
	s_cmp_neq_f32 s26, 1.0
	s_cselect_b32 s1, -1, 0
	s_cmp_neq_f32 s22, 0
	s_cselect_b32 s5, -1, 0
	s_bfe_u32 s7, ttmp6, 0x4000c
	s_and_b32 s31, ttmp6, 15
	s_add_co_i32 s7, s7, 1
	s_or_b32 s30, s5, s1
	s_mul_i32 s7, ttmp9, s7
	v_cndmask_b32_e64 v29, 0, 1, s5
	s_add_co_i32 s31, s31, s7
	s_cmp_eq_u32 s4, 0
	v_lshl_add_u32 v36, v10, 2, v6
	s_cselect_b32 s1, ttmp9, s31
	s_ashr_i32 s7, s20, 31
	s_lshl_b32 s31, s1, 7
	s_delay_alu instid0(SALU_CYCLE_1)
	v_dual_lshlrev_b32 v26, 2, v7 :: v_dual_add_nc_u32 v0, s31, v2
	v_or_b32_e32 v5, s31, v2
	v_mul_lo_u32 v7, v7, s28
	s_cmp_neq_f32 s26, 0
	v_add_nc_u32_e32 v30, s31, v6
	v_mul_u64_e32 v[2:3], s[2:3], v[0:1]
	v_mul_lo_u32 v4, s2, v5
	s_cselect_b32 s33, -1, 0
	s_cmp_eq_f32 s26, 0
	v_cmp_gt_i64_e32 vcc_lo, s[6:7], v[0:1]
	v_or_b32_e32 v8, 2, v26
	v_mul_lo_u32 v9, s27, v26
	s_cselect_b32 s34, -1, 0
	v_dual_lshlrev_b32 v37, 2, v7 :: v_dual_add_nc_u32 v0, 32, v30
	v_add_nc_u32_e32 v11, 64, v30
	s_ashr_i32 s3, s21, 31
	v_cmp_gt_i32_e64 s2, s20, v5
	s_lshr_b32 s4, s3, 26
	v_ashrrev_i32_e32 v5, 31, v4
	s_add_co_i32 s35, s21, s4
	v_cmp_gt_i32_e64 s4, s20, v11
	v_or_b32_e32 v11, 3, v26
	v_mad_u32 v31, s27, v8, v6
	v_mad_u32 v33, s28, v26, s28
	v_mul_lo_u32 v34, s28, v8
	v_add_nc_u32_e32 v12, 0x60, v30
	v_mad_u32 v32, s27, v11, v6
	v_mul_lo_u32 v35, s28, v11
	s_and_not1_b32 s35, s35, 63
	v_cmp_gt_i32_e64 s1, s20, v30
	s_sub_co_i32 s7, s21, s35
	v_cmp_gt_i32_e64 s3, s20, v0
	v_cmp_gt_i32_e64 s5, s20, v12
	;; [unrolled: 1-line block ×3, first 2 shown]
	v_add3_u32 v0, v9, s27, v6
	s_cmp_gt_i32 s7, 0
	s_cselect_b32 s20, -1, 0
	s_and_b32 s36, s0, vcc_lo
	s_lshl_b32 s37, s27, 6
	s_lshl_b32 s38, s28, 6
	s_lshl_b64 s[18:19], s[18:19], 1
	s_lshl_b64 s[14:15], s[14:15], 1
	s_lshl_b64 s[10:11], s[10:11], 1
	s_branch .LBB592_4
.LBB592_2:                              ;   in Loop: Header=BB592_4 Depth=1
	s_wait_xcnt 0x0
	s_or_b32 exec_lo, exec_lo, s7
.LBB592_3:                              ;   in Loop: Header=BB592_4 Depth=1
	s_add_co_i32 s24, s24, 0x10000
	s_delay_alu instid0(SALU_CYCLE_1)
	s_cmp_lt_u32 s24, s23
	s_cbranch_scc0 .LBB592_75
.LBB592_4:                              ; =>This Loop Header: Depth=1
                                        ;     Child Loop BB592_27 Depth 2
	s_and_not1_b32 vcc_lo, exec_lo, s30
	s_cbranch_vccnz .LBB592_3
; %bb.5:                                ;   in Loop: Header=BB592_4 Depth=1
	s_and_not1_b32 vcc_lo, exec_lo, s29
	s_cbranch_vccnz .LBB592_7
; %bb.6:                                ;   in Loop: Header=BB592_4 Depth=1
	v_mov_b64_e32 v[10:11], 0
	v_mov_b64_e32 v[8:9], 0
	s_cbranch_execz .LBB592_8
	s_branch .LBB592_9
.LBB592_7:                              ;   in Loop: Header=BB592_4 Depth=1
	v_mov_b64_e32 v[10:11], 0
	v_mov_b64_e32 v[8:9], 0
.LBB592_8:                              ;   in Loop: Header=BB592_4 Depth=1
	s_lshl_b64 s[40:41], s[24:25], 3
	s_delay_alu instid0(SALU_CYCLE_1)
	s_add_nc_u64 s[40:41], s[16:17], s[40:41]
	global_load_b64 v[6:7], v1, s[40:41]
	s_wait_loadcnt 0x0
	v_add_nc_u64_e32 v[8:9], s[18:19], v[6:7]
.LBB592_9:                              ;   in Loop: Header=BB592_4 Depth=1
	v_cmp_ne_u32_e32 vcc_lo, 1, v29
	s_cbranch_vccnz .LBB592_11
; %bb.10:                               ;   in Loop: Header=BB592_4 Depth=1
	s_wait_xcnt 0x0
	s_lshl_b64 s[40:41], s[24:25], 3
	s_delay_alu instid0(SALU_CYCLE_1)
	s_add_nc_u64 s[40:41], s[12:13], s[40:41]
	global_load_b64 v[6:7], v1, s[40:41]
	s_wait_loadcnt 0x0
	v_add_nc_u64_e32 v[10:11], s[14:15], v[6:7]
.LBB592_11:                             ;   in Loop: Header=BB592_4 Depth=1
	s_wait_xcnt 0x0
	s_lshl_b64 s[40:41], s[24:25], 3
	s_and_not1_b32 vcc_lo, exec_lo, s29
	s_add_nc_u64 s[40:41], s[8:9], s[40:41]
	global_load_b64 v[6:7], v1, s[40:41]
	s_wait_loadcnt 0x0
	v_add_nc_u64_e32 v[6:7], s[10:11], v[6:7]
	s_cbranch_vccnz .LBB592_19
; %bb.12:                               ;   in Loop: Header=BB592_4 Depth=1
	s_mov_b32 s7, 0
	s_mov_b32 s39, 0
                                        ; implicit-def: $vgpr12
	s_wait_xcnt 0x0
	s_and_saveexec_b32 s40, s36
	s_cbranch_execz .LBB592_20
; %bb.13:                               ;   in Loop: Header=BB592_4 Depth=1
	s_and_not1_b32 vcc_lo, exec_lo, s33
	s_cbranch_vccnz .LBB592_72
; %bb.14:                               ;   in Loop: Header=BB592_4 Depth=1
	v_lshl_add_u64 v[12:13], v[2:3], 1, v[6:7]
	flat_load_u16 v12, v[12:13]
	s_wait_loadcnt_dscnt 0x0
	s_wait_xcnt 0x0
	v_lshlrev_b32_e32 v12, 16, v12
	s_delay_alu instid0(VALU_DEP_1) | instskip(NEXT) | instid1(VALU_DEP_1)
	v_mul_f32_e32 v12, s26, v12
	v_and_b32_e32 v13, 0x7f800000, v12
	s_delay_alu instid0(VALU_DEP_1) | instskip(SKIP_1) | instid1(SALU_CYCLE_1)
	v_cmp_ne_u32_e32 vcc_lo, 0x7f800000, v13
                                        ; implicit-def: $vgpr13
	s_and_saveexec_b32 s39, vcc_lo
	s_xor_b32 s39, exec_lo, s39
; %bb.15:                               ;   in Loop: Header=BB592_4 Depth=1
	v_bfe_u32 v13, v12, 16, 1
	s_delay_alu instid0(VALU_DEP_1)
	v_add3_u32 v13, v12, v13, 0x7fff
                                        ; implicit-def: $vgpr12
; %bb.16:                               ;   in Loop: Header=BB592_4 Depth=1
	s_and_not1_saveexec_b32 s39, s39
; %bb.17:                               ;   in Loop: Header=BB592_4 Depth=1
	v_and_b32_e32 v13, 0xffff, v12
	v_or_b32_e32 v14, 0x10000, v12
	s_delay_alu instid0(VALU_DEP_2) | instskip(NEXT) | instid1(VALU_DEP_2)
	v_cmp_eq_u32_e32 vcc_lo, 0, v13
	v_cndmask_b32_e32 v13, v14, v12, vcc_lo
; %bb.18:                               ;   in Loop: Header=BB592_4 Depth=1
	s_or_b32 exec_lo, exec_lo, s39
	s_delay_alu instid0(VALU_DEP_1) | instskip(SKIP_2) | instid1(SALU_CYCLE_1)
	v_lshrrev_b32_e32 v12, 16, v13
	s_mov_b32 s39, exec_lo
	s_or_b32 exec_lo, exec_lo, s40
	s_and_b32 vcc_lo, exec_lo, s7
	s_cbranch_vccnz .LBB592_21
	s_branch .LBB592_73
.LBB592_19:                             ;   in Loop: Header=BB592_4 Depth=1
	s_mov_b32 s39, 0
                                        ; implicit-def: $vgpr12
	s_cbranch_execnz .LBB592_21
	s_branch .LBB592_73
.LBB592_20:                             ;   in Loop: Header=BB592_4 Depth=1
	s_or_b32 exec_lo, exec_lo, s40
	s_delay_alu instid0(SALU_CYCLE_1)
	s_and_b32 vcc_lo, exec_lo, s7
	s_cbranch_vccz .LBB592_73
.LBB592_21:                             ;   in Loop: Header=BB592_4 Depth=1
	v_dual_mov_b32 v38, 0 :: v_dual_mov_b32 v42, v26
	v_dual_mov_b32 v39, 0 :: v_dual_mov_b32 v40, 0
	v_mov_b32_e32 v41, 0
	s_wait_xcnt 0x0
	s_and_saveexec_b32 s7, s6
	s_cbranch_execz .LBB592_33
; %bb.22:                               ;   in Loop: Header=BB592_4 Depth=1
	v_dual_mov_b32 v38, 0 :: v_dual_mov_b32 v43, v36
	v_dual_mov_b32 v44, v32 :: v_dual_mov_b32 v45, v31
	v_dual_mov_b32 v46, v0 :: v_dual_mov_b32 v42, v26
	v_dual_mov_b32 v39, 0 :: v_dual_mov_b32 v40, 0
	v_mov_b32_e32 v41, 0
	s_mov_b32 s40, 0
	s_mov_b32 s41, 0
	s_branch .LBB592_27
.LBB592_23:                             ;   in Loop: Header=BB592_27 Depth=2
	s_or_b32 exec_lo, exec_lo, s45
	s_wait_loadcnt_dscnt 0x202
	v_dual_lshlrev_b32 v17, 16, v56 :: v_dual_lshlrev_b32 v16, 16, v55
	s_delay_alu instid0(VALU_DEP_1) | instskip(SKIP_1) | instid1(VALU_DEP_1)
	v_pk_mul_f32 v[16:17], v[14:15], v[16:17]
	s_wait_loadcnt_dscnt 0x0
	v_dual_add_f32 v16, v40, v16 :: v_dual_lshlrev_b32 v19, 16, v54
	s_delay_alu instid0(VALU_DEP_1) | instskip(SKIP_1) | instid1(VALU_DEP_1)
	v_add_f32_e32 v20, v16, v17
	v_lshlrev_b32_e32 v18, 16, v53
	v_pk_mul_f32 v[16:17], v[12:13], v[18:19]
	s_delay_alu instid0(VALU_DEP_1) | instskip(NEXT) | instid1(VALU_DEP_1)
	v_add_f32_e32 v16, v20, v16
	v_add_f32_e32 v40, v16, v17
.LBB592_24:                             ;   in Loop: Header=BB592_27 Depth=2
	s_or_b32 exec_lo, exec_lo, s44
	s_wait_loadcnt_dscnt 0x202
	v_dual_lshlrev_b32 v17, 16, v52 :: v_dual_lshlrev_b32 v16, 16, v51
	s_delay_alu instid0(VALU_DEP_1) | instskip(SKIP_1) | instid1(VALU_DEP_1)
	v_pk_mul_f32 v[16:17], v[14:15], v[16:17]
	s_wait_loadcnt_dscnt 0x0
	v_dual_add_f32 v16, v39, v16 :: v_dual_lshlrev_b32 v19, 16, v25
	s_delay_alu instid0(VALU_DEP_1) | instskip(NEXT) | instid1(VALU_DEP_1)
	v_dual_lshlrev_b32 v18, 16, v24 :: v_dual_add_f32 v20, v16, v17
	v_pk_mul_f32 v[16:17], v[12:13], v[18:19]
	s_delay_alu instid0(VALU_DEP_1) | instskip(NEXT) | instid1(VALU_DEP_1)
	v_add_f32_e32 v16, v20, v16
	v_add_f32_e32 v39, v16, v17
.LBB592_25:                             ;   in Loop: Header=BB592_27 Depth=2
	s_or_b32 exec_lo, exec_lo, s43
	s_wait_loadcnt_dscnt 0x202
	v_dual_lshlrev_b32 v17, 16, v50 :: v_dual_lshlrev_b32 v16, 16, v49
	s_delay_alu instid0(VALU_DEP_1) | instskip(SKIP_1) | instid1(VALU_DEP_1)
	v_pk_mul_f32 v[14:15], v[14:15], v[16:17]
	s_wait_loadcnt_dscnt 0x0
	v_dual_add_f32 v14, v38, v14 :: v_dual_lshlrev_b32 v17, 16, v48
	s_delay_alu instid0(VALU_DEP_1) | instskip(SKIP_1) | instid1(VALU_DEP_1)
	v_add_f32_e32 v14, v14, v15
	v_lshlrev_b32_e32 v16, 16, v47
	v_pk_mul_f32 v[12:13], v[12:13], v[16:17]
	s_delay_alu instid0(VALU_DEP_1) | instskip(NEXT) | instid1(VALU_DEP_1)
	v_add_f32_e32 v12, v14, v12
	v_add_f32_e32 v38, v12, v13
.LBB592_26:                             ;   in Loop: Header=BB592_27 Depth=2
	s_or_b32 exec_lo, exec_lo, s42
	v_dual_add_nc_u32 v42, 64, v42 :: v_dual_add_nc_u32 v45, s37, v45
	v_dual_add_nc_u32 v46, s37, v46 :: v_dual_add_nc_u32 v44, s37, v44
	v_add_nc_u32_e32 v43, s37, v43
	s_delay_alu instid0(VALU_DEP_3) | instskip(SKIP_2) | instid1(SALU_CYCLE_1)
	v_cmp_le_i32_e32 vcc_lo, s35, v42
	s_add_co_i32 s41, s41, s38
	s_or_b32 s40, vcc_lo, s40
	s_and_not1_b32 exec_lo, exec_lo, s40
	s_cbranch_execz .LBB592_32
.LBB592_27:                             ;   Parent Loop BB592_4 Depth=1
                                        ; =>  This Inner Loop Header: Depth=2
	s_and_saveexec_b32 s42, s1
	s_cbranch_execz .LBB592_26
; %bb.28:                               ;   in Loop: Header=BB592_27 Depth=2
	v_dual_add_nc_u32 v12, s41, v37 :: v_dual_add_nc_u32 v14, s41, v34
	v_readfirstlane_b32 s44, v10
	v_readfirstlane_b32 s45, v11
	v_dual_add_nc_u32 v13, s41, v33 :: v_dual_add_nc_u32 v15, s41, v35
	s_clause 0x3
	flat_load_u16 v17, v12, s[44:45] scale_offset
	flat_load_u16 v18, v13, s[44:45] scale_offset
	;; [unrolled: 1-line block ×4, first 2 shown]
	v_dual_add_nc_u32 v16, s31, v43 :: v_dual_add_nc_u32 v20, s31, v46
	s_wait_xcnt 0x0
	v_readfirstlane_b32 s44, v8
	v_readfirstlane_b32 s45, v9
	v_dual_add_nc_u32 v24, s31, v45 :: v_dual_add_nc_u32 v22, s31, v44
	s_clause 0x3
	flat_load_u16 v49, v16, s[44:45] scale_offset
	flat_load_u16 v50, v20, s[44:45] scale_offset
	flat_load_u16 v47, v24, s[44:45] scale_offset
	flat_load_u16 v48, v22, s[44:45] scale_offset
	s_wait_loadcnt_dscnt 0x606
	v_dual_lshlrev_b32 v14, 16, v17 :: v_dual_lshlrev_b32 v15, 16, v18
	s_wait_loadcnt_dscnt 0x404
	v_dual_lshlrev_b32 v12, 16, v19 :: v_dual_lshlrev_b32 v13, 16, v21
	s_wait_xcnt 0x0
	s_and_saveexec_b32 s43, s3
	s_cbranch_execz .LBB592_25
; %bb.29:                               ;   in Loop: Header=BB592_27 Depth=2
	v_dual_ashrrev_i32 v17, 31, v16 :: v_dual_ashrrev_i32 v23, 31, v22
	v_ashrrev_i32_e32 v21, 31, v20
	v_ashrrev_i32_e32 v25, 31, v24
	s_delay_alu instid0(VALU_DEP_3) | instskip(NEXT) | instid1(VALU_DEP_4)
	v_lshl_add_u64 v[18:19], v[16:17], 1, v[8:9]
	v_lshl_add_u64 v[22:23], v[22:23], 1, v[8:9]
	s_delay_alu instid0(VALU_DEP_4) | instskip(NEXT) | instid1(VALU_DEP_4)
	v_lshl_add_u64 v[16:17], v[20:21], 1, v[8:9]
	v_lshl_add_u64 v[20:21], v[24:25], 1, v[8:9]
	s_clause 0x3
	flat_load_u16 v51, v[18:19] offset:64
	flat_load_u16 v52, v[16:17] offset:64
	;; [unrolled: 1-line block ×4, first 2 shown]
	s_wait_xcnt 0x0
	s_and_saveexec_b32 s44, s4
	s_cbranch_execz .LBB592_24
; %bb.30:                               ;   in Loop: Header=BB592_27 Depth=2
	s_clause 0x3
	flat_load_u16 v55, v[18:19] offset:128
	flat_load_u16 v56, v[16:17] offset:128
	;; [unrolled: 1-line block ×4, first 2 shown]
	s_wait_xcnt 0x0
	s_and_saveexec_b32 s45, s5
	s_cbranch_execz .LBB592_23
; %bb.31:                               ;   in Loop: Header=BB592_27 Depth=2
	s_clause 0x3
	flat_load_u16 v57, v[16:17] offset:192
	flat_load_u16 v58, v[18:19] offset:192
	;; [unrolled: 1-line block ×4, first 2 shown]
	s_wait_loadcnt_dscnt 0x202
	s_wait_xcnt 0x3
	v_dual_lshlrev_b32 v17, 16, v57 :: v_dual_lshlrev_b32 v16, 16, v58
	s_delay_alu instid0(VALU_DEP_1) | instskip(SKIP_2) | instid1(VALU_DEP_1)
	v_pk_mul_f32 v[16:17], v[14:15], v[16:17]
	s_wait_loadcnt_dscnt 0x101
	s_wait_xcnt 0x2
	v_dual_add_f32 v16, v41, v16 :: v_dual_lshlrev_b32 v19, 16, v59
	s_wait_loadcnt_dscnt 0x0
	s_wait_xcnt 0x0
	s_delay_alu instid0(VALU_DEP_1) | instskip(NEXT) | instid1(VALU_DEP_1)
	v_dual_lshlrev_b32 v18, 16, v60 :: v_dual_add_f32 v20, v16, v17
	v_pk_mul_f32 v[16:17], v[12:13], v[18:19]
	s_delay_alu instid0(VALU_DEP_1) | instskip(NEXT) | instid1(VALU_DEP_1)
	v_add_f32_e32 v16, v20, v16
	v_add_f32_e32 v41, v16, v17
	s_branch .LBB592_23
.LBB592_32:                             ;   in Loop: Header=BB592_4 Depth=1
	s_or_b32 exec_lo, exec_lo, s40
.LBB592_33:                             ;   in Loop: Header=BB592_4 Depth=1
	s_delay_alu instid0(SALU_CYCLE_1) | instskip(NEXT) | instid1(SALU_CYCLE_1)
	s_or_b32 exec_lo, exec_lo, s7
	s_and_not1_b32 vcc_lo, exec_lo, s20
	s_cbranch_vccnz .LBB592_51
; %bb.34:                               ;   in Loop: Header=BB592_4 Depth=1
	v_dual_mov_b32 v12, 0 :: v_dual_bitop2_b32 v16, 1, v42 bitop3:0x54
	v_cmp_gt_i32_e32 vcc_lo, s21, v42
	s_delay_alu instid0(VALU_DEP_2)
	v_dual_mov_b32 v13, v12 :: v_dual_mov_b32 v14, v12
	v_mov_b32_e32 v15, v12
	s_and_saveexec_b32 s40, vcc_lo
	s_cbranch_execz .LBB592_42
; %bb.35:                               ;   in Loop: Header=BB592_4 Depth=1
	v_mul_lo_u32 v12, v42, s28
	v_readfirstlane_b32 s42, v10
	v_readfirstlane_b32 s43, v11
	v_dual_mov_b32 v15, 0 :: v_dual_mov_b32 v13, 0
	s_mov_b32 s41, exec_lo
	flat_load_u16 v14, v12, s[42:43] scale_offset
	s_wait_xcnt 0x0
	v_mov_b32_e32 v12, 0
	v_cmpx_gt_i32_e64 s21, v16
	s_cbranch_execz .LBB592_41
; %bb.36:                               ;   in Loop: Header=BB592_4 Depth=1
	v_mul_lo_u32 v12, v16, s28
	v_readfirstlane_b32 s42, v10
	v_readfirstlane_b32 s43, v11
	v_dual_mov_b32 v13, 0 :: v_dual_bitop2_b32 v17, 2, v42 bitop3:0x54
	flat_load_u16 v15, v12, s[42:43] scale_offset
	s_wait_xcnt 0x0
	v_mov_b32_e32 v12, 0
	s_mov_b32 s42, exec_lo
	v_cmpx_gt_i32_e64 s21, v17
	s_cbranch_execz .LBB592_40
; %bb.37:                               ;   in Loop: Header=BB592_4 Depth=1
	v_mul_lo_u32 v12, v17, s28
	v_readfirstlane_b32 s44, v10
	v_readfirstlane_b32 s45, v11
	v_dual_mov_b32 v13, 0 :: v_dual_bitop2_b32 v17, 3, v42 bitop3:0x54
	s_mov_b32 s43, exec_lo
	flat_load_u16 v12, v12, s[44:45] scale_offset
	s_wait_xcnt 0x0
	v_cmpx_gt_i32_e64 s21, v17
	s_cbranch_execz .LBB592_39
; %bb.38:                               ;   in Loop: Header=BB592_4 Depth=1
	v_mul_lo_u32 v13, v17, s28
	v_readfirstlane_b32 s44, v10
	v_readfirstlane_b32 s45, v11
	flat_load_u16 v10, v13, s[44:45] scale_offset
	s_wait_loadcnt_dscnt 0x0
	s_wait_xcnt 0x0
	v_lshlrev_b32_e32 v13, 16, v10
.LBB592_39:                             ;   in Loop: Header=BB592_4 Depth=1
	s_or_b32 exec_lo, exec_lo, s43
	s_wait_loadcnt_dscnt 0x0
	v_lshlrev_b32_e32 v12, 16, v12
.LBB592_40:                             ;   in Loop: Header=BB592_4 Depth=1
	s_or_b32 exec_lo, exec_lo, s42
	s_wait_loadcnt_dscnt 0x0
	v_lshlrev_b32_e32 v15, 16, v15
.LBB592_41:                             ;   in Loop: Header=BB592_4 Depth=1
	s_or_b32 exec_lo, exec_lo, s41
	s_wait_loadcnt_dscnt 0x0
	v_lshlrev_b32_e32 v14, 16, v14
.LBB592_42:                             ;   in Loop: Header=BB592_4 Depth=1
	s_or_b32 exec_lo, exec_lo, s40
	s_and_saveexec_b32 s40, s1
	s_cbranch_execz .LBB592_50
; %bb.43:                               ;   in Loop: Header=BB592_4 Depth=1
	v_mul_lo_u32 v17, v16, s27
	v_mul_lo_u32 v20, v42, s27
	v_cmp_gt_i32_e64 s7, s21, v16
	v_or_b32_e32 v10, 2, v42
	v_or_b32_e32 v11, 3, v42
	v_readfirstlane_b32 s42, v8
	v_readfirstlane_b32 s43, v9
	v_cndmask_b32_e64 v16, 0, v17, s7
	v_mul_lo_u32 v18, v10, s27
	v_cndmask_b32_e32 v17, 0, v20, vcc_lo
	v_mul_lo_u32 v19, v11, s27
	v_cmp_gt_i32_e64 s7, s21, v10
	s_delay_alu instid0(VALU_DEP_1) | instskip(SKIP_1) | instid1(VALU_DEP_1)
	v_cndmask_b32_e64 v10, 0, v18, s7
	v_cmp_gt_i32_e64 s7, s21, v11
	v_dual_cndmask_b32 v11, 0, v19, s7 :: v_dual_add_nc_u32 v16, v16, v30
	s_delay_alu instid0(VALU_DEP_3) | instskip(NEXT) | instid1(VALU_DEP_2)
	v_dual_add_nc_u32 v18, v10, v30 :: v_dual_add_nc_u32 v10, v17, v30
	v_add_nc_u32_e32 v20, v11, v30
	s_clause 0x3
	flat_load_u16 v24, v16, s[42:43] scale_offset
	flat_load_u16 v22, v18, s[42:43] scale_offset
	;; [unrolled: 1-line block ×4, first 2 shown]
	s_wait_xcnt 0x0
	s_and_saveexec_b32 s7, s3
	s_cbranch_execz .LBB592_49
; %bb.44:                               ;   in Loop: Header=BB592_4 Depth=1
	v_dual_ashrrev_i32 v11, 31, v10 :: v_dual_ashrrev_i32 v17, 31, v16
	v_dual_ashrrev_i32 v19, 31, v18 :: v_dual_ashrrev_i32 v21, 31, v20
	s_delay_alu instid0(VALU_DEP_2) | instskip(NEXT) | instid1(VALU_DEP_3)
	v_lshl_add_u64 v[10:11], v[10:11], 1, v[8:9]
	v_lshl_add_u64 v[16:17], v[16:17], 1, v[8:9]
	s_delay_alu instid0(VALU_DEP_3) | instskip(NEXT) | instid1(VALU_DEP_4)
	v_lshl_add_u64 v[18:19], v[18:19], 1, v[8:9]
	v_lshl_add_u64 v[8:9], v[20:21], 1, v[8:9]
	s_clause 0x3
	flat_load_u16 v42, v[10:11] offset:64
	flat_load_u16 v43, v[16:17] offset:64
	;; [unrolled: 1-line block ×4, first 2 shown]
	s_wait_xcnt 0x0
	s_and_saveexec_b32 s41, s4
	s_cbranch_execz .LBB592_48
; %bb.45:                               ;   in Loop: Header=BB592_4 Depth=1
	s_clause 0x3
	flat_load_u16 v46, v[10:11] offset:128
	flat_load_u16 v47, v[16:17] offset:128
	flat_load_u16 v44, v[18:19] offset:128
	flat_load_u16 v45, v[8:9] offset:128
	s_wait_xcnt 0x0
	s_and_saveexec_b32 s42, s5
	s_cbranch_execz .LBB592_47
; %bb.46:                               ;   in Loop: Header=BB592_4 Depth=1
	s_clause 0x3
	flat_load_u16 v48, v[16:17] offset:192
	flat_load_u16 v49, v[10:11] offset:192
	;; [unrolled: 1-line block ×4, first 2 shown]
	s_wait_loadcnt_dscnt 0x202
	s_wait_xcnt 0x1
	v_dual_lshlrev_b32 v9, 16, v48 :: v_dual_lshlrev_b32 v8, 16, v49
	s_delay_alu instid0(VALU_DEP_1) | instskip(SKIP_1) | instid1(VALU_DEP_1)
	v_pk_mul_f32 v[8:9], v[14:15], v[8:9]
	s_wait_loadcnt_dscnt 0x101
	v_dual_add_f32 v8, v41, v8 :: v_dual_lshlrev_b32 v11, 16, v50
	s_wait_loadcnt_dscnt 0x0
	s_delay_alu instid0(VALU_DEP_1) | instskip(NEXT) | instid1(VALU_DEP_1)
	v_dual_lshlrev_b32 v10, 16, v51 :: v_dual_add_f32 v16, v8, v9
	v_pk_mul_f32 v[8:9], v[12:13], v[10:11]
	s_delay_alu instid0(VALU_DEP_1) | instskip(NEXT) | instid1(VALU_DEP_1)
	v_add_f32_e32 v8, v16, v8
	v_add_f32_e32 v41, v8, v9
.LBB592_47:                             ;   in Loop: Header=BB592_4 Depth=1
	s_wait_xcnt 0x0
	s_or_b32 exec_lo, exec_lo, s42
	s_wait_loadcnt_dscnt 0x202
	v_dual_lshlrev_b32 v9, 16, v47 :: v_dual_lshlrev_b32 v8, 16, v46
	s_delay_alu instid0(VALU_DEP_1) | instskip(SKIP_1) | instid1(VALU_DEP_1)
	v_pk_mul_f32 v[8:9], v[14:15], v[8:9]
	s_wait_loadcnt_dscnt 0x0
	v_dual_add_f32 v8, v40, v8 :: v_dual_lshlrev_b32 v11, 16, v45
	s_delay_alu instid0(VALU_DEP_1) | instskip(NEXT) | instid1(VALU_DEP_1)
	v_dual_lshlrev_b32 v10, 16, v44 :: v_dual_add_f32 v16, v8, v9
	v_pk_mul_f32 v[8:9], v[12:13], v[10:11]
	s_delay_alu instid0(VALU_DEP_1) | instskip(NEXT) | instid1(VALU_DEP_1)
	v_add_f32_e32 v8, v16, v8
	v_add_f32_e32 v40, v8, v9
.LBB592_48:                             ;   in Loop: Header=BB592_4 Depth=1
	s_or_b32 exec_lo, exec_lo, s41
	s_wait_loadcnt_dscnt 0x202
	v_dual_lshlrev_b32 v9, 16, v43 :: v_dual_lshlrev_b32 v8, 16, v42
	s_delay_alu instid0(VALU_DEP_1) | instskip(SKIP_1) | instid1(VALU_DEP_1)
	v_pk_mul_f32 v[8:9], v[14:15], v[8:9]
	s_wait_loadcnt_dscnt 0x0
	v_dual_add_f32 v8, v39, v8 :: v_dual_lshlrev_b32 v11, 16, v21
	s_delay_alu instid0(VALU_DEP_1) | instskip(NEXT) | instid1(VALU_DEP_1)
	v_dual_lshlrev_b32 v10, 16, v20 :: v_dual_add_f32 v16, v8, v9
	v_pk_mul_f32 v[8:9], v[12:13], v[10:11]
	s_delay_alu instid0(VALU_DEP_1) | instskip(NEXT) | instid1(VALU_DEP_1)
	v_add_f32_e32 v8, v16, v8
	v_add_f32_e32 v39, v8, v9
.LBB592_49:                             ;   in Loop: Header=BB592_4 Depth=1
	s_or_b32 exec_lo, exec_lo, s7
	s_wait_loadcnt_dscnt 0x0
	v_dual_lshlrev_b32 v9, 16, v24 :: v_dual_lshlrev_b32 v8, 16, v25
	s_delay_alu instid0(VALU_DEP_1) | instskip(NEXT) | instid1(VALU_DEP_1)
	v_pk_mul_f32 v[8:9], v[14:15], v[8:9]
	v_dual_add_f32 v8, v38, v8 :: v_dual_lshlrev_b32 v11, 16, v23
	s_delay_alu instid0(VALU_DEP_1) | instskip(NEXT) | instid1(VALU_DEP_1)
	v_dual_lshlrev_b32 v10, 16, v22 :: v_dual_add_f32 v14, v8, v9
	v_pk_mul_f32 v[8:9], v[12:13], v[10:11]
	s_delay_alu instid0(VALU_DEP_1) | instskip(NEXT) | instid1(VALU_DEP_1)
	v_add_f32_e32 v8, v14, v8
	v_add_f32_e32 v38, v8, v9
.LBB592_50:                             ;   in Loop: Header=BB592_4 Depth=1
	s_or_b32 exec_lo, exec_lo, s40
.LBB592_51:                             ;   in Loop: Header=BB592_4 Depth=1
	ds_store_2addr_b32 v27, v38, v39 offset1:32
	ds_store_2addr_b32 v27, v40, v41 offset0:64 offset1:96
	s_wait_dscnt 0x0
	s_barrier_signal -1
	s_barrier_wait -1
                                        ; implicit-def: $vgpr12
	s_and_saveexec_b32 s7, s0
	s_cbranch_execz .LBB592_71
; %bb.52:                               ;   in Loop: Header=BB592_4 Depth=1
	ds_load_2addr_stride64_b32 v[8:9], v28 offset1:2
	ds_load_2addr_stride64_b32 v[10:11], v28 offset0:4 offset1:6
	ds_load_2addr_stride64_b32 v[12:13], v28 offset0:8 offset1:10
	s_mov_b32 s41, s39
	s_wait_dscnt 0x2
	v_add_f32_e32 v14, v8, v9
	ds_load_2addr_stride64_b32 v[8:9], v28 offset0:12 offset1:14
	s_wait_dscnt 0x2
	v_add_f32_e32 v10, v10, v14
	s_delay_alu instid0(VALU_DEP_1) | instskip(SKIP_3) | instid1(VALU_DEP_1)
	v_add_f32_e32 v14, v11, v10
	ds_load_2addr_stride64_b32 v[10:11], v28 offset0:16 offset1:18
	s_wait_dscnt 0x2
	v_add_f32_e32 v12, v12, v14
	v_add_f32_e32 v14, v13, v12
	ds_load_2addr_stride64_b32 v[12:13], v28 offset0:20 offset1:22
	s_wait_dscnt 0x2
	v_add_f32_e32 v8, v8, v14
	s_delay_alu instid0(VALU_DEP_1) | instskip(SKIP_1) | instid1(VALU_DEP_1)
	v_add_f32_e32 v8, v9, v8
	s_wait_dscnt 0x1
	v_add_f32_e32 v10, v10, v8
	ds_load_2addr_stride64_b32 v[8:9], v28 offset0:24 offset1:26
	v_add_f32_e32 v10, v11, v10
	s_wait_dscnt 0x1
	s_delay_alu instid0(VALU_DEP_1) | instskip(SKIP_3) | instid1(VALU_DEP_1)
	v_add_f32_e32 v12, v12, v10
	ds_load_2addr_stride64_b32 v[10:11], v28 offset0:28 offset1:30
	v_add_f32_e32 v12, v13, v12
	s_wait_dscnt 0x1
	v_add_f32_e32 v8, v8, v12
                                        ; implicit-def: $vgpr12
	s_delay_alu instid0(VALU_DEP_1) | instskip(SKIP_1) | instid1(VALU_DEP_1)
	v_add_f32_e32 v8, v9, v8
	s_wait_dscnt 0x0
	v_add_f32_e32 v8, v10, v8
	s_delay_alu instid0(VALU_DEP_1)
	v_add_f32_e32 v8, v11, v8
	ds_store_b32 v28, v8
	s_and_saveexec_b32 s40, s2
	s_cbranch_execz .LBB592_70
; %bb.53:                               ;   in Loop: Header=BB592_4 Depth=1
	v_mul_f32_e32 v8, s22, v8
	s_and_b32 vcc_lo, exec_lo, s34
	s_mov_b32 s41, -1
                                        ; implicit-def: $vgpr9
	s_cbranch_vccz .LBB592_59
; %bb.54:                               ;   in Loop: Header=BB592_4 Depth=1
	s_delay_alu instid0(VALU_DEP_1) | instskip(NEXT) | instid1(VALU_DEP_1)
	v_and_b32_e32 v9, 0x7f800000, v8
	v_cmp_ne_u32_e32 vcc_lo, 0x7f800000, v9
                                        ; implicit-def: $vgpr9
	s_and_saveexec_b32 s41, vcc_lo
	s_delay_alu instid0(SALU_CYCLE_1)
	s_xor_b32 s41, exec_lo, s41
; %bb.55:                               ;   in Loop: Header=BB592_4 Depth=1
	v_bfe_u32 v9, v8, 16, 1
	s_delay_alu instid0(VALU_DEP_1)
	v_add3_u32 v9, v8, v9, 0x7fff
; %bb.56:                               ;   in Loop: Header=BB592_4 Depth=1
	s_and_not1_saveexec_b32 s41, s41
; %bb.57:                               ;   in Loop: Header=BB592_4 Depth=1
	v_and_b32_e32 v9, 0xffff, v8
	v_or_b32_e32 v10, 0x10000, v8
	s_delay_alu instid0(VALU_DEP_2) | instskip(NEXT) | instid1(VALU_DEP_2)
	v_cmp_eq_u32_e32 vcc_lo, 0, v9
	v_cndmask_b32_e32 v9, v10, v8, vcc_lo
; %bb.58:                               ;   in Loop: Header=BB592_4 Depth=1
	s_or_b32 exec_lo, exec_lo, s41
	s_mov_b32 s41, 0
.LBB592_59:                             ;   in Loop: Header=BB592_4 Depth=1
	s_delay_alu instid0(SALU_CYCLE_1)
	s_and_not1_b32 vcc_lo, exec_lo, s41
	s_cbranch_vccnz .LBB592_69
; %bb.60:                               ;   in Loop: Header=BB592_4 Depth=1
	v_lshl_add_u64 v[10:11], v[4:5], 1, v[6:7]
	flat_load_u16 v9, v[10:11]
	s_wait_loadcnt_dscnt 0x0
	v_lshlrev_b32_e32 v9, 16, v9
	s_delay_alu instid0(VALU_DEP_1) | instskip(SKIP_1) | instid1(VALU_DEP_1)
	v_mul_f32_e32 v9, s26, v9
	s_wait_xcnt 0x0
	v_and_b32_e32 v10, 0x7f800000, v9
	s_delay_alu instid0(VALU_DEP_1) | instskip(SKIP_1) | instid1(SALU_CYCLE_1)
	v_cmp_ne_u32_e32 vcc_lo, 0x7f800000, v10
                                        ; implicit-def: $vgpr10
	s_and_saveexec_b32 s41, vcc_lo
	s_xor_b32 s41, exec_lo, s41
; %bb.61:                               ;   in Loop: Header=BB592_4 Depth=1
	v_bfe_u32 v10, v9, 16, 1
	s_delay_alu instid0(VALU_DEP_1)
	v_add3_u32 v10, v9, v10, 0x7fff
                                        ; implicit-def: $vgpr9
; %bb.62:                               ;   in Loop: Header=BB592_4 Depth=1
	s_and_not1_saveexec_b32 s41, s41
; %bb.63:                               ;   in Loop: Header=BB592_4 Depth=1
	v_and_b32_e32 v10, 0xffff, v9
	v_or_b32_e32 v11, 0x10000, v9
	s_delay_alu instid0(VALU_DEP_2) | instskip(NEXT) | instid1(VALU_DEP_2)
	v_cmp_eq_u32_e32 vcc_lo, 0, v10
	v_cndmask_b32_e32 v10, v11, v9, vcc_lo
; %bb.64:                               ;   in Loop: Header=BB592_4 Depth=1
	s_or_b32 exec_lo, exec_lo, s41
	s_delay_alu instid0(VALU_DEP_1) | instskip(NEXT) | instid1(VALU_DEP_1)
	v_and_b32_e32 v9, 0xffff0000, v10
	v_add_f32_e32 v8, v8, v9
	s_delay_alu instid0(VALU_DEP_1) | instskip(NEXT) | instid1(VALU_DEP_1)
	v_and_b32_e32 v9, 0x7f800000, v8
	v_cmp_ne_u32_e32 vcc_lo, 0x7f800000, v9
                                        ; implicit-def: $vgpr9
	s_and_saveexec_b32 s41, vcc_lo
	s_delay_alu instid0(SALU_CYCLE_1)
	s_xor_b32 s41, exec_lo, s41
; %bb.65:                               ;   in Loop: Header=BB592_4 Depth=1
	v_bfe_u32 v9, v8, 16, 1
	s_delay_alu instid0(VALU_DEP_1)
	v_add3_u32 v9, v8, v9, 0x7fff
                                        ; implicit-def: $vgpr8
; %bb.66:                               ;   in Loop: Header=BB592_4 Depth=1
	s_and_not1_saveexec_b32 s41, s41
; %bb.67:                               ;   in Loop: Header=BB592_4 Depth=1
	v_and_b32_e32 v9, 0xffff, v8
	v_or_b32_e32 v10, 0x10000, v8
	s_delay_alu instid0(VALU_DEP_2) | instskip(NEXT) | instid1(VALU_DEP_2)
	v_cmp_eq_u32_e32 vcc_lo, 0, v9
	v_cndmask_b32_e32 v9, v10, v8, vcc_lo
; %bb.68:                               ;   in Loop: Header=BB592_4 Depth=1
	s_or_b32 exec_lo, exec_lo, s41
.LBB592_69:                             ;   in Loop: Header=BB592_4 Depth=1
	s_delay_alu instid0(VALU_DEP_1)
	v_lshrrev_b32_e32 v12, 16, v9
	s_or_b32 s41, s39, exec_lo
.LBB592_70:                             ;   in Loop: Header=BB592_4 Depth=1
	s_or_b32 exec_lo, exec_lo, s40
	s_delay_alu instid0(SALU_CYCLE_1) | instskip(SKIP_1) | instid1(SALU_CYCLE_1)
	s_and_not1_b32 s39, s39, exec_lo
	s_and_b32 s40, s41, exec_lo
	s_or_b32 s39, s39, s40
.LBB592_71:                             ;   in Loop: Header=BB592_4 Depth=1
	s_or_b32 exec_lo, exec_lo, s7
	v_mov_b64_e32 v[8:9], v[4:5]
	s_and_saveexec_b32 s7, s39
	s_cbranch_execz .LBB592_2
	s_branch .LBB592_74
.LBB592_72:                             ;   in Loop: Header=BB592_4 Depth=1
	v_mov_b32_e32 v12, 0
	s_mov_b32 s39, exec_lo
	s_or_b32 exec_lo, exec_lo, s40
	s_delay_alu instid0(SALU_CYCLE_1)
	s_and_b32 vcc_lo, exec_lo, s7
	s_cbranch_vccnz .LBB592_21
.LBB592_73:                             ;   in Loop: Header=BB592_4 Depth=1
	v_mov_b64_e32 v[8:9], v[2:3]
	s_wait_xcnt 0x0
	s_and_saveexec_b32 s7, s39
	s_cbranch_execz .LBB592_2
.LBB592_74:                             ;   in Loop: Header=BB592_4 Depth=1
	s_delay_alu instid0(VALU_DEP_1)
	v_lshl_add_u64 v[6:7], v[8:9], 1, v[6:7]
	flat_store_b16 v[6:7], v12
	s_branch .LBB592_2
.LBB592_75:
	s_endpgm
	.section	.rodata,"a",@progbits
	.p2align	6, 0x0
	.amdhsa_kernel _ZL20rocblas_gemvn_kernelILi32ELi16EiPK16rocblas_bfloat16fKPS0_EviiT3_lPKT2_lT1_lS8_lS9_lS5_lPT4_lS9_li
		.amdhsa_group_segment_fixed_size 8192
		.amdhsa_private_segment_fixed_size 0
		.amdhsa_kernarg_size 400
		.amdhsa_user_sgpr_count 2
		.amdhsa_user_sgpr_dispatch_ptr 0
		.amdhsa_user_sgpr_queue_ptr 0
		.amdhsa_user_sgpr_kernarg_segment_ptr 1
		.amdhsa_user_sgpr_dispatch_id 0
		.amdhsa_user_sgpr_kernarg_preload_length 0
		.amdhsa_user_sgpr_kernarg_preload_offset 0
		.amdhsa_user_sgpr_private_segment_size 0
		.amdhsa_wavefront_size32 1
		.amdhsa_uses_dynamic_stack 0
		.amdhsa_enable_private_segment 0
		.amdhsa_system_sgpr_workgroup_id_x 1
		.amdhsa_system_sgpr_workgroup_id_y 0
		.amdhsa_system_sgpr_workgroup_id_z 1
		.amdhsa_system_sgpr_workgroup_info 0
		.amdhsa_system_vgpr_workitem_id 1
		.amdhsa_next_free_vgpr 61
		.amdhsa_next_free_sgpr 46
		.amdhsa_named_barrier_count 0
		.amdhsa_reserve_vcc 1
		.amdhsa_float_round_mode_32 0
		.amdhsa_float_round_mode_16_64 0
		.amdhsa_float_denorm_mode_32 3
		.amdhsa_float_denorm_mode_16_64 3
		.amdhsa_fp16_overflow 0
		.amdhsa_memory_ordered 1
		.amdhsa_forward_progress 1
		.amdhsa_inst_pref_size 30
		.amdhsa_round_robin_scheduling 0
		.amdhsa_exception_fp_ieee_invalid_op 0
		.amdhsa_exception_fp_denorm_src 0
		.amdhsa_exception_fp_ieee_div_zero 0
		.amdhsa_exception_fp_ieee_overflow 0
		.amdhsa_exception_fp_ieee_underflow 0
		.amdhsa_exception_fp_ieee_inexact 0
		.amdhsa_exception_int_div_zero 0
	.end_amdhsa_kernel
	.section	.text._ZL20rocblas_gemvn_kernelILi32ELi16EiPK16rocblas_bfloat16fKPS0_EviiT3_lPKT2_lT1_lS8_lS9_lS5_lPT4_lS9_li,"axG",@progbits,_ZL20rocblas_gemvn_kernelILi32ELi16EiPK16rocblas_bfloat16fKPS0_EviiT3_lPKT2_lT1_lS8_lS9_lS5_lPT4_lS9_li,comdat
.Lfunc_end592:
	.size	_ZL20rocblas_gemvn_kernelILi32ELi16EiPK16rocblas_bfloat16fKPS0_EviiT3_lPKT2_lT1_lS8_lS9_lS5_lPT4_lS9_li, .Lfunc_end592-_ZL20rocblas_gemvn_kernelILi32ELi16EiPK16rocblas_bfloat16fKPS0_EviiT3_lPKT2_lT1_lS8_lS9_lS5_lPT4_lS9_li
                                        ; -- End function
	.set _ZL20rocblas_gemvn_kernelILi32ELi16EiPK16rocblas_bfloat16fKPS0_EviiT3_lPKT2_lT1_lS8_lS9_lS5_lPT4_lS9_li.num_vgpr, 61
	.set _ZL20rocblas_gemvn_kernelILi32ELi16EiPK16rocblas_bfloat16fKPS0_EviiT3_lPKT2_lT1_lS8_lS9_lS5_lPT4_lS9_li.num_agpr, 0
	.set _ZL20rocblas_gemvn_kernelILi32ELi16EiPK16rocblas_bfloat16fKPS0_EviiT3_lPKT2_lT1_lS8_lS9_lS5_lPT4_lS9_li.numbered_sgpr, 46
	.set _ZL20rocblas_gemvn_kernelILi32ELi16EiPK16rocblas_bfloat16fKPS0_EviiT3_lPKT2_lT1_lS8_lS9_lS5_lPT4_lS9_li.num_named_barrier, 0
	.set _ZL20rocblas_gemvn_kernelILi32ELi16EiPK16rocblas_bfloat16fKPS0_EviiT3_lPKT2_lT1_lS8_lS9_lS5_lPT4_lS9_li.private_seg_size, 0
	.set _ZL20rocblas_gemvn_kernelILi32ELi16EiPK16rocblas_bfloat16fKPS0_EviiT3_lPKT2_lT1_lS8_lS9_lS5_lPT4_lS9_li.uses_vcc, 1
	.set _ZL20rocblas_gemvn_kernelILi32ELi16EiPK16rocblas_bfloat16fKPS0_EviiT3_lPKT2_lT1_lS8_lS9_lS5_lPT4_lS9_li.uses_flat_scratch, 1
	.set _ZL20rocblas_gemvn_kernelILi32ELi16EiPK16rocblas_bfloat16fKPS0_EviiT3_lPKT2_lT1_lS8_lS9_lS5_lPT4_lS9_li.has_dyn_sized_stack, 0
	.set _ZL20rocblas_gemvn_kernelILi32ELi16EiPK16rocblas_bfloat16fKPS0_EviiT3_lPKT2_lT1_lS8_lS9_lS5_lPT4_lS9_li.has_recursion, 0
	.set _ZL20rocblas_gemvn_kernelILi32ELi16EiPK16rocblas_bfloat16fKPS0_EviiT3_lPKT2_lT1_lS8_lS9_lS5_lPT4_lS9_li.has_indirect_call, 0
	.section	.AMDGPU.csdata,"",@progbits
; Kernel info:
; codeLenInByte = 3784
; TotalNumSgprs: 48
; NumVgprs: 61
; ScratchSize: 0
; MemoryBound: 0
; FloatMode: 240
; IeeeMode: 1
; LDSByteSize: 8192 bytes/workgroup (compile time only)
; SGPRBlocks: 0
; VGPRBlocks: 3
; NumSGPRsForWavesPerEU: 48
; NumVGPRsForWavesPerEU: 61
; NamedBarCnt: 0
; Occupancy: 16
; WaveLimiterHint : 1
; COMPUTE_PGM_RSRC2:SCRATCH_EN: 0
; COMPUTE_PGM_RSRC2:USER_SGPR: 2
; COMPUTE_PGM_RSRC2:TRAP_HANDLER: 0
; COMPUTE_PGM_RSRC2:TGID_X_EN: 1
; COMPUTE_PGM_RSRC2:TGID_Y_EN: 0
; COMPUTE_PGM_RSRC2:TGID_Z_EN: 1
; COMPUTE_PGM_RSRC2:TIDIG_COMP_CNT: 1
	.section	.text._ZL20rocblas_gemvn_kernelILi32ELi16ElPK16rocblas_bfloat16fKPS0_EviiT3_lPKT2_lT1_lS8_lS9_lS5_lPT4_lS9_li,"axG",@progbits,_ZL20rocblas_gemvn_kernelILi32ELi16ElPK16rocblas_bfloat16fKPS0_EviiT3_lPKT2_lT1_lS8_lS9_lS5_lPT4_lS9_li,comdat
	.globl	_ZL20rocblas_gemvn_kernelILi32ELi16ElPK16rocblas_bfloat16fKPS0_EviiT3_lPKT2_lT1_lS8_lS9_lS5_lPT4_lS9_li ; -- Begin function _ZL20rocblas_gemvn_kernelILi32ELi16ElPK16rocblas_bfloat16fKPS0_EviiT3_lPKT2_lT1_lS8_lS9_lS5_lPT4_lS9_li
	.p2align	8
	.type	_ZL20rocblas_gemvn_kernelILi32ELi16ElPK16rocblas_bfloat16fKPS0_EviiT3_lPKT2_lT1_lS8_lS9_lS5_lPT4_lS9_li,@function
_ZL20rocblas_gemvn_kernelILi32ELi16ElPK16rocblas_bfloat16fKPS0_EviiT3_lPKT2_lT1_lS8_lS9_lS5_lPT4_lS9_li: ; @_ZL20rocblas_gemvn_kernelILi32ELi16ElPK16rocblas_bfloat16fKPS0_EviiT3_lPKT2_lT1_lS8_lS9_lS5_lPT4_lS9_li
; %bb.0:
	s_clause 0x1
	s_load_b64 s[2:3], s[0:1], 0x9c
	s_load_b32 s27, s[0:1], 0x88
	s_bfe_u32 s4, ttmp6, 0x40014
	s_lshr_b32 s5, ttmp7, 16
	s_add_co_i32 s4, s4, 1
	s_bfe_u32 s6, ttmp6, 0x40008
	s_mul_i32 s7, s5, s4
	s_getreg_b32 s4, hwreg(HW_REG_IB_STS2, 6, 4)
	s_add_co_i32 s6, s6, s7
	s_mov_b32 s11, 0
	s_wait_kmcnt 0x0
	s_lshr_b32 s7, s2, 16
	s_and_b32 s2, s2, 0xffff
	s_and_b32 s3, s3, 0xffff
	s_mul_i32 s2, s7, s2
	s_cmp_eq_u32 s4, 0
	s_mul_i32 s2, s2, s3
	s_cselect_b32 s10, s5, s6
	s_cmp_lg_u32 s2, 0x200
	s_cselect_b32 s2, -1, 0
	s_cmp_ge_u32 s10, s27
	s_cselect_b32 s3, -1, 0
	s_delay_alu instid0(SALU_CYCLE_1) | instskip(NEXT) | instid1(SALU_CYCLE_1)
	s_or_b32 s2, s2, s3
	s_and_b32 vcc_lo, exec_lo, s2
	s_cbranch_vccnz .LBB593_75
; %bb.1:
	s_clause 0x7
	s_load_b96 s[24:26], s[0:1], 0x0
	s_load_b32 s33, s[0:1], 0x58
	s_load_b64 s[28:29], s[0:1], 0x48
	s_load_b64 s[30:31], s[0:1], 0x28
	s_load_b128 s[12:15], s[0:1], 0x18
	s_load_b128 s[16:19], s[0:1], 0x38
	s_load_b64 s[2:3], s[0:1], 0x78
	s_load_b128 s[20:23], s[0:1], 0x68
	v_bfe_u32 v4, v0, 10, 10
	v_and_b32_e32 v14, 0x3ff, v0
	s_delay_alu instid0(VALU_DEP_2) | instskip(NEXT) | instid1(VALU_DEP_2)
	v_dual_mov_b32 v1, 0 :: v_dual_lshlrev_b32 v52, 2, v4
	v_lshl_add_u32 v15, v4, 5, v14
	s_delay_alu instid0(VALU_DEP_2) | instskip(NEXT) | instid1(VALU_DEP_1)
	v_dual_mov_b32 v5, v1 :: v_dual_lshlrev_b32 v16, 2, v14
	v_lshl_add_u32 v54, v4, 9, v16
	s_wait_kmcnt 0x0
	s_cmp_eq_f32 s26, 0
	v_lshl_add_u32 v55, v4, 7, v16
	v_mad_nc_u64_u32 v[6:7], s28, v52, s[28:29]
	v_mad_nc_u64_u32 v[8:9], s30, v52, s[30:31]
	s_cselect_b32 s38, -1, 0
	s_cmp_neq_f32 s33, 1.0
	v_mul_u64_e32 v[10:11], s[28:29], v[4:5]
	v_mul_u64_e32 v[12:13], s[30:31], v[4:5]
	s_cselect_b32 s0, -1, 0
	s_cmp_neq_f32 s26, 0
	s_delay_alu instid0(VALU_DEP_4)
	v_mad_u32 v7, s29, v52, v7
	s_cselect_b32 s1, -1, 0
	s_bfe_u32 s5, ttmp6, 0x4000c
	s_and_b32 s6, ttmp6, 15
	s_add_co_i32 s5, s5, 1
	s_or_b32 s39, s1, s0
	s_mul_i32 s5, ttmp9, s5
	v_cndmask_b32_e64 v53, 0, 1, s1
	s_add_co_i32 s6, s6, s5
	s_cmp_eq_u32 s4, 0
	s_mov_b32 s0, s24
	s_cselect_b32 s1, ttmp9, s6
	v_mad_u32 v9, s31, v52, v9
	s_lshl_b32 s4, s1, 7
	s_ashr_i32 s1, s24, 31
	v_dual_add_nc_u32 v0, s4, v15 :: v_dual_add_nc_u32 v14, s4, v14
	v_or_b32_e32 v20, s4, v15
	v_lshlrev_b64_e32 v[4:5], 1, v[6:7]
	s_cmp_neq_f32 s33, 0
	s_delay_alu instid0(VALU_DEP_3)
	v_cmp_gt_i64_e32 vcc_lo, s[0:1], v[0:1]
	v_mul_u64_e32 v[2:3], s[2:3], v[0:1]
	v_or_b32_e32 v0, 3, v52
	v_cmp_gt_u32_e64 s0, 0x80, v15
	v_dual_ashrrev_i32 v15, 31, v14 :: v_dual_add_nc_u32 v26, 64, v14
	v_lshlrev_b64_e32 v[6:7], 1, v[8:9]
	s_delay_alu instid0(VALU_DEP_4)
	v_mul_u64_e32 v[16:17], s[30:31], v[0:1]
	v_mul_u64_e32 v[18:19], s[28:29], v[0:1]
	v_or_b32_e32 v0, 2, v52
	s_cselect_b32 s40, -1, 0
	s_cmp_eq_f32 s33, 0
	v_cmp_gt_i32_e64 s1, s24, v14
	v_lshlrev_b64_e32 v[10:11], 3, v[10:11]
	v_mul_u64_e32 v[22:23], s[30:31], v[0:1]
	v_mul_u64_e32 v[24:25], s[28:29], v[0:1]
	v_dual_add_nc_u32 v0, 32, v14 :: v_dual_ashrrev_i32 v21, 31, v20
	s_cselect_b32 s41, -1, 0
	v_lshlrev_b64_e32 v[12:13], 3, v[12:13]
	s_delay_alu instid0(VALU_DEP_2)
	v_mul_u64_e32 v[8:9], s[2:3], v[20:21]
	s_ashr_i32 s3, s25, 31
	v_add_nc_u32_e32 v21, 0x60, v14
	s_lshr_b32 s4, s3, 26
	v_cmp_gt_i32_e64 s2, s24, v20
	s_add_co_i32 s42, s25, s4
	v_lshlrev_b64_e32 v[14:15], 1, v[14:15]
	s_and_not1_b32 s42, s42, 63
	v_cmp_gt_i32_e64 s5, s24, v21
	s_sub_co_i32 s6, s25, s42
	v_cmp_gt_i32_e64 s3, s24, v0
	v_cmp_gt_i32_e64 s4, s24, v26
	s_cmp_gt_i32 s6, 0
	v_cmp_gt_i32_e64 s6, s42, v52
	s_cselect_b32 s24, -1, 0
	s_and_b32 s43, s0, vcc_lo
	s_lshl_b64 s[34:35], s[28:29], 7
	v_lshlrev_b64_e32 v[16:17], 1, v[16:17]
	v_lshlrev_b64_e32 v[18:19], 1, v[18:19]
	s_lshl_b64 s[36:37], s[30:31], 7
	s_lshl_b64 s[14:15], s[14:15], 1
	s_lshl_b64 s[18:19], s[18:19], 1
	s_lshl_b64 s[22:23], s[22:23], 1
	v_lshlrev_b64_e32 v[20:21], 1, v[22:23]
	v_lshlrev_b64_e32 v[22:23], 1, v[24:25]
	s_branch .LBB593_4
.LBB593_2:                              ;   in Loop: Header=BB593_4 Depth=1
	s_wait_xcnt 0x0
	s_or_b32 exec_lo, exec_lo, s7
.LBB593_3:                              ;   in Loop: Header=BB593_4 Depth=1
	s_add_co_i32 s10, s10, 0x10000
	s_delay_alu instid0(SALU_CYCLE_1)
	s_cmp_lt_u32 s10, s27
	s_cbranch_scc0 .LBB593_75
.LBB593_4:                              ; =>This Loop Header: Depth=1
                                        ;     Child Loop BB593_27 Depth 2
	s_and_not1_b32 vcc_lo, exec_lo, s39
	s_cbranch_vccnz .LBB593_3
; %bb.5:                                ;   in Loop: Header=BB593_4 Depth=1
	s_and_not1_b32 vcc_lo, exec_lo, s38
	s_cbranch_vccnz .LBB593_7
; %bb.6:                                ;   in Loop: Header=BB593_4 Depth=1
	v_mov_b64_e32 v[28:29], 0
	v_mov_b64_e32 v[26:27], 0
	s_cbranch_execz .LBB593_8
	s_branch .LBB593_9
.LBB593_7:                              ;   in Loop: Header=BB593_4 Depth=1
	v_mov_b64_e32 v[28:29], 0
	v_mov_b64_e32 v[26:27], 0
.LBB593_8:                              ;   in Loop: Header=BB593_4 Depth=1
	s_lshl_b64 s[8:9], s[10:11], 3
	s_delay_alu instid0(SALU_CYCLE_1)
	s_add_nc_u64 s[8:9], s[12:13], s[8:9]
	global_load_b64 v[24:25], v1, s[8:9]
	s_wait_loadcnt 0x0
	v_add_nc_u64_e32 v[26:27], s[14:15], v[24:25]
.LBB593_9:                              ;   in Loop: Header=BB593_4 Depth=1
	v_cmp_ne_u32_e32 vcc_lo, 1, v53
	s_cbranch_vccnz .LBB593_11
; %bb.10:                               ;   in Loop: Header=BB593_4 Depth=1
	s_wait_xcnt 0x0
	s_lshl_b64 s[8:9], s[10:11], 3
	s_delay_alu instid0(SALU_CYCLE_1)
	s_add_nc_u64 s[8:9], s[16:17], s[8:9]
	global_load_b64 v[24:25], v1, s[8:9]
	s_wait_loadcnt 0x0
	v_add_nc_u64_e32 v[28:29], s[18:19], v[24:25]
.LBB593_11:                             ;   in Loop: Header=BB593_4 Depth=1
	s_wait_xcnt 0x0
	s_lshl_b64 s[8:9], s[10:11], 3
	s_and_not1_b32 vcc_lo, exec_lo, s38
	s_add_nc_u64 s[8:9], s[20:21], s[8:9]
	global_load_b64 v[24:25], v1, s[8:9]
	s_wait_loadcnt 0x0
	v_add_nc_u64_e32 v[24:25], s[22:23], v[24:25]
	s_cbranch_vccnz .LBB593_19
; %bb.12:                               ;   in Loop: Header=BB593_4 Depth=1
	s_mov_b32 s7, 0
	s_mov_b32 s44, 0
                                        ; implicit-def: $vgpr0
	s_wait_xcnt 0x0
	s_and_saveexec_b32 s8, s43
	s_cbranch_execz .LBB593_20
; %bb.13:                               ;   in Loop: Header=BB593_4 Depth=1
	s_and_not1_b32 vcc_lo, exec_lo, s40
	s_cbranch_vccnz .LBB593_72
; %bb.14:                               ;   in Loop: Header=BB593_4 Depth=1
	v_lshl_add_u64 v[30:31], v[2:3], 1, v[24:25]
	flat_load_u16 v0, v[30:31]
	s_wait_loadcnt_dscnt 0x0
	v_lshlrev_b32_e32 v0, 16, v0
	s_delay_alu instid0(VALU_DEP_1) | instskip(SKIP_1) | instid1(VALU_DEP_1)
	v_mul_f32_e32 v0, s33, v0
	s_wait_xcnt 0x0
	v_and_b32_e32 v30, 0x7f800000, v0
	s_delay_alu instid0(VALU_DEP_1) | instskip(SKIP_1) | instid1(SALU_CYCLE_1)
	v_cmp_ne_u32_e32 vcc_lo, 0x7f800000, v30
                                        ; implicit-def: $vgpr30
	s_and_saveexec_b32 s9, vcc_lo
	s_xor_b32 s9, exec_lo, s9
; %bb.15:                               ;   in Loop: Header=BB593_4 Depth=1
	v_bfe_u32 v30, v0, 16, 1
	s_delay_alu instid0(VALU_DEP_1)
	v_add3_u32 v30, v0, v30, 0x7fff
                                        ; implicit-def: $vgpr0
; %bb.16:                               ;   in Loop: Header=BB593_4 Depth=1
	s_and_not1_saveexec_b32 s9, s9
; %bb.17:                               ;   in Loop: Header=BB593_4 Depth=1
	v_and_b32_e32 v30, 0xffff, v0
	v_or_b32_e32 v31, 0x10000, v0
	s_delay_alu instid0(VALU_DEP_2) | instskip(NEXT) | instid1(VALU_DEP_2)
	v_cmp_eq_u32_e32 vcc_lo, 0, v30
	v_cndmask_b32_e32 v30, v31, v0, vcc_lo
; %bb.18:                               ;   in Loop: Header=BB593_4 Depth=1
	s_or_b32 exec_lo, exec_lo, s9
	s_delay_alu instid0(VALU_DEP_1) | instskip(SKIP_2) | instid1(SALU_CYCLE_1)
	v_lshrrev_b32_e32 v0, 16, v30
	s_mov_b32 s44, exec_lo
	s_or_b32 exec_lo, exec_lo, s8
	s_and_b32 vcc_lo, exec_lo, s7
	s_cbranch_vccnz .LBB593_21
	s_branch .LBB593_73
.LBB593_19:                             ;   in Loop: Header=BB593_4 Depth=1
	s_mov_b32 s44, 0
                                        ; implicit-def: $vgpr0
	s_cbranch_execnz .LBB593_21
	s_branch .LBB593_73
.LBB593_20:                             ;   in Loop: Header=BB593_4 Depth=1
	s_or_b32 exec_lo, exec_lo, s8
	s_delay_alu instid0(SALU_CYCLE_1)
	s_and_b32 vcc_lo, exec_lo, s7
	s_cbranch_vccz .LBB593_73
.LBB593_21:                             ;   in Loop: Header=BB593_4 Depth=1
	v_dual_mov_b32 v56, 0 :: v_dual_mov_b32 v0, v52
	v_dual_mov_b32 v57, 0 :: v_dual_mov_b32 v58, 0
	v_mov_b32_e32 v59, 0
	s_wait_xcnt 0x0
	s_and_saveexec_b32 s7, s6
	s_cbranch_execz .LBB593_33
; %bb.22:                               ;   in Loop: Header=BB593_4 Depth=1
	v_add_nc_u64_e32 v[30:31], v[26:27], v[16:17]
	v_add_nc_u64_e32 v[32:33], v[26:27], v[12:13]
	;; [unrolled: 1-line block ×4, first 2 shown]
	v_mov_b64_e32 v[38:39], v[28:29]
	v_dual_mov_b32 v56, 0 :: v_dual_mov_b32 v0, v52
	v_dual_mov_b32 v57, 0 :: v_dual_mov_b32 v58, 0
	v_mov_b32_e32 v59, 0
	s_mov_b32 s8, 0
	s_branch .LBB593_27
.LBB593_23:                             ;   in Loop: Header=BB593_27 Depth=2
	s_or_b32 exec_lo, exec_lo, s47
	s_wait_loadcnt_dscnt 0x202
	v_dual_lshlrev_b32 v45, 16, v71 :: v_dual_lshlrev_b32 v44, 16, v70
	s_delay_alu instid0(VALU_DEP_1) | instskip(SKIP_1) | instid1(VALU_DEP_1)
	v_pk_mul_f32 v[44:45], v[42:43], v[44:45]
	s_wait_loadcnt_dscnt 0x0
	v_dual_add_f32 v44, v58, v44 :: v_dual_lshlrev_b32 v47, 16, v69
	s_delay_alu instid0(VALU_DEP_1) | instskip(NEXT) | instid1(VALU_DEP_1)
	v_dual_lshlrev_b32 v46, 16, v68 :: v_dual_add_f32 v48, v44, v45
	v_pk_mul_f32 v[44:45], v[40:41], v[46:47]
	s_delay_alu instid0(VALU_DEP_1) | instskip(NEXT) | instid1(VALU_DEP_1)
	v_add_f32_e32 v44, v48, v44
	v_add_f32_e32 v58, v44, v45
.LBB593_24:                             ;   in Loop: Header=BB593_27 Depth=2
	s_or_b32 exec_lo, exec_lo, s46
	s_wait_loadcnt_dscnt 0x202
	v_dual_lshlrev_b32 v45, 16, v67 :: v_dual_lshlrev_b32 v44, 16, v66
	s_delay_alu instid0(VALU_DEP_1) | instskip(SKIP_1) | instid1(VALU_DEP_1)
	v_pk_mul_f32 v[44:45], v[42:43], v[44:45]
	s_wait_loadcnt_dscnt 0x0
	v_dual_add_f32 v44, v57, v44 :: v_dual_lshlrev_b32 v47, 16, v65
	s_delay_alu instid0(VALU_DEP_1) | instskip(NEXT) | instid1(VALU_DEP_1)
	v_dual_lshlrev_b32 v46, 16, v64 :: v_dual_add_f32 v48, v44, v45
	v_pk_mul_f32 v[44:45], v[40:41], v[46:47]
	s_delay_alu instid0(VALU_DEP_1) | instskip(NEXT) | instid1(VALU_DEP_1)
	v_add_f32_e32 v44, v48, v44
	v_add_f32_e32 v57, v44, v45
.LBB593_25:                             ;   in Loop: Header=BB593_27 Depth=2
	s_or_b32 exec_lo, exec_lo, s45
	s_wait_loadcnt_dscnt 0x202
	v_dual_lshlrev_b32 v45, 16, v63 :: v_dual_lshlrev_b32 v44, 16, v62
	s_delay_alu instid0(VALU_DEP_1) | instskip(SKIP_1) | instid1(VALU_DEP_1)
	v_pk_mul_f32 v[42:43], v[42:43], v[44:45]
	s_wait_loadcnt_dscnt 0x0
	v_dual_add_f32 v42, v56, v42 :: v_dual_lshlrev_b32 v45, 16, v61
	s_delay_alu instid0(VALU_DEP_1) | instskip(NEXT) | instid1(VALU_DEP_1)
	v_dual_lshlrev_b32 v44, 16, v60 :: v_dual_add_f32 v42, v42, v43
	v_pk_mul_f32 v[40:41], v[40:41], v[44:45]
	s_delay_alu instid0(VALU_DEP_1) | instskip(NEXT) | instid1(VALU_DEP_1)
	v_add_f32_e32 v40, v42, v40
	v_add_f32_e32 v56, v40, v41
.LBB593_26:                             ;   in Loop: Header=BB593_27 Depth=2
	s_or_b32 exec_lo, exec_lo, s9
	v_add_nc_u32_e32 v0, 64, v0
	v_add_nc_u64_e32 v[38:39], s[34:35], v[38:39]
	v_add_nc_u64_e32 v[30:31], s[36:37], v[30:31]
	;; [unrolled: 1-line block ×4, first 2 shown]
	v_cmp_le_i32_e32 vcc_lo, s42, v0
	v_add_nc_u64_e32 v[36:37], s[36:37], v[36:37]
	s_or_b32 s8, vcc_lo, s8
	s_delay_alu instid0(SALU_CYCLE_1)
	s_and_not1_b32 exec_lo, exec_lo, s8
	s_cbranch_execz .LBB593_32
.LBB593_27:                             ;   Parent Loop BB593_4 Depth=1
                                        ; =>  This Inner Loop Header: Depth=2
	s_and_saveexec_b32 s9, s1
	s_cbranch_execz .LBB593_26
; %bb.28:                               ;   in Loop: Header=BB593_27 Depth=2
	v_add_nc_u64_e32 v[42:43], v[38:39], v[4:5]
	v_add_nc_u64_e32 v[40:41], v[38:39], v[10:11]
	;; [unrolled: 1-line block ×8, first 2 shown]
	s_clause 0x3
	flat_load_u16 v68, v[42:43]
	flat_load_u16 v69, v[40:41]
	;; [unrolled: 1-line block ×8, first 2 shown]
	s_wait_loadcnt_dscnt 0x606
	s_wait_xcnt 0x7
	v_dual_lshlrev_b32 v43, 16, v68 :: v_dual_lshlrev_b32 v42, 16, v69
	s_wait_loadcnt_dscnt 0x404
	s_wait_xcnt 0x6
	v_dual_lshlrev_b32 v41, 16, v70 :: v_dual_lshlrev_b32 v40, 16, v71
	s_wait_xcnt 0x0
	s_and_saveexec_b32 s45, s3
	s_cbranch_execz .LBB593_25
; %bb.29:                               ;   in Loop: Header=BB593_27 Depth=2
	flat_load_u16 v66, v[46:47] offset:64
	flat_load_u16 v67, v[44:45] offset:64
	flat_load_u16 v64, v[48:49] offset:64
	flat_load_u16 v65, v[50:51] offset:64
	s_wait_xcnt 0x0
	s_and_saveexec_b32 s46, s4
	s_cbranch_execz .LBB593_24
; %bb.30:                               ;   in Loop: Header=BB593_27 Depth=2
	flat_load_u16 v70, v[46:47] offset:128
	flat_load_u16 v71, v[44:45] offset:128
	flat_load_u16 v68, v[48:49] offset:128
	flat_load_u16 v69, v[50:51] offset:128
	;; [unrolled: 8-line block ×3, first 2 shown]
	s_wait_loadcnt_dscnt 0x202
	s_wait_xcnt 0x3
	v_dual_lshlrev_b32 v45, 16, v72 :: v_dual_lshlrev_b32 v44, 16, v73
	s_delay_alu instid0(VALU_DEP_1) | instskip(SKIP_2) | instid1(VALU_DEP_1)
	v_pk_mul_f32 v[44:45], v[42:43], v[44:45]
	s_wait_loadcnt_dscnt 0x101
	s_wait_xcnt 0x2
	v_dual_add_f32 v44, v59, v44 :: v_dual_lshlrev_b32 v47, 16, v74
	s_wait_loadcnt_dscnt 0x0
	s_wait_xcnt 0x0
	s_delay_alu instid0(VALU_DEP_1) | instskip(NEXT) | instid1(VALU_DEP_1)
	v_dual_lshlrev_b32 v46, 16, v75 :: v_dual_add_f32 v48, v44, v45
	v_pk_mul_f32 v[44:45], v[40:41], v[46:47]
	s_delay_alu instid0(VALU_DEP_1) | instskip(NEXT) | instid1(VALU_DEP_1)
	v_add_f32_e32 v44, v48, v44
	v_add_f32_e32 v59, v44, v45
	s_branch .LBB593_23
.LBB593_32:                             ;   in Loop: Header=BB593_4 Depth=1
	s_or_b32 exec_lo, exec_lo, s8
.LBB593_33:                             ;   in Loop: Header=BB593_4 Depth=1
	s_delay_alu instid0(SALU_CYCLE_1) | instskip(NEXT) | instid1(SALU_CYCLE_1)
	s_or_b32 exec_lo, exec_lo, s7
	s_and_not1_b32 vcc_lo, exec_lo, s24
	s_cbranch_vccnz .LBB593_51
; %bb.34:                               ;   in Loop: Header=BB593_4 Depth=1
	v_dual_mov_b32 v30, 0 :: v_dual_bitop2_b32 v34, 1, v0 bitop3:0x54
	v_cmp_gt_i32_e32 vcc_lo, s25, v0
	s_delay_alu instid0(VALU_DEP_2)
	v_dual_mov_b32 v31, v30 :: v_dual_mov_b32 v32, v30
	v_mov_b32_e32 v33, v30
	s_and_saveexec_b32 s8, vcc_lo
	s_cbranch_execz .LBB593_42
; %bb.35:                               ;   in Loop: Header=BB593_4 Depth=1
	v_mul_u64_e32 v[30:31], s[28:29], v[0:1]
	v_mov_b32_e32 v33, 0
	s_mov_b32 s9, exec_lo
	s_delay_alu instid0(VALU_DEP_2)
	v_lshl_add_u64 v[30:31], v[30:31], 1, v[28:29]
	flat_load_u16 v36, v[30:31]
	s_wait_xcnt 0x0
	v_dual_mov_b32 v31, 0 :: v_dual_mov_b32 v30, 0
	v_cmpx_gt_i32_e64 s25, v34
	s_cbranch_execz .LBB593_41
; %bb.36:                               ;   in Loop: Header=BB593_4 Depth=1
	v_dual_mov_b32 v35, v1 :: v_dual_bitop2_b32 v32, 2, v0 bitop3:0x54
	s_mov_b32 s45, exec_lo
	s_delay_alu instid0(VALU_DEP_1) | instskip(NEXT) | instid1(VALU_DEP_1)
	v_mul_u64_e32 v[30:31], s[28:29], v[34:35]
	v_lshl_add_u64 v[30:31], v[30:31], 1, v[28:29]
	flat_load_u16 v35, v[30:31]
	s_wait_xcnt 0x0
	v_dual_mov_b32 v31, 0 :: v_dual_mov_b32 v30, 0
	v_cmpx_gt_i32_e64 s25, v32
	s_cbranch_execz .LBB593_40
; %bb.37:                               ;   in Loop: Header=BB593_4 Depth=1
	v_mov_b32_e32 v33, v1
	s_mov_b32 s46, exec_lo
	s_delay_alu instid0(VALU_DEP_1) | instskip(NEXT) | instid1(VALU_DEP_1)
	v_mul_u64_e32 v[30:31], s[28:29], v[32:33]
	v_lshl_add_u64 v[30:31], v[30:31], 1, v[28:29]
	flat_load_u16 v32, v[30:31]
	s_wait_xcnt 0x0
	v_dual_mov_b32 v31, 0 :: v_dual_bitop2_b32 v30, 3, v0 bitop3:0x54
	s_delay_alu instid0(VALU_DEP_1)
	v_cmpx_gt_i32_e64 s25, v30
	s_cbranch_execz .LBB593_39
; %bb.38:                               ;   in Loop: Header=BB593_4 Depth=1
	v_mov_b32_e32 v31, v1
	s_delay_alu instid0(VALU_DEP_1) | instskip(NEXT) | instid1(VALU_DEP_1)
	v_mul_u64_e32 v[30:31], s[28:29], v[30:31]
	v_lshl_add_u64 v[28:29], v[30:31], 1, v[28:29]
	flat_load_u16 v28, v[28:29]
	s_wait_loadcnt_dscnt 0x0
	v_lshlrev_b32_e32 v31, 16, v28
.LBB593_39:                             ;   in Loop: Header=BB593_4 Depth=1
	s_wait_xcnt 0x0
	s_or_b32 exec_lo, exec_lo, s46
	s_wait_loadcnt_dscnt 0x0
	v_lshlrev_b32_e32 v30, 16, v32
.LBB593_40:                             ;   in Loop: Header=BB593_4 Depth=1
	s_or_b32 exec_lo, exec_lo, s45
	s_wait_loadcnt_dscnt 0x0
	v_lshlrev_b32_e32 v33, 16, v35
.LBB593_41:                             ;   in Loop: Header=BB593_4 Depth=1
	s_or_b32 exec_lo, exec_lo, s9
	s_wait_loadcnt_dscnt 0x0
	v_lshlrev_b32_e32 v32, 16, v36
.LBB593_42:                             ;   in Loop: Header=BB593_4 Depth=1
	s_or_b32 exec_lo, exec_lo, s8
	s_and_saveexec_b32 s45, s1
	s_cbranch_execz .LBB593_50
; %bb.43:                               ;   in Loop: Header=BB593_4 Depth=1
	v_dual_mov_b32 v35, v1 :: v_dual_bitop2_b32 v28, 2, v0 bitop3:0x54
	v_mov_b32_e32 v29, v1
	v_mul_u64_e32 v[36:37], s[30:31], v[0:1]
	v_or_b32_e32 v0, 3, v0
	s_delay_alu instid0(VALU_DEP_4)
	v_mul_u64_e32 v[38:39], s[30:31], v[34:35]
	v_cmp_gt_i32_e64 s7, s25, v34
	v_mul_u64_e32 v[40:41], s[30:31], v[28:29]
	v_cmp_gt_i32_e64 s8, s25, v28
	;; [unrolled: 2-line block ×3, first 2 shown]
	v_dual_cndmask_b32 v29, 0, v37 :: v_dual_cndmask_b32 v28, 0, v36
	v_dual_cndmask_b32 v35, 0, v39, s7 :: v_dual_cndmask_b32 v34, 0, v38, s7
	v_dual_cndmask_b32 v39, 0, v41, s8 :: v_dual_cndmask_b32 v38, 0, v40, s8
	s_delay_alu instid0(VALU_DEP_4) | instskip(NEXT) | instid1(VALU_DEP_3)
	v_dual_cndmask_b32 v41, 0, v43, s9 :: v_dual_cndmask_b32 v40, 0, v42, s9
	v_lshl_add_u64 v[34:35], v[34:35], 1, v[26:27]
	s_delay_alu instid0(VALU_DEP_3) | instskip(NEXT) | instid1(VALU_DEP_3)
	v_lshl_add_u64 v[36:37], v[38:39], 1, v[26:27]
	v_lshl_add_u64 v[38:39], v[40:41], 1, v[26:27]
	;; [unrolled: 1-line block ×3, first 2 shown]
	s_delay_alu instid0(VALU_DEP_4) | instskip(NEXT) | instid1(VALU_DEP_4)
	v_add_nc_u64_e32 v[26:27], v[34:35], v[14:15]
	v_add_nc_u64_e32 v[34:35], v[36:37], v[14:15]
	s_delay_alu instid0(VALU_DEP_4) | instskip(NEXT) | instid1(VALU_DEP_4)
	v_add_nc_u64_e32 v[28:29], v[38:39], v[14:15]
	v_add_nc_u64_e32 v[36:37], v[40:41], v[14:15]
	s_clause 0x3
	flat_load_u16 v39, v[26:27]
	flat_load_u16 v0, v[34:35]
	;; [unrolled: 1-line block ×4, first 2 shown]
	s_wait_xcnt 0x0
	s_and_saveexec_b32 s7, s3
	s_cbranch_execz .LBB593_49
; %bb.44:                               ;   in Loop: Header=BB593_4 Depth=1
	s_clause 0x3
	flat_load_u16 v43, v[36:37] offset:64
	flat_load_u16 v44, v[26:27] offset:64
	flat_load_u16 v41, v[34:35] offset:64
	flat_load_u16 v42, v[28:29] offset:64
	s_wait_xcnt 0x0
	s_and_saveexec_b32 s8, s4
	s_cbranch_execz .LBB593_48
; %bb.45:                               ;   in Loop: Header=BB593_4 Depth=1
	s_clause 0x3
	flat_load_u16 v47, v[36:37] offset:128
	flat_load_u16 v48, v[26:27] offset:128
	flat_load_u16 v45, v[34:35] offset:128
	flat_load_u16 v46, v[28:29] offset:128
	;; [unrolled: 9-line block ×3, first 2 shown]
	s_wait_loadcnt_dscnt 0x202
	s_wait_xcnt 0x3
	v_dual_lshlrev_b32 v27, 16, v49 :: v_dual_lshlrev_b32 v26, 16, v50
	s_delay_alu instid0(VALU_DEP_1) | instskip(SKIP_2) | instid1(VALU_DEP_1)
	v_pk_mul_f32 v[26:27], v[32:33], v[26:27]
	s_wait_loadcnt_dscnt 0x101
	s_wait_xcnt 0x1
	v_dual_add_f32 v26, v59, v26 :: v_dual_lshlrev_b32 v29, 16, v51
	s_wait_loadcnt_dscnt 0x0
	s_wait_xcnt 0x0
	s_delay_alu instid0(VALU_DEP_1) | instskip(NEXT) | instid1(VALU_DEP_1)
	v_dual_lshlrev_b32 v28, 16, v60 :: v_dual_add_f32 v34, v26, v27
	v_pk_mul_f32 v[26:27], v[30:31], v[28:29]
	s_delay_alu instid0(VALU_DEP_1) | instskip(NEXT) | instid1(VALU_DEP_1)
	v_add_f32_e32 v26, v34, v26
	v_add_f32_e32 v59, v26, v27
.LBB593_47:                             ;   in Loop: Header=BB593_4 Depth=1
	s_or_b32 exec_lo, exec_lo, s9
	s_wait_loadcnt_dscnt 0x202
	v_dual_lshlrev_b32 v27, 16, v48 :: v_dual_lshlrev_b32 v26, 16, v47
	s_wait_loadcnt_dscnt 0x0
	v_dual_lshlrev_b32 v29, 16, v46 :: v_dual_lshlrev_b32 v28, 16, v45
	s_delay_alu instid0(VALU_DEP_2) | instskip(NEXT) | instid1(VALU_DEP_1)
	v_pk_mul_f32 v[26:27], v[32:33], v[26:27]
	v_add_f32_e32 v26, v58, v26
	s_delay_alu instid0(VALU_DEP_1) | instskip(NEXT) | instid1(VALU_DEP_4)
	v_add_f32_e32 v34, v26, v27
	v_pk_mul_f32 v[26:27], v[30:31], v[28:29]
	s_delay_alu instid0(VALU_DEP_1) | instskip(NEXT) | instid1(VALU_DEP_1)
	v_add_f32_e32 v26, v34, v26
	v_add_f32_e32 v58, v26, v27
.LBB593_48:                             ;   in Loop: Header=BB593_4 Depth=1
	s_or_b32 exec_lo, exec_lo, s8
	s_wait_loadcnt_dscnt 0x202
	v_dual_lshlrev_b32 v27, 16, v44 :: v_dual_lshlrev_b32 v26, 16, v43
	s_wait_loadcnt_dscnt 0x0
	v_dual_lshlrev_b32 v29, 16, v42 :: v_dual_lshlrev_b32 v28, 16, v41
	s_delay_alu instid0(VALU_DEP_2) | instskip(NEXT) | instid1(VALU_DEP_1)
	v_pk_mul_f32 v[26:27], v[32:33], v[26:27]
	v_add_f32_e32 v26, v57, v26
	s_delay_alu instid0(VALU_DEP_1) | instskip(NEXT) | instid1(VALU_DEP_4)
	v_add_f32_e32 v34, v26, v27
	v_pk_mul_f32 v[26:27], v[30:31], v[28:29]
	s_delay_alu instid0(VALU_DEP_1) | instskip(NEXT) | instid1(VALU_DEP_1)
	v_add_f32_e32 v26, v34, v26
	v_add_f32_e32 v57, v26, v27
.LBB593_49:                             ;   in Loop: Header=BB593_4 Depth=1
	s_or_b32 exec_lo, exec_lo, s7
	s_wait_loadcnt_dscnt 0x0
	v_dual_lshlrev_b32 v27, 16, v39 :: v_dual_lshlrev_b32 v26, 16, v40
	v_dual_lshlrev_b32 v29, 16, v38 :: v_dual_lshlrev_b32 v28, 16, v0
	s_delay_alu instid0(VALU_DEP_2) | instskip(NEXT) | instid1(VALU_DEP_1)
	v_pk_mul_f32 v[26:27], v[32:33], v[26:27]
	v_add_f32_e32 v26, v56, v26
	s_delay_alu instid0(VALU_DEP_1) | instskip(NEXT) | instid1(VALU_DEP_4)
	v_add_f32_e32 v0, v26, v27
	v_pk_mul_f32 v[26:27], v[30:31], v[28:29]
	s_delay_alu instid0(VALU_DEP_1) | instskip(NEXT) | instid1(VALU_DEP_1)
	v_add_f32_e32 v0, v0, v26
	v_add_f32_e32 v56, v0, v27
.LBB593_50:                             ;   in Loop: Header=BB593_4 Depth=1
	s_or_b32 exec_lo, exec_lo, s45
.LBB593_51:                             ;   in Loop: Header=BB593_4 Depth=1
	ds_store_2addr_b32 v54, v56, v57 offset1:32
	ds_store_2addr_b32 v54, v58, v59 offset0:64 offset1:96
	s_wait_dscnt 0x0
	s_barrier_signal -1
	s_barrier_wait -1
                                        ; implicit-def: $vgpr0
	s_and_saveexec_b32 s7, s0
	s_cbranch_execz .LBB593_71
; %bb.52:                               ;   in Loop: Header=BB593_4 Depth=1
	ds_load_2addr_stride64_b32 v[26:27], v55 offset1:2
	ds_load_2addr_stride64_b32 v[28:29], v55 offset0:4 offset1:6
	ds_load_2addr_stride64_b32 v[30:31], v55 offset0:8 offset1:10
	s_mov_b32 s9, s44
	s_wait_dscnt 0x2
	v_add_f32_e32 v0, v26, v27
	ds_load_2addr_stride64_b32 v[26:27], v55 offset0:12 offset1:14
	s_wait_dscnt 0x2
	v_add_f32_e32 v0, v28, v0
	s_delay_alu instid0(VALU_DEP_1) | instskip(SKIP_3) | instid1(VALU_DEP_1)
	v_add_f32_e32 v0, v29, v0
	ds_load_2addr_stride64_b32 v[28:29], v55 offset0:16 offset1:18
	s_wait_dscnt 0x2
	v_add_f32_e32 v0, v30, v0
	v_add_f32_e32 v0, v31, v0
	ds_load_2addr_stride64_b32 v[30:31], v55 offset0:20 offset1:22
	s_wait_dscnt 0x2
	v_add_f32_e32 v0, v26, v0
	s_delay_alu instid0(VALU_DEP_1) | instskip(SKIP_3) | instid1(VALU_DEP_1)
	v_add_f32_e32 v0, v27, v0
	ds_load_2addr_stride64_b32 v[26:27], v55 offset0:24 offset1:26
	s_wait_dscnt 0x2
	v_add_f32_e32 v0, v28, v0
	v_add_f32_e32 v0, v29, v0
	ds_load_2addr_stride64_b32 v[28:29], v55 offset0:28 offset1:30
	s_wait_dscnt 0x2
	v_add_f32_e32 v0, v30, v0
	s_delay_alu instid0(VALU_DEP_1) | instskip(SKIP_1) | instid1(VALU_DEP_1)
	v_add_f32_e32 v0, v31, v0
	s_wait_dscnt 0x1
	v_add_f32_e32 v0, v26, v0
	s_delay_alu instid0(VALU_DEP_1) | instskip(SKIP_1) | instid1(VALU_DEP_1)
	v_add_f32_e32 v0, v27, v0
	s_wait_dscnt 0x0
	v_add_f32_e32 v0, v28, v0
	s_delay_alu instid0(VALU_DEP_1)
	v_add_f32_e32 v26, v29, v0
                                        ; implicit-def: $vgpr0
	ds_store_b32 v55, v26
	s_and_saveexec_b32 s8, s2
	s_cbranch_execz .LBB593_70
; %bb.53:                               ;   in Loop: Header=BB593_4 Depth=1
	v_mul_f32_e32 v0, s26, v26
	s_and_b32 vcc_lo, exec_lo, s41
	s_mov_b32 s9, -1
                                        ; implicit-def: $vgpr26
	s_cbranch_vccz .LBB593_59
; %bb.54:                               ;   in Loop: Header=BB593_4 Depth=1
	s_delay_alu instid0(VALU_DEP_1) | instskip(NEXT) | instid1(VALU_DEP_1)
	v_and_b32_e32 v26, 0x7f800000, v0
	v_cmp_ne_u32_e32 vcc_lo, 0x7f800000, v26
                                        ; implicit-def: $vgpr26
	s_and_saveexec_b32 s9, vcc_lo
	s_delay_alu instid0(SALU_CYCLE_1)
	s_xor_b32 s9, exec_lo, s9
; %bb.55:                               ;   in Loop: Header=BB593_4 Depth=1
	v_bfe_u32 v26, v0, 16, 1
	s_delay_alu instid0(VALU_DEP_1)
	v_add3_u32 v26, v0, v26, 0x7fff
; %bb.56:                               ;   in Loop: Header=BB593_4 Depth=1
	s_and_not1_saveexec_b32 s9, s9
; %bb.57:                               ;   in Loop: Header=BB593_4 Depth=1
	v_and_b32_e32 v26, 0xffff, v0
	v_or_b32_e32 v27, 0x10000, v0
	s_delay_alu instid0(VALU_DEP_2) | instskip(NEXT) | instid1(VALU_DEP_2)
	v_cmp_eq_u32_e32 vcc_lo, 0, v26
	v_cndmask_b32_e32 v26, v27, v0, vcc_lo
; %bb.58:                               ;   in Loop: Header=BB593_4 Depth=1
	s_or_b32 exec_lo, exec_lo, s9
	s_mov_b32 s9, 0
.LBB593_59:                             ;   in Loop: Header=BB593_4 Depth=1
	s_delay_alu instid0(SALU_CYCLE_1)
	s_and_not1_b32 vcc_lo, exec_lo, s9
	s_cbranch_vccnz .LBB593_69
; %bb.60:                               ;   in Loop: Header=BB593_4 Depth=1
	v_lshl_add_u64 v[26:27], v[8:9], 1, v[24:25]
	flat_load_u16 v26, v[26:27]
	s_wait_loadcnt_dscnt 0x0
	s_wait_xcnt 0x0
	v_lshlrev_b32_e32 v26, 16, v26
	s_delay_alu instid0(VALU_DEP_1) | instskip(NEXT) | instid1(VALU_DEP_1)
	v_mul_f32_e32 v26, s33, v26
	v_and_b32_e32 v27, 0x7f800000, v26
	s_delay_alu instid0(VALU_DEP_1) | instskip(SKIP_1) | instid1(SALU_CYCLE_1)
	v_cmp_ne_u32_e32 vcc_lo, 0x7f800000, v27
                                        ; implicit-def: $vgpr27
	s_and_saveexec_b32 s9, vcc_lo
	s_xor_b32 s9, exec_lo, s9
; %bb.61:                               ;   in Loop: Header=BB593_4 Depth=1
	v_bfe_u32 v27, v26, 16, 1
	s_delay_alu instid0(VALU_DEP_1)
	v_add3_u32 v27, v26, v27, 0x7fff
                                        ; implicit-def: $vgpr26
; %bb.62:                               ;   in Loop: Header=BB593_4 Depth=1
	s_and_not1_saveexec_b32 s9, s9
; %bb.63:                               ;   in Loop: Header=BB593_4 Depth=1
	v_and_b32_e32 v27, 0xffff, v26
	v_or_b32_e32 v28, 0x10000, v26
	s_delay_alu instid0(VALU_DEP_2) | instskip(NEXT) | instid1(VALU_DEP_2)
	v_cmp_eq_u32_e32 vcc_lo, 0, v27
	v_cndmask_b32_e32 v27, v28, v26, vcc_lo
; %bb.64:                               ;   in Loop: Header=BB593_4 Depth=1
	s_or_b32 exec_lo, exec_lo, s9
	s_delay_alu instid0(VALU_DEP_1) | instskip(NEXT) | instid1(VALU_DEP_1)
	v_and_b32_e32 v26, 0xffff0000, v27
	v_add_f32_e32 v0, v0, v26
	s_delay_alu instid0(VALU_DEP_1) | instskip(NEXT) | instid1(VALU_DEP_1)
	v_and_b32_e32 v26, 0x7f800000, v0
	v_cmp_ne_u32_e32 vcc_lo, 0x7f800000, v26
                                        ; implicit-def: $vgpr26
	s_and_saveexec_b32 s9, vcc_lo
	s_delay_alu instid0(SALU_CYCLE_1)
	s_xor_b32 s9, exec_lo, s9
; %bb.65:                               ;   in Loop: Header=BB593_4 Depth=1
	v_bfe_u32 v26, v0, 16, 1
	s_delay_alu instid0(VALU_DEP_1)
	v_add3_u32 v26, v0, v26, 0x7fff
                                        ; implicit-def: $vgpr0
; %bb.66:                               ;   in Loop: Header=BB593_4 Depth=1
	s_and_not1_saveexec_b32 s9, s9
; %bb.67:                               ;   in Loop: Header=BB593_4 Depth=1
	v_and_b32_e32 v26, 0xffff, v0
	v_or_b32_e32 v27, 0x10000, v0
	s_delay_alu instid0(VALU_DEP_2) | instskip(NEXT) | instid1(VALU_DEP_2)
	v_cmp_eq_u32_e32 vcc_lo, 0, v26
	v_cndmask_b32_e32 v26, v27, v0, vcc_lo
; %bb.68:                               ;   in Loop: Header=BB593_4 Depth=1
	s_or_b32 exec_lo, exec_lo, s9
.LBB593_69:                             ;   in Loop: Header=BB593_4 Depth=1
	s_delay_alu instid0(VALU_DEP_1)
	v_lshrrev_b32_e32 v0, 16, v26
	s_or_b32 s9, s44, exec_lo
.LBB593_70:                             ;   in Loop: Header=BB593_4 Depth=1
	s_or_b32 exec_lo, exec_lo, s8
	s_delay_alu instid0(SALU_CYCLE_1) | instskip(SKIP_1) | instid1(SALU_CYCLE_1)
	s_and_not1_b32 s8, s44, exec_lo
	s_and_b32 s9, s9, exec_lo
	s_or_b32 s44, s8, s9
.LBB593_71:                             ;   in Loop: Header=BB593_4 Depth=1
	s_or_b32 exec_lo, exec_lo, s7
	v_mov_b64_e32 v[26:27], v[8:9]
	s_and_saveexec_b32 s7, s44
	s_cbranch_execz .LBB593_2
	s_branch .LBB593_74
.LBB593_72:                             ;   in Loop: Header=BB593_4 Depth=1
	v_mov_b32_e32 v0, 0
	s_mov_b32 s44, exec_lo
	s_or_b32 exec_lo, exec_lo, s8
	s_delay_alu instid0(SALU_CYCLE_1)
	s_and_b32 vcc_lo, exec_lo, s7
	s_cbranch_vccnz .LBB593_21
.LBB593_73:                             ;   in Loop: Header=BB593_4 Depth=1
	v_mov_b64_e32 v[26:27], v[2:3]
	s_wait_xcnt 0x0
	s_and_saveexec_b32 s7, s44
	s_cbranch_execz .LBB593_2
.LBB593_74:                             ;   in Loop: Header=BB593_4 Depth=1
	s_delay_alu instid0(VALU_DEP_1)
	v_lshl_add_u64 v[24:25], v[26:27], 1, v[24:25]
	flat_store_b16 v[24:25], v0
	s_branch .LBB593_2
.LBB593_75:
	s_sendmsg sendmsg(MSG_DEALLOC_VGPRS)
	s_endpgm
	.section	.rodata,"a",@progbits
	.p2align	6, 0x0
	.amdhsa_kernel _ZL20rocblas_gemvn_kernelILi32ELi16ElPK16rocblas_bfloat16fKPS0_EviiT3_lPKT2_lT1_lS8_lS9_lS5_lPT4_lS9_li
		.amdhsa_group_segment_fixed_size 8192
		.amdhsa_private_segment_fixed_size 0
		.amdhsa_kernarg_size 400
		.amdhsa_user_sgpr_count 2
		.amdhsa_user_sgpr_dispatch_ptr 0
		.amdhsa_user_sgpr_queue_ptr 0
		.amdhsa_user_sgpr_kernarg_segment_ptr 1
		.amdhsa_user_sgpr_dispatch_id 0
		.amdhsa_user_sgpr_kernarg_preload_length 0
		.amdhsa_user_sgpr_kernarg_preload_offset 0
		.amdhsa_user_sgpr_private_segment_size 0
		.amdhsa_wavefront_size32 1
		.amdhsa_uses_dynamic_stack 0
		.amdhsa_enable_private_segment 0
		.amdhsa_system_sgpr_workgroup_id_x 1
		.amdhsa_system_sgpr_workgroup_id_y 0
		.amdhsa_system_sgpr_workgroup_id_z 1
		.amdhsa_system_sgpr_workgroup_info 0
		.amdhsa_system_vgpr_workitem_id 1
		.amdhsa_next_free_vgpr 76
		.amdhsa_next_free_sgpr 48
		.amdhsa_named_barrier_count 0
		.amdhsa_reserve_vcc 1
		.amdhsa_float_round_mode_32 0
		.amdhsa_float_round_mode_16_64 0
		.amdhsa_float_denorm_mode_32 3
		.amdhsa_float_denorm_mode_16_64 3
		.amdhsa_fp16_overflow 0
		.amdhsa_memory_ordered 1
		.amdhsa_forward_progress 1
		.amdhsa_inst_pref_size 29
		.amdhsa_round_robin_scheduling 0
		.amdhsa_exception_fp_ieee_invalid_op 0
		.amdhsa_exception_fp_denorm_src 0
		.amdhsa_exception_fp_ieee_div_zero 0
		.amdhsa_exception_fp_ieee_overflow 0
		.amdhsa_exception_fp_ieee_underflow 0
		.amdhsa_exception_fp_ieee_inexact 0
		.amdhsa_exception_int_div_zero 0
	.end_amdhsa_kernel
	.section	.text._ZL20rocblas_gemvn_kernelILi32ELi16ElPK16rocblas_bfloat16fKPS0_EviiT3_lPKT2_lT1_lS8_lS9_lS5_lPT4_lS9_li,"axG",@progbits,_ZL20rocblas_gemvn_kernelILi32ELi16ElPK16rocblas_bfloat16fKPS0_EviiT3_lPKT2_lT1_lS8_lS9_lS5_lPT4_lS9_li,comdat
.Lfunc_end593:
	.size	_ZL20rocblas_gemvn_kernelILi32ELi16ElPK16rocblas_bfloat16fKPS0_EviiT3_lPKT2_lT1_lS8_lS9_lS5_lPT4_lS9_li, .Lfunc_end593-_ZL20rocblas_gemvn_kernelILi32ELi16ElPK16rocblas_bfloat16fKPS0_EviiT3_lPKT2_lT1_lS8_lS9_lS5_lPT4_lS9_li
                                        ; -- End function
	.set _ZL20rocblas_gemvn_kernelILi32ELi16ElPK16rocblas_bfloat16fKPS0_EviiT3_lPKT2_lT1_lS8_lS9_lS5_lPT4_lS9_li.num_vgpr, 76
	.set _ZL20rocblas_gemvn_kernelILi32ELi16ElPK16rocblas_bfloat16fKPS0_EviiT3_lPKT2_lT1_lS8_lS9_lS5_lPT4_lS9_li.num_agpr, 0
	.set _ZL20rocblas_gemvn_kernelILi32ELi16ElPK16rocblas_bfloat16fKPS0_EviiT3_lPKT2_lT1_lS8_lS9_lS5_lPT4_lS9_li.numbered_sgpr, 48
	.set _ZL20rocblas_gemvn_kernelILi32ELi16ElPK16rocblas_bfloat16fKPS0_EviiT3_lPKT2_lT1_lS8_lS9_lS5_lPT4_lS9_li.num_named_barrier, 0
	.set _ZL20rocblas_gemvn_kernelILi32ELi16ElPK16rocblas_bfloat16fKPS0_EviiT3_lPKT2_lT1_lS8_lS9_lS5_lPT4_lS9_li.private_seg_size, 0
	.set _ZL20rocblas_gemvn_kernelILi32ELi16ElPK16rocblas_bfloat16fKPS0_EviiT3_lPKT2_lT1_lS8_lS9_lS5_lPT4_lS9_li.uses_vcc, 1
	.set _ZL20rocblas_gemvn_kernelILi32ELi16ElPK16rocblas_bfloat16fKPS0_EviiT3_lPKT2_lT1_lS8_lS9_lS5_lPT4_lS9_li.uses_flat_scratch, 1
	.set _ZL20rocblas_gemvn_kernelILi32ELi16ElPK16rocblas_bfloat16fKPS0_EviiT3_lPKT2_lT1_lS8_lS9_lS5_lPT4_lS9_li.has_dyn_sized_stack, 0
	.set _ZL20rocblas_gemvn_kernelILi32ELi16ElPK16rocblas_bfloat16fKPS0_EviiT3_lPKT2_lT1_lS8_lS9_lS5_lPT4_lS9_li.has_recursion, 0
	.set _ZL20rocblas_gemvn_kernelILi32ELi16ElPK16rocblas_bfloat16fKPS0_EviiT3_lPKT2_lT1_lS8_lS9_lS5_lPT4_lS9_li.has_indirect_call, 0
	.section	.AMDGPU.csdata,"",@progbits
; Kernel info:
; codeLenInByte = 3704
; TotalNumSgprs: 50
; NumVgprs: 76
; ScratchSize: 0
; MemoryBound: 0
; FloatMode: 240
; IeeeMode: 1
; LDSByteSize: 8192 bytes/workgroup (compile time only)
; SGPRBlocks: 0
; VGPRBlocks: 4
; NumSGPRsForWavesPerEU: 50
; NumVGPRsForWavesPerEU: 76
; NamedBarCnt: 0
; Occupancy: 12
; WaveLimiterHint : 1
; COMPUTE_PGM_RSRC2:SCRATCH_EN: 0
; COMPUTE_PGM_RSRC2:USER_SGPR: 2
; COMPUTE_PGM_RSRC2:TRAP_HANDLER: 0
; COMPUTE_PGM_RSRC2:TGID_X_EN: 1
; COMPUTE_PGM_RSRC2:TGID_Y_EN: 0
; COMPUTE_PGM_RSRC2:TGID_Z_EN: 1
; COMPUTE_PGM_RSRC2:TIDIG_COMP_CNT: 1
	.section	.text._ZL20rocblas_gemvn_kernelILi64ELi16EiPK16rocblas_bfloat16PKfKPS0_EviiT3_lPKT2_lT1_lSA_lSB_lS7_lPT4_lSB_li,"axG",@progbits,_ZL20rocblas_gemvn_kernelILi64ELi16EiPK16rocblas_bfloat16PKfKPS0_EviiT3_lPKT2_lT1_lSA_lSB_lS7_lPT4_lSB_li,comdat
	.globl	_ZL20rocblas_gemvn_kernelILi64ELi16EiPK16rocblas_bfloat16PKfKPS0_EviiT3_lPKT2_lT1_lSA_lSB_lS7_lPT4_lSB_li ; -- Begin function _ZL20rocblas_gemvn_kernelILi64ELi16EiPK16rocblas_bfloat16PKfKPS0_EviiT3_lPKT2_lT1_lSA_lSB_lS7_lPT4_lSB_li
	.p2align	8
	.type	_ZL20rocblas_gemvn_kernelILi64ELi16EiPK16rocblas_bfloat16PKfKPS0_EviiT3_lPKT2_lT1_lSA_lSB_lS7_lPT4_lSB_li,@function
_ZL20rocblas_gemvn_kernelILi64ELi16EiPK16rocblas_bfloat16PKfKPS0_EviiT3_lPKT2_lT1_lSA_lSB_lS7_lPT4_lSB_li: ; @_ZL20rocblas_gemvn_kernelILi64ELi16EiPK16rocblas_bfloat16PKfKPS0_EviiT3_lPKT2_lT1_lSA_lSB_lS7_lPT4_lSB_li
; %bb.0:
	s_clause 0x1
	s_load_b64 s[4:5], s[0:1], 0x9c
	s_load_b32 s33, s[0:1], 0x88
	s_bfe_u32 s2, ttmp6, 0x40014
	s_lshr_b32 s3, ttmp7, 16
	s_add_co_i32 s2, s2, 1
	s_bfe_u32 s6, ttmp6, 0x40008
	s_mul_i32 s7, s3, s2
	s_getreg_b32 s2, hwreg(HW_REG_IB_STS2, 6, 4)
	s_add_co_i32 s6, s6, s7
	s_mov_b32 s11, 0
	s_wait_kmcnt 0x0
	s_lshr_b32 s7, s4, 16
	s_and_b32 s4, s4, 0xffff
	s_and_b32 s5, s5, 0xffff
	s_mul_i32 s4, s7, s4
	s_cmp_eq_u32 s2, 0
	s_mul_i32 s4, s4, s5
	s_cselect_b32 s10, s3, s6
	s_cmp_lg_u32 s4, 0x400
	s_cselect_b32 s3, -1, 0
	s_cmp_ge_u32 s10, s33
	s_cselect_b32 s4, -1, 0
	s_delay_alu instid0(SALU_CYCLE_1) | instskip(NEXT) | instid1(SALU_CYCLE_1)
	s_or_b32 s3, s3, s4
	s_and_b32 vcc_lo, exec_lo, s3
	s_cbranch_vccnz .LBB594_73
; %bb.1:
	s_clause 0x6
	s_load_b32 s4, s[0:1], 0x78
	s_load_b64 s[8:9], s[0:1], 0x0
	s_load_b256 s[12:19], s[0:1], 0x8
	s_load_b32 s34, s[0:1], 0x28
	s_load_b128 s[28:31], s[0:1], 0x38
	s_load_b32 s35, s[0:1], 0x48
	s_load_b256 s[20:27], s[0:1], 0x58
	s_wait_xcnt 0x0
	s_bfe_u32 s0, ttmp6, 0x4000c
	v_and_b32_e32 v6, 0x3ff, v0
	s_add_co_i32 s0, s0, 1
	v_bfe_u32 v7, v0, 10, 10
	s_and_b32 s1, ttmp6, 15
	s_mul_i32 s0, ttmp9, s0
	v_mov_b32_e32 v1, 0
	s_add_co_i32 s1, s1, s0
	v_lshl_add_u32 v5, v7, 6, v6
	v_lshlrev_b32_e32 v26, 2, v7
	s_wait_kmcnt 0x0
	s_ashr_i32 s5, s4, 31
	s_cmp_eq_u32 s2, 0
	s_mov_b32 s2, s8
	s_cselect_b32 s0, ttmp9, s1
	s_ashr_i32 s3, s8, 31
	s_lshl_b32 s36, s0, 8
	s_ashr_i32 s1, s9, 31
	v_dual_add_nc_u32 v0, s36, v5 :: v_dual_add_nc_u32 v27, s36, v6
	v_or_b32_e32 v8, s36, v5
	s_lshr_b32 s0, s1, 26
	v_mul_lo_u32 v11, v7, s34
	s_delay_alu instid0(VALU_DEP_3)
	v_cmp_gt_i64_e32 vcc_lo, s[2:3], v[0:1]
	v_add_nc_u32_e32 v4, 64, v27
	v_add_nc_u32_e32 v9, 0x80, v27
	v_mul_u64_e32 v[2:3], s[4:5], v[0:1]
	v_add_nc_u32_e32 v0, 0xc0, v27
	s_add_co_i32 s37, s9, s0
	v_cmp_gt_i32_e64 s2, s8, v4
	v_mul_lo_u32 v4, s4, v8
	v_cmp_gt_i32_e64 s3, s8, v9
	v_lshlrev_b32_e32 v9, 2, v6
	v_cmp_gt_i32_e64 s4, s8, v0
	v_cmp_gt_u32_e64 s5, 0x100, v5
	s_and_not1_b32 s37, s37, 63
	v_or_b32_e32 v10, 3, v26
	s_sub_co_i32 s6, s9, s37
	v_mad_u32 v31, s35, v26, s35
	s_cmp_gt_i32 s6, 0
	v_cmp_gt_i32_e64 s6, s8, v8
	v_ashrrev_i32_e32 v5, 31, v4
	v_lshl_add_u32 v0, v7, 10, v9
	v_lshl_add_u32 v28, v7, 8, v9
	v_mul_lo_u32 v7, v7, s35
	v_mul_lo_u32 v8, s34, v26
	v_or_b32_e32 v9, 2, v26
	v_mad_u32 v30, s34, v10, v6
	v_mul_lo_u32 v33, s35, v10
	v_cmp_gt_i32_e64 s0, s37, v26
	v_cmp_gt_i32_e64 s1, s8, v27
	v_lshl_add_u32 v35, v11, 2, v6
	s_cselect_b32 s38, -1, 0
	s_and_b32 s39, s5, vcc_lo
	s_lshl_b32 s40, s34, 6
	v_lshlrev_b32_e32 v36, 2, v7
	v_mad_u32 v29, s34, v9, v6
	v_mul_lo_u32 v32, s35, v9
	v_add3_u32 v34, v8, s34, v6
	s_lshl_b32 s41, s35, 6
	s_lshl_b64 s[18:19], s[18:19], 1
	s_lshl_b64 s[30:31], s[30:31], 1
	;; [unrolled: 1-line block ×3, first 2 shown]
	s_branch .LBB594_4
.LBB594_2:                              ;   in Loop: Header=BB594_4 Depth=1
	s_wait_xcnt 0x0
	s_or_b32 exec_lo, exec_lo, s7
.LBB594_3:                              ;   in Loop: Header=BB594_4 Depth=1
	s_add_co_i32 s10, s10, 0x10000
	s_delay_alu instid0(SALU_CYCLE_1)
	s_cmp_lt_u32 s10, s33
	s_cbranch_scc0 .LBB594_73
.LBB594_4:                              ; =>This Loop Header: Depth=1
                                        ;     Child Loop BB594_25 Depth 2
	s_mul_u64 s[42:43], s[14:15], s[10:11]
	s_wait_xcnt 0x0
	s_mul_u64 s[44:45], s[22:23], s[10:11]
	s_lshl_b64 s[42:43], s[42:43], 2
	s_lshl_b64 s[44:45], s[44:45], 2
	s_add_nc_u64 s[42:43], s[12:13], s[42:43]
	s_add_nc_u64 s[44:45], s[20:21], s[44:45]
	s_clause 0x1
	global_load_b32 v37, v1, s[42:43]
	global_load_b32 v6, v1, s[44:45]
	s_wait_loadcnt 0x1
	v_cmp_eq_f32_e64 s7, 0, v37
	s_wait_loadcnt 0x0
	v_cmp_eq_f32_e32 vcc_lo, 1.0, v6
	s_wait_xcnt 0x1
	v_readfirstlane_b32 s42, v6
	s_and_b32 s8, s7, vcc_lo
	s_delay_alu instid0(SALU_CYCLE_1)
	s_and_b32 vcc_lo, exec_lo, s8
	s_cbranch_vccnz .LBB594_3
; %bb.5:                                ;   in Loop: Header=BB594_4 Depth=1
	v_mov_b64_e32 v[10:11], 0
	v_mov_b64_e32 v[8:9], 0
	v_cmp_neq_f32_e64 s8, 0, v37
	s_and_b32 vcc_lo, exec_lo, s7
	s_cbranch_vccnz .LBB594_7
; %bb.6:                                ;   in Loop: Header=BB594_4 Depth=1
	s_wait_xcnt 0x0
	s_lshl_b64 s[44:45], s[10:11], 3
	s_delay_alu instid0(SALU_CYCLE_1)
	s_add_nc_u64 s[44:45], s[16:17], s[44:45]
	global_load_b64 v[6:7], v1, s[44:45]
	s_wait_loadcnt 0x0
	v_add_nc_u64_e32 v[8:9], s[18:19], v[6:7]
.LBB594_7:                              ;   in Loop: Header=BB594_4 Depth=1
	s_and_not1_b32 vcc_lo, exec_lo, s8
	s_cbranch_vccnz .LBB594_9
; %bb.8:                                ;   in Loop: Header=BB594_4 Depth=1
	s_wait_xcnt 0x0
	s_lshl_b64 s[44:45], s[10:11], 3
	s_delay_alu instid0(SALU_CYCLE_1)
	s_add_nc_u64 s[44:45], s[28:29], s[44:45]
	global_load_b64 v[6:7], v1, s[44:45]
	s_wait_loadcnt 0x0
	v_add_nc_u64_e32 v[10:11], s[30:31], v[6:7]
.LBB594_9:                              ;   in Loop: Header=BB594_4 Depth=1
	s_wait_xcnt 0x0
	s_lshl_b64 s[44:45], s[10:11], 3
	s_and_not1_b32 vcc_lo, exec_lo, s7
	s_add_nc_u64 s[44:45], s[24:25], s[44:45]
	global_load_b64 v[6:7], v1, s[44:45]
	s_wait_loadcnt 0x0
	v_add_nc_u64_e32 v[6:7], s[26:27], v[6:7]
	s_cbranch_vccnz .LBB594_17
; %bb.10:                               ;   in Loop: Header=BB594_4 Depth=1
	s_mov_b32 s7, 0
	s_mov_b32 s8, 0
                                        ; implicit-def: $vgpr12
	s_wait_xcnt 0x0
	s_and_saveexec_b32 s43, s39
	s_cbranch_execz .LBB594_18
; %bb.11:                               ;   in Loop: Header=BB594_4 Depth=1
	s_cmp_eq_f32 s42, 0
	s_cbranch_scc1 .LBB594_57
; %bb.12:                               ;   in Loop: Header=BB594_4 Depth=1
	v_lshl_add_u64 v[12:13], v[2:3], 1, v[6:7]
	flat_load_u16 v12, v[12:13]
	s_wait_loadcnt_dscnt 0x0
	s_wait_xcnt 0x0
	v_lshlrev_b32_e32 v12, 16, v12
	s_delay_alu instid0(VALU_DEP_1) | instskip(NEXT) | instid1(VALU_DEP_1)
	v_mul_f32_e32 v12, s42, v12
	v_and_b32_e32 v13, 0x7f800000, v12
	s_delay_alu instid0(VALU_DEP_1) | instskip(SKIP_1) | instid1(SALU_CYCLE_1)
	v_cmp_ne_u32_e32 vcc_lo, 0x7f800000, v13
                                        ; implicit-def: $vgpr13
	s_and_saveexec_b32 s8, vcc_lo
	s_xor_b32 s8, exec_lo, s8
; %bb.13:                               ;   in Loop: Header=BB594_4 Depth=1
	v_bfe_u32 v13, v12, 16, 1
	s_delay_alu instid0(VALU_DEP_1)
	v_add3_u32 v13, v12, v13, 0x7fff
                                        ; implicit-def: $vgpr12
; %bb.14:                               ;   in Loop: Header=BB594_4 Depth=1
	s_and_not1_saveexec_b32 s8, s8
; %bb.15:                               ;   in Loop: Header=BB594_4 Depth=1
	v_and_b32_e32 v13, 0xffff, v12
	v_or_b32_e32 v14, 0x10000, v12
	s_delay_alu instid0(VALU_DEP_2) | instskip(NEXT) | instid1(VALU_DEP_2)
	v_cmp_eq_u32_e32 vcc_lo, 0, v13
	v_cndmask_b32_e32 v13, v14, v12, vcc_lo
; %bb.16:                               ;   in Loop: Header=BB594_4 Depth=1
	s_or_b32 exec_lo, exec_lo, s8
	s_delay_alu instid0(VALU_DEP_1) | instskip(SKIP_2) | instid1(SALU_CYCLE_1)
	v_lshrrev_b32_e32 v12, 16, v13
	s_mov_b32 s8, exec_lo
	s_or_b32 exec_lo, exec_lo, s43
	s_and_b32 vcc_lo, exec_lo, s7
	s_cbranch_vccnz .LBB594_19
	s_branch .LBB594_58
.LBB594_17:                             ;   in Loop: Header=BB594_4 Depth=1
	s_mov_b32 s8, 0
                                        ; implicit-def: $vgpr12
	s_cbranch_execnz .LBB594_19
	s_branch .LBB594_58
.LBB594_18:                             ;   in Loop: Header=BB594_4 Depth=1
	s_or_b32 exec_lo, exec_lo, s43
	s_delay_alu instid0(SALU_CYCLE_1)
	s_and_b32 vcc_lo, exec_lo, s7
	s_cbranch_vccz .LBB594_58
.LBB594_19:                             ;   in Loop: Header=BB594_4 Depth=1
	v_dual_mov_b32 v38, 0 :: v_dual_mov_b32 v42, v26
	v_dual_mov_b32 v39, 0 :: v_dual_mov_b32 v40, 0
	v_mov_b32_e32 v41, 0
	s_wait_xcnt 0x0
	s_and_saveexec_b32 s7, s0
	s_cbranch_execz .LBB594_31
; %bb.20:                               ;   in Loop: Header=BB594_4 Depth=1
	v_dual_mov_b32 v38, 0 :: v_dual_mov_b32 v43, v35
	v_dual_mov_b32 v44, v30 :: v_dual_mov_b32 v45, v29
	;; [unrolled: 1-line block ×4, first 2 shown]
	v_mov_b32_e32 v41, 0
	s_mov_b32 s43, 0
	s_mov_b32 s44, 0
	s_branch .LBB594_25
.LBB594_21:                             ;   in Loop: Header=BB594_25 Depth=2
	s_or_b32 exec_lo, exec_lo, s48
	s_wait_loadcnt_dscnt 0x202
	v_dual_lshlrev_b32 v17, 16, v56 :: v_dual_lshlrev_b32 v16, 16, v55
	s_delay_alu instid0(VALU_DEP_1) | instskip(SKIP_1) | instid1(VALU_DEP_1)
	v_pk_mul_f32 v[16:17], v[14:15], v[16:17]
	s_wait_loadcnt_dscnt 0x0
	v_dual_add_f32 v16, v40, v16 :: v_dual_lshlrev_b32 v19, 16, v54
	s_delay_alu instid0(VALU_DEP_1) | instskip(SKIP_1) | instid1(VALU_DEP_1)
	v_add_f32_e32 v20, v16, v17
	v_lshlrev_b32_e32 v18, 16, v53
	v_pk_mul_f32 v[16:17], v[12:13], v[18:19]
	s_delay_alu instid0(VALU_DEP_1) | instskip(NEXT) | instid1(VALU_DEP_1)
	v_add_f32_e32 v16, v20, v16
	v_add_f32_e32 v40, v16, v17
.LBB594_22:                             ;   in Loop: Header=BB594_25 Depth=2
	s_or_b32 exec_lo, exec_lo, s47
	s_wait_loadcnt_dscnt 0x202
	v_dual_lshlrev_b32 v17, 16, v52 :: v_dual_lshlrev_b32 v16, 16, v51
	s_delay_alu instid0(VALU_DEP_1) | instskip(SKIP_1) | instid1(VALU_DEP_1)
	v_pk_mul_f32 v[16:17], v[14:15], v[16:17]
	s_wait_loadcnt_dscnt 0x0
	v_dual_add_f32 v16, v39, v16 :: v_dual_lshlrev_b32 v19, 16, v25
	s_delay_alu instid0(VALU_DEP_1) | instskip(NEXT) | instid1(VALU_DEP_1)
	v_dual_lshlrev_b32 v18, 16, v24 :: v_dual_add_f32 v20, v16, v17
	v_pk_mul_f32 v[16:17], v[12:13], v[18:19]
	s_delay_alu instid0(VALU_DEP_1) | instskip(NEXT) | instid1(VALU_DEP_1)
	v_add_f32_e32 v16, v20, v16
	v_add_f32_e32 v39, v16, v17
.LBB594_23:                             ;   in Loop: Header=BB594_25 Depth=2
	s_or_b32 exec_lo, exec_lo, s46
	s_wait_loadcnt_dscnt 0x202
	v_dual_lshlrev_b32 v17, 16, v50 :: v_dual_lshlrev_b32 v16, 16, v49
	s_delay_alu instid0(VALU_DEP_1) | instskip(SKIP_1) | instid1(VALU_DEP_1)
	v_pk_mul_f32 v[14:15], v[14:15], v[16:17]
	s_wait_loadcnt_dscnt 0x0
	v_dual_add_f32 v14, v38, v14 :: v_dual_lshlrev_b32 v17, 16, v48
	s_delay_alu instid0(VALU_DEP_1) | instskip(SKIP_1) | instid1(VALU_DEP_1)
	v_add_f32_e32 v14, v14, v15
	v_lshlrev_b32_e32 v16, 16, v47
	v_pk_mul_f32 v[12:13], v[12:13], v[16:17]
	s_delay_alu instid0(VALU_DEP_1) | instskip(NEXT) | instid1(VALU_DEP_1)
	v_add_f32_e32 v12, v14, v12
	v_add_f32_e32 v38, v12, v13
.LBB594_24:                             ;   in Loop: Header=BB594_25 Depth=2
	s_or_b32 exec_lo, exec_lo, s45
	v_dual_add_nc_u32 v42, 64, v42 :: v_dual_add_nc_u32 v45, s40, v45
	v_dual_add_nc_u32 v46, s40, v46 :: v_dual_add_nc_u32 v44, s40, v44
	v_add_nc_u32_e32 v43, s40, v43
	s_delay_alu instid0(VALU_DEP_3) | instskip(SKIP_2) | instid1(SALU_CYCLE_1)
	v_cmp_le_i32_e32 vcc_lo, s37, v42
	s_add_co_i32 s44, s44, s41
	s_or_b32 s43, vcc_lo, s43
	s_and_not1_b32 exec_lo, exec_lo, s43
	s_cbranch_execz .LBB594_30
.LBB594_25:                             ;   Parent Loop BB594_4 Depth=1
                                        ; =>  This Inner Loop Header: Depth=2
	s_and_saveexec_b32 s45, s1
	s_cbranch_execz .LBB594_24
; %bb.26:                               ;   in Loop: Header=BB594_25 Depth=2
	v_dual_add_nc_u32 v12, s44, v36 :: v_dual_add_nc_u32 v13, s44, v31
	v_readfirstlane_b32 s46, v10
	v_readfirstlane_b32 s47, v11
	v_dual_add_nc_u32 v14, s44, v32 :: v_dual_add_nc_u32 v15, s44, v33
	s_clause 0x3
	flat_load_u16 v17, v12, s[46:47] scale_offset
	flat_load_u16 v18, v13, s[46:47] scale_offset
	;; [unrolled: 1-line block ×4, first 2 shown]
	v_dual_add_nc_u32 v16, s36, v43 :: v_dual_add_nc_u32 v20, s36, v46
	s_wait_xcnt 0x0
	v_readfirstlane_b32 s46, v8
	v_readfirstlane_b32 s47, v9
	v_dual_add_nc_u32 v24, s36, v45 :: v_dual_add_nc_u32 v22, s36, v44
	s_clause 0x3
	flat_load_u16 v49, v16, s[46:47] scale_offset
	flat_load_u16 v50, v20, s[46:47] scale_offset
	;; [unrolled: 1-line block ×4, first 2 shown]
	s_wait_loadcnt_dscnt 0x606
	v_dual_lshlrev_b32 v14, 16, v17 :: v_dual_lshlrev_b32 v15, 16, v18
	s_wait_loadcnt_dscnt 0x404
	v_dual_lshlrev_b32 v12, 16, v19 :: v_dual_lshlrev_b32 v13, 16, v21
	s_wait_xcnt 0x0
	s_and_saveexec_b32 s46, s2
	s_cbranch_execz .LBB594_23
; %bb.27:                               ;   in Loop: Header=BB594_25 Depth=2
	v_dual_ashrrev_i32 v17, 31, v16 :: v_dual_ashrrev_i32 v23, 31, v22
	v_ashrrev_i32_e32 v21, 31, v20
	v_ashrrev_i32_e32 v25, 31, v24
	s_delay_alu instid0(VALU_DEP_3) | instskip(NEXT) | instid1(VALU_DEP_4)
	v_lshl_add_u64 v[18:19], v[16:17], 1, v[8:9]
	v_lshl_add_u64 v[22:23], v[22:23], 1, v[8:9]
	s_delay_alu instid0(VALU_DEP_4) | instskip(NEXT) | instid1(VALU_DEP_4)
	v_lshl_add_u64 v[16:17], v[20:21], 1, v[8:9]
	v_lshl_add_u64 v[20:21], v[24:25], 1, v[8:9]
	s_clause 0x3
	flat_load_u16 v51, v[18:19] offset:128
	flat_load_u16 v52, v[16:17] offset:128
	flat_load_u16 v24, v[20:21] offset:128
	flat_load_u16 v25, v[22:23] offset:128
	s_wait_xcnt 0x0
	s_and_saveexec_b32 s47, s3
	s_cbranch_execz .LBB594_22
; %bb.28:                               ;   in Loop: Header=BB594_25 Depth=2
	s_clause 0x3
	flat_load_u16 v55, v[18:19] offset:256
	flat_load_u16 v56, v[16:17] offset:256
	;; [unrolled: 1-line block ×4, first 2 shown]
	s_wait_xcnt 0x0
	s_and_saveexec_b32 s48, s4
	s_cbranch_execz .LBB594_21
; %bb.29:                               ;   in Loop: Header=BB594_25 Depth=2
	s_clause 0x3
	flat_load_u16 v57, v[16:17] offset:384
	flat_load_u16 v58, v[18:19] offset:384
	;; [unrolled: 1-line block ×4, first 2 shown]
	s_wait_loadcnt_dscnt 0x202
	s_wait_xcnt 0x3
	v_dual_lshlrev_b32 v17, 16, v57 :: v_dual_lshlrev_b32 v16, 16, v58
	s_delay_alu instid0(VALU_DEP_1) | instskip(SKIP_2) | instid1(VALU_DEP_1)
	v_pk_mul_f32 v[16:17], v[14:15], v[16:17]
	s_wait_loadcnt_dscnt 0x101
	s_wait_xcnt 0x2
	v_dual_add_f32 v16, v41, v16 :: v_dual_lshlrev_b32 v19, 16, v59
	s_wait_loadcnt_dscnt 0x0
	s_wait_xcnt 0x0
	s_delay_alu instid0(VALU_DEP_1) | instskip(NEXT) | instid1(VALU_DEP_1)
	v_dual_lshlrev_b32 v18, 16, v60 :: v_dual_add_f32 v20, v16, v17
	v_pk_mul_f32 v[16:17], v[12:13], v[18:19]
	s_delay_alu instid0(VALU_DEP_1) | instskip(NEXT) | instid1(VALU_DEP_1)
	v_add_f32_e32 v16, v20, v16
	v_add_f32_e32 v41, v16, v17
	s_branch .LBB594_21
.LBB594_30:                             ;   in Loop: Header=BB594_4 Depth=1
	s_or_b32 exec_lo, exec_lo, s43
.LBB594_31:                             ;   in Loop: Header=BB594_4 Depth=1
	s_delay_alu instid0(SALU_CYCLE_1) | instskip(NEXT) | instid1(SALU_CYCLE_1)
	s_or_b32 exec_lo, exec_lo, s7
	s_and_not1_b32 vcc_lo, exec_lo, s38
	s_cbranch_vccnz .LBB594_49
; %bb.32:                               ;   in Loop: Header=BB594_4 Depth=1
	v_dual_mov_b32 v12, 0 :: v_dual_bitop2_b32 v16, 1, v42 bitop3:0x54
	v_cmp_gt_i32_e32 vcc_lo, s9, v42
	s_delay_alu instid0(VALU_DEP_2)
	v_dual_mov_b32 v13, v12 :: v_dual_mov_b32 v14, v12
	v_mov_b32_e32 v15, v12
	s_and_saveexec_b32 s43, vcc_lo
	s_cbranch_execz .LBB594_40
; %bb.33:                               ;   in Loop: Header=BB594_4 Depth=1
	v_mul_lo_u32 v12, v42, s35
	v_readfirstlane_b32 s44, v10
	v_readfirstlane_b32 s45, v11
	v_dual_mov_b32 v15, 0 :: v_dual_mov_b32 v13, 0
	flat_load_u16 v14, v12, s[44:45] scale_offset
	s_wait_xcnt 0x0
	v_mov_b32_e32 v12, 0
	s_mov_b32 s44, exec_lo
	v_cmpx_gt_i32_e64 s9, v16
	s_cbranch_execz .LBB594_39
; %bb.34:                               ;   in Loop: Header=BB594_4 Depth=1
	v_mul_lo_u32 v12, v16, s35
	v_readfirstlane_b32 s46, v10
	v_readfirstlane_b32 s47, v11
	v_dual_mov_b32 v13, 0 :: v_dual_bitop2_b32 v17, 2, v42 bitop3:0x54
	s_mov_b32 s45, exec_lo
	flat_load_u16 v15, v12, s[46:47] scale_offset
	s_wait_xcnt 0x0
	v_mov_b32_e32 v12, 0
	v_cmpx_gt_i32_e64 s9, v17
	s_cbranch_execz .LBB594_38
; %bb.35:                               ;   in Loop: Header=BB594_4 Depth=1
	v_mul_lo_u32 v12, v17, s35
	v_readfirstlane_b32 s46, v10
	v_readfirstlane_b32 s47, v11
	v_dual_mov_b32 v13, 0 :: v_dual_bitop2_b32 v17, 3, v42 bitop3:0x54
	flat_load_u16 v12, v12, s[46:47] scale_offset
	s_wait_xcnt 0x0
	s_mov_b32 s46, exec_lo
	v_cmpx_gt_i32_e64 s9, v17
	s_cbranch_execz .LBB594_37
; %bb.36:                               ;   in Loop: Header=BB594_4 Depth=1
	v_mul_lo_u32 v13, v17, s35
	v_readfirstlane_b32 s48, v10
	v_readfirstlane_b32 s49, v11
	flat_load_u16 v10, v13, s[48:49] scale_offset
	s_wait_loadcnt_dscnt 0x0
	s_wait_xcnt 0x0
	v_lshlrev_b32_e32 v13, 16, v10
.LBB594_37:                             ;   in Loop: Header=BB594_4 Depth=1
	s_or_b32 exec_lo, exec_lo, s46
	s_wait_loadcnt_dscnt 0x0
	v_lshlrev_b32_e32 v12, 16, v12
.LBB594_38:                             ;   in Loop: Header=BB594_4 Depth=1
	s_or_b32 exec_lo, exec_lo, s45
	s_wait_loadcnt_dscnt 0x0
	v_lshlrev_b32_e32 v15, 16, v15
.LBB594_39:                             ;   in Loop: Header=BB594_4 Depth=1
	s_or_b32 exec_lo, exec_lo, s44
	s_wait_loadcnt_dscnt 0x0
	v_lshlrev_b32_e32 v14, 16, v14
.LBB594_40:                             ;   in Loop: Header=BB594_4 Depth=1
	s_or_b32 exec_lo, exec_lo, s43
	s_and_saveexec_b32 s43, s1
	s_cbranch_execz .LBB594_48
; %bb.41:                               ;   in Loop: Header=BB594_4 Depth=1
	v_mul_lo_u32 v17, v16, s34
	v_mul_lo_u32 v20, v42, s34
	v_cmp_gt_i32_e64 s7, s9, v16
	v_or_b32_e32 v10, 2, v42
	v_or_b32_e32 v11, 3, v42
	v_readfirstlane_b32 s44, v8
	v_readfirstlane_b32 s45, v9
	v_cndmask_b32_e64 v16, 0, v17, s7
	v_mul_lo_u32 v18, v10, s34
	v_cndmask_b32_e32 v17, 0, v20, vcc_lo
	v_mul_lo_u32 v19, v11, s34
	v_cmp_gt_i32_e64 s7, s9, v10
	s_delay_alu instid0(VALU_DEP_1) | instskip(SKIP_1) | instid1(VALU_DEP_1)
	v_cndmask_b32_e64 v10, 0, v18, s7
	v_cmp_gt_i32_e64 s7, s9, v11
	v_cndmask_b32_e64 v11, 0, v19, s7
	s_delay_alu instid0(VALU_DEP_3) | instskip(NEXT) | instid1(VALU_DEP_2)
	v_dual_add_nc_u32 v16, v16, v27 :: v_dual_add_nc_u32 v18, v10, v27
	v_dual_add_nc_u32 v10, v17, v27 :: v_dual_add_nc_u32 v20, v11, v27
	s_clause 0x3
	flat_load_u16 v24, v16, s[44:45] scale_offset
	flat_load_u16 v22, v18, s[44:45] scale_offset
	;; [unrolled: 1-line block ×4, first 2 shown]
	s_wait_xcnt 0x0
	s_and_saveexec_b32 s7, s2
	s_cbranch_execz .LBB594_47
; %bb.42:                               ;   in Loop: Header=BB594_4 Depth=1
	v_dual_ashrrev_i32 v11, 31, v10 :: v_dual_ashrrev_i32 v17, 31, v16
	v_dual_ashrrev_i32 v19, 31, v18 :: v_dual_ashrrev_i32 v21, 31, v20
	s_delay_alu instid0(VALU_DEP_2) | instskip(NEXT) | instid1(VALU_DEP_3)
	v_lshl_add_u64 v[10:11], v[10:11], 1, v[8:9]
	v_lshl_add_u64 v[16:17], v[16:17], 1, v[8:9]
	s_delay_alu instid0(VALU_DEP_3) | instskip(NEXT) | instid1(VALU_DEP_4)
	v_lshl_add_u64 v[18:19], v[18:19], 1, v[8:9]
	v_lshl_add_u64 v[8:9], v[20:21], 1, v[8:9]
	s_clause 0x3
	flat_load_u16 v42, v[10:11] offset:128
	flat_load_u16 v43, v[16:17] offset:128
	;; [unrolled: 1-line block ×4, first 2 shown]
	s_wait_xcnt 0x0
	s_and_saveexec_b32 s44, s3
	s_cbranch_execz .LBB594_46
; %bb.43:                               ;   in Loop: Header=BB594_4 Depth=1
	s_clause 0x3
	flat_load_u16 v46, v[10:11] offset:256
	flat_load_u16 v47, v[16:17] offset:256
	;; [unrolled: 1-line block ×4, first 2 shown]
	s_wait_xcnt 0x0
	s_and_saveexec_b32 s45, s4
	s_cbranch_execz .LBB594_45
; %bb.44:                               ;   in Loop: Header=BB594_4 Depth=1
	s_clause 0x3
	flat_load_u16 v48, v[16:17] offset:384
	flat_load_u16 v49, v[10:11] offset:384
	;; [unrolled: 1-line block ×4, first 2 shown]
	s_wait_loadcnt_dscnt 0x202
	s_wait_xcnt 0x1
	v_dual_lshlrev_b32 v9, 16, v48 :: v_dual_lshlrev_b32 v8, 16, v49
	s_delay_alu instid0(VALU_DEP_1) | instskip(SKIP_1) | instid1(VALU_DEP_1)
	v_pk_mul_f32 v[8:9], v[14:15], v[8:9]
	s_wait_loadcnt_dscnt 0x101
	v_dual_add_f32 v8, v41, v8 :: v_dual_lshlrev_b32 v11, 16, v50
	s_wait_loadcnt_dscnt 0x0
	s_delay_alu instid0(VALU_DEP_1) | instskip(NEXT) | instid1(VALU_DEP_1)
	v_dual_lshlrev_b32 v10, 16, v51 :: v_dual_add_f32 v16, v8, v9
	v_pk_mul_f32 v[8:9], v[12:13], v[10:11]
	s_delay_alu instid0(VALU_DEP_1) | instskip(NEXT) | instid1(VALU_DEP_1)
	v_add_f32_e32 v8, v16, v8
	v_add_f32_e32 v41, v8, v9
.LBB594_45:                             ;   in Loop: Header=BB594_4 Depth=1
	s_wait_xcnt 0x0
	s_or_b32 exec_lo, exec_lo, s45
	s_wait_loadcnt_dscnt 0x202
	v_dual_lshlrev_b32 v9, 16, v47 :: v_dual_lshlrev_b32 v8, 16, v46
	s_delay_alu instid0(VALU_DEP_1) | instskip(SKIP_1) | instid1(VALU_DEP_1)
	v_pk_mul_f32 v[8:9], v[14:15], v[8:9]
	s_wait_loadcnt_dscnt 0x0
	v_dual_add_f32 v8, v40, v8 :: v_dual_lshlrev_b32 v11, 16, v45
	s_delay_alu instid0(VALU_DEP_1) | instskip(NEXT) | instid1(VALU_DEP_1)
	v_dual_lshlrev_b32 v10, 16, v44 :: v_dual_add_f32 v16, v8, v9
	v_pk_mul_f32 v[8:9], v[12:13], v[10:11]
	s_delay_alu instid0(VALU_DEP_1) | instskip(NEXT) | instid1(VALU_DEP_1)
	v_add_f32_e32 v8, v16, v8
	v_add_f32_e32 v40, v8, v9
.LBB594_46:                             ;   in Loop: Header=BB594_4 Depth=1
	s_or_b32 exec_lo, exec_lo, s44
	s_wait_loadcnt_dscnt 0x202
	v_dual_lshlrev_b32 v9, 16, v43 :: v_dual_lshlrev_b32 v8, 16, v42
	s_delay_alu instid0(VALU_DEP_1) | instskip(SKIP_1) | instid1(VALU_DEP_1)
	v_pk_mul_f32 v[8:9], v[14:15], v[8:9]
	s_wait_loadcnt_dscnt 0x0
	v_dual_add_f32 v8, v39, v8 :: v_dual_lshlrev_b32 v11, 16, v21
	s_delay_alu instid0(VALU_DEP_1) | instskip(NEXT) | instid1(VALU_DEP_1)
	v_dual_lshlrev_b32 v10, 16, v20 :: v_dual_add_f32 v16, v8, v9
	v_pk_mul_f32 v[8:9], v[12:13], v[10:11]
	s_delay_alu instid0(VALU_DEP_1) | instskip(NEXT) | instid1(VALU_DEP_1)
	v_add_f32_e32 v8, v16, v8
	v_add_f32_e32 v39, v8, v9
.LBB594_47:                             ;   in Loop: Header=BB594_4 Depth=1
	s_or_b32 exec_lo, exec_lo, s7
	s_wait_loadcnt_dscnt 0x0
	v_dual_lshlrev_b32 v9, 16, v24 :: v_dual_lshlrev_b32 v8, 16, v25
	s_delay_alu instid0(VALU_DEP_1) | instskip(NEXT) | instid1(VALU_DEP_1)
	v_pk_mul_f32 v[8:9], v[14:15], v[8:9]
	v_dual_add_f32 v8, v38, v8 :: v_dual_lshlrev_b32 v11, 16, v23
	s_delay_alu instid0(VALU_DEP_1) | instskip(NEXT) | instid1(VALU_DEP_1)
	v_dual_lshlrev_b32 v10, 16, v22 :: v_dual_add_f32 v14, v8, v9
	v_pk_mul_f32 v[8:9], v[12:13], v[10:11]
	s_delay_alu instid0(VALU_DEP_1) | instskip(NEXT) | instid1(VALU_DEP_1)
	v_add_f32_e32 v8, v14, v8
	v_add_f32_e32 v38, v8, v9
.LBB594_48:                             ;   in Loop: Header=BB594_4 Depth=1
	s_or_b32 exec_lo, exec_lo, s43
.LBB594_49:                             ;   in Loop: Header=BB594_4 Depth=1
	ds_store_2addr_stride64_b32 v0, v38, v39 offset1:1
	ds_store_2addr_stride64_b32 v0, v40, v41 offset0:2 offset1:3
	s_wait_dscnt 0x0
	s_barrier_signal -1
	s_barrier_wait -1
                                        ; implicit-def: $vgpr12
	s_and_saveexec_b32 s7, s5
	s_cbranch_execz .LBB594_71
; %bb.50:                               ;   in Loop: Header=BB594_4 Depth=1
	ds_load_2addr_stride64_b32 v[8:9], v28 offset1:4
	ds_load_2addr_stride64_b32 v[10:11], v28 offset0:8 offset1:12
	ds_load_2addr_stride64_b32 v[12:13], v28 offset0:16 offset1:20
	s_mov_b32 s44, s8
	s_wait_dscnt 0x2
	v_add_f32_e32 v14, v8, v9
	ds_load_2addr_stride64_b32 v[8:9], v28 offset0:24 offset1:28
	s_wait_dscnt 0x2
	v_add_f32_e32 v10, v10, v14
	s_delay_alu instid0(VALU_DEP_1) | instskip(SKIP_3) | instid1(VALU_DEP_1)
	v_add_f32_e32 v14, v11, v10
	ds_load_2addr_stride64_b32 v[10:11], v28 offset0:32 offset1:36
	s_wait_dscnt 0x2
	v_add_f32_e32 v12, v12, v14
	v_add_f32_e32 v14, v13, v12
	ds_load_2addr_stride64_b32 v[12:13], v28 offset0:40 offset1:44
	s_wait_dscnt 0x2
	v_add_f32_e32 v8, v8, v14
	s_delay_alu instid0(VALU_DEP_1) | instskip(SKIP_1) | instid1(VALU_DEP_1)
	v_add_f32_e32 v8, v9, v8
	s_wait_dscnt 0x1
	v_add_f32_e32 v10, v10, v8
	ds_load_2addr_stride64_b32 v[8:9], v28 offset0:48 offset1:52
	v_add_f32_e32 v10, v11, v10
	s_wait_dscnt 0x1
	s_delay_alu instid0(VALU_DEP_1) | instskip(SKIP_3) | instid1(VALU_DEP_1)
	v_add_f32_e32 v12, v12, v10
	ds_load_2addr_stride64_b32 v[10:11], v28 offset0:56 offset1:60
	v_add_f32_e32 v12, v13, v12
	s_wait_dscnt 0x1
	v_add_f32_e32 v8, v8, v12
                                        ; implicit-def: $vgpr12
	s_delay_alu instid0(VALU_DEP_1) | instskip(SKIP_1) | instid1(VALU_DEP_1)
	v_add_f32_e32 v8, v9, v8
	s_wait_dscnt 0x0
	v_add_f32_e32 v8, v10, v8
	s_delay_alu instid0(VALU_DEP_1)
	v_add_f32_e32 v8, v11, v8
	ds_store_b32 v28, v8
	s_and_saveexec_b32 s43, s6
	s_cbranch_execz .LBB594_70
; %bb.51:                               ;   in Loop: Header=BB594_4 Depth=1
	v_mul_f32_e32 v8, v37, v8
	s_cmp_eq_f32 s42, 0
	s_cbranch_scc0 .LBB594_59
; %bb.52:                               ;   in Loop: Header=BB594_4 Depth=1
	s_delay_alu instid0(VALU_DEP_1) | instskip(NEXT) | instid1(VALU_DEP_1)
	v_and_b32_e32 v9, 0x7f800000, v8
	v_cmp_ne_u32_e32 vcc_lo, 0x7f800000, v9
                                        ; implicit-def: $vgpr9
	s_and_saveexec_b32 s44, vcc_lo
	s_delay_alu instid0(SALU_CYCLE_1)
	s_xor_b32 s44, exec_lo, s44
; %bb.53:                               ;   in Loop: Header=BB594_4 Depth=1
	v_bfe_u32 v9, v8, 16, 1
	s_delay_alu instid0(VALU_DEP_1)
	v_add3_u32 v9, v8, v9, 0x7fff
; %bb.54:                               ;   in Loop: Header=BB594_4 Depth=1
	s_and_not1_saveexec_b32 s44, s44
; %bb.55:                               ;   in Loop: Header=BB594_4 Depth=1
	v_and_b32_e32 v9, 0xffff, v8
	v_or_b32_e32 v10, 0x10000, v8
	s_delay_alu instid0(VALU_DEP_2) | instskip(NEXT) | instid1(VALU_DEP_2)
	v_cmp_eq_u32_e32 vcc_lo, 0, v9
	v_cndmask_b32_e32 v9, v10, v8, vcc_lo
; %bb.56:                               ;   in Loop: Header=BB594_4 Depth=1
	s_or_b32 exec_lo, exec_lo, s44
	s_cbranch_execz .LBB594_60
	s_branch .LBB594_69
.LBB594_57:                             ;   in Loop: Header=BB594_4 Depth=1
	v_mov_b32_e32 v12, 0
	s_mov_b32 s8, exec_lo
	s_or_b32 exec_lo, exec_lo, s43
	s_delay_alu instid0(SALU_CYCLE_1)
	s_and_b32 vcc_lo, exec_lo, s7
	s_cbranch_vccnz .LBB594_19
.LBB594_58:                             ;   in Loop: Header=BB594_4 Depth=1
	v_mov_b64_e32 v[8:9], v[2:3]
	s_wait_xcnt 0x0
	s_and_saveexec_b32 s7, s8
	s_cbranch_execz .LBB594_2
	s_branch .LBB594_72
.LBB594_59:                             ;   in Loop: Header=BB594_4 Depth=1
                                        ; implicit-def: $vgpr9
.LBB594_60:                             ;   in Loop: Header=BB594_4 Depth=1
	v_lshl_add_u64 v[10:11], v[4:5], 1, v[6:7]
	flat_load_u16 v9, v[10:11]
	s_wait_loadcnt_dscnt 0x0
	v_lshlrev_b32_e32 v9, 16, v9
	s_delay_alu instid0(VALU_DEP_1) | instskip(SKIP_1) | instid1(VALU_DEP_1)
	v_mul_f32_e32 v9, s42, v9
	s_wait_xcnt 0x0
	v_and_b32_e32 v10, 0x7f800000, v9
	s_delay_alu instid0(VALU_DEP_1) | instskip(SKIP_1) | instid1(SALU_CYCLE_1)
	v_cmp_ne_u32_e32 vcc_lo, 0x7f800000, v10
                                        ; implicit-def: $vgpr10
	s_and_saveexec_b32 s42, vcc_lo
	s_xor_b32 s42, exec_lo, s42
; %bb.61:                               ;   in Loop: Header=BB594_4 Depth=1
	v_bfe_u32 v10, v9, 16, 1
	s_delay_alu instid0(VALU_DEP_1)
	v_add3_u32 v10, v9, v10, 0x7fff
                                        ; implicit-def: $vgpr9
; %bb.62:                               ;   in Loop: Header=BB594_4 Depth=1
	s_and_not1_saveexec_b32 s42, s42
; %bb.63:                               ;   in Loop: Header=BB594_4 Depth=1
	v_and_b32_e32 v10, 0xffff, v9
	v_or_b32_e32 v11, 0x10000, v9
	s_delay_alu instid0(VALU_DEP_2) | instskip(NEXT) | instid1(VALU_DEP_2)
	v_cmp_eq_u32_e32 vcc_lo, 0, v10
	v_cndmask_b32_e32 v10, v11, v9, vcc_lo
; %bb.64:                               ;   in Loop: Header=BB594_4 Depth=1
	s_or_b32 exec_lo, exec_lo, s42
	s_delay_alu instid0(VALU_DEP_1) | instskip(NEXT) | instid1(VALU_DEP_1)
	v_and_b32_e32 v9, 0xffff0000, v10
	v_add_f32_e32 v8, v8, v9
	s_delay_alu instid0(VALU_DEP_1) | instskip(NEXT) | instid1(VALU_DEP_1)
	v_and_b32_e32 v9, 0x7f800000, v8
	v_cmp_ne_u32_e32 vcc_lo, 0x7f800000, v9
                                        ; implicit-def: $vgpr9
	s_and_saveexec_b32 s42, vcc_lo
	s_delay_alu instid0(SALU_CYCLE_1)
	s_xor_b32 s42, exec_lo, s42
; %bb.65:                               ;   in Loop: Header=BB594_4 Depth=1
	v_bfe_u32 v9, v8, 16, 1
	s_delay_alu instid0(VALU_DEP_1)
	v_add3_u32 v9, v8, v9, 0x7fff
                                        ; implicit-def: $vgpr8
; %bb.66:                               ;   in Loop: Header=BB594_4 Depth=1
	s_and_not1_saveexec_b32 s42, s42
; %bb.67:                               ;   in Loop: Header=BB594_4 Depth=1
	v_and_b32_e32 v9, 0xffff, v8
	v_or_b32_e32 v10, 0x10000, v8
	s_delay_alu instid0(VALU_DEP_2) | instskip(NEXT) | instid1(VALU_DEP_2)
	v_cmp_eq_u32_e32 vcc_lo, 0, v9
	v_cndmask_b32_e32 v9, v10, v8, vcc_lo
; %bb.68:                               ;   in Loop: Header=BB594_4 Depth=1
	s_or_b32 exec_lo, exec_lo, s42
.LBB594_69:                             ;   in Loop: Header=BB594_4 Depth=1
	s_delay_alu instid0(VALU_DEP_1)
	v_lshrrev_b32_e32 v12, 16, v9
	s_or_b32 s44, s8, exec_lo
.LBB594_70:                             ;   in Loop: Header=BB594_4 Depth=1
	s_or_b32 exec_lo, exec_lo, s43
	s_delay_alu instid0(SALU_CYCLE_1) | instskip(SKIP_1) | instid1(SALU_CYCLE_1)
	s_and_not1_b32 s8, s8, exec_lo
	s_and_b32 s42, s44, exec_lo
	s_or_b32 s8, s8, s42
.LBB594_71:                             ;   in Loop: Header=BB594_4 Depth=1
	s_or_b32 exec_lo, exec_lo, s7
	v_mov_b64_e32 v[8:9], v[4:5]
	s_and_saveexec_b32 s7, s8
	s_cbranch_execz .LBB594_2
.LBB594_72:                             ;   in Loop: Header=BB594_4 Depth=1
	s_delay_alu instid0(VALU_DEP_1)
	v_lshl_add_u64 v[6:7], v[8:9], 1, v[6:7]
	flat_store_b16 v[6:7], v12
	s_branch .LBB594_2
.LBB594_73:
	s_endpgm
	.section	.rodata,"a",@progbits
	.p2align	6, 0x0
	.amdhsa_kernel _ZL20rocblas_gemvn_kernelILi64ELi16EiPK16rocblas_bfloat16PKfKPS0_EviiT3_lPKT2_lT1_lSA_lSB_lS7_lPT4_lSB_li
		.amdhsa_group_segment_fixed_size 16384
		.amdhsa_private_segment_fixed_size 0
		.amdhsa_kernarg_size 400
		.amdhsa_user_sgpr_count 2
		.amdhsa_user_sgpr_dispatch_ptr 0
		.amdhsa_user_sgpr_queue_ptr 0
		.amdhsa_user_sgpr_kernarg_segment_ptr 1
		.amdhsa_user_sgpr_dispatch_id 0
		.amdhsa_user_sgpr_kernarg_preload_length 0
		.amdhsa_user_sgpr_kernarg_preload_offset 0
		.amdhsa_user_sgpr_private_segment_size 0
		.amdhsa_wavefront_size32 1
		.amdhsa_uses_dynamic_stack 0
		.amdhsa_enable_private_segment 0
		.amdhsa_system_sgpr_workgroup_id_x 1
		.amdhsa_system_sgpr_workgroup_id_y 0
		.amdhsa_system_sgpr_workgroup_id_z 1
		.amdhsa_system_sgpr_workgroup_info 0
		.amdhsa_system_vgpr_workitem_id 1
		.amdhsa_next_free_vgpr 61
		.amdhsa_next_free_sgpr 50
		.amdhsa_named_barrier_count 0
		.amdhsa_reserve_vcc 1
		.amdhsa_float_round_mode_32 0
		.amdhsa_float_round_mode_16_64 0
		.amdhsa_float_denorm_mode_32 3
		.amdhsa_float_denorm_mode_16_64 3
		.amdhsa_fp16_overflow 0
		.amdhsa_memory_ordered 1
		.amdhsa_forward_progress 1
		.amdhsa_inst_pref_size 30
		.amdhsa_round_robin_scheduling 0
		.amdhsa_exception_fp_ieee_invalid_op 0
		.amdhsa_exception_fp_denorm_src 0
		.amdhsa_exception_fp_ieee_div_zero 0
		.amdhsa_exception_fp_ieee_overflow 0
		.amdhsa_exception_fp_ieee_underflow 0
		.amdhsa_exception_fp_ieee_inexact 0
		.amdhsa_exception_int_div_zero 0
	.end_amdhsa_kernel
	.section	.text._ZL20rocblas_gemvn_kernelILi64ELi16EiPK16rocblas_bfloat16PKfKPS0_EviiT3_lPKT2_lT1_lSA_lSB_lS7_lPT4_lSB_li,"axG",@progbits,_ZL20rocblas_gemvn_kernelILi64ELi16EiPK16rocblas_bfloat16PKfKPS0_EviiT3_lPKT2_lT1_lSA_lSB_lS7_lPT4_lSB_li,comdat
.Lfunc_end594:
	.size	_ZL20rocblas_gemvn_kernelILi64ELi16EiPK16rocblas_bfloat16PKfKPS0_EviiT3_lPKT2_lT1_lSA_lSB_lS7_lPT4_lSB_li, .Lfunc_end594-_ZL20rocblas_gemvn_kernelILi64ELi16EiPK16rocblas_bfloat16PKfKPS0_EviiT3_lPKT2_lT1_lSA_lSB_lS7_lPT4_lSB_li
                                        ; -- End function
	.set _ZL20rocblas_gemvn_kernelILi64ELi16EiPK16rocblas_bfloat16PKfKPS0_EviiT3_lPKT2_lT1_lSA_lSB_lS7_lPT4_lSB_li.num_vgpr, 61
	.set _ZL20rocblas_gemvn_kernelILi64ELi16EiPK16rocblas_bfloat16PKfKPS0_EviiT3_lPKT2_lT1_lSA_lSB_lS7_lPT4_lSB_li.num_agpr, 0
	.set _ZL20rocblas_gemvn_kernelILi64ELi16EiPK16rocblas_bfloat16PKfKPS0_EviiT3_lPKT2_lT1_lSA_lSB_lS7_lPT4_lSB_li.numbered_sgpr, 50
	.set _ZL20rocblas_gemvn_kernelILi64ELi16EiPK16rocblas_bfloat16PKfKPS0_EviiT3_lPKT2_lT1_lSA_lSB_lS7_lPT4_lSB_li.num_named_barrier, 0
	.set _ZL20rocblas_gemvn_kernelILi64ELi16EiPK16rocblas_bfloat16PKfKPS0_EviiT3_lPKT2_lT1_lSA_lSB_lS7_lPT4_lSB_li.private_seg_size, 0
	.set _ZL20rocblas_gemvn_kernelILi64ELi16EiPK16rocblas_bfloat16PKfKPS0_EviiT3_lPKT2_lT1_lSA_lSB_lS7_lPT4_lSB_li.uses_vcc, 1
	.set _ZL20rocblas_gemvn_kernelILi64ELi16EiPK16rocblas_bfloat16PKfKPS0_EviiT3_lPKT2_lT1_lSA_lSB_lS7_lPT4_lSB_li.uses_flat_scratch, 1
	.set _ZL20rocblas_gemvn_kernelILi64ELi16EiPK16rocblas_bfloat16PKfKPS0_EviiT3_lPKT2_lT1_lSA_lSB_lS7_lPT4_lSB_li.has_dyn_sized_stack, 0
	.set _ZL20rocblas_gemvn_kernelILi64ELi16EiPK16rocblas_bfloat16PKfKPS0_EviiT3_lPKT2_lT1_lSA_lSB_lS7_lPT4_lSB_li.has_recursion, 0
	.set _ZL20rocblas_gemvn_kernelILi64ELi16EiPK16rocblas_bfloat16PKfKPS0_EviiT3_lPKT2_lT1_lSA_lSB_lS7_lPT4_lSB_li.has_indirect_call, 0
	.section	.AMDGPU.csdata,"",@progbits
; Kernel info:
; codeLenInByte = 3800
; TotalNumSgprs: 52
; NumVgprs: 61
; ScratchSize: 0
; MemoryBound: 0
; FloatMode: 240
; IeeeMode: 1
; LDSByteSize: 16384 bytes/workgroup (compile time only)
; SGPRBlocks: 0
; VGPRBlocks: 3
; NumSGPRsForWavesPerEU: 52
; NumVGPRsForWavesPerEU: 61
; NamedBarCnt: 0
; Occupancy: 16
; WaveLimiterHint : 1
; COMPUTE_PGM_RSRC2:SCRATCH_EN: 0
; COMPUTE_PGM_RSRC2:USER_SGPR: 2
; COMPUTE_PGM_RSRC2:TRAP_HANDLER: 0
; COMPUTE_PGM_RSRC2:TGID_X_EN: 1
; COMPUTE_PGM_RSRC2:TGID_Y_EN: 0
; COMPUTE_PGM_RSRC2:TGID_Z_EN: 1
; COMPUTE_PGM_RSRC2:TIDIG_COMP_CNT: 1
	.section	.text._ZL20rocblas_gemvn_kernelILi64ELi16ElPK16rocblas_bfloat16PKfKPS0_EviiT3_lPKT2_lT1_lSA_lSB_lS7_lPT4_lSB_li,"axG",@progbits,_ZL20rocblas_gemvn_kernelILi64ELi16ElPK16rocblas_bfloat16PKfKPS0_EviiT3_lPKT2_lT1_lSA_lSB_lS7_lPT4_lSB_li,comdat
	.globl	_ZL20rocblas_gemvn_kernelILi64ELi16ElPK16rocblas_bfloat16PKfKPS0_EviiT3_lPKT2_lT1_lSA_lSB_lS7_lPT4_lSB_li ; -- Begin function _ZL20rocblas_gemvn_kernelILi64ELi16ElPK16rocblas_bfloat16PKfKPS0_EviiT3_lPKT2_lT1_lSA_lSB_lS7_lPT4_lSB_li
	.p2align	8
	.type	_ZL20rocblas_gemvn_kernelILi64ELi16ElPK16rocblas_bfloat16PKfKPS0_EviiT3_lPKT2_lT1_lSA_lSB_lS7_lPT4_lSB_li,@function
_ZL20rocblas_gemvn_kernelILi64ELi16ElPK16rocblas_bfloat16PKfKPS0_EviiT3_lPKT2_lT1_lSA_lSB_lS7_lPT4_lSB_li: ; @_ZL20rocblas_gemvn_kernelILi64ELi16ElPK16rocblas_bfloat16PKfKPS0_EviiT3_lPKT2_lT1_lSA_lSB_lS7_lPT4_lSB_li
; %bb.0:
	s_clause 0x1
	s_load_b64 s[2:3], s[0:1], 0x9c
	s_load_b32 s33, s[0:1], 0x88
	s_bfe_u32 s4, ttmp6, 0x40014
	s_lshr_b32 s5, ttmp7, 16
	s_add_co_i32 s4, s4, 1
	s_bfe_u32 s6, ttmp6, 0x40008
	s_mul_i32 s7, s5, s4
	s_getreg_b32 s4, hwreg(HW_REG_IB_STS2, 6, 4)
	s_add_co_i32 s6, s6, s7
	s_mov_b32 s11, 0
	s_wait_kmcnt 0x0
	s_lshr_b32 s7, s2, 16
	s_and_b32 s2, s2, 0xffff
	s_and_b32 s3, s3, 0xffff
	s_mul_i32 s2, s7, s2
	s_cmp_eq_u32 s4, 0
	s_mul_i32 s2, s2, s3
	s_cselect_b32 s10, s5, s6
	s_cmp_lg_u32 s2, 0x400
	s_cselect_b32 s2, -1, 0
	s_cmp_ge_u32 s10, s33
	s_cselect_b32 s3, -1, 0
	s_delay_alu instid0(SALU_CYCLE_1) | instskip(NEXT) | instid1(SALU_CYCLE_1)
	s_or_b32 s2, s2, s3
	s_and_b32 vcc_lo, exec_lo, s2
	s_cbranch_vccnz .LBB595_73
; %bb.1:
	s_clause 0x2
	s_load_b64 s[34:35], s[0:1], 0x0
	s_load_b64 s[36:37], s[0:1], 0x28
	;; [unrolled: 1-line block ×3, first 2 shown]
	s_bfe_u32 s5, ttmp6, 0x4000c
	v_and_b32_e32 v28, 0x3ff, v0
	s_add_co_i32 s5, s5, 1
	v_bfe_u32 v6, v0, 10, 10
	s_clause 0x1
	s_load_b64 s[38:39], s[0:1], 0x48
	s_load_b128 s[28:31], s[0:1], 0x38
	s_and_b32 s6, ttmp6, 15
	s_mul_i32 s5, ttmp9, s5
	v_lshl_add_u32 v29, v6, 6, v28
	s_add_co_i32 s6, s6, s5
	s_cmp_eq_u32 s4, 0
	s_load_b256 s[12:19], s[0:1], 0x8
	s_cselect_b32 s4, ttmp9, s6
	s_load_b256 s[20:27], s[0:1], 0x58
	s_lshl_b32 s6, s4, 8
	s_delay_alu instid0(SALU_CYCLE_1)
	v_dual_mov_b32 v1, 0 :: v_dual_add_nc_u32 v0, s6, v29
	v_lshlrev_b32_e32 v52, 2, v6
	s_wait_kmcnt 0x0
	s_ashr_i32 s5, s34, 31
	s_mov_b32 s4, s34
	v_mov_b32_e32 v7, v1
	v_mul_u64_e32 v[2:3], s[2:3], v[0:1]
	v_cmp_gt_i64_e32 vcc_lo, s[4:5], v[0:1]
	v_dual_add_nc_u32 v14, s6, v28 :: v_dual_bitop2_b32 v16, s6, v29 bitop3:0x54
	v_or_b32_e32 v0, 3, v52
	v_mul_u64_e32 v[8:9], s[38:39], v[6:7]
	v_mul_u64_e32 v[18:19], s[36:37], v[6:7]
	s_delay_alu instid0(VALU_DEP_4) | instskip(NEXT) | instid1(VALU_DEP_4)
	v_dual_ashrrev_i32 v15, 31, v14 :: v_dual_ashrrev_i32 v17, 31, v16
	v_mul_u64_e32 v[10:11], s[36:37], v[0:1]
	v_mul_u64_e32 v[12:13], s[38:39], v[0:1]
	v_or_b32_e32 v0, 2, v52
	v_mad_nc_u64_u32 v[24:25], s38, v52, s[38:39]
	v_mad_nc_u64_u32 v[26:27], s36, v52, s[36:37]
	s_ashr_i32 s4, s35, 31
	v_add_nc_u32_e32 v7, 0x80, v14
	v_mul_u64_e32 v[20:21], s[36:37], v[0:1]
	v_mul_u64_e32 v[22:23], s[38:39], v[0:1]
	v_add_nc_u32_e32 v0, 64, v14
	v_mul_u64_e32 v[4:5], s[2:3], v[16:17]
	s_lshr_b32 s4, s4, 26
	v_add_nc_u32_e32 v17, 0xc0, v14
	s_add_co_i32 s44, s35, s4
	v_mad_u32 v25, s39, v52, v25
	v_mad_u32 v27, s37, v52, v27
	v_cmp_gt_i32_e64 s2, s34, v0
	v_lshlrev_b32_e32 v0, 2, v28
	s_and_not1_b32 s44, s44, 63
	v_cmp_gt_i32_e64 s1, s34, v14
	s_sub_co_i32 s4, s35, s44
	v_cmp_gt_i32_e64 s3, s34, v7
	s_cmp_gt_i32 s4, 0
	v_cmp_gt_i32_e64 s4, s34, v17
	v_lshl_add_u32 v53, v6, 10, v0
	v_cmp_gt_u32_e64 s5, 0x100, v29
	v_lshl_add_u32 v54, v6, 8, v0
	v_cmp_gt_i32_e64 s6, s34, v16
	v_lshlrev_b64_e32 v[6:7], 3, v[8:9]
	v_lshlrev_b64_e32 v[8:9], 1, v[14:15]
	;; [unrolled: 1-line block ×3, first 2 shown]
	v_cmp_gt_i32_e64 s0, s44, v52
	v_lshlrev_b64_e32 v[10:11], 1, v[10:11]
	v_lshlrev_b64_e32 v[12:13], 1, v[12:13]
	s_cselect_b32 s45, -1, 0
	s_and_b32 s34, s5, vcc_lo
	s_lshl_b64 s[40:41], s[38:39], 7
	s_lshl_b64 s[42:43], s[36:37], 7
	;; [unrolled: 1-line block ×3, first 2 shown]
	v_lshlrev_b64_e32 v[16:17], 1, v[20:21]
	v_lshlrev_b64_e32 v[18:19], 1, v[22:23]
	;; [unrolled: 1-line block ×4, first 2 shown]
	s_lshl_b64 s[30:31], s[30:31], 1
	s_lshl_b64 s[26:27], s[26:27], 1
	s_branch .LBB595_4
.LBB595_2:                              ;   in Loop: Header=BB595_4 Depth=1
	s_wait_xcnt 0x0
	s_or_b32 exec_lo, exec_lo, s7
.LBB595_3:                              ;   in Loop: Header=BB595_4 Depth=1
	s_add_co_i32 s10, s10, 0x10000
	s_delay_alu instid0(SALU_CYCLE_1)
	s_cmp_lt_u32 s10, s33
	s_cbranch_scc0 .LBB595_73
.LBB595_4:                              ; =>This Loop Header: Depth=1
                                        ;     Child Loop BB595_25 Depth 2
	s_mul_u64 s[8:9], s[14:15], s[10:11]
	s_mul_u64 s[46:47], s[22:23], s[10:11]
	s_lshl_b64 s[8:9], s[8:9], 2
	s_lshl_b64 s[46:47], s[46:47], 2
	s_add_nc_u64 s[8:9], s[12:13], s[8:9]
	s_add_nc_u64 s[46:47], s[20:21], s[46:47]
	s_clause 0x1
	global_load_b32 v55, v1, s[8:9]
	global_load_b32 v0, v1, s[46:47]
	s_wait_loadcnt 0x1
	v_cmp_eq_f32_e64 s7, 0, v55
	s_wait_loadcnt 0x0
	v_cmp_eq_f32_e32 vcc_lo, 1.0, v0
	s_wait_xcnt 0x0
	v_readfirstlane_b32 s47, v0
	s_and_b32 s8, s7, vcc_lo
	s_delay_alu instid0(SALU_CYCLE_1)
	s_and_b32 vcc_lo, exec_lo, s8
	s_cbranch_vccnz .LBB595_3
; %bb.5:                                ;   in Loop: Header=BB595_4 Depth=1
	v_mov_b64_e32 v[28:29], 0
	v_mov_b64_e32 v[26:27], 0
	v_cmp_neq_f32_e64 s8, 0, v55
	s_and_b32 vcc_lo, exec_lo, s7
	s_cbranch_vccnz .LBB595_7
; %bb.6:                                ;   in Loop: Header=BB595_4 Depth=1
	s_lshl_b64 s[48:49], s[10:11], 3
	s_delay_alu instid0(SALU_CYCLE_1)
	s_add_nc_u64 s[48:49], s[16:17], s[48:49]
	global_load_b64 v[24:25], v1, s[48:49]
	s_wait_loadcnt 0x0
	v_add_nc_u64_e32 v[26:27], s[18:19], v[24:25]
.LBB595_7:                              ;   in Loop: Header=BB595_4 Depth=1
	s_and_not1_b32 vcc_lo, exec_lo, s8
	s_cbranch_vccnz .LBB595_9
; %bb.8:                                ;   in Loop: Header=BB595_4 Depth=1
	s_lshl_b64 s[8:9], s[10:11], 3
	s_delay_alu instid0(SALU_CYCLE_1)
	s_add_nc_u64 s[8:9], s[28:29], s[8:9]
	global_load_b64 v[24:25], v1, s[8:9]
	s_wait_loadcnt 0x0
	v_add_nc_u64_e32 v[28:29], s[30:31], v[24:25]
.LBB595_9:                              ;   in Loop: Header=BB595_4 Depth=1
	s_wait_xcnt 0x0
	s_lshl_b64 s[8:9], s[10:11], 3
	s_and_not1_b32 vcc_lo, exec_lo, s7
	s_add_nc_u64 s[8:9], s[24:25], s[8:9]
	global_load_b64 v[24:25], v1, s[8:9]
	s_wait_loadcnt 0x0
	v_add_nc_u64_e32 v[24:25], s[26:27], v[24:25]
	s_cbranch_vccnz .LBB595_17
; %bb.10:                               ;   in Loop: Header=BB595_4 Depth=1
	s_mov_b32 s7, 0
	s_mov_b32 s46, 0
                                        ; implicit-def: $vgpr0
	s_wait_xcnt 0x0
	s_and_saveexec_b32 s8, s34
	s_cbranch_execz .LBB595_18
; %bb.11:                               ;   in Loop: Header=BB595_4 Depth=1
	s_cmp_eq_f32 s47, 0
	s_cbranch_scc1 .LBB595_57
; %bb.12:                               ;   in Loop: Header=BB595_4 Depth=1
	v_lshl_add_u64 v[30:31], v[2:3], 1, v[24:25]
	flat_load_u16 v0, v[30:31]
	s_wait_loadcnt_dscnt 0x0
	v_lshlrev_b32_e32 v0, 16, v0
	s_delay_alu instid0(VALU_DEP_1) | instskip(SKIP_1) | instid1(VALU_DEP_1)
	v_mul_f32_e32 v0, s47, v0
	s_wait_xcnt 0x0
	v_and_b32_e32 v30, 0x7f800000, v0
	s_delay_alu instid0(VALU_DEP_1) | instskip(SKIP_1) | instid1(SALU_CYCLE_1)
	v_cmp_ne_u32_e32 vcc_lo, 0x7f800000, v30
                                        ; implicit-def: $vgpr30
	s_and_saveexec_b32 s9, vcc_lo
	s_xor_b32 s9, exec_lo, s9
; %bb.13:                               ;   in Loop: Header=BB595_4 Depth=1
	v_bfe_u32 v30, v0, 16, 1
	s_delay_alu instid0(VALU_DEP_1)
	v_add3_u32 v30, v0, v30, 0x7fff
                                        ; implicit-def: $vgpr0
; %bb.14:                               ;   in Loop: Header=BB595_4 Depth=1
	s_and_not1_saveexec_b32 s9, s9
; %bb.15:                               ;   in Loop: Header=BB595_4 Depth=1
	v_and_b32_e32 v30, 0xffff, v0
	v_or_b32_e32 v31, 0x10000, v0
	s_delay_alu instid0(VALU_DEP_2) | instskip(NEXT) | instid1(VALU_DEP_2)
	v_cmp_eq_u32_e32 vcc_lo, 0, v30
	v_cndmask_b32_e32 v30, v31, v0, vcc_lo
; %bb.16:                               ;   in Loop: Header=BB595_4 Depth=1
	s_or_b32 exec_lo, exec_lo, s9
	s_delay_alu instid0(VALU_DEP_1) | instskip(SKIP_2) | instid1(SALU_CYCLE_1)
	v_lshrrev_b32_e32 v0, 16, v30
	s_mov_b32 s46, exec_lo
	s_or_b32 exec_lo, exec_lo, s8
	s_and_b32 vcc_lo, exec_lo, s7
	s_cbranch_vccnz .LBB595_19
	s_branch .LBB595_58
.LBB595_17:                             ;   in Loop: Header=BB595_4 Depth=1
	s_mov_b32 s46, 0
                                        ; implicit-def: $vgpr0
	s_cbranch_execnz .LBB595_19
	s_branch .LBB595_58
.LBB595_18:                             ;   in Loop: Header=BB595_4 Depth=1
	s_or_b32 exec_lo, exec_lo, s8
	s_delay_alu instid0(SALU_CYCLE_1)
	s_and_b32 vcc_lo, exec_lo, s7
	s_cbranch_vccz .LBB595_58
.LBB595_19:                             ;   in Loop: Header=BB595_4 Depth=1
	v_dual_mov_b32 v56, 0 :: v_dual_mov_b32 v0, v52
	v_dual_mov_b32 v57, 0 :: v_dual_mov_b32 v58, 0
	v_mov_b32_e32 v59, 0
	s_wait_xcnt 0x0
	s_and_saveexec_b32 s7, s0
	s_cbranch_execz .LBB595_31
; %bb.20:                               ;   in Loop: Header=BB595_4 Depth=1
	v_add_nc_u64_e32 v[30:31], v[26:27], v[10:11]
	v_add_nc_u64_e32 v[32:33], v[26:27], v[14:15]
	;; [unrolled: 1-line block ×4, first 2 shown]
	v_mov_b64_e32 v[38:39], v[28:29]
	v_dual_mov_b32 v56, 0 :: v_dual_mov_b32 v0, v52
	v_dual_mov_b32 v57, 0 :: v_dual_mov_b32 v58, 0
	v_mov_b32_e32 v59, 0
	s_mov_b32 s8, 0
	s_branch .LBB595_25
.LBB595_21:                             ;   in Loop: Header=BB595_25 Depth=2
	s_or_b32 exec_lo, exec_lo, s50
	s_wait_loadcnt_dscnt 0x202
	v_dual_lshlrev_b32 v45, 16, v71 :: v_dual_lshlrev_b32 v44, 16, v70
	s_delay_alu instid0(VALU_DEP_1) | instskip(SKIP_1) | instid1(VALU_DEP_1)
	v_pk_mul_f32 v[44:45], v[42:43], v[44:45]
	s_wait_loadcnt_dscnt 0x0
	v_dual_add_f32 v44, v58, v44 :: v_dual_lshlrev_b32 v47, 16, v69
	s_delay_alu instid0(VALU_DEP_1) | instskip(NEXT) | instid1(VALU_DEP_1)
	v_dual_lshlrev_b32 v46, 16, v68 :: v_dual_add_f32 v48, v44, v45
	v_pk_mul_f32 v[44:45], v[40:41], v[46:47]
	s_delay_alu instid0(VALU_DEP_1) | instskip(NEXT) | instid1(VALU_DEP_1)
	v_add_f32_e32 v44, v48, v44
	v_add_f32_e32 v58, v44, v45
.LBB595_22:                             ;   in Loop: Header=BB595_25 Depth=2
	s_or_b32 exec_lo, exec_lo, s49
	s_wait_loadcnt_dscnt 0x202
	v_dual_lshlrev_b32 v45, 16, v67 :: v_dual_lshlrev_b32 v44, 16, v66
	s_delay_alu instid0(VALU_DEP_1) | instskip(SKIP_1) | instid1(VALU_DEP_1)
	v_pk_mul_f32 v[44:45], v[42:43], v[44:45]
	s_wait_loadcnt_dscnt 0x0
	v_dual_add_f32 v44, v57, v44 :: v_dual_lshlrev_b32 v47, 16, v65
	s_delay_alu instid0(VALU_DEP_1) | instskip(NEXT) | instid1(VALU_DEP_1)
	v_dual_lshlrev_b32 v46, 16, v64 :: v_dual_add_f32 v48, v44, v45
	v_pk_mul_f32 v[44:45], v[40:41], v[46:47]
	s_delay_alu instid0(VALU_DEP_1) | instskip(NEXT) | instid1(VALU_DEP_1)
	v_add_f32_e32 v44, v48, v44
	v_add_f32_e32 v57, v44, v45
.LBB595_23:                             ;   in Loop: Header=BB595_25 Depth=2
	s_or_b32 exec_lo, exec_lo, s48
	s_wait_loadcnt_dscnt 0x202
	v_dual_lshlrev_b32 v45, 16, v63 :: v_dual_lshlrev_b32 v44, 16, v62
	s_delay_alu instid0(VALU_DEP_1) | instskip(SKIP_1) | instid1(VALU_DEP_1)
	v_pk_mul_f32 v[42:43], v[42:43], v[44:45]
	s_wait_loadcnt_dscnt 0x0
	v_dual_add_f32 v42, v56, v42 :: v_dual_lshlrev_b32 v45, 16, v61
	s_delay_alu instid0(VALU_DEP_1) | instskip(NEXT) | instid1(VALU_DEP_1)
	v_dual_lshlrev_b32 v44, 16, v60 :: v_dual_add_f32 v42, v42, v43
	v_pk_mul_f32 v[40:41], v[40:41], v[44:45]
	s_delay_alu instid0(VALU_DEP_1) | instskip(NEXT) | instid1(VALU_DEP_1)
	v_add_f32_e32 v40, v42, v40
	v_add_f32_e32 v56, v40, v41
.LBB595_24:                             ;   in Loop: Header=BB595_25 Depth=2
	s_or_b32 exec_lo, exec_lo, s9
	v_add_nc_u32_e32 v0, 64, v0
	v_add_nc_u64_e32 v[38:39], s[40:41], v[38:39]
	v_add_nc_u64_e32 v[30:31], s[42:43], v[30:31]
	;; [unrolled: 1-line block ×4, first 2 shown]
	v_cmp_le_i32_e32 vcc_lo, s44, v0
	v_add_nc_u64_e32 v[36:37], s[42:43], v[36:37]
	s_or_b32 s8, vcc_lo, s8
	s_delay_alu instid0(SALU_CYCLE_1)
	s_and_not1_b32 exec_lo, exec_lo, s8
	s_cbranch_execz .LBB595_30
.LBB595_25:                             ;   Parent Loop BB595_4 Depth=1
                                        ; =>  This Inner Loop Header: Depth=2
	s_and_saveexec_b32 s9, s1
	s_cbranch_execz .LBB595_24
; %bb.26:                               ;   in Loop: Header=BB595_25 Depth=2
	v_add_nc_u64_e32 v[42:43], v[38:39], v[20:21]
	v_add_nc_u64_e32 v[40:41], v[38:39], v[6:7]
	;; [unrolled: 1-line block ×8, first 2 shown]
	s_clause 0x3
	flat_load_u16 v42, v[42:43]
	flat_load_u16 v40, v[40:41]
	;; [unrolled: 1-line block ×4, first 2 shown]
                                        ; kill: killed $vgpr60_vgpr61
                                        ; kill: killed $vgpr62_vgpr63
	flat_load_u16 v62, v[48:49]
	flat_load_u16 v63, v[50:51]
	;; [unrolled: 1-line block ×4, first 2 shown]
	s_wait_loadcnt_dscnt 0x606
	v_dual_lshlrev_b32 v43, 16, v42 :: v_dual_lshlrev_b32 v42, 16, v40
	s_wait_loadcnt_dscnt 0x404
	v_dual_lshlrev_b32 v41, 16, v41 :: v_dual_lshlrev_b32 v40, 16, v64
	s_wait_xcnt 0x0
	s_and_saveexec_b32 s48, s2
	s_cbranch_execz .LBB595_23
; %bb.27:                               ;   in Loop: Header=BB595_25 Depth=2
	flat_load_u16 v66, v[48:49] offset:128
	flat_load_u16 v67, v[50:51] offset:128
	flat_load_u16 v64, v[44:45] offset:128
	flat_load_u16 v65, v[46:47] offset:128
	s_wait_xcnt 0x0
	s_and_saveexec_b32 s49, s3
	s_cbranch_execz .LBB595_22
; %bb.28:                               ;   in Loop: Header=BB595_25 Depth=2
	flat_load_u16 v70, v[48:49] offset:256
	flat_load_u16 v71, v[50:51] offset:256
	flat_load_u16 v68, v[44:45] offset:256
	flat_load_u16 v69, v[46:47] offset:256
	;; [unrolled: 8-line block ×3, first 2 shown]
	s_wait_loadcnt_dscnt 0x202
	s_wait_xcnt 0x0
	v_dual_lshlrev_b32 v45, 16, v50 :: v_dual_lshlrev_b32 v44, 16, v48
	s_delay_alu instid0(VALU_DEP_1) | instskip(SKIP_1) | instid1(VALU_DEP_1)
	v_pk_mul_f32 v[44:45], v[42:43], v[44:45]
	s_wait_loadcnt_dscnt 0x101
	v_dual_add_f32 v44, v59, v44 :: v_dual_lshlrev_b32 v47, 16, v46
	s_delay_alu instid0(VALU_DEP_1) | instskip(SKIP_2) | instid1(VALU_DEP_1)
	v_add_f32_e32 v48, v44, v45
	s_wait_loadcnt_dscnt 0x0
	v_lshlrev_b32_e32 v46, 16, v49
	v_pk_mul_f32 v[44:45], v[40:41], v[46:47]
	s_delay_alu instid0(VALU_DEP_1) | instskip(NEXT) | instid1(VALU_DEP_1)
	v_add_f32_e32 v44, v48, v44
	v_add_f32_e32 v59, v44, v45
	s_branch .LBB595_21
.LBB595_30:                             ;   in Loop: Header=BB595_4 Depth=1
	s_or_b32 exec_lo, exec_lo, s8
.LBB595_31:                             ;   in Loop: Header=BB595_4 Depth=1
	s_delay_alu instid0(SALU_CYCLE_1) | instskip(NEXT) | instid1(SALU_CYCLE_1)
	s_or_b32 exec_lo, exec_lo, s7
	s_and_not1_b32 vcc_lo, exec_lo, s45
	s_cbranch_vccnz .LBB595_49
; %bb.32:                               ;   in Loop: Header=BB595_4 Depth=1
	v_dual_mov_b32 v30, 0 :: v_dual_bitop2_b32 v34, 1, v0 bitop3:0x54
	v_cmp_gt_i32_e32 vcc_lo, s35, v0
	s_delay_alu instid0(VALU_DEP_2)
	v_dual_mov_b32 v31, v30 :: v_dual_mov_b32 v32, v30
	v_mov_b32_e32 v33, v30
	s_and_saveexec_b32 s8, vcc_lo
	s_cbranch_execz .LBB595_40
; %bb.33:                               ;   in Loop: Header=BB595_4 Depth=1
	v_mul_u64_e32 v[30:31], s[38:39], v[0:1]
	v_mov_b32_e32 v33, 0
	s_mov_b32 s9, exec_lo
	s_delay_alu instid0(VALU_DEP_2)
	v_lshl_add_u64 v[30:31], v[30:31], 1, v[28:29]
	flat_load_u16 v36, v[30:31]
	s_wait_xcnt 0x0
	v_dual_mov_b32 v31, 0 :: v_dual_mov_b32 v30, 0
	v_cmpx_gt_i32_e64 s35, v34
	s_cbranch_execz .LBB595_39
; %bb.34:                               ;   in Loop: Header=BB595_4 Depth=1
	v_dual_mov_b32 v35, v1 :: v_dual_bitop2_b32 v32, 2, v0 bitop3:0x54
	s_mov_b32 s48, exec_lo
	s_delay_alu instid0(VALU_DEP_1) | instskip(NEXT) | instid1(VALU_DEP_1)
	v_mul_u64_e32 v[30:31], s[38:39], v[34:35]
	v_lshl_add_u64 v[30:31], v[30:31], 1, v[28:29]
	flat_load_u16 v35, v[30:31]
	s_wait_xcnt 0x0
	v_dual_mov_b32 v31, 0 :: v_dual_mov_b32 v30, 0
	v_cmpx_gt_i32_e64 s35, v32
	s_cbranch_execz .LBB595_38
; %bb.35:                               ;   in Loop: Header=BB595_4 Depth=1
	v_mov_b32_e32 v33, v1
	s_mov_b32 s49, exec_lo
	s_delay_alu instid0(VALU_DEP_1) | instskip(NEXT) | instid1(VALU_DEP_1)
	v_mul_u64_e32 v[30:31], s[38:39], v[32:33]
	v_lshl_add_u64 v[30:31], v[30:31], 1, v[28:29]
	flat_load_u16 v32, v[30:31]
	s_wait_xcnt 0x0
	v_dual_mov_b32 v31, 0 :: v_dual_bitop2_b32 v30, 3, v0 bitop3:0x54
	s_delay_alu instid0(VALU_DEP_1)
	v_cmpx_gt_i32_e64 s35, v30
	s_cbranch_execz .LBB595_37
; %bb.36:                               ;   in Loop: Header=BB595_4 Depth=1
	v_mov_b32_e32 v31, v1
	s_delay_alu instid0(VALU_DEP_1) | instskip(NEXT) | instid1(VALU_DEP_1)
	v_mul_u64_e32 v[30:31], s[38:39], v[30:31]
	v_lshl_add_u64 v[28:29], v[30:31], 1, v[28:29]
	flat_load_u16 v28, v[28:29]
	s_wait_loadcnt_dscnt 0x0
	v_lshlrev_b32_e32 v31, 16, v28
.LBB595_37:                             ;   in Loop: Header=BB595_4 Depth=1
	s_wait_xcnt 0x0
	s_or_b32 exec_lo, exec_lo, s49
	s_wait_loadcnt_dscnt 0x0
	v_lshlrev_b32_e32 v30, 16, v32
.LBB595_38:                             ;   in Loop: Header=BB595_4 Depth=1
	s_or_b32 exec_lo, exec_lo, s48
	s_wait_loadcnt_dscnt 0x0
	v_lshlrev_b32_e32 v33, 16, v35
.LBB595_39:                             ;   in Loop: Header=BB595_4 Depth=1
	s_or_b32 exec_lo, exec_lo, s9
	s_wait_loadcnt_dscnt 0x0
	v_lshlrev_b32_e32 v32, 16, v36
.LBB595_40:                             ;   in Loop: Header=BB595_4 Depth=1
	s_or_b32 exec_lo, exec_lo, s8
	s_and_saveexec_b32 s48, s1
	s_cbranch_execz .LBB595_48
; %bb.41:                               ;   in Loop: Header=BB595_4 Depth=1
	v_dual_mov_b32 v35, v1 :: v_dual_bitop2_b32 v28, 2, v0 bitop3:0x54
	v_mov_b32_e32 v29, v1
	v_mul_u64_e32 v[36:37], s[36:37], v[0:1]
	v_or_b32_e32 v0, 3, v0
	s_delay_alu instid0(VALU_DEP_4)
	v_mul_u64_e32 v[38:39], s[36:37], v[34:35]
	v_cmp_gt_i32_e64 s7, s35, v34
	v_mul_u64_e32 v[40:41], s[36:37], v[28:29]
	v_cmp_gt_i32_e64 s8, s35, v28
	;; [unrolled: 2-line block ×3, first 2 shown]
	v_dual_cndmask_b32 v29, 0, v37 :: v_dual_cndmask_b32 v28, 0, v36
	v_dual_cndmask_b32 v35, 0, v39, s7 :: v_dual_cndmask_b32 v34, 0, v38, s7
	v_dual_cndmask_b32 v39, 0, v41, s8 :: v_dual_cndmask_b32 v38, 0, v40, s8
	s_delay_alu instid0(VALU_DEP_4) | instskip(NEXT) | instid1(VALU_DEP_3)
	v_dual_cndmask_b32 v41, 0, v43, s9 :: v_dual_cndmask_b32 v40, 0, v42, s9
	v_lshl_add_u64 v[34:35], v[34:35], 1, v[26:27]
	s_delay_alu instid0(VALU_DEP_3) | instskip(NEXT) | instid1(VALU_DEP_3)
	v_lshl_add_u64 v[36:37], v[38:39], 1, v[26:27]
	v_lshl_add_u64 v[38:39], v[40:41], 1, v[26:27]
	;; [unrolled: 1-line block ×3, first 2 shown]
	s_delay_alu instid0(VALU_DEP_4) | instskip(NEXT) | instid1(VALU_DEP_4)
	v_add_nc_u64_e32 v[26:27], v[34:35], v[8:9]
	v_add_nc_u64_e32 v[34:35], v[36:37], v[8:9]
	s_delay_alu instid0(VALU_DEP_4) | instskip(NEXT) | instid1(VALU_DEP_4)
	v_add_nc_u64_e32 v[28:29], v[38:39], v[8:9]
	v_add_nc_u64_e32 v[36:37], v[40:41], v[8:9]
	s_clause 0x3
	flat_load_u16 v39, v[26:27]
	flat_load_u16 v0, v[34:35]
	;; [unrolled: 1-line block ×4, first 2 shown]
	s_wait_xcnt 0x0
	s_and_saveexec_b32 s7, s2
	s_cbranch_execz .LBB595_47
; %bb.42:                               ;   in Loop: Header=BB595_4 Depth=1
	s_clause 0x3
	flat_load_u16 v43, v[36:37] offset:128
	flat_load_u16 v44, v[26:27] offset:128
	flat_load_u16 v41, v[34:35] offset:128
	flat_load_u16 v42, v[28:29] offset:128
	s_wait_xcnt 0x0
	s_and_saveexec_b32 s8, s3
	s_cbranch_execz .LBB595_46
; %bb.43:                               ;   in Loop: Header=BB595_4 Depth=1
	s_clause 0x3
	flat_load_u16 v47, v[36:37] offset:256
	flat_load_u16 v48, v[26:27] offset:256
	flat_load_u16 v45, v[34:35] offset:256
	flat_load_u16 v46, v[28:29] offset:256
	;; [unrolled: 9-line block ×3, first 2 shown]
	s_wait_loadcnt_dscnt 0x202
	s_wait_xcnt 0x3
	v_dual_lshlrev_b32 v27, 16, v49 :: v_dual_lshlrev_b32 v26, 16, v50
	s_delay_alu instid0(VALU_DEP_1) | instskip(SKIP_2) | instid1(VALU_DEP_1)
	v_pk_mul_f32 v[26:27], v[32:33], v[26:27]
	s_wait_loadcnt_dscnt 0x101
	s_wait_xcnt 0x1
	v_dual_add_f32 v26, v59, v26 :: v_dual_lshlrev_b32 v29, 16, v51
	s_wait_loadcnt_dscnt 0x0
	s_wait_xcnt 0x0
	s_delay_alu instid0(VALU_DEP_1) | instskip(NEXT) | instid1(VALU_DEP_1)
	v_dual_lshlrev_b32 v28, 16, v60 :: v_dual_add_f32 v34, v26, v27
	v_pk_mul_f32 v[26:27], v[30:31], v[28:29]
	s_delay_alu instid0(VALU_DEP_1) | instskip(NEXT) | instid1(VALU_DEP_1)
	v_add_f32_e32 v26, v34, v26
	v_add_f32_e32 v59, v26, v27
.LBB595_45:                             ;   in Loop: Header=BB595_4 Depth=1
	s_or_b32 exec_lo, exec_lo, s9
	s_wait_loadcnt_dscnt 0x202
	v_dual_lshlrev_b32 v27, 16, v48 :: v_dual_lshlrev_b32 v26, 16, v47
	s_wait_loadcnt_dscnt 0x0
	v_dual_lshlrev_b32 v29, 16, v46 :: v_dual_lshlrev_b32 v28, 16, v45
	s_delay_alu instid0(VALU_DEP_2) | instskip(NEXT) | instid1(VALU_DEP_1)
	v_pk_mul_f32 v[26:27], v[32:33], v[26:27]
	v_add_f32_e32 v26, v58, v26
	s_delay_alu instid0(VALU_DEP_1) | instskip(NEXT) | instid1(VALU_DEP_4)
	v_add_f32_e32 v34, v26, v27
	v_pk_mul_f32 v[26:27], v[30:31], v[28:29]
	s_delay_alu instid0(VALU_DEP_1) | instskip(NEXT) | instid1(VALU_DEP_1)
	v_add_f32_e32 v26, v34, v26
	v_add_f32_e32 v58, v26, v27
.LBB595_46:                             ;   in Loop: Header=BB595_4 Depth=1
	s_or_b32 exec_lo, exec_lo, s8
	s_wait_loadcnt_dscnt 0x202
	v_dual_lshlrev_b32 v27, 16, v44 :: v_dual_lshlrev_b32 v26, 16, v43
	s_wait_loadcnt_dscnt 0x0
	v_dual_lshlrev_b32 v29, 16, v42 :: v_dual_lshlrev_b32 v28, 16, v41
	s_delay_alu instid0(VALU_DEP_2) | instskip(NEXT) | instid1(VALU_DEP_1)
	v_pk_mul_f32 v[26:27], v[32:33], v[26:27]
	v_add_f32_e32 v26, v57, v26
	s_delay_alu instid0(VALU_DEP_1) | instskip(NEXT) | instid1(VALU_DEP_4)
	v_add_f32_e32 v34, v26, v27
	v_pk_mul_f32 v[26:27], v[30:31], v[28:29]
	s_delay_alu instid0(VALU_DEP_1) | instskip(NEXT) | instid1(VALU_DEP_1)
	v_add_f32_e32 v26, v34, v26
	v_add_f32_e32 v57, v26, v27
.LBB595_47:                             ;   in Loop: Header=BB595_4 Depth=1
	s_or_b32 exec_lo, exec_lo, s7
	s_wait_loadcnt_dscnt 0x0
	v_dual_lshlrev_b32 v27, 16, v39 :: v_dual_lshlrev_b32 v26, 16, v40
	v_dual_lshlrev_b32 v29, 16, v38 :: v_dual_lshlrev_b32 v28, 16, v0
	s_delay_alu instid0(VALU_DEP_2) | instskip(NEXT) | instid1(VALU_DEP_1)
	v_pk_mul_f32 v[26:27], v[32:33], v[26:27]
	v_add_f32_e32 v26, v56, v26
	s_delay_alu instid0(VALU_DEP_1) | instskip(NEXT) | instid1(VALU_DEP_4)
	v_add_f32_e32 v0, v26, v27
	v_pk_mul_f32 v[26:27], v[30:31], v[28:29]
	s_delay_alu instid0(VALU_DEP_1) | instskip(NEXT) | instid1(VALU_DEP_1)
	v_add_f32_e32 v0, v0, v26
	v_add_f32_e32 v56, v0, v27
.LBB595_48:                             ;   in Loop: Header=BB595_4 Depth=1
	s_or_b32 exec_lo, exec_lo, s48
.LBB595_49:                             ;   in Loop: Header=BB595_4 Depth=1
	ds_store_2addr_stride64_b32 v53, v56, v57 offset1:1
	ds_store_2addr_stride64_b32 v53, v58, v59 offset0:2 offset1:3
	s_wait_dscnt 0x0
	s_barrier_signal -1
	s_barrier_wait -1
                                        ; implicit-def: $vgpr0
	s_and_saveexec_b32 s7, s5
	s_cbranch_execz .LBB595_71
; %bb.50:                               ;   in Loop: Header=BB595_4 Depth=1
	ds_load_2addr_stride64_b32 v[26:27], v54 offset1:4
	ds_load_2addr_stride64_b32 v[28:29], v54 offset0:8 offset1:12
	ds_load_2addr_stride64_b32 v[30:31], v54 offset0:16 offset1:20
	s_mov_b32 s9, s46
	s_wait_dscnt 0x2
	v_add_f32_e32 v0, v26, v27
	ds_load_2addr_stride64_b32 v[26:27], v54 offset0:24 offset1:28
	s_wait_dscnt 0x2
	v_add_f32_e32 v0, v28, v0
	s_delay_alu instid0(VALU_DEP_1) | instskip(SKIP_3) | instid1(VALU_DEP_1)
	v_add_f32_e32 v0, v29, v0
	ds_load_2addr_stride64_b32 v[28:29], v54 offset0:32 offset1:36
	s_wait_dscnt 0x2
	v_add_f32_e32 v0, v30, v0
	v_add_f32_e32 v0, v31, v0
	ds_load_2addr_stride64_b32 v[30:31], v54 offset0:40 offset1:44
	s_wait_dscnt 0x2
	v_add_f32_e32 v0, v26, v0
	s_delay_alu instid0(VALU_DEP_1) | instskip(SKIP_3) | instid1(VALU_DEP_1)
	v_add_f32_e32 v0, v27, v0
	ds_load_2addr_stride64_b32 v[26:27], v54 offset0:48 offset1:52
	s_wait_dscnt 0x2
	v_add_f32_e32 v0, v28, v0
	v_add_f32_e32 v0, v29, v0
	ds_load_2addr_stride64_b32 v[28:29], v54 offset0:56 offset1:60
	s_wait_dscnt 0x2
	v_add_f32_e32 v0, v30, v0
	s_delay_alu instid0(VALU_DEP_1) | instskip(SKIP_1) | instid1(VALU_DEP_1)
	v_add_f32_e32 v0, v31, v0
	s_wait_dscnt 0x1
	v_add_f32_e32 v0, v26, v0
	s_delay_alu instid0(VALU_DEP_1) | instskip(SKIP_1) | instid1(VALU_DEP_1)
	v_add_f32_e32 v0, v27, v0
	s_wait_dscnt 0x0
	v_add_f32_e32 v0, v28, v0
	s_delay_alu instid0(VALU_DEP_1)
	v_add_f32_e32 v26, v29, v0
                                        ; implicit-def: $vgpr0
	ds_store_b32 v54, v26
	s_and_saveexec_b32 s8, s6
	s_cbranch_execz .LBB595_70
; %bb.51:                               ;   in Loop: Header=BB595_4 Depth=1
	v_mul_f32_e32 v0, v55, v26
	s_cmp_eq_f32 s47, 0
	s_cbranch_scc0 .LBB595_59
; %bb.52:                               ;   in Loop: Header=BB595_4 Depth=1
	s_delay_alu instid0(VALU_DEP_1) | instskip(NEXT) | instid1(VALU_DEP_1)
	v_and_b32_e32 v26, 0x7f800000, v0
	v_cmp_ne_u32_e32 vcc_lo, 0x7f800000, v26
                                        ; implicit-def: $vgpr26
	s_and_saveexec_b32 s9, vcc_lo
	s_delay_alu instid0(SALU_CYCLE_1)
	s_xor_b32 s9, exec_lo, s9
; %bb.53:                               ;   in Loop: Header=BB595_4 Depth=1
	v_bfe_u32 v26, v0, 16, 1
	s_delay_alu instid0(VALU_DEP_1)
	v_add3_u32 v26, v0, v26, 0x7fff
; %bb.54:                               ;   in Loop: Header=BB595_4 Depth=1
	s_and_not1_saveexec_b32 s9, s9
; %bb.55:                               ;   in Loop: Header=BB595_4 Depth=1
	v_and_b32_e32 v26, 0xffff, v0
	v_or_b32_e32 v27, 0x10000, v0
	s_delay_alu instid0(VALU_DEP_2) | instskip(NEXT) | instid1(VALU_DEP_2)
	v_cmp_eq_u32_e32 vcc_lo, 0, v26
	v_cndmask_b32_e32 v26, v27, v0, vcc_lo
; %bb.56:                               ;   in Loop: Header=BB595_4 Depth=1
	s_or_b32 exec_lo, exec_lo, s9
	s_cbranch_execz .LBB595_60
	s_branch .LBB595_69
.LBB595_57:                             ;   in Loop: Header=BB595_4 Depth=1
	v_mov_b32_e32 v0, 0
	s_mov_b32 s46, exec_lo
	s_or_b32 exec_lo, exec_lo, s8
	s_delay_alu instid0(SALU_CYCLE_1)
	s_and_b32 vcc_lo, exec_lo, s7
	s_cbranch_vccnz .LBB595_19
.LBB595_58:                             ;   in Loop: Header=BB595_4 Depth=1
	v_mov_b64_e32 v[26:27], v[2:3]
	s_wait_xcnt 0x0
	s_and_saveexec_b32 s7, s46
	s_cbranch_execz .LBB595_2
	s_branch .LBB595_72
.LBB595_59:                             ;   in Loop: Header=BB595_4 Depth=1
                                        ; implicit-def: $vgpr26
.LBB595_60:                             ;   in Loop: Header=BB595_4 Depth=1
	v_lshl_add_u64 v[26:27], v[4:5], 1, v[24:25]
	flat_load_u16 v26, v[26:27]
	s_wait_loadcnt_dscnt 0x0
	s_wait_xcnt 0x0
	v_lshlrev_b32_e32 v26, 16, v26
	s_delay_alu instid0(VALU_DEP_1) | instskip(NEXT) | instid1(VALU_DEP_1)
	v_mul_f32_e32 v26, s47, v26
	v_and_b32_e32 v27, 0x7f800000, v26
	s_delay_alu instid0(VALU_DEP_1) | instskip(SKIP_1) | instid1(SALU_CYCLE_1)
	v_cmp_ne_u32_e32 vcc_lo, 0x7f800000, v27
                                        ; implicit-def: $vgpr27
	s_and_saveexec_b32 s9, vcc_lo
	s_xor_b32 s9, exec_lo, s9
; %bb.61:                               ;   in Loop: Header=BB595_4 Depth=1
	v_bfe_u32 v27, v26, 16, 1
	s_delay_alu instid0(VALU_DEP_1)
	v_add3_u32 v27, v26, v27, 0x7fff
                                        ; implicit-def: $vgpr26
; %bb.62:                               ;   in Loop: Header=BB595_4 Depth=1
	s_and_not1_saveexec_b32 s9, s9
; %bb.63:                               ;   in Loop: Header=BB595_4 Depth=1
	v_and_b32_e32 v27, 0xffff, v26
	v_or_b32_e32 v28, 0x10000, v26
	s_delay_alu instid0(VALU_DEP_2) | instskip(NEXT) | instid1(VALU_DEP_2)
	v_cmp_eq_u32_e32 vcc_lo, 0, v27
	v_cndmask_b32_e32 v27, v28, v26, vcc_lo
; %bb.64:                               ;   in Loop: Header=BB595_4 Depth=1
	s_or_b32 exec_lo, exec_lo, s9
	s_delay_alu instid0(VALU_DEP_1) | instskip(NEXT) | instid1(VALU_DEP_1)
	v_and_b32_e32 v26, 0xffff0000, v27
	v_add_f32_e32 v0, v0, v26
	s_delay_alu instid0(VALU_DEP_1) | instskip(NEXT) | instid1(VALU_DEP_1)
	v_and_b32_e32 v26, 0x7f800000, v0
	v_cmp_ne_u32_e32 vcc_lo, 0x7f800000, v26
                                        ; implicit-def: $vgpr26
	s_and_saveexec_b32 s9, vcc_lo
	s_delay_alu instid0(SALU_CYCLE_1)
	s_xor_b32 s9, exec_lo, s9
; %bb.65:                               ;   in Loop: Header=BB595_4 Depth=1
	v_bfe_u32 v26, v0, 16, 1
	s_delay_alu instid0(VALU_DEP_1)
	v_add3_u32 v26, v0, v26, 0x7fff
                                        ; implicit-def: $vgpr0
; %bb.66:                               ;   in Loop: Header=BB595_4 Depth=1
	s_and_not1_saveexec_b32 s9, s9
; %bb.67:                               ;   in Loop: Header=BB595_4 Depth=1
	v_and_b32_e32 v26, 0xffff, v0
	v_or_b32_e32 v27, 0x10000, v0
	s_delay_alu instid0(VALU_DEP_2) | instskip(NEXT) | instid1(VALU_DEP_2)
	v_cmp_eq_u32_e32 vcc_lo, 0, v26
	v_cndmask_b32_e32 v26, v27, v0, vcc_lo
; %bb.68:                               ;   in Loop: Header=BB595_4 Depth=1
	s_or_b32 exec_lo, exec_lo, s9
.LBB595_69:                             ;   in Loop: Header=BB595_4 Depth=1
	s_delay_alu instid0(VALU_DEP_1)
	v_lshrrev_b32_e32 v0, 16, v26
	s_or_b32 s9, s46, exec_lo
.LBB595_70:                             ;   in Loop: Header=BB595_4 Depth=1
	s_or_b32 exec_lo, exec_lo, s8
	s_delay_alu instid0(SALU_CYCLE_1) | instskip(SKIP_1) | instid1(SALU_CYCLE_1)
	s_and_not1_b32 s8, s46, exec_lo
	s_and_b32 s9, s9, exec_lo
	s_or_b32 s46, s8, s9
.LBB595_71:                             ;   in Loop: Header=BB595_4 Depth=1
	s_or_b32 exec_lo, exec_lo, s7
	v_mov_b64_e32 v[26:27], v[4:5]
	s_and_saveexec_b32 s7, s46
	s_cbranch_execz .LBB595_2
.LBB595_72:                             ;   in Loop: Header=BB595_4 Depth=1
	s_delay_alu instid0(VALU_DEP_1)
	v_lshl_add_u64 v[24:25], v[26:27], 1, v[24:25]
	flat_store_b16 v[24:25], v0
	s_branch .LBB595_2
.LBB595_73:
	s_sendmsg sendmsg(MSG_DEALLOC_VGPRS)
	s_endpgm
	.section	.rodata,"a",@progbits
	.p2align	6, 0x0
	.amdhsa_kernel _ZL20rocblas_gemvn_kernelILi64ELi16ElPK16rocblas_bfloat16PKfKPS0_EviiT3_lPKT2_lT1_lSA_lSB_lS7_lPT4_lSB_li
		.amdhsa_group_segment_fixed_size 16384
		.amdhsa_private_segment_fixed_size 0
		.amdhsa_kernarg_size 400
		.amdhsa_user_sgpr_count 2
		.amdhsa_user_sgpr_dispatch_ptr 0
		.amdhsa_user_sgpr_queue_ptr 0
		.amdhsa_user_sgpr_kernarg_segment_ptr 1
		.amdhsa_user_sgpr_dispatch_id 0
		.amdhsa_user_sgpr_kernarg_preload_length 0
		.amdhsa_user_sgpr_kernarg_preload_offset 0
		.amdhsa_user_sgpr_private_segment_size 0
		.amdhsa_wavefront_size32 1
		.amdhsa_uses_dynamic_stack 0
		.amdhsa_enable_private_segment 0
		.amdhsa_system_sgpr_workgroup_id_x 1
		.amdhsa_system_sgpr_workgroup_id_y 0
		.amdhsa_system_sgpr_workgroup_id_z 1
		.amdhsa_system_sgpr_workgroup_info 0
		.amdhsa_system_vgpr_workitem_id 1
		.amdhsa_next_free_vgpr 72
		.amdhsa_next_free_sgpr 51
		.amdhsa_named_barrier_count 0
		.amdhsa_reserve_vcc 1
		.amdhsa_float_round_mode_32 0
		.amdhsa_float_round_mode_16_64 0
		.amdhsa_float_denorm_mode_32 3
		.amdhsa_float_denorm_mode_16_64 3
		.amdhsa_fp16_overflow 0
		.amdhsa_memory_ordered 1
		.amdhsa_forward_progress 1
		.amdhsa_inst_pref_size 29
		.amdhsa_round_robin_scheduling 0
		.amdhsa_exception_fp_ieee_invalid_op 0
		.amdhsa_exception_fp_denorm_src 0
		.amdhsa_exception_fp_ieee_div_zero 0
		.amdhsa_exception_fp_ieee_overflow 0
		.amdhsa_exception_fp_ieee_underflow 0
		.amdhsa_exception_fp_ieee_inexact 0
		.amdhsa_exception_int_div_zero 0
	.end_amdhsa_kernel
	.section	.text._ZL20rocblas_gemvn_kernelILi64ELi16ElPK16rocblas_bfloat16PKfKPS0_EviiT3_lPKT2_lT1_lSA_lSB_lS7_lPT4_lSB_li,"axG",@progbits,_ZL20rocblas_gemvn_kernelILi64ELi16ElPK16rocblas_bfloat16PKfKPS0_EviiT3_lPKT2_lT1_lSA_lSB_lS7_lPT4_lSB_li,comdat
.Lfunc_end595:
	.size	_ZL20rocblas_gemvn_kernelILi64ELi16ElPK16rocblas_bfloat16PKfKPS0_EviiT3_lPKT2_lT1_lSA_lSB_lS7_lPT4_lSB_li, .Lfunc_end595-_ZL20rocblas_gemvn_kernelILi64ELi16ElPK16rocblas_bfloat16PKfKPS0_EviiT3_lPKT2_lT1_lSA_lSB_lS7_lPT4_lSB_li
                                        ; -- End function
	.set _ZL20rocblas_gemvn_kernelILi64ELi16ElPK16rocblas_bfloat16PKfKPS0_EviiT3_lPKT2_lT1_lSA_lSB_lS7_lPT4_lSB_li.num_vgpr, 72
	.set _ZL20rocblas_gemvn_kernelILi64ELi16ElPK16rocblas_bfloat16PKfKPS0_EviiT3_lPKT2_lT1_lSA_lSB_lS7_lPT4_lSB_li.num_agpr, 0
	.set _ZL20rocblas_gemvn_kernelILi64ELi16ElPK16rocblas_bfloat16PKfKPS0_EviiT3_lPKT2_lT1_lSA_lSB_lS7_lPT4_lSB_li.numbered_sgpr, 51
	.set _ZL20rocblas_gemvn_kernelILi64ELi16ElPK16rocblas_bfloat16PKfKPS0_EviiT3_lPKT2_lT1_lSA_lSB_lS7_lPT4_lSB_li.num_named_barrier, 0
	.set _ZL20rocblas_gemvn_kernelILi64ELi16ElPK16rocblas_bfloat16PKfKPS0_EviiT3_lPKT2_lT1_lSA_lSB_lS7_lPT4_lSB_li.private_seg_size, 0
	.set _ZL20rocblas_gemvn_kernelILi64ELi16ElPK16rocblas_bfloat16PKfKPS0_EviiT3_lPKT2_lT1_lSA_lSB_lS7_lPT4_lSB_li.uses_vcc, 1
	.set _ZL20rocblas_gemvn_kernelILi64ELi16ElPK16rocblas_bfloat16PKfKPS0_EviiT3_lPKT2_lT1_lSA_lSB_lS7_lPT4_lSB_li.uses_flat_scratch, 1
	.set _ZL20rocblas_gemvn_kernelILi64ELi16ElPK16rocblas_bfloat16PKfKPS0_EviiT3_lPKT2_lT1_lSA_lSB_lS7_lPT4_lSB_li.has_dyn_sized_stack, 0
	.set _ZL20rocblas_gemvn_kernelILi64ELi16ElPK16rocblas_bfloat16PKfKPS0_EviiT3_lPKT2_lT1_lSA_lSB_lS7_lPT4_lSB_li.has_recursion, 0
	.set _ZL20rocblas_gemvn_kernelILi64ELi16ElPK16rocblas_bfloat16PKfKPS0_EviiT3_lPKT2_lT1_lSA_lSB_lS7_lPT4_lSB_li.has_indirect_call, 0
	.section	.AMDGPU.csdata,"",@progbits
; Kernel info:
; codeLenInByte = 3676
; TotalNumSgprs: 53
; NumVgprs: 72
; ScratchSize: 0
; MemoryBound: 0
; FloatMode: 240
; IeeeMode: 1
; LDSByteSize: 16384 bytes/workgroup (compile time only)
; SGPRBlocks: 0
; VGPRBlocks: 4
; NumSGPRsForWavesPerEU: 53
; NumVGPRsForWavesPerEU: 72
; NamedBarCnt: 0
; Occupancy: 12
; WaveLimiterHint : 1
; COMPUTE_PGM_RSRC2:SCRATCH_EN: 0
; COMPUTE_PGM_RSRC2:USER_SGPR: 2
; COMPUTE_PGM_RSRC2:TRAP_HANDLER: 0
; COMPUTE_PGM_RSRC2:TGID_X_EN: 1
; COMPUTE_PGM_RSRC2:TGID_Y_EN: 0
; COMPUTE_PGM_RSRC2:TGID_Z_EN: 1
; COMPUTE_PGM_RSRC2:TIDIG_COMP_CNT: 1
	.section	.text._ZL20rocblas_gemvn_kernelILi64ELi16EiPK16rocblas_bfloat16fKPS0_EviiT3_lPKT2_lT1_lS8_lS9_lS5_lPT4_lS9_li,"axG",@progbits,_ZL20rocblas_gemvn_kernelILi64ELi16EiPK16rocblas_bfloat16fKPS0_EviiT3_lPKT2_lT1_lS8_lS9_lS5_lPT4_lS9_li,comdat
	.globl	_ZL20rocblas_gemvn_kernelILi64ELi16EiPK16rocblas_bfloat16fKPS0_EviiT3_lPKT2_lT1_lS8_lS9_lS5_lPT4_lS9_li ; -- Begin function _ZL20rocblas_gemvn_kernelILi64ELi16EiPK16rocblas_bfloat16fKPS0_EviiT3_lPKT2_lT1_lS8_lS9_lS5_lPT4_lS9_li
	.p2align	8
	.type	_ZL20rocblas_gemvn_kernelILi64ELi16EiPK16rocblas_bfloat16fKPS0_EviiT3_lPKT2_lT1_lS8_lS9_lS5_lPT4_lS9_li,@function
_ZL20rocblas_gemvn_kernelILi64ELi16EiPK16rocblas_bfloat16fKPS0_EviiT3_lPKT2_lT1_lS8_lS9_lS5_lPT4_lS9_li: ; @_ZL20rocblas_gemvn_kernelILi64ELi16EiPK16rocblas_bfloat16fKPS0_EviiT3_lPKT2_lT1_lS8_lS9_lS5_lPT4_lS9_li
; %bb.0:
	s_clause 0x1
	s_load_b64 s[2:3], s[0:1], 0x9c
	s_load_b32 s23, s[0:1], 0x88
	s_bfe_u32 s4, ttmp6, 0x40014
	s_lshr_b32 s5, ttmp7, 16
	s_add_co_i32 s4, s4, 1
	s_bfe_u32 s6, ttmp6, 0x40008
	s_mul_i32 s7, s5, s4
	s_getreg_b32 s4, hwreg(HW_REG_IB_STS2, 6, 4)
	s_add_co_i32 s6, s6, s7
	s_mov_b32 s25, 0
	s_wait_kmcnt 0x0
	s_lshr_b32 s7, s2, 16
	s_and_b32 s2, s2, 0xffff
	s_and_b32 s3, s3, 0xffff
	s_mul_i32 s2, s7, s2
	s_cmp_eq_u32 s4, 0
	s_mul_i32 s2, s2, s3
	s_cselect_b32 s24, s5, s6
	s_cmp_lg_u32 s2, 0x400
	s_cselect_b32 s2, -1, 0
	s_cmp_ge_u32 s24, s23
	s_cselect_b32 s3, -1, 0
	s_delay_alu instid0(SALU_CYCLE_1) | instskip(NEXT) | instid1(SALU_CYCLE_1)
	s_or_b32 s2, s2, s3
	s_and_b32 vcc_lo, exec_lo, s2
	s_cbranch_vccnz .LBB596_75
; %bb.1:
	s_clause 0x7
	s_load_b32 s2, s[0:1], 0x78
	s_load_b96 s[20:22], s[0:1], 0x0
	s_load_b32 s26, s[0:1], 0x58
	s_load_b128 s[8:11], s[0:1], 0x68
	s_load_b32 s27, s[0:1], 0x28
	s_load_b128 s[12:15], s[0:1], 0x38
	;; [unrolled: 2-line block ×3, first 2 shown]
	v_and_b32_e32 v6, 0x3ff, v0
	v_bfe_u32 v7, v0, 10, 10
	s_delay_alu instid0(VALU_DEP_2) | instskip(NEXT) | instid1(VALU_DEP_2)
	v_dual_mov_b32 v1, 0 :: v_dual_lshlrev_b32 v0, 2, v6
	v_lshl_add_u32 v2, v7, 6, v6
	s_delay_alu instid0(VALU_DEP_2)
	v_lshl_add_u32 v27, v7, 10, v0
	v_lshl_add_u32 v28, v7, 8, v0
	s_wait_kmcnt 0x0
	s_ashr_i32 s3, s2, 31
	s_cmp_eq_f32 s22, 0
	v_cmp_gt_u32_e64 s0, 0x100, v2
	s_mov_b32 s6, s20
	v_mul_lo_u32 v10, v7, s27
	s_cselect_b32 s29, -1, 0
	s_cmp_neq_f32 s26, 1.0
	s_cselect_b32 s1, -1, 0
	s_cmp_neq_f32 s22, 0
	s_cselect_b32 s5, -1, 0
	s_bfe_u32 s7, ttmp6, 0x4000c
	s_and_b32 s31, ttmp6, 15
	s_add_co_i32 s7, s7, 1
	s_or_b32 s30, s5, s1
	s_mul_i32 s7, ttmp9, s7
	v_cndmask_b32_e64 v29, 0, 1, s5
	s_add_co_i32 s31, s31, s7
	s_cmp_eq_u32 s4, 0
	v_lshl_add_u32 v36, v10, 2, v6
	s_cselect_b32 s1, ttmp9, s31
	s_ashr_i32 s7, s20, 31
	s_lshl_b32 s31, s1, 8
	s_delay_alu instid0(SALU_CYCLE_1)
	v_dual_lshlrev_b32 v26, 2, v7 :: v_dual_add_nc_u32 v0, s31, v2
	v_or_b32_e32 v5, s31, v2
	v_mul_lo_u32 v7, v7, s28
	s_cmp_neq_f32 s26, 0
	v_add_nc_u32_e32 v30, s31, v6
	v_mul_u64_e32 v[2:3], s[2:3], v[0:1]
	v_mul_lo_u32 v4, s2, v5
	s_cselect_b32 s33, -1, 0
	s_cmp_eq_f32 s26, 0
	v_or_b32_e32 v8, 2, v26
	v_mul_lo_u32 v9, s27, v26
	v_cmp_gt_i32_e64 s2, s20, v5
	s_cselect_b32 s34, -1, 0
	v_lshlrev_b32_e32 v37, 2, v7
	v_add_nc_u32_e32 v11, 0x80, v30
	s_ashr_i32 s3, s21, 31
	v_mad_u32 v33, s28, v26, s28
	s_lshr_b32 s4, s3, 26
	v_ashrrev_i32_e32 v5, 31, v4
	s_add_co_i32 s35, s21, s4
	v_cmp_gt_i32_e64 s4, s20, v11
	v_or_b32_e32 v11, 3, v26
	v_mad_u32 v31, s27, v8, v6
	v_mul_lo_u32 v34, s28, v8
	v_cmp_gt_i64_e32 vcc_lo, s[6:7], v[0:1]
	v_add_nc_u32_e32 v0, 64, v30
	v_mad_u32 v32, s27, v11, v6
	v_mul_lo_u32 v35, s28, v11
	v_add_nc_u32_e32 v12, 0xc0, v30
	s_and_not1_b32 s35, s35, 63
	v_cmp_gt_i32_e64 s1, s20, v30
	s_sub_co_i32 s7, s21, s35
	v_cmp_gt_i32_e64 s3, s20, v0
	v_cmp_gt_i32_e64 s5, s20, v12
	;; [unrolled: 1-line block ×3, first 2 shown]
	v_add3_u32 v0, v9, s27, v6
	s_cmp_gt_i32 s7, 0
	s_cselect_b32 s20, -1, 0
	s_and_b32 s36, s0, vcc_lo
	s_lshl_b32 s37, s27, 6
	s_lshl_b32 s38, s28, 6
	s_lshl_b64 s[18:19], s[18:19], 1
	s_lshl_b64 s[14:15], s[14:15], 1
	;; [unrolled: 1-line block ×3, first 2 shown]
	s_branch .LBB596_4
.LBB596_2:                              ;   in Loop: Header=BB596_4 Depth=1
	s_wait_xcnt 0x0
	s_or_b32 exec_lo, exec_lo, s7
.LBB596_3:                              ;   in Loop: Header=BB596_4 Depth=1
	s_add_co_i32 s24, s24, 0x10000
	s_delay_alu instid0(SALU_CYCLE_1)
	s_cmp_lt_u32 s24, s23
	s_cbranch_scc0 .LBB596_75
.LBB596_4:                              ; =>This Loop Header: Depth=1
                                        ;     Child Loop BB596_27 Depth 2
	s_and_not1_b32 vcc_lo, exec_lo, s30
	s_cbranch_vccnz .LBB596_3
; %bb.5:                                ;   in Loop: Header=BB596_4 Depth=1
	s_and_not1_b32 vcc_lo, exec_lo, s29
	s_cbranch_vccnz .LBB596_7
; %bb.6:                                ;   in Loop: Header=BB596_4 Depth=1
	v_mov_b64_e32 v[10:11], 0
	v_mov_b64_e32 v[8:9], 0
	s_cbranch_execz .LBB596_8
	s_branch .LBB596_9
.LBB596_7:                              ;   in Loop: Header=BB596_4 Depth=1
	v_mov_b64_e32 v[10:11], 0
	v_mov_b64_e32 v[8:9], 0
.LBB596_8:                              ;   in Loop: Header=BB596_4 Depth=1
	s_lshl_b64 s[40:41], s[24:25], 3
	s_delay_alu instid0(SALU_CYCLE_1)
	s_add_nc_u64 s[40:41], s[16:17], s[40:41]
	global_load_b64 v[6:7], v1, s[40:41]
	s_wait_loadcnt 0x0
	v_add_nc_u64_e32 v[8:9], s[18:19], v[6:7]
.LBB596_9:                              ;   in Loop: Header=BB596_4 Depth=1
	v_cmp_ne_u32_e32 vcc_lo, 1, v29
	s_cbranch_vccnz .LBB596_11
; %bb.10:                               ;   in Loop: Header=BB596_4 Depth=1
	s_wait_xcnt 0x0
	s_lshl_b64 s[40:41], s[24:25], 3
	s_delay_alu instid0(SALU_CYCLE_1)
	s_add_nc_u64 s[40:41], s[12:13], s[40:41]
	global_load_b64 v[6:7], v1, s[40:41]
	s_wait_loadcnt 0x0
	v_add_nc_u64_e32 v[10:11], s[14:15], v[6:7]
.LBB596_11:                             ;   in Loop: Header=BB596_4 Depth=1
	s_wait_xcnt 0x0
	s_lshl_b64 s[40:41], s[24:25], 3
	s_and_not1_b32 vcc_lo, exec_lo, s29
	s_add_nc_u64 s[40:41], s[8:9], s[40:41]
	global_load_b64 v[6:7], v1, s[40:41]
	s_wait_loadcnt 0x0
	v_add_nc_u64_e32 v[6:7], s[10:11], v[6:7]
	s_cbranch_vccnz .LBB596_19
; %bb.12:                               ;   in Loop: Header=BB596_4 Depth=1
	s_mov_b32 s7, 0
	s_mov_b32 s39, 0
                                        ; implicit-def: $vgpr12
	s_wait_xcnt 0x0
	s_and_saveexec_b32 s40, s36
	s_cbranch_execz .LBB596_20
; %bb.13:                               ;   in Loop: Header=BB596_4 Depth=1
	s_and_not1_b32 vcc_lo, exec_lo, s33
	s_cbranch_vccnz .LBB596_72
; %bb.14:                               ;   in Loop: Header=BB596_4 Depth=1
	v_lshl_add_u64 v[12:13], v[2:3], 1, v[6:7]
	flat_load_u16 v12, v[12:13]
	s_wait_loadcnt_dscnt 0x0
	s_wait_xcnt 0x0
	v_lshlrev_b32_e32 v12, 16, v12
	s_delay_alu instid0(VALU_DEP_1) | instskip(NEXT) | instid1(VALU_DEP_1)
	v_mul_f32_e32 v12, s26, v12
	v_and_b32_e32 v13, 0x7f800000, v12
	s_delay_alu instid0(VALU_DEP_1) | instskip(SKIP_1) | instid1(SALU_CYCLE_1)
	v_cmp_ne_u32_e32 vcc_lo, 0x7f800000, v13
                                        ; implicit-def: $vgpr13
	s_and_saveexec_b32 s39, vcc_lo
	s_xor_b32 s39, exec_lo, s39
; %bb.15:                               ;   in Loop: Header=BB596_4 Depth=1
	v_bfe_u32 v13, v12, 16, 1
	s_delay_alu instid0(VALU_DEP_1)
	v_add3_u32 v13, v12, v13, 0x7fff
                                        ; implicit-def: $vgpr12
; %bb.16:                               ;   in Loop: Header=BB596_4 Depth=1
	s_and_not1_saveexec_b32 s39, s39
; %bb.17:                               ;   in Loop: Header=BB596_4 Depth=1
	v_and_b32_e32 v13, 0xffff, v12
	v_or_b32_e32 v14, 0x10000, v12
	s_delay_alu instid0(VALU_DEP_2) | instskip(NEXT) | instid1(VALU_DEP_2)
	v_cmp_eq_u32_e32 vcc_lo, 0, v13
	v_cndmask_b32_e32 v13, v14, v12, vcc_lo
; %bb.18:                               ;   in Loop: Header=BB596_4 Depth=1
	s_or_b32 exec_lo, exec_lo, s39
	s_delay_alu instid0(VALU_DEP_1) | instskip(SKIP_2) | instid1(SALU_CYCLE_1)
	v_lshrrev_b32_e32 v12, 16, v13
	s_mov_b32 s39, exec_lo
	s_or_b32 exec_lo, exec_lo, s40
	s_and_b32 vcc_lo, exec_lo, s7
	s_cbranch_vccnz .LBB596_21
	s_branch .LBB596_73
.LBB596_19:                             ;   in Loop: Header=BB596_4 Depth=1
	s_mov_b32 s39, 0
                                        ; implicit-def: $vgpr12
	s_cbranch_execnz .LBB596_21
	s_branch .LBB596_73
.LBB596_20:                             ;   in Loop: Header=BB596_4 Depth=1
	s_or_b32 exec_lo, exec_lo, s40
	s_delay_alu instid0(SALU_CYCLE_1)
	s_and_b32 vcc_lo, exec_lo, s7
	s_cbranch_vccz .LBB596_73
.LBB596_21:                             ;   in Loop: Header=BB596_4 Depth=1
	v_dual_mov_b32 v38, 0 :: v_dual_mov_b32 v42, v26
	v_dual_mov_b32 v39, 0 :: v_dual_mov_b32 v40, 0
	v_mov_b32_e32 v41, 0
	s_wait_xcnt 0x0
	s_and_saveexec_b32 s7, s6
	s_cbranch_execz .LBB596_33
; %bb.22:                               ;   in Loop: Header=BB596_4 Depth=1
	v_dual_mov_b32 v38, 0 :: v_dual_mov_b32 v43, v36
	v_dual_mov_b32 v44, v32 :: v_dual_mov_b32 v45, v31
	;; [unrolled: 1-line block ×4, first 2 shown]
	v_mov_b32_e32 v41, 0
	s_mov_b32 s40, 0
	s_mov_b32 s41, 0
	s_branch .LBB596_27
.LBB596_23:                             ;   in Loop: Header=BB596_27 Depth=2
	s_or_b32 exec_lo, exec_lo, s45
	s_wait_loadcnt_dscnt 0x202
	v_dual_lshlrev_b32 v17, 16, v56 :: v_dual_lshlrev_b32 v16, 16, v55
	s_delay_alu instid0(VALU_DEP_1) | instskip(SKIP_1) | instid1(VALU_DEP_1)
	v_pk_mul_f32 v[16:17], v[14:15], v[16:17]
	s_wait_loadcnt_dscnt 0x0
	v_dual_add_f32 v16, v40, v16 :: v_dual_lshlrev_b32 v19, 16, v54
	s_delay_alu instid0(VALU_DEP_1) | instskip(SKIP_1) | instid1(VALU_DEP_1)
	v_add_f32_e32 v20, v16, v17
	v_lshlrev_b32_e32 v18, 16, v53
	v_pk_mul_f32 v[16:17], v[12:13], v[18:19]
	s_delay_alu instid0(VALU_DEP_1) | instskip(NEXT) | instid1(VALU_DEP_1)
	v_add_f32_e32 v16, v20, v16
	v_add_f32_e32 v40, v16, v17
.LBB596_24:                             ;   in Loop: Header=BB596_27 Depth=2
	s_or_b32 exec_lo, exec_lo, s44
	s_wait_loadcnt_dscnt 0x202
	v_dual_lshlrev_b32 v17, 16, v52 :: v_dual_lshlrev_b32 v16, 16, v51
	s_delay_alu instid0(VALU_DEP_1) | instskip(SKIP_1) | instid1(VALU_DEP_1)
	v_pk_mul_f32 v[16:17], v[14:15], v[16:17]
	s_wait_loadcnt_dscnt 0x0
	v_dual_add_f32 v16, v39, v16 :: v_dual_lshlrev_b32 v19, 16, v25
	s_delay_alu instid0(VALU_DEP_1) | instskip(NEXT) | instid1(VALU_DEP_1)
	v_dual_lshlrev_b32 v18, 16, v24 :: v_dual_add_f32 v20, v16, v17
	v_pk_mul_f32 v[16:17], v[12:13], v[18:19]
	s_delay_alu instid0(VALU_DEP_1) | instskip(NEXT) | instid1(VALU_DEP_1)
	v_add_f32_e32 v16, v20, v16
	v_add_f32_e32 v39, v16, v17
.LBB596_25:                             ;   in Loop: Header=BB596_27 Depth=2
	s_or_b32 exec_lo, exec_lo, s43
	s_wait_loadcnt_dscnt 0x202
	v_dual_lshlrev_b32 v17, 16, v50 :: v_dual_lshlrev_b32 v16, 16, v49
	s_delay_alu instid0(VALU_DEP_1) | instskip(SKIP_1) | instid1(VALU_DEP_1)
	v_pk_mul_f32 v[14:15], v[14:15], v[16:17]
	s_wait_loadcnt_dscnt 0x0
	v_dual_add_f32 v14, v38, v14 :: v_dual_lshlrev_b32 v17, 16, v48
	s_delay_alu instid0(VALU_DEP_1) | instskip(SKIP_1) | instid1(VALU_DEP_1)
	v_add_f32_e32 v14, v14, v15
	v_lshlrev_b32_e32 v16, 16, v47
	v_pk_mul_f32 v[12:13], v[12:13], v[16:17]
	s_delay_alu instid0(VALU_DEP_1) | instskip(NEXT) | instid1(VALU_DEP_1)
	v_add_f32_e32 v12, v14, v12
	v_add_f32_e32 v38, v12, v13
.LBB596_26:                             ;   in Loop: Header=BB596_27 Depth=2
	s_or_b32 exec_lo, exec_lo, s42
	v_dual_add_nc_u32 v42, 64, v42 :: v_dual_add_nc_u32 v45, s37, v45
	v_dual_add_nc_u32 v46, s37, v46 :: v_dual_add_nc_u32 v44, s37, v44
	v_add_nc_u32_e32 v43, s37, v43
	s_delay_alu instid0(VALU_DEP_3) | instskip(SKIP_2) | instid1(SALU_CYCLE_1)
	v_cmp_le_i32_e32 vcc_lo, s35, v42
	s_add_co_i32 s41, s41, s38
	s_or_b32 s40, vcc_lo, s40
	s_and_not1_b32 exec_lo, exec_lo, s40
	s_cbranch_execz .LBB596_32
.LBB596_27:                             ;   Parent Loop BB596_4 Depth=1
                                        ; =>  This Inner Loop Header: Depth=2
	s_and_saveexec_b32 s42, s1
	s_cbranch_execz .LBB596_26
; %bb.28:                               ;   in Loop: Header=BB596_27 Depth=2
	v_dual_add_nc_u32 v12, s41, v37 :: v_dual_add_nc_u32 v14, s41, v34
	v_readfirstlane_b32 s44, v10
	v_readfirstlane_b32 s45, v11
	v_dual_add_nc_u32 v13, s41, v33 :: v_dual_add_nc_u32 v15, s41, v35
	s_clause 0x3
	flat_load_u16 v17, v12, s[44:45] scale_offset
	flat_load_u16 v18, v13, s[44:45] scale_offset
	;; [unrolled: 1-line block ×4, first 2 shown]
	v_dual_add_nc_u32 v16, s31, v43 :: v_dual_add_nc_u32 v20, s31, v46
	s_wait_xcnt 0x0
	v_readfirstlane_b32 s44, v8
	v_readfirstlane_b32 s45, v9
	v_dual_add_nc_u32 v24, s31, v45 :: v_dual_add_nc_u32 v22, s31, v44
	s_clause 0x3
	flat_load_u16 v49, v16, s[44:45] scale_offset
	flat_load_u16 v50, v20, s[44:45] scale_offset
	;; [unrolled: 1-line block ×4, first 2 shown]
	s_wait_loadcnt_dscnt 0x606
	v_dual_lshlrev_b32 v14, 16, v17 :: v_dual_lshlrev_b32 v15, 16, v18
	s_wait_loadcnt_dscnt 0x404
	v_dual_lshlrev_b32 v12, 16, v19 :: v_dual_lshlrev_b32 v13, 16, v21
	s_wait_xcnt 0x0
	s_and_saveexec_b32 s43, s3
	s_cbranch_execz .LBB596_25
; %bb.29:                               ;   in Loop: Header=BB596_27 Depth=2
	v_dual_ashrrev_i32 v17, 31, v16 :: v_dual_ashrrev_i32 v23, 31, v22
	v_ashrrev_i32_e32 v21, 31, v20
	v_ashrrev_i32_e32 v25, 31, v24
	s_delay_alu instid0(VALU_DEP_3) | instskip(NEXT) | instid1(VALU_DEP_4)
	v_lshl_add_u64 v[18:19], v[16:17], 1, v[8:9]
	v_lshl_add_u64 v[22:23], v[22:23], 1, v[8:9]
	s_delay_alu instid0(VALU_DEP_4) | instskip(NEXT) | instid1(VALU_DEP_4)
	v_lshl_add_u64 v[16:17], v[20:21], 1, v[8:9]
	v_lshl_add_u64 v[20:21], v[24:25], 1, v[8:9]
	s_clause 0x3
	flat_load_u16 v51, v[18:19] offset:128
	flat_load_u16 v52, v[16:17] offset:128
	;; [unrolled: 1-line block ×4, first 2 shown]
	s_wait_xcnt 0x0
	s_and_saveexec_b32 s44, s4
	s_cbranch_execz .LBB596_24
; %bb.30:                               ;   in Loop: Header=BB596_27 Depth=2
	s_clause 0x3
	flat_load_u16 v55, v[18:19] offset:256
	flat_load_u16 v56, v[16:17] offset:256
	;; [unrolled: 1-line block ×4, first 2 shown]
	s_wait_xcnt 0x0
	s_and_saveexec_b32 s45, s5
	s_cbranch_execz .LBB596_23
; %bb.31:                               ;   in Loop: Header=BB596_27 Depth=2
	s_clause 0x3
	flat_load_u16 v57, v[16:17] offset:384
	flat_load_u16 v58, v[18:19] offset:384
	;; [unrolled: 1-line block ×4, first 2 shown]
	s_wait_loadcnt_dscnt 0x202
	s_wait_xcnt 0x3
	v_dual_lshlrev_b32 v17, 16, v57 :: v_dual_lshlrev_b32 v16, 16, v58
	s_delay_alu instid0(VALU_DEP_1) | instskip(SKIP_2) | instid1(VALU_DEP_1)
	v_pk_mul_f32 v[16:17], v[14:15], v[16:17]
	s_wait_loadcnt_dscnt 0x101
	s_wait_xcnt 0x2
	v_dual_add_f32 v16, v41, v16 :: v_dual_lshlrev_b32 v19, 16, v59
	s_wait_loadcnt_dscnt 0x0
	s_wait_xcnt 0x0
	s_delay_alu instid0(VALU_DEP_1) | instskip(NEXT) | instid1(VALU_DEP_1)
	v_dual_lshlrev_b32 v18, 16, v60 :: v_dual_add_f32 v20, v16, v17
	v_pk_mul_f32 v[16:17], v[12:13], v[18:19]
	s_delay_alu instid0(VALU_DEP_1) | instskip(NEXT) | instid1(VALU_DEP_1)
	v_add_f32_e32 v16, v20, v16
	v_add_f32_e32 v41, v16, v17
	s_branch .LBB596_23
.LBB596_32:                             ;   in Loop: Header=BB596_4 Depth=1
	s_or_b32 exec_lo, exec_lo, s40
.LBB596_33:                             ;   in Loop: Header=BB596_4 Depth=1
	s_delay_alu instid0(SALU_CYCLE_1) | instskip(NEXT) | instid1(SALU_CYCLE_1)
	s_or_b32 exec_lo, exec_lo, s7
	s_and_not1_b32 vcc_lo, exec_lo, s20
	s_cbranch_vccnz .LBB596_51
; %bb.34:                               ;   in Loop: Header=BB596_4 Depth=1
	v_dual_mov_b32 v12, 0 :: v_dual_bitop2_b32 v16, 1, v42 bitop3:0x54
	v_cmp_gt_i32_e32 vcc_lo, s21, v42
	s_delay_alu instid0(VALU_DEP_2)
	v_dual_mov_b32 v13, v12 :: v_dual_mov_b32 v14, v12
	v_mov_b32_e32 v15, v12
	s_and_saveexec_b32 s40, vcc_lo
	s_cbranch_execz .LBB596_42
; %bb.35:                               ;   in Loop: Header=BB596_4 Depth=1
	v_mul_lo_u32 v12, v42, s28
	v_readfirstlane_b32 s42, v10
	v_readfirstlane_b32 s43, v11
	v_dual_mov_b32 v15, 0 :: v_dual_mov_b32 v13, 0
	s_mov_b32 s41, exec_lo
	flat_load_u16 v14, v12, s[42:43] scale_offset
	s_wait_xcnt 0x0
	v_mov_b32_e32 v12, 0
	v_cmpx_gt_i32_e64 s21, v16
	s_cbranch_execz .LBB596_41
; %bb.36:                               ;   in Loop: Header=BB596_4 Depth=1
	v_mul_lo_u32 v12, v16, s28
	v_readfirstlane_b32 s42, v10
	v_readfirstlane_b32 s43, v11
	v_dual_mov_b32 v13, 0 :: v_dual_bitop2_b32 v17, 2, v42 bitop3:0x54
	flat_load_u16 v15, v12, s[42:43] scale_offset
	s_wait_xcnt 0x0
	v_mov_b32_e32 v12, 0
	s_mov_b32 s42, exec_lo
	v_cmpx_gt_i32_e64 s21, v17
	s_cbranch_execz .LBB596_40
; %bb.37:                               ;   in Loop: Header=BB596_4 Depth=1
	v_mul_lo_u32 v12, v17, s28
	v_readfirstlane_b32 s44, v10
	v_readfirstlane_b32 s45, v11
	v_dual_mov_b32 v13, 0 :: v_dual_bitop2_b32 v17, 3, v42 bitop3:0x54
	s_mov_b32 s43, exec_lo
	flat_load_u16 v12, v12, s[44:45] scale_offset
	s_wait_xcnt 0x0
	v_cmpx_gt_i32_e64 s21, v17
	s_cbranch_execz .LBB596_39
; %bb.38:                               ;   in Loop: Header=BB596_4 Depth=1
	v_mul_lo_u32 v13, v17, s28
	v_readfirstlane_b32 s44, v10
	v_readfirstlane_b32 s45, v11
	flat_load_u16 v10, v13, s[44:45] scale_offset
	s_wait_loadcnt_dscnt 0x0
	s_wait_xcnt 0x0
	v_lshlrev_b32_e32 v13, 16, v10
.LBB596_39:                             ;   in Loop: Header=BB596_4 Depth=1
	s_or_b32 exec_lo, exec_lo, s43
	s_wait_loadcnt_dscnt 0x0
	v_lshlrev_b32_e32 v12, 16, v12
.LBB596_40:                             ;   in Loop: Header=BB596_4 Depth=1
	s_or_b32 exec_lo, exec_lo, s42
	s_wait_loadcnt_dscnt 0x0
	v_lshlrev_b32_e32 v15, 16, v15
.LBB596_41:                             ;   in Loop: Header=BB596_4 Depth=1
	s_or_b32 exec_lo, exec_lo, s41
	s_wait_loadcnt_dscnt 0x0
	v_lshlrev_b32_e32 v14, 16, v14
.LBB596_42:                             ;   in Loop: Header=BB596_4 Depth=1
	s_or_b32 exec_lo, exec_lo, s40
	s_and_saveexec_b32 s40, s1
	s_cbranch_execz .LBB596_50
; %bb.43:                               ;   in Loop: Header=BB596_4 Depth=1
	v_mul_lo_u32 v17, v16, s27
	v_mul_lo_u32 v20, v42, s27
	v_cmp_gt_i32_e64 s7, s21, v16
	v_or_b32_e32 v10, 2, v42
	v_or_b32_e32 v11, 3, v42
	v_readfirstlane_b32 s42, v8
	v_readfirstlane_b32 s43, v9
	v_cndmask_b32_e64 v16, 0, v17, s7
	v_mul_lo_u32 v18, v10, s27
	v_cndmask_b32_e32 v17, 0, v20, vcc_lo
	v_mul_lo_u32 v19, v11, s27
	v_cmp_gt_i32_e64 s7, s21, v10
	s_delay_alu instid0(VALU_DEP_1) | instskip(SKIP_1) | instid1(VALU_DEP_1)
	v_cndmask_b32_e64 v10, 0, v18, s7
	v_cmp_gt_i32_e64 s7, s21, v11
	v_dual_cndmask_b32 v11, 0, v19, s7 :: v_dual_add_nc_u32 v16, v16, v30
	s_delay_alu instid0(VALU_DEP_3) | instskip(NEXT) | instid1(VALU_DEP_2)
	v_dual_add_nc_u32 v18, v10, v30 :: v_dual_add_nc_u32 v10, v17, v30
	v_add_nc_u32_e32 v20, v11, v30
	s_clause 0x3
	flat_load_u16 v24, v16, s[42:43] scale_offset
	flat_load_u16 v22, v18, s[42:43] scale_offset
	flat_load_u16 v23, v20, s[42:43] scale_offset
	flat_load_u16 v25, v10, s[42:43] scale_offset
	s_wait_xcnt 0x0
	s_and_saveexec_b32 s7, s3
	s_cbranch_execz .LBB596_49
; %bb.44:                               ;   in Loop: Header=BB596_4 Depth=1
	v_dual_ashrrev_i32 v11, 31, v10 :: v_dual_ashrrev_i32 v17, 31, v16
	v_dual_ashrrev_i32 v19, 31, v18 :: v_dual_ashrrev_i32 v21, 31, v20
	s_delay_alu instid0(VALU_DEP_2) | instskip(NEXT) | instid1(VALU_DEP_3)
	v_lshl_add_u64 v[10:11], v[10:11], 1, v[8:9]
	v_lshl_add_u64 v[16:17], v[16:17], 1, v[8:9]
	s_delay_alu instid0(VALU_DEP_3) | instskip(NEXT) | instid1(VALU_DEP_4)
	v_lshl_add_u64 v[18:19], v[18:19], 1, v[8:9]
	v_lshl_add_u64 v[8:9], v[20:21], 1, v[8:9]
	s_clause 0x3
	flat_load_u16 v42, v[10:11] offset:128
	flat_load_u16 v43, v[16:17] offset:128
	;; [unrolled: 1-line block ×4, first 2 shown]
	s_wait_xcnt 0x0
	s_and_saveexec_b32 s41, s4
	s_cbranch_execz .LBB596_48
; %bb.45:                               ;   in Loop: Header=BB596_4 Depth=1
	s_clause 0x3
	flat_load_u16 v46, v[10:11] offset:256
	flat_load_u16 v47, v[16:17] offset:256
	;; [unrolled: 1-line block ×4, first 2 shown]
	s_wait_xcnt 0x0
	s_and_saveexec_b32 s42, s5
	s_cbranch_execz .LBB596_47
; %bb.46:                               ;   in Loop: Header=BB596_4 Depth=1
	s_clause 0x3
	flat_load_u16 v48, v[16:17] offset:384
	flat_load_u16 v49, v[10:11] offset:384
	;; [unrolled: 1-line block ×4, first 2 shown]
	s_wait_loadcnt_dscnt 0x202
	s_wait_xcnt 0x1
	v_dual_lshlrev_b32 v9, 16, v48 :: v_dual_lshlrev_b32 v8, 16, v49
	s_delay_alu instid0(VALU_DEP_1) | instskip(SKIP_1) | instid1(VALU_DEP_1)
	v_pk_mul_f32 v[8:9], v[14:15], v[8:9]
	s_wait_loadcnt_dscnt 0x101
	v_dual_add_f32 v8, v41, v8 :: v_dual_lshlrev_b32 v11, 16, v50
	s_wait_loadcnt_dscnt 0x0
	s_delay_alu instid0(VALU_DEP_1) | instskip(NEXT) | instid1(VALU_DEP_1)
	v_dual_lshlrev_b32 v10, 16, v51 :: v_dual_add_f32 v16, v8, v9
	v_pk_mul_f32 v[8:9], v[12:13], v[10:11]
	s_delay_alu instid0(VALU_DEP_1) | instskip(NEXT) | instid1(VALU_DEP_1)
	v_add_f32_e32 v8, v16, v8
	v_add_f32_e32 v41, v8, v9
.LBB596_47:                             ;   in Loop: Header=BB596_4 Depth=1
	s_wait_xcnt 0x0
	s_or_b32 exec_lo, exec_lo, s42
	s_wait_loadcnt_dscnt 0x202
	v_dual_lshlrev_b32 v9, 16, v47 :: v_dual_lshlrev_b32 v8, 16, v46
	s_delay_alu instid0(VALU_DEP_1) | instskip(SKIP_1) | instid1(VALU_DEP_1)
	v_pk_mul_f32 v[8:9], v[14:15], v[8:9]
	s_wait_loadcnt_dscnt 0x0
	v_dual_add_f32 v8, v40, v8 :: v_dual_lshlrev_b32 v11, 16, v45
	s_delay_alu instid0(VALU_DEP_1) | instskip(NEXT) | instid1(VALU_DEP_1)
	v_dual_lshlrev_b32 v10, 16, v44 :: v_dual_add_f32 v16, v8, v9
	v_pk_mul_f32 v[8:9], v[12:13], v[10:11]
	s_delay_alu instid0(VALU_DEP_1) | instskip(NEXT) | instid1(VALU_DEP_1)
	v_add_f32_e32 v8, v16, v8
	v_add_f32_e32 v40, v8, v9
.LBB596_48:                             ;   in Loop: Header=BB596_4 Depth=1
	s_or_b32 exec_lo, exec_lo, s41
	s_wait_loadcnt_dscnt 0x202
	v_dual_lshlrev_b32 v9, 16, v43 :: v_dual_lshlrev_b32 v8, 16, v42
	s_delay_alu instid0(VALU_DEP_1) | instskip(SKIP_1) | instid1(VALU_DEP_1)
	v_pk_mul_f32 v[8:9], v[14:15], v[8:9]
	s_wait_loadcnt_dscnt 0x0
	v_dual_add_f32 v8, v39, v8 :: v_dual_lshlrev_b32 v11, 16, v21
	s_delay_alu instid0(VALU_DEP_1) | instskip(NEXT) | instid1(VALU_DEP_1)
	v_dual_lshlrev_b32 v10, 16, v20 :: v_dual_add_f32 v16, v8, v9
	v_pk_mul_f32 v[8:9], v[12:13], v[10:11]
	s_delay_alu instid0(VALU_DEP_1) | instskip(NEXT) | instid1(VALU_DEP_1)
	v_add_f32_e32 v8, v16, v8
	v_add_f32_e32 v39, v8, v9
.LBB596_49:                             ;   in Loop: Header=BB596_4 Depth=1
	s_or_b32 exec_lo, exec_lo, s7
	s_wait_loadcnt_dscnt 0x0
	v_dual_lshlrev_b32 v9, 16, v24 :: v_dual_lshlrev_b32 v8, 16, v25
	s_delay_alu instid0(VALU_DEP_1) | instskip(NEXT) | instid1(VALU_DEP_1)
	v_pk_mul_f32 v[8:9], v[14:15], v[8:9]
	v_dual_add_f32 v8, v38, v8 :: v_dual_lshlrev_b32 v11, 16, v23
	s_delay_alu instid0(VALU_DEP_1) | instskip(NEXT) | instid1(VALU_DEP_1)
	v_dual_lshlrev_b32 v10, 16, v22 :: v_dual_add_f32 v14, v8, v9
	v_pk_mul_f32 v[8:9], v[12:13], v[10:11]
	s_delay_alu instid0(VALU_DEP_1) | instskip(NEXT) | instid1(VALU_DEP_1)
	v_add_f32_e32 v8, v14, v8
	v_add_f32_e32 v38, v8, v9
.LBB596_50:                             ;   in Loop: Header=BB596_4 Depth=1
	s_or_b32 exec_lo, exec_lo, s40
.LBB596_51:                             ;   in Loop: Header=BB596_4 Depth=1
	ds_store_2addr_stride64_b32 v27, v38, v39 offset1:1
	ds_store_2addr_stride64_b32 v27, v40, v41 offset0:2 offset1:3
	s_wait_dscnt 0x0
	s_barrier_signal -1
	s_barrier_wait -1
                                        ; implicit-def: $vgpr12
	s_and_saveexec_b32 s7, s0
	s_cbranch_execz .LBB596_71
; %bb.52:                               ;   in Loop: Header=BB596_4 Depth=1
	ds_load_2addr_stride64_b32 v[8:9], v28 offset1:4
	ds_load_2addr_stride64_b32 v[10:11], v28 offset0:8 offset1:12
	ds_load_2addr_stride64_b32 v[12:13], v28 offset0:16 offset1:20
	s_mov_b32 s41, s39
	s_wait_dscnt 0x2
	v_add_f32_e32 v14, v8, v9
	ds_load_2addr_stride64_b32 v[8:9], v28 offset0:24 offset1:28
	s_wait_dscnt 0x2
	v_add_f32_e32 v10, v10, v14
	s_delay_alu instid0(VALU_DEP_1) | instskip(SKIP_3) | instid1(VALU_DEP_1)
	v_add_f32_e32 v14, v11, v10
	ds_load_2addr_stride64_b32 v[10:11], v28 offset0:32 offset1:36
	s_wait_dscnt 0x2
	v_add_f32_e32 v12, v12, v14
	v_add_f32_e32 v14, v13, v12
	ds_load_2addr_stride64_b32 v[12:13], v28 offset0:40 offset1:44
	s_wait_dscnt 0x2
	v_add_f32_e32 v8, v8, v14
	s_delay_alu instid0(VALU_DEP_1) | instskip(SKIP_1) | instid1(VALU_DEP_1)
	v_add_f32_e32 v8, v9, v8
	s_wait_dscnt 0x1
	v_add_f32_e32 v10, v10, v8
	ds_load_2addr_stride64_b32 v[8:9], v28 offset0:48 offset1:52
	v_add_f32_e32 v10, v11, v10
	s_wait_dscnt 0x1
	s_delay_alu instid0(VALU_DEP_1) | instskip(SKIP_3) | instid1(VALU_DEP_1)
	v_add_f32_e32 v12, v12, v10
	ds_load_2addr_stride64_b32 v[10:11], v28 offset0:56 offset1:60
	v_add_f32_e32 v12, v13, v12
	s_wait_dscnt 0x1
	v_add_f32_e32 v8, v8, v12
                                        ; implicit-def: $vgpr12
	s_delay_alu instid0(VALU_DEP_1) | instskip(SKIP_1) | instid1(VALU_DEP_1)
	v_add_f32_e32 v8, v9, v8
	s_wait_dscnt 0x0
	v_add_f32_e32 v8, v10, v8
	s_delay_alu instid0(VALU_DEP_1)
	v_add_f32_e32 v8, v11, v8
	ds_store_b32 v28, v8
	s_and_saveexec_b32 s40, s2
	s_cbranch_execz .LBB596_70
; %bb.53:                               ;   in Loop: Header=BB596_4 Depth=1
	v_mul_f32_e32 v8, s22, v8
	s_and_b32 vcc_lo, exec_lo, s34
	s_mov_b32 s41, -1
                                        ; implicit-def: $vgpr9
	s_cbranch_vccz .LBB596_59
; %bb.54:                               ;   in Loop: Header=BB596_4 Depth=1
	s_delay_alu instid0(VALU_DEP_1) | instskip(NEXT) | instid1(VALU_DEP_1)
	v_and_b32_e32 v9, 0x7f800000, v8
	v_cmp_ne_u32_e32 vcc_lo, 0x7f800000, v9
                                        ; implicit-def: $vgpr9
	s_and_saveexec_b32 s41, vcc_lo
	s_delay_alu instid0(SALU_CYCLE_1)
	s_xor_b32 s41, exec_lo, s41
; %bb.55:                               ;   in Loop: Header=BB596_4 Depth=1
	v_bfe_u32 v9, v8, 16, 1
	s_delay_alu instid0(VALU_DEP_1)
	v_add3_u32 v9, v8, v9, 0x7fff
; %bb.56:                               ;   in Loop: Header=BB596_4 Depth=1
	s_and_not1_saveexec_b32 s41, s41
; %bb.57:                               ;   in Loop: Header=BB596_4 Depth=1
	v_and_b32_e32 v9, 0xffff, v8
	v_or_b32_e32 v10, 0x10000, v8
	s_delay_alu instid0(VALU_DEP_2) | instskip(NEXT) | instid1(VALU_DEP_2)
	v_cmp_eq_u32_e32 vcc_lo, 0, v9
	v_cndmask_b32_e32 v9, v10, v8, vcc_lo
; %bb.58:                               ;   in Loop: Header=BB596_4 Depth=1
	s_or_b32 exec_lo, exec_lo, s41
	s_mov_b32 s41, 0
.LBB596_59:                             ;   in Loop: Header=BB596_4 Depth=1
	s_delay_alu instid0(SALU_CYCLE_1)
	s_and_not1_b32 vcc_lo, exec_lo, s41
	s_cbranch_vccnz .LBB596_69
; %bb.60:                               ;   in Loop: Header=BB596_4 Depth=1
	v_lshl_add_u64 v[10:11], v[4:5], 1, v[6:7]
	flat_load_u16 v9, v[10:11]
	s_wait_loadcnt_dscnt 0x0
	v_lshlrev_b32_e32 v9, 16, v9
	s_delay_alu instid0(VALU_DEP_1) | instskip(SKIP_1) | instid1(VALU_DEP_1)
	v_mul_f32_e32 v9, s26, v9
	s_wait_xcnt 0x0
	v_and_b32_e32 v10, 0x7f800000, v9
	s_delay_alu instid0(VALU_DEP_1) | instskip(SKIP_1) | instid1(SALU_CYCLE_1)
	v_cmp_ne_u32_e32 vcc_lo, 0x7f800000, v10
                                        ; implicit-def: $vgpr10
	s_and_saveexec_b32 s41, vcc_lo
	s_xor_b32 s41, exec_lo, s41
; %bb.61:                               ;   in Loop: Header=BB596_4 Depth=1
	v_bfe_u32 v10, v9, 16, 1
	s_delay_alu instid0(VALU_DEP_1)
	v_add3_u32 v10, v9, v10, 0x7fff
                                        ; implicit-def: $vgpr9
; %bb.62:                               ;   in Loop: Header=BB596_4 Depth=1
	s_and_not1_saveexec_b32 s41, s41
; %bb.63:                               ;   in Loop: Header=BB596_4 Depth=1
	v_and_b32_e32 v10, 0xffff, v9
	v_or_b32_e32 v11, 0x10000, v9
	s_delay_alu instid0(VALU_DEP_2) | instskip(NEXT) | instid1(VALU_DEP_2)
	v_cmp_eq_u32_e32 vcc_lo, 0, v10
	v_cndmask_b32_e32 v10, v11, v9, vcc_lo
; %bb.64:                               ;   in Loop: Header=BB596_4 Depth=1
	s_or_b32 exec_lo, exec_lo, s41
	s_delay_alu instid0(VALU_DEP_1) | instskip(NEXT) | instid1(VALU_DEP_1)
	v_and_b32_e32 v9, 0xffff0000, v10
	v_add_f32_e32 v8, v8, v9
	s_delay_alu instid0(VALU_DEP_1) | instskip(NEXT) | instid1(VALU_DEP_1)
	v_and_b32_e32 v9, 0x7f800000, v8
	v_cmp_ne_u32_e32 vcc_lo, 0x7f800000, v9
                                        ; implicit-def: $vgpr9
	s_and_saveexec_b32 s41, vcc_lo
	s_delay_alu instid0(SALU_CYCLE_1)
	s_xor_b32 s41, exec_lo, s41
; %bb.65:                               ;   in Loop: Header=BB596_4 Depth=1
	v_bfe_u32 v9, v8, 16, 1
	s_delay_alu instid0(VALU_DEP_1)
	v_add3_u32 v9, v8, v9, 0x7fff
                                        ; implicit-def: $vgpr8
; %bb.66:                               ;   in Loop: Header=BB596_4 Depth=1
	s_and_not1_saveexec_b32 s41, s41
; %bb.67:                               ;   in Loop: Header=BB596_4 Depth=1
	v_and_b32_e32 v9, 0xffff, v8
	v_or_b32_e32 v10, 0x10000, v8
	s_delay_alu instid0(VALU_DEP_2) | instskip(NEXT) | instid1(VALU_DEP_2)
	v_cmp_eq_u32_e32 vcc_lo, 0, v9
	v_cndmask_b32_e32 v9, v10, v8, vcc_lo
; %bb.68:                               ;   in Loop: Header=BB596_4 Depth=1
	s_or_b32 exec_lo, exec_lo, s41
.LBB596_69:                             ;   in Loop: Header=BB596_4 Depth=1
	s_delay_alu instid0(VALU_DEP_1)
	v_lshrrev_b32_e32 v12, 16, v9
	s_or_b32 s41, s39, exec_lo
.LBB596_70:                             ;   in Loop: Header=BB596_4 Depth=1
	s_or_b32 exec_lo, exec_lo, s40
	s_delay_alu instid0(SALU_CYCLE_1) | instskip(SKIP_1) | instid1(SALU_CYCLE_1)
	s_and_not1_b32 s39, s39, exec_lo
	s_and_b32 s40, s41, exec_lo
	s_or_b32 s39, s39, s40
.LBB596_71:                             ;   in Loop: Header=BB596_4 Depth=1
	s_or_b32 exec_lo, exec_lo, s7
	v_mov_b64_e32 v[8:9], v[4:5]
	s_and_saveexec_b32 s7, s39
	s_cbranch_execz .LBB596_2
	s_branch .LBB596_74
.LBB596_72:                             ;   in Loop: Header=BB596_4 Depth=1
	v_mov_b32_e32 v12, 0
	s_mov_b32 s39, exec_lo
	s_or_b32 exec_lo, exec_lo, s40
	s_delay_alu instid0(SALU_CYCLE_1)
	s_and_b32 vcc_lo, exec_lo, s7
	s_cbranch_vccnz .LBB596_21
.LBB596_73:                             ;   in Loop: Header=BB596_4 Depth=1
	v_mov_b64_e32 v[8:9], v[2:3]
	s_wait_xcnt 0x0
	s_and_saveexec_b32 s7, s39
	s_cbranch_execz .LBB596_2
.LBB596_74:                             ;   in Loop: Header=BB596_4 Depth=1
	s_delay_alu instid0(VALU_DEP_1)
	v_lshl_add_u64 v[6:7], v[8:9], 1, v[6:7]
	flat_store_b16 v[6:7], v12
	s_branch .LBB596_2
.LBB596_75:
	s_endpgm
	.section	.rodata,"a",@progbits
	.p2align	6, 0x0
	.amdhsa_kernel _ZL20rocblas_gemvn_kernelILi64ELi16EiPK16rocblas_bfloat16fKPS0_EviiT3_lPKT2_lT1_lS8_lS9_lS5_lPT4_lS9_li
		.amdhsa_group_segment_fixed_size 16384
		.amdhsa_private_segment_fixed_size 0
		.amdhsa_kernarg_size 400
		.amdhsa_user_sgpr_count 2
		.amdhsa_user_sgpr_dispatch_ptr 0
		.amdhsa_user_sgpr_queue_ptr 0
		.amdhsa_user_sgpr_kernarg_segment_ptr 1
		.amdhsa_user_sgpr_dispatch_id 0
		.amdhsa_user_sgpr_kernarg_preload_length 0
		.amdhsa_user_sgpr_kernarg_preload_offset 0
		.amdhsa_user_sgpr_private_segment_size 0
		.amdhsa_wavefront_size32 1
		.amdhsa_uses_dynamic_stack 0
		.amdhsa_enable_private_segment 0
		.amdhsa_system_sgpr_workgroup_id_x 1
		.amdhsa_system_sgpr_workgroup_id_y 0
		.amdhsa_system_sgpr_workgroup_id_z 1
		.amdhsa_system_sgpr_workgroup_info 0
		.amdhsa_system_vgpr_workitem_id 1
		.amdhsa_next_free_vgpr 61
		.amdhsa_next_free_sgpr 46
		.amdhsa_named_barrier_count 0
		.amdhsa_reserve_vcc 1
		.amdhsa_float_round_mode_32 0
		.amdhsa_float_round_mode_16_64 0
		.amdhsa_float_denorm_mode_32 3
		.amdhsa_float_denorm_mode_16_64 3
		.amdhsa_fp16_overflow 0
		.amdhsa_memory_ordered 1
		.amdhsa_forward_progress 1
		.amdhsa_inst_pref_size 30
		.amdhsa_round_robin_scheduling 0
		.amdhsa_exception_fp_ieee_invalid_op 0
		.amdhsa_exception_fp_denorm_src 0
		.amdhsa_exception_fp_ieee_div_zero 0
		.amdhsa_exception_fp_ieee_overflow 0
		.amdhsa_exception_fp_ieee_underflow 0
		.amdhsa_exception_fp_ieee_inexact 0
		.amdhsa_exception_int_div_zero 0
	.end_amdhsa_kernel
	.section	.text._ZL20rocblas_gemvn_kernelILi64ELi16EiPK16rocblas_bfloat16fKPS0_EviiT3_lPKT2_lT1_lS8_lS9_lS5_lPT4_lS9_li,"axG",@progbits,_ZL20rocblas_gemvn_kernelILi64ELi16EiPK16rocblas_bfloat16fKPS0_EviiT3_lPKT2_lT1_lS8_lS9_lS5_lPT4_lS9_li,comdat
.Lfunc_end596:
	.size	_ZL20rocblas_gemvn_kernelILi64ELi16EiPK16rocblas_bfloat16fKPS0_EviiT3_lPKT2_lT1_lS8_lS9_lS5_lPT4_lS9_li, .Lfunc_end596-_ZL20rocblas_gemvn_kernelILi64ELi16EiPK16rocblas_bfloat16fKPS0_EviiT3_lPKT2_lT1_lS8_lS9_lS5_lPT4_lS9_li
                                        ; -- End function
	.set _ZL20rocblas_gemvn_kernelILi64ELi16EiPK16rocblas_bfloat16fKPS0_EviiT3_lPKT2_lT1_lS8_lS9_lS5_lPT4_lS9_li.num_vgpr, 61
	.set _ZL20rocblas_gemvn_kernelILi64ELi16EiPK16rocblas_bfloat16fKPS0_EviiT3_lPKT2_lT1_lS8_lS9_lS5_lPT4_lS9_li.num_agpr, 0
	.set _ZL20rocblas_gemvn_kernelILi64ELi16EiPK16rocblas_bfloat16fKPS0_EviiT3_lPKT2_lT1_lS8_lS9_lS5_lPT4_lS9_li.numbered_sgpr, 46
	.set _ZL20rocblas_gemvn_kernelILi64ELi16EiPK16rocblas_bfloat16fKPS0_EviiT3_lPKT2_lT1_lS8_lS9_lS5_lPT4_lS9_li.num_named_barrier, 0
	.set _ZL20rocblas_gemvn_kernelILi64ELi16EiPK16rocblas_bfloat16fKPS0_EviiT3_lPKT2_lT1_lS8_lS9_lS5_lPT4_lS9_li.private_seg_size, 0
	.set _ZL20rocblas_gemvn_kernelILi64ELi16EiPK16rocblas_bfloat16fKPS0_EviiT3_lPKT2_lT1_lS8_lS9_lS5_lPT4_lS9_li.uses_vcc, 1
	.set _ZL20rocblas_gemvn_kernelILi64ELi16EiPK16rocblas_bfloat16fKPS0_EviiT3_lPKT2_lT1_lS8_lS9_lS5_lPT4_lS9_li.uses_flat_scratch, 1
	.set _ZL20rocblas_gemvn_kernelILi64ELi16EiPK16rocblas_bfloat16fKPS0_EviiT3_lPKT2_lT1_lS8_lS9_lS5_lPT4_lS9_li.has_dyn_sized_stack, 0
	.set _ZL20rocblas_gemvn_kernelILi64ELi16EiPK16rocblas_bfloat16fKPS0_EviiT3_lPKT2_lT1_lS8_lS9_lS5_lPT4_lS9_li.has_recursion, 0
	.set _ZL20rocblas_gemvn_kernelILi64ELi16EiPK16rocblas_bfloat16fKPS0_EviiT3_lPKT2_lT1_lS8_lS9_lS5_lPT4_lS9_li.has_indirect_call, 0
	.section	.AMDGPU.csdata,"",@progbits
; Kernel info:
; codeLenInByte = 3784
; TotalNumSgprs: 48
; NumVgprs: 61
; ScratchSize: 0
; MemoryBound: 0
; FloatMode: 240
; IeeeMode: 1
; LDSByteSize: 16384 bytes/workgroup (compile time only)
; SGPRBlocks: 0
; VGPRBlocks: 3
; NumSGPRsForWavesPerEU: 48
; NumVGPRsForWavesPerEU: 61
; NamedBarCnt: 0
; Occupancy: 16
; WaveLimiterHint : 1
; COMPUTE_PGM_RSRC2:SCRATCH_EN: 0
; COMPUTE_PGM_RSRC2:USER_SGPR: 2
; COMPUTE_PGM_RSRC2:TRAP_HANDLER: 0
; COMPUTE_PGM_RSRC2:TGID_X_EN: 1
; COMPUTE_PGM_RSRC2:TGID_Y_EN: 0
; COMPUTE_PGM_RSRC2:TGID_Z_EN: 1
; COMPUTE_PGM_RSRC2:TIDIG_COMP_CNT: 1
	.section	.text._ZL20rocblas_gemvn_kernelILi64ELi16ElPK16rocblas_bfloat16fKPS0_EviiT3_lPKT2_lT1_lS8_lS9_lS5_lPT4_lS9_li,"axG",@progbits,_ZL20rocblas_gemvn_kernelILi64ELi16ElPK16rocblas_bfloat16fKPS0_EviiT3_lPKT2_lT1_lS8_lS9_lS5_lPT4_lS9_li,comdat
	.globl	_ZL20rocblas_gemvn_kernelILi64ELi16ElPK16rocblas_bfloat16fKPS0_EviiT3_lPKT2_lT1_lS8_lS9_lS5_lPT4_lS9_li ; -- Begin function _ZL20rocblas_gemvn_kernelILi64ELi16ElPK16rocblas_bfloat16fKPS0_EviiT3_lPKT2_lT1_lS8_lS9_lS5_lPT4_lS9_li
	.p2align	8
	.type	_ZL20rocblas_gemvn_kernelILi64ELi16ElPK16rocblas_bfloat16fKPS0_EviiT3_lPKT2_lT1_lS8_lS9_lS5_lPT4_lS9_li,@function
_ZL20rocblas_gemvn_kernelILi64ELi16ElPK16rocblas_bfloat16fKPS0_EviiT3_lPKT2_lT1_lS8_lS9_lS5_lPT4_lS9_li: ; @_ZL20rocblas_gemvn_kernelILi64ELi16ElPK16rocblas_bfloat16fKPS0_EviiT3_lPKT2_lT1_lS8_lS9_lS5_lPT4_lS9_li
; %bb.0:
	s_clause 0x1
	s_load_b64 s[2:3], s[0:1], 0x9c
	s_load_b32 s27, s[0:1], 0x88
	s_bfe_u32 s4, ttmp6, 0x40014
	s_lshr_b32 s5, ttmp7, 16
	s_add_co_i32 s4, s4, 1
	s_bfe_u32 s6, ttmp6, 0x40008
	s_mul_i32 s7, s5, s4
	s_getreg_b32 s4, hwreg(HW_REG_IB_STS2, 6, 4)
	s_add_co_i32 s6, s6, s7
	s_mov_b32 s11, 0
	s_wait_kmcnt 0x0
	s_lshr_b32 s7, s2, 16
	s_and_b32 s2, s2, 0xffff
	s_and_b32 s3, s3, 0xffff
	s_mul_i32 s2, s7, s2
	s_cmp_eq_u32 s4, 0
	s_mul_i32 s2, s2, s3
	s_cselect_b32 s10, s5, s6
	s_cmp_lg_u32 s2, 0x400
	s_cselect_b32 s2, -1, 0
	s_cmp_ge_u32 s10, s27
	s_cselect_b32 s3, -1, 0
	s_delay_alu instid0(SALU_CYCLE_1) | instskip(NEXT) | instid1(SALU_CYCLE_1)
	s_or_b32 s2, s2, s3
	s_and_b32 vcc_lo, exec_lo, s2
	s_cbranch_vccnz .LBB597_75
; %bb.1:
	s_clause 0x7
	s_load_b96 s[24:26], s[0:1], 0x0
	s_load_b32 s33, s[0:1], 0x58
	s_load_b64 s[28:29], s[0:1], 0x48
	s_load_b64 s[30:31], s[0:1], 0x28
	s_load_b128 s[12:15], s[0:1], 0x18
	s_load_b128 s[16:19], s[0:1], 0x38
	s_load_b64 s[2:3], s[0:1], 0x78
	s_load_b128 s[20:23], s[0:1], 0x68
	v_bfe_u32 v4, v0, 10, 10
	v_and_b32_e32 v14, 0x3ff, v0
	s_delay_alu instid0(VALU_DEP_2) | instskip(NEXT) | instid1(VALU_DEP_2)
	v_dual_mov_b32 v1, 0 :: v_dual_lshlrev_b32 v52, 2, v4
	v_lshl_add_u32 v15, v4, 6, v14
	s_delay_alu instid0(VALU_DEP_2) | instskip(NEXT) | instid1(VALU_DEP_1)
	v_dual_mov_b32 v5, v1 :: v_dual_lshlrev_b32 v16, 2, v14
	v_lshl_add_u32 v54, v4, 10, v16
	s_wait_kmcnt 0x0
	s_cmp_eq_f32 s26, 0
	v_lshl_add_u32 v55, v4, 8, v16
	v_mad_nc_u64_u32 v[6:7], s28, v52, s[28:29]
	v_mad_nc_u64_u32 v[8:9], s30, v52, s[30:31]
	s_cselect_b32 s38, -1, 0
	s_cmp_neq_f32 s33, 1.0
	v_mul_u64_e32 v[10:11], s[28:29], v[4:5]
	v_mul_u64_e32 v[12:13], s[30:31], v[4:5]
	s_cselect_b32 s0, -1, 0
	s_cmp_neq_f32 s26, 0
	s_delay_alu instid0(VALU_DEP_4)
	v_mad_u32 v7, s29, v52, v7
	s_cselect_b32 s1, -1, 0
	s_bfe_u32 s5, ttmp6, 0x4000c
	s_and_b32 s6, ttmp6, 15
	s_add_co_i32 s5, s5, 1
	s_or_b32 s39, s1, s0
	s_mul_i32 s5, ttmp9, s5
	v_cndmask_b32_e64 v53, 0, 1, s1
	s_add_co_i32 s6, s6, s5
	s_cmp_eq_u32 s4, 0
	s_mov_b32 s0, s24
	s_cselect_b32 s1, ttmp9, s6
	v_mad_u32 v9, s31, v52, v9
	s_lshl_b32 s4, s1, 8
	s_ashr_i32 s1, s24, 31
	v_dual_add_nc_u32 v0, s4, v15 :: v_dual_add_nc_u32 v14, s4, v14
	v_or_b32_e32 v20, s4, v15
	v_lshlrev_b64_e32 v[4:5], 1, v[6:7]
	s_cmp_neq_f32 s33, 0
	s_delay_alu instid0(VALU_DEP_3)
	v_cmp_gt_i64_e32 vcc_lo, s[0:1], v[0:1]
	v_mul_u64_e32 v[2:3], s[2:3], v[0:1]
	v_or_b32_e32 v0, 3, v52
	v_cmp_gt_u32_e64 s0, 0x100, v15
	v_ashrrev_i32_e32 v15, 31, v14
	v_lshlrev_b64_e32 v[6:7], 1, v[8:9]
	s_cselect_b32 s40, -1, 0
	v_mul_u64_e32 v[16:17], s[30:31], v[0:1]
	v_mul_u64_e32 v[18:19], s[28:29], v[0:1]
	v_or_b32_e32 v0, 2, v52
	s_cmp_eq_f32 s33, 0
	v_add_nc_u32_e32 v26, 0x80, v14
	v_cmp_gt_i32_e64 s1, s24, v14
	v_lshlrev_b64_e32 v[10:11], 3, v[10:11]
	v_mul_u64_e32 v[22:23], s[30:31], v[0:1]
	v_mul_u64_e32 v[24:25], s[28:29], v[0:1]
	v_dual_add_nc_u32 v0, 64, v14 :: v_dual_ashrrev_i32 v21, 31, v20
	s_cselect_b32 s41, -1, 0
	v_lshlrev_b64_e32 v[12:13], 3, v[12:13]
	s_delay_alu instid0(VALU_DEP_2)
	v_mul_u64_e32 v[8:9], s[2:3], v[20:21]
	s_ashr_i32 s3, s25, 31
	v_add_nc_u32_e32 v21, 0xc0, v14
	s_lshr_b32 s4, s3, 26
	v_cmp_gt_i32_e64 s2, s24, v20
	s_add_co_i32 s42, s25, s4
	v_lshlrev_b64_e32 v[14:15], 1, v[14:15]
	s_and_not1_b32 s42, s42, 63
	v_cmp_gt_i32_e64 s5, s24, v21
	s_sub_co_i32 s6, s25, s42
	v_cmp_gt_i32_e64 s3, s24, v0
	v_cmp_gt_i32_e64 s4, s24, v26
	s_cmp_gt_i32 s6, 0
	v_cmp_gt_i32_e64 s6, s42, v52
	s_cselect_b32 s24, -1, 0
	s_and_b32 s43, s0, vcc_lo
	s_lshl_b64 s[34:35], s[28:29], 7
	v_lshlrev_b64_e32 v[16:17], 1, v[16:17]
	v_lshlrev_b64_e32 v[18:19], 1, v[18:19]
	s_lshl_b64 s[36:37], s[30:31], 7
	s_lshl_b64 s[14:15], s[14:15], 1
	;; [unrolled: 1-line block ×4, first 2 shown]
	v_lshlrev_b64_e32 v[20:21], 1, v[22:23]
	v_lshlrev_b64_e32 v[22:23], 1, v[24:25]
	s_branch .LBB597_4
.LBB597_2:                              ;   in Loop: Header=BB597_4 Depth=1
	s_wait_xcnt 0x0
	s_or_b32 exec_lo, exec_lo, s7
.LBB597_3:                              ;   in Loop: Header=BB597_4 Depth=1
	s_add_co_i32 s10, s10, 0x10000
	s_delay_alu instid0(SALU_CYCLE_1)
	s_cmp_lt_u32 s10, s27
	s_cbranch_scc0 .LBB597_75
.LBB597_4:                              ; =>This Loop Header: Depth=1
                                        ;     Child Loop BB597_27 Depth 2
	s_and_not1_b32 vcc_lo, exec_lo, s39
	s_cbranch_vccnz .LBB597_3
; %bb.5:                                ;   in Loop: Header=BB597_4 Depth=1
	s_and_not1_b32 vcc_lo, exec_lo, s38
	s_cbranch_vccnz .LBB597_7
; %bb.6:                                ;   in Loop: Header=BB597_4 Depth=1
	v_mov_b64_e32 v[28:29], 0
	v_mov_b64_e32 v[26:27], 0
	s_cbranch_execz .LBB597_8
	s_branch .LBB597_9
.LBB597_7:                              ;   in Loop: Header=BB597_4 Depth=1
	v_mov_b64_e32 v[28:29], 0
	v_mov_b64_e32 v[26:27], 0
.LBB597_8:                              ;   in Loop: Header=BB597_4 Depth=1
	s_lshl_b64 s[8:9], s[10:11], 3
	s_delay_alu instid0(SALU_CYCLE_1)
	s_add_nc_u64 s[8:9], s[12:13], s[8:9]
	global_load_b64 v[24:25], v1, s[8:9]
	s_wait_loadcnt 0x0
	v_add_nc_u64_e32 v[26:27], s[14:15], v[24:25]
.LBB597_9:                              ;   in Loop: Header=BB597_4 Depth=1
	v_cmp_ne_u32_e32 vcc_lo, 1, v53
	s_cbranch_vccnz .LBB597_11
; %bb.10:                               ;   in Loop: Header=BB597_4 Depth=1
	s_wait_xcnt 0x0
	s_lshl_b64 s[8:9], s[10:11], 3
	s_delay_alu instid0(SALU_CYCLE_1)
	s_add_nc_u64 s[8:9], s[16:17], s[8:9]
	global_load_b64 v[24:25], v1, s[8:9]
	s_wait_loadcnt 0x0
	v_add_nc_u64_e32 v[28:29], s[18:19], v[24:25]
.LBB597_11:                             ;   in Loop: Header=BB597_4 Depth=1
	s_wait_xcnt 0x0
	s_lshl_b64 s[8:9], s[10:11], 3
	s_and_not1_b32 vcc_lo, exec_lo, s38
	s_add_nc_u64 s[8:9], s[20:21], s[8:9]
	global_load_b64 v[24:25], v1, s[8:9]
	s_wait_loadcnt 0x0
	v_add_nc_u64_e32 v[24:25], s[22:23], v[24:25]
	s_cbranch_vccnz .LBB597_19
; %bb.12:                               ;   in Loop: Header=BB597_4 Depth=1
	s_mov_b32 s7, 0
	s_mov_b32 s44, 0
                                        ; implicit-def: $vgpr0
	s_wait_xcnt 0x0
	s_and_saveexec_b32 s8, s43
	s_cbranch_execz .LBB597_20
; %bb.13:                               ;   in Loop: Header=BB597_4 Depth=1
	s_and_not1_b32 vcc_lo, exec_lo, s40
	s_cbranch_vccnz .LBB597_72
; %bb.14:                               ;   in Loop: Header=BB597_4 Depth=1
	v_lshl_add_u64 v[30:31], v[2:3], 1, v[24:25]
	flat_load_u16 v0, v[30:31]
	s_wait_loadcnt_dscnt 0x0
	v_lshlrev_b32_e32 v0, 16, v0
	s_delay_alu instid0(VALU_DEP_1) | instskip(SKIP_1) | instid1(VALU_DEP_1)
	v_mul_f32_e32 v0, s33, v0
	s_wait_xcnt 0x0
	v_and_b32_e32 v30, 0x7f800000, v0
	s_delay_alu instid0(VALU_DEP_1) | instskip(SKIP_1) | instid1(SALU_CYCLE_1)
	v_cmp_ne_u32_e32 vcc_lo, 0x7f800000, v30
                                        ; implicit-def: $vgpr30
	s_and_saveexec_b32 s9, vcc_lo
	s_xor_b32 s9, exec_lo, s9
; %bb.15:                               ;   in Loop: Header=BB597_4 Depth=1
	v_bfe_u32 v30, v0, 16, 1
	s_delay_alu instid0(VALU_DEP_1)
	v_add3_u32 v30, v0, v30, 0x7fff
                                        ; implicit-def: $vgpr0
; %bb.16:                               ;   in Loop: Header=BB597_4 Depth=1
	s_and_not1_saveexec_b32 s9, s9
; %bb.17:                               ;   in Loop: Header=BB597_4 Depth=1
	v_and_b32_e32 v30, 0xffff, v0
	v_or_b32_e32 v31, 0x10000, v0
	s_delay_alu instid0(VALU_DEP_2) | instskip(NEXT) | instid1(VALU_DEP_2)
	v_cmp_eq_u32_e32 vcc_lo, 0, v30
	v_cndmask_b32_e32 v30, v31, v0, vcc_lo
; %bb.18:                               ;   in Loop: Header=BB597_4 Depth=1
	s_or_b32 exec_lo, exec_lo, s9
	s_delay_alu instid0(VALU_DEP_1) | instskip(SKIP_2) | instid1(SALU_CYCLE_1)
	v_lshrrev_b32_e32 v0, 16, v30
	s_mov_b32 s44, exec_lo
	s_or_b32 exec_lo, exec_lo, s8
	s_and_b32 vcc_lo, exec_lo, s7
	s_cbranch_vccnz .LBB597_21
	s_branch .LBB597_73
.LBB597_19:                             ;   in Loop: Header=BB597_4 Depth=1
	s_mov_b32 s44, 0
                                        ; implicit-def: $vgpr0
	s_cbranch_execnz .LBB597_21
	s_branch .LBB597_73
.LBB597_20:                             ;   in Loop: Header=BB597_4 Depth=1
	s_or_b32 exec_lo, exec_lo, s8
	s_delay_alu instid0(SALU_CYCLE_1)
	s_and_b32 vcc_lo, exec_lo, s7
	s_cbranch_vccz .LBB597_73
.LBB597_21:                             ;   in Loop: Header=BB597_4 Depth=1
	v_dual_mov_b32 v56, 0 :: v_dual_mov_b32 v0, v52
	v_dual_mov_b32 v57, 0 :: v_dual_mov_b32 v58, 0
	v_mov_b32_e32 v59, 0
	s_wait_xcnt 0x0
	s_and_saveexec_b32 s7, s6
	s_cbranch_execz .LBB597_33
; %bb.22:                               ;   in Loop: Header=BB597_4 Depth=1
	v_add_nc_u64_e32 v[30:31], v[26:27], v[16:17]
	v_add_nc_u64_e32 v[32:33], v[26:27], v[12:13]
	;; [unrolled: 1-line block ×4, first 2 shown]
	v_mov_b64_e32 v[38:39], v[28:29]
	v_dual_mov_b32 v56, 0 :: v_dual_mov_b32 v0, v52
	v_dual_mov_b32 v57, 0 :: v_dual_mov_b32 v58, 0
	v_mov_b32_e32 v59, 0
	s_mov_b32 s8, 0
	s_branch .LBB597_27
.LBB597_23:                             ;   in Loop: Header=BB597_27 Depth=2
	s_or_b32 exec_lo, exec_lo, s47
	s_wait_loadcnt_dscnt 0x202
	v_dual_lshlrev_b32 v45, 16, v71 :: v_dual_lshlrev_b32 v44, 16, v70
	s_delay_alu instid0(VALU_DEP_1) | instskip(SKIP_1) | instid1(VALU_DEP_1)
	v_pk_mul_f32 v[44:45], v[42:43], v[44:45]
	s_wait_loadcnt_dscnt 0x0
	v_dual_add_f32 v44, v58, v44 :: v_dual_lshlrev_b32 v47, 16, v69
	s_delay_alu instid0(VALU_DEP_1) | instskip(NEXT) | instid1(VALU_DEP_1)
	v_dual_lshlrev_b32 v46, 16, v68 :: v_dual_add_f32 v48, v44, v45
	v_pk_mul_f32 v[44:45], v[40:41], v[46:47]
	s_delay_alu instid0(VALU_DEP_1) | instskip(NEXT) | instid1(VALU_DEP_1)
	v_add_f32_e32 v44, v48, v44
	v_add_f32_e32 v58, v44, v45
.LBB597_24:                             ;   in Loop: Header=BB597_27 Depth=2
	s_or_b32 exec_lo, exec_lo, s46
	s_wait_loadcnt_dscnt 0x202
	v_dual_lshlrev_b32 v45, 16, v67 :: v_dual_lshlrev_b32 v44, 16, v66
	s_delay_alu instid0(VALU_DEP_1) | instskip(SKIP_1) | instid1(VALU_DEP_1)
	v_pk_mul_f32 v[44:45], v[42:43], v[44:45]
	s_wait_loadcnt_dscnt 0x0
	v_dual_add_f32 v44, v57, v44 :: v_dual_lshlrev_b32 v47, 16, v65
	s_delay_alu instid0(VALU_DEP_1) | instskip(NEXT) | instid1(VALU_DEP_1)
	v_dual_lshlrev_b32 v46, 16, v64 :: v_dual_add_f32 v48, v44, v45
	v_pk_mul_f32 v[44:45], v[40:41], v[46:47]
	s_delay_alu instid0(VALU_DEP_1) | instskip(NEXT) | instid1(VALU_DEP_1)
	v_add_f32_e32 v44, v48, v44
	v_add_f32_e32 v57, v44, v45
.LBB597_25:                             ;   in Loop: Header=BB597_27 Depth=2
	s_or_b32 exec_lo, exec_lo, s45
	s_wait_loadcnt_dscnt 0x202
	v_dual_lshlrev_b32 v45, 16, v63 :: v_dual_lshlrev_b32 v44, 16, v62
	s_delay_alu instid0(VALU_DEP_1) | instskip(SKIP_1) | instid1(VALU_DEP_1)
	v_pk_mul_f32 v[42:43], v[42:43], v[44:45]
	s_wait_loadcnt_dscnt 0x0
	v_dual_add_f32 v42, v56, v42 :: v_dual_lshlrev_b32 v45, 16, v61
	s_delay_alu instid0(VALU_DEP_1) | instskip(NEXT) | instid1(VALU_DEP_1)
	v_dual_lshlrev_b32 v44, 16, v60 :: v_dual_add_f32 v42, v42, v43
	v_pk_mul_f32 v[40:41], v[40:41], v[44:45]
	s_delay_alu instid0(VALU_DEP_1) | instskip(NEXT) | instid1(VALU_DEP_1)
	v_add_f32_e32 v40, v42, v40
	v_add_f32_e32 v56, v40, v41
.LBB597_26:                             ;   in Loop: Header=BB597_27 Depth=2
	s_or_b32 exec_lo, exec_lo, s9
	v_add_nc_u32_e32 v0, 64, v0
	v_add_nc_u64_e32 v[38:39], s[34:35], v[38:39]
	v_add_nc_u64_e32 v[30:31], s[36:37], v[30:31]
	;; [unrolled: 1-line block ×4, first 2 shown]
	v_cmp_le_i32_e32 vcc_lo, s42, v0
	v_add_nc_u64_e32 v[36:37], s[36:37], v[36:37]
	s_or_b32 s8, vcc_lo, s8
	s_delay_alu instid0(SALU_CYCLE_1)
	s_and_not1_b32 exec_lo, exec_lo, s8
	s_cbranch_execz .LBB597_32
.LBB597_27:                             ;   Parent Loop BB597_4 Depth=1
                                        ; =>  This Inner Loop Header: Depth=2
	s_and_saveexec_b32 s9, s1
	s_cbranch_execz .LBB597_26
; %bb.28:                               ;   in Loop: Header=BB597_27 Depth=2
	v_add_nc_u64_e32 v[42:43], v[38:39], v[4:5]
	v_add_nc_u64_e32 v[40:41], v[38:39], v[10:11]
	;; [unrolled: 1-line block ×8, first 2 shown]
	s_clause 0x3
	flat_load_u16 v42, v[42:43]
	flat_load_u16 v40, v[40:41]
	flat_load_u16 v41, v[62:63]
	flat_load_u16 v64, v[60:61]
                                        ; kill: killed $vgpr62_vgpr63
                                        ; kill: killed $vgpr60_vgpr61
	flat_load_u16 v62, v[48:49]
	flat_load_u16 v63, v[50:51]
	;; [unrolled: 1-line block ×4, first 2 shown]
	s_wait_loadcnt_dscnt 0x606
	v_dual_lshlrev_b32 v43, 16, v42 :: v_dual_lshlrev_b32 v42, 16, v40
	s_wait_loadcnt_dscnt 0x404
	v_dual_lshlrev_b32 v41, 16, v41 :: v_dual_lshlrev_b32 v40, 16, v64
	s_wait_xcnt 0x0
	s_and_saveexec_b32 s45, s3
	s_cbranch_execz .LBB597_25
; %bb.29:                               ;   in Loop: Header=BB597_27 Depth=2
	flat_load_u16 v66, v[48:49] offset:128
	flat_load_u16 v67, v[50:51] offset:128
	flat_load_u16 v64, v[44:45] offset:128
	flat_load_u16 v65, v[46:47] offset:128
	s_wait_xcnt 0x0
	s_and_saveexec_b32 s46, s4
	s_cbranch_execz .LBB597_24
; %bb.30:                               ;   in Loop: Header=BB597_27 Depth=2
	flat_load_u16 v70, v[48:49] offset:256
	flat_load_u16 v71, v[50:51] offset:256
	flat_load_u16 v68, v[44:45] offset:256
	flat_load_u16 v69, v[46:47] offset:256
	;; [unrolled: 8-line block ×3, first 2 shown]
	s_wait_loadcnt_dscnt 0x202
	s_wait_xcnt 0x0
	v_dual_lshlrev_b32 v45, 16, v50 :: v_dual_lshlrev_b32 v44, 16, v48
	s_delay_alu instid0(VALU_DEP_1) | instskip(SKIP_1) | instid1(VALU_DEP_1)
	v_pk_mul_f32 v[44:45], v[42:43], v[44:45]
	s_wait_loadcnt_dscnt 0x101
	v_dual_add_f32 v44, v59, v44 :: v_dual_lshlrev_b32 v47, 16, v46
	s_delay_alu instid0(VALU_DEP_1) | instskip(SKIP_2) | instid1(VALU_DEP_1)
	v_add_f32_e32 v48, v44, v45
	s_wait_loadcnt_dscnt 0x0
	v_lshlrev_b32_e32 v46, 16, v49
	v_pk_mul_f32 v[44:45], v[40:41], v[46:47]
	s_delay_alu instid0(VALU_DEP_1) | instskip(NEXT) | instid1(VALU_DEP_1)
	v_add_f32_e32 v44, v48, v44
	v_add_f32_e32 v59, v44, v45
	s_branch .LBB597_23
.LBB597_32:                             ;   in Loop: Header=BB597_4 Depth=1
	s_or_b32 exec_lo, exec_lo, s8
.LBB597_33:                             ;   in Loop: Header=BB597_4 Depth=1
	s_delay_alu instid0(SALU_CYCLE_1) | instskip(NEXT) | instid1(SALU_CYCLE_1)
	s_or_b32 exec_lo, exec_lo, s7
	s_and_not1_b32 vcc_lo, exec_lo, s24
	s_cbranch_vccnz .LBB597_51
; %bb.34:                               ;   in Loop: Header=BB597_4 Depth=1
	v_dual_mov_b32 v30, 0 :: v_dual_bitop2_b32 v34, 1, v0 bitop3:0x54
	v_cmp_gt_i32_e32 vcc_lo, s25, v0
	s_delay_alu instid0(VALU_DEP_2)
	v_dual_mov_b32 v31, v30 :: v_dual_mov_b32 v32, v30
	v_mov_b32_e32 v33, v30
	s_and_saveexec_b32 s8, vcc_lo
	s_cbranch_execz .LBB597_42
; %bb.35:                               ;   in Loop: Header=BB597_4 Depth=1
	v_mul_u64_e32 v[30:31], s[28:29], v[0:1]
	v_mov_b32_e32 v33, 0
	s_mov_b32 s9, exec_lo
	s_delay_alu instid0(VALU_DEP_2)
	v_lshl_add_u64 v[30:31], v[30:31], 1, v[28:29]
	flat_load_u16 v36, v[30:31]
	s_wait_xcnt 0x0
	v_dual_mov_b32 v31, 0 :: v_dual_mov_b32 v30, 0
	v_cmpx_gt_i32_e64 s25, v34
	s_cbranch_execz .LBB597_41
; %bb.36:                               ;   in Loop: Header=BB597_4 Depth=1
	v_dual_mov_b32 v35, v1 :: v_dual_bitop2_b32 v32, 2, v0 bitop3:0x54
	s_mov_b32 s45, exec_lo
	s_delay_alu instid0(VALU_DEP_1) | instskip(NEXT) | instid1(VALU_DEP_1)
	v_mul_u64_e32 v[30:31], s[28:29], v[34:35]
	v_lshl_add_u64 v[30:31], v[30:31], 1, v[28:29]
	flat_load_u16 v35, v[30:31]
	s_wait_xcnt 0x0
	v_dual_mov_b32 v31, 0 :: v_dual_mov_b32 v30, 0
	v_cmpx_gt_i32_e64 s25, v32
	s_cbranch_execz .LBB597_40
; %bb.37:                               ;   in Loop: Header=BB597_4 Depth=1
	v_mov_b32_e32 v33, v1
	s_mov_b32 s46, exec_lo
	s_delay_alu instid0(VALU_DEP_1) | instskip(NEXT) | instid1(VALU_DEP_1)
	v_mul_u64_e32 v[30:31], s[28:29], v[32:33]
	v_lshl_add_u64 v[30:31], v[30:31], 1, v[28:29]
	flat_load_u16 v32, v[30:31]
	s_wait_xcnt 0x0
	v_dual_mov_b32 v31, 0 :: v_dual_bitop2_b32 v30, 3, v0 bitop3:0x54
	s_delay_alu instid0(VALU_DEP_1)
	v_cmpx_gt_i32_e64 s25, v30
	s_cbranch_execz .LBB597_39
; %bb.38:                               ;   in Loop: Header=BB597_4 Depth=1
	v_mov_b32_e32 v31, v1
	s_delay_alu instid0(VALU_DEP_1) | instskip(NEXT) | instid1(VALU_DEP_1)
	v_mul_u64_e32 v[30:31], s[28:29], v[30:31]
	v_lshl_add_u64 v[28:29], v[30:31], 1, v[28:29]
	flat_load_u16 v28, v[28:29]
	s_wait_loadcnt_dscnt 0x0
	v_lshlrev_b32_e32 v31, 16, v28
.LBB597_39:                             ;   in Loop: Header=BB597_4 Depth=1
	s_wait_xcnt 0x0
	s_or_b32 exec_lo, exec_lo, s46
	s_wait_loadcnt_dscnt 0x0
	v_lshlrev_b32_e32 v30, 16, v32
.LBB597_40:                             ;   in Loop: Header=BB597_4 Depth=1
	s_or_b32 exec_lo, exec_lo, s45
	s_wait_loadcnt_dscnt 0x0
	v_lshlrev_b32_e32 v33, 16, v35
.LBB597_41:                             ;   in Loop: Header=BB597_4 Depth=1
	s_or_b32 exec_lo, exec_lo, s9
	s_wait_loadcnt_dscnt 0x0
	v_lshlrev_b32_e32 v32, 16, v36
.LBB597_42:                             ;   in Loop: Header=BB597_4 Depth=1
	s_or_b32 exec_lo, exec_lo, s8
	s_and_saveexec_b32 s45, s1
	s_cbranch_execz .LBB597_50
; %bb.43:                               ;   in Loop: Header=BB597_4 Depth=1
	v_dual_mov_b32 v35, v1 :: v_dual_bitop2_b32 v28, 2, v0 bitop3:0x54
	v_mov_b32_e32 v29, v1
	v_mul_u64_e32 v[36:37], s[30:31], v[0:1]
	v_or_b32_e32 v0, 3, v0
	s_delay_alu instid0(VALU_DEP_4)
	v_mul_u64_e32 v[38:39], s[30:31], v[34:35]
	v_cmp_gt_i32_e64 s7, s25, v34
	v_mul_u64_e32 v[40:41], s[30:31], v[28:29]
	v_cmp_gt_i32_e64 s8, s25, v28
	;; [unrolled: 2-line block ×3, first 2 shown]
	v_dual_cndmask_b32 v29, 0, v37 :: v_dual_cndmask_b32 v28, 0, v36
	v_dual_cndmask_b32 v35, 0, v39, s7 :: v_dual_cndmask_b32 v34, 0, v38, s7
	v_dual_cndmask_b32 v39, 0, v41, s8 :: v_dual_cndmask_b32 v38, 0, v40, s8
	s_delay_alu instid0(VALU_DEP_4) | instskip(NEXT) | instid1(VALU_DEP_3)
	v_dual_cndmask_b32 v41, 0, v43, s9 :: v_dual_cndmask_b32 v40, 0, v42, s9
	v_lshl_add_u64 v[34:35], v[34:35], 1, v[26:27]
	s_delay_alu instid0(VALU_DEP_3) | instskip(NEXT) | instid1(VALU_DEP_3)
	v_lshl_add_u64 v[36:37], v[38:39], 1, v[26:27]
	v_lshl_add_u64 v[38:39], v[40:41], 1, v[26:27]
	;; [unrolled: 1-line block ×3, first 2 shown]
	s_delay_alu instid0(VALU_DEP_4) | instskip(NEXT) | instid1(VALU_DEP_4)
	v_add_nc_u64_e32 v[26:27], v[34:35], v[14:15]
	v_add_nc_u64_e32 v[34:35], v[36:37], v[14:15]
	s_delay_alu instid0(VALU_DEP_4) | instskip(NEXT) | instid1(VALU_DEP_4)
	v_add_nc_u64_e32 v[28:29], v[38:39], v[14:15]
	v_add_nc_u64_e32 v[36:37], v[40:41], v[14:15]
	s_clause 0x3
	flat_load_u16 v39, v[26:27]
	flat_load_u16 v0, v[34:35]
	;; [unrolled: 1-line block ×4, first 2 shown]
	s_wait_xcnt 0x0
	s_and_saveexec_b32 s7, s3
	s_cbranch_execz .LBB597_49
; %bb.44:                               ;   in Loop: Header=BB597_4 Depth=1
	s_clause 0x3
	flat_load_u16 v43, v[36:37] offset:128
	flat_load_u16 v44, v[26:27] offset:128
	flat_load_u16 v41, v[34:35] offset:128
	flat_load_u16 v42, v[28:29] offset:128
	s_wait_xcnt 0x0
	s_and_saveexec_b32 s8, s4
	s_cbranch_execz .LBB597_48
; %bb.45:                               ;   in Loop: Header=BB597_4 Depth=1
	s_clause 0x3
	flat_load_u16 v47, v[36:37] offset:256
	flat_load_u16 v48, v[26:27] offset:256
	flat_load_u16 v45, v[34:35] offset:256
	flat_load_u16 v46, v[28:29] offset:256
	;; [unrolled: 9-line block ×3, first 2 shown]
	s_wait_loadcnt_dscnt 0x202
	s_wait_xcnt 0x3
	v_dual_lshlrev_b32 v27, 16, v49 :: v_dual_lshlrev_b32 v26, 16, v50
	s_delay_alu instid0(VALU_DEP_1) | instskip(SKIP_2) | instid1(VALU_DEP_1)
	v_pk_mul_f32 v[26:27], v[32:33], v[26:27]
	s_wait_loadcnt_dscnt 0x101
	s_wait_xcnt 0x1
	v_dual_add_f32 v26, v59, v26 :: v_dual_lshlrev_b32 v29, 16, v51
	s_wait_loadcnt_dscnt 0x0
	s_wait_xcnt 0x0
	s_delay_alu instid0(VALU_DEP_1) | instskip(NEXT) | instid1(VALU_DEP_1)
	v_dual_lshlrev_b32 v28, 16, v60 :: v_dual_add_f32 v34, v26, v27
	v_pk_mul_f32 v[26:27], v[30:31], v[28:29]
	s_delay_alu instid0(VALU_DEP_1) | instskip(NEXT) | instid1(VALU_DEP_1)
	v_add_f32_e32 v26, v34, v26
	v_add_f32_e32 v59, v26, v27
.LBB597_47:                             ;   in Loop: Header=BB597_4 Depth=1
	s_or_b32 exec_lo, exec_lo, s9
	s_wait_loadcnt_dscnt 0x202
	v_dual_lshlrev_b32 v27, 16, v48 :: v_dual_lshlrev_b32 v26, 16, v47
	s_wait_loadcnt_dscnt 0x0
	v_dual_lshlrev_b32 v29, 16, v46 :: v_dual_lshlrev_b32 v28, 16, v45
	s_delay_alu instid0(VALU_DEP_2) | instskip(NEXT) | instid1(VALU_DEP_1)
	v_pk_mul_f32 v[26:27], v[32:33], v[26:27]
	v_add_f32_e32 v26, v58, v26
	s_delay_alu instid0(VALU_DEP_1) | instskip(NEXT) | instid1(VALU_DEP_4)
	v_add_f32_e32 v34, v26, v27
	v_pk_mul_f32 v[26:27], v[30:31], v[28:29]
	s_delay_alu instid0(VALU_DEP_1) | instskip(NEXT) | instid1(VALU_DEP_1)
	v_add_f32_e32 v26, v34, v26
	v_add_f32_e32 v58, v26, v27
.LBB597_48:                             ;   in Loop: Header=BB597_4 Depth=1
	s_or_b32 exec_lo, exec_lo, s8
	s_wait_loadcnt_dscnt 0x202
	v_dual_lshlrev_b32 v27, 16, v44 :: v_dual_lshlrev_b32 v26, 16, v43
	s_wait_loadcnt_dscnt 0x0
	v_dual_lshlrev_b32 v29, 16, v42 :: v_dual_lshlrev_b32 v28, 16, v41
	s_delay_alu instid0(VALU_DEP_2) | instskip(NEXT) | instid1(VALU_DEP_1)
	v_pk_mul_f32 v[26:27], v[32:33], v[26:27]
	v_add_f32_e32 v26, v57, v26
	s_delay_alu instid0(VALU_DEP_1) | instskip(NEXT) | instid1(VALU_DEP_4)
	v_add_f32_e32 v34, v26, v27
	v_pk_mul_f32 v[26:27], v[30:31], v[28:29]
	s_delay_alu instid0(VALU_DEP_1) | instskip(NEXT) | instid1(VALU_DEP_1)
	v_add_f32_e32 v26, v34, v26
	v_add_f32_e32 v57, v26, v27
.LBB597_49:                             ;   in Loop: Header=BB597_4 Depth=1
	s_or_b32 exec_lo, exec_lo, s7
	s_wait_loadcnt_dscnt 0x0
	v_dual_lshlrev_b32 v27, 16, v39 :: v_dual_lshlrev_b32 v26, 16, v40
	v_dual_lshlrev_b32 v29, 16, v38 :: v_dual_lshlrev_b32 v28, 16, v0
	s_delay_alu instid0(VALU_DEP_2) | instskip(NEXT) | instid1(VALU_DEP_1)
	v_pk_mul_f32 v[26:27], v[32:33], v[26:27]
	v_add_f32_e32 v26, v56, v26
	s_delay_alu instid0(VALU_DEP_1) | instskip(NEXT) | instid1(VALU_DEP_4)
	v_add_f32_e32 v0, v26, v27
	v_pk_mul_f32 v[26:27], v[30:31], v[28:29]
	s_delay_alu instid0(VALU_DEP_1) | instskip(NEXT) | instid1(VALU_DEP_1)
	v_add_f32_e32 v0, v0, v26
	v_add_f32_e32 v56, v0, v27
.LBB597_50:                             ;   in Loop: Header=BB597_4 Depth=1
	s_or_b32 exec_lo, exec_lo, s45
.LBB597_51:                             ;   in Loop: Header=BB597_4 Depth=1
	ds_store_2addr_stride64_b32 v54, v56, v57 offset1:1
	ds_store_2addr_stride64_b32 v54, v58, v59 offset0:2 offset1:3
	s_wait_dscnt 0x0
	s_barrier_signal -1
	s_barrier_wait -1
                                        ; implicit-def: $vgpr0
	s_and_saveexec_b32 s7, s0
	s_cbranch_execz .LBB597_71
; %bb.52:                               ;   in Loop: Header=BB597_4 Depth=1
	ds_load_2addr_stride64_b32 v[26:27], v55 offset1:4
	ds_load_2addr_stride64_b32 v[28:29], v55 offset0:8 offset1:12
	ds_load_2addr_stride64_b32 v[30:31], v55 offset0:16 offset1:20
	s_mov_b32 s9, s44
	s_wait_dscnt 0x2
	v_add_f32_e32 v0, v26, v27
	ds_load_2addr_stride64_b32 v[26:27], v55 offset0:24 offset1:28
	s_wait_dscnt 0x2
	v_add_f32_e32 v0, v28, v0
	s_delay_alu instid0(VALU_DEP_1) | instskip(SKIP_3) | instid1(VALU_DEP_1)
	v_add_f32_e32 v0, v29, v0
	ds_load_2addr_stride64_b32 v[28:29], v55 offset0:32 offset1:36
	s_wait_dscnt 0x2
	v_add_f32_e32 v0, v30, v0
	v_add_f32_e32 v0, v31, v0
	ds_load_2addr_stride64_b32 v[30:31], v55 offset0:40 offset1:44
	s_wait_dscnt 0x2
	v_add_f32_e32 v0, v26, v0
	s_delay_alu instid0(VALU_DEP_1) | instskip(SKIP_3) | instid1(VALU_DEP_1)
	v_add_f32_e32 v0, v27, v0
	ds_load_2addr_stride64_b32 v[26:27], v55 offset0:48 offset1:52
	s_wait_dscnt 0x2
	v_add_f32_e32 v0, v28, v0
	v_add_f32_e32 v0, v29, v0
	ds_load_2addr_stride64_b32 v[28:29], v55 offset0:56 offset1:60
	s_wait_dscnt 0x2
	v_add_f32_e32 v0, v30, v0
	s_delay_alu instid0(VALU_DEP_1) | instskip(SKIP_1) | instid1(VALU_DEP_1)
	v_add_f32_e32 v0, v31, v0
	s_wait_dscnt 0x1
	v_add_f32_e32 v0, v26, v0
	s_delay_alu instid0(VALU_DEP_1) | instskip(SKIP_1) | instid1(VALU_DEP_1)
	v_add_f32_e32 v0, v27, v0
	s_wait_dscnt 0x0
	v_add_f32_e32 v0, v28, v0
	s_delay_alu instid0(VALU_DEP_1)
	v_add_f32_e32 v26, v29, v0
                                        ; implicit-def: $vgpr0
	ds_store_b32 v55, v26
	s_and_saveexec_b32 s8, s2
	s_cbranch_execz .LBB597_70
; %bb.53:                               ;   in Loop: Header=BB597_4 Depth=1
	v_mul_f32_e32 v0, s26, v26
	s_and_b32 vcc_lo, exec_lo, s41
	s_mov_b32 s9, -1
                                        ; implicit-def: $vgpr26
	s_cbranch_vccz .LBB597_59
; %bb.54:                               ;   in Loop: Header=BB597_4 Depth=1
	s_delay_alu instid0(VALU_DEP_1) | instskip(NEXT) | instid1(VALU_DEP_1)
	v_and_b32_e32 v26, 0x7f800000, v0
	v_cmp_ne_u32_e32 vcc_lo, 0x7f800000, v26
                                        ; implicit-def: $vgpr26
	s_and_saveexec_b32 s9, vcc_lo
	s_delay_alu instid0(SALU_CYCLE_1)
	s_xor_b32 s9, exec_lo, s9
; %bb.55:                               ;   in Loop: Header=BB597_4 Depth=1
	v_bfe_u32 v26, v0, 16, 1
	s_delay_alu instid0(VALU_DEP_1)
	v_add3_u32 v26, v0, v26, 0x7fff
; %bb.56:                               ;   in Loop: Header=BB597_4 Depth=1
	s_and_not1_saveexec_b32 s9, s9
; %bb.57:                               ;   in Loop: Header=BB597_4 Depth=1
	v_and_b32_e32 v26, 0xffff, v0
	v_or_b32_e32 v27, 0x10000, v0
	s_delay_alu instid0(VALU_DEP_2) | instskip(NEXT) | instid1(VALU_DEP_2)
	v_cmp_eq_u32_e32 vcc_lo, 0, v26
	v_cndmask_b32_e32 v26, v27, v0, vcc_lo
; %bb.58:                               ;   in Loop: Header=BB597_4 Depth=1
	s_or_b32 exec_lo, exec_lo, s9
	s_mov_b32 s9, 0
.LBB597_59:                             ;   in Loop: Header=BB597_4 Depth=1
	s_delay_alu instid0(SALU_CYCLE_1)
	s_and_not1_b32 vcc_lo, exec_lo, s9
	s_cbranch_vccnz .LBB597_69
; %bb.60:                               ;   in Loop: Header=BB597_4 Depth=1
	v_lshl_add_u64 v[26:27], v[8:9], 1, v[24:25]
	flat_load_u16 v26, v[26:27]
	s_wait_loadcnt_dscnt 0x0
	s_wait_xcnt 0x0
	v_lshlrev_b32_e32 v26, 16, v26
	s_delay_alu instid0(VALU_DEP_1) | instskip(NEXT) | instid1(VALU_DEP_1)
	v_mul_f32_e32 v26, s33, v26
	v_and_b32_e32 v27, 0x7f800000, v26
	s_delay_alu instid0(VALU_DEP_1) | instskip(SKIP_1) | instid1(SALU_CYCLE_1)
	v_cmp_ne_u32_e32 vcc_lo, 0x7f800000, v27
                                        ; implicit-def: $vgpr27
	s_and_saveexec_b32 s9, vcc_lo
	s_xor_b32 s9, exec_lo, s9
; %bb.61:                               ;   in Loop: Header=BB597_4 Depth=1
	v_bfe_u32 v27, v26, 16, 1
	s_delay_alu instid0(VALU_DEP_1)
	v_add3_u32 v27, v26, v27, 0x7fff
                                        ; implicit-def: $vgpr26
; %bb.62:                               ;   in Loop: Header=BB597_4 Depth=1
	s_and_not1_saveexec_b32 s9, s9
; %bb.63:                               ;   in Loop: Header=BB597_4 Depth=1
	v_and_b32_e32 v27, 0xffff, v26
	v_or_b32_e32 v28, 0x10000, v26
	s_delay_alu instid0(VALU_DEP_2) | instskip(NEXT) | instid1(VALU_DEP_2)
	v_cmp_eq_u32_e32 vcc_lo, 0, v27
	v_cndmask_b32_e32 v27, v28, v26, vcc_lo
; %bb.64:                               ;   in Loop: Header=BB597_4 Depth=1
	s_or_b32 exec_lo, exec_lo, s9
	s_delay_alu instid0(VALU_DEP_1) | instskip(NEXT) | instid1(VALU_DEP_1)
	v_and_b32_e32 v26, 0xffff0000, v27
	v_add_f32_e32 v0, v0, v26
	s_delay_alu instid0(VALU_DEP_1) | instskip(NEXT) | instid1(VALU_DEP_1)
	v_and_b32_e32 v26, 0x7f800000, v0
	v_cmp_ne_u32_e32 vcc_lo, 0x7f800000, v26
                                        ; implicit-def: $vgpr26
	s_and_saveexec_b32 s9, vcc_lo
	s_delay_alu instid0(SALU_CYCLE_1)
	s_xor_b32 s9, exec_lo, s9
; %bb.65:                               ;   in Loop: Header=BB597_4 Depth=1
	v_bfe_u32 v26, v0, 16, 1
	s_delay_alu instid0(VALU_DEP_1)
	v_add3_u32 v26, v0, v26, 0x7fff
                                        ; implicit-def: $vgpr0
; %bb.66:                               ;   in Loop: Header=BB597_4 Depth=1
	s_and_not1_saveexec_b32 s9, s9
; %bb.67:                               ;   in Loop: Header=BB597_4 Depth=1
	v_and_b32_e32 v26, 0xffff, v0
	v_or_b32_e32 v27, 0x10000, v0
	s_delay_alu instid0(VALU_DEP_2) | instskip(NEXT) | instid1(VALU_DEP_2)
	v_cmp_eq_u32_e32 vcc_lo, 0, v26
	v_cndmask_b32_e32 v26, v27, v0, vcc_lo
; %bb.68:                               ;   in Loop: Header=BB597_4 Depth=1
	s_or_b32 exec_lo, exec_lo, s9
.LBB597_69:                             ;   in Loop: Header=BB597_4 Depth=1
	s_delay_alu instid0(VALU_DEP_1)
	v_lshrrev_b32_e32 v0, 16, v26
	s_or_b32 s9, s44, exec_lo
.LBB597_70:                             ;   in Loop: Header=BB597_4 Depth=1
	s_or_b32 exec_lo, exec_lo, s8
	s_delay_alu instid0(SALU_CYCLE_1) | instskip(SKIP_1) | instid1(SALU_CYCLE_1)
	s_and_not1_b32 s8, s44, exec_lo
	s_and_b32 s9, s9, exec_lo
	s_or_b32 s44, s8, s9
.LBB597_71:                             ;   in Loop: Header=BB597_4 Depth=1
	s_or_b32 exec_lo, exec_lo, s7
	v_mov_b64_e32 v[26:27], v[8:9]
	s_and_saveexec_b32 s7, s44
	s_cbranch_execz .LBB597_2
	s_branch .LBB597_74
.LBB597_72:                             ;   in Loop: Header=BB597_4 Depth=1
	v_mov_b32_e32 v0, 0
	s_mov_b32 s44, exec_lo
	s_or_b32 exec_lo, exec_lo, s8
	s_delay_alu instid0(SALU_CYCLE_1)
	s_and_b32 vcc_lo, exec_lo, s7
	s_cbranch_vccnz .LBB597_21
.LBB597_73:                             ;   in Loop: Header=BB597_4 Depth=1
	v_mov_b64_e32 v[26:27], v[2:3]
	s_wait_xcnt 0x0
	s_and_saveexec_b32 s7, s44
	s_cbranch_execz .LBB597_2
.LBB597_74:                             ;   in Loop: Header=BB597_4 Depth=1
	s_delay_alu instid0(VALU_DEP_1)
	v_lshl_add_u64 v[24:25], v[26:27], 1, v[24:25]
	flat_store_b16 v[24:25], v0
	s_branch .LBB597_2
.LBB597_75:
	s_sendmsg sendmsg(MSG_DEALLOC_VGPRS)
	s_endpgm
	.section	.rodata,"a",@progbits
	.p2align	6, 0x0
	.amdhsa_kernel _ZL20rocblas_gemvn_kernelILi64ELi16ElPK16rocblas_bfloat16fKPS0_EviiT3_lPKT2_lT1_lS8_lS9_lS5_lPT4_lS9_li
		.amdhsa_group_segment_fixed_size 16384
		.amdhsa_private_segment_fixed_size 0
		.amdhsa_kernarg_size 400
		.amdhsa_user_sgpr_count 2
		.amdhsa_user_sgpr_dispatch_ptr 0
		.amdhsa_user_sgpr_queue_ptr 0
		.amdhsa_user_sgpr_kernarg_segment_ptr 1
		.amdhsa_user_sgpr_dispatch_id 0
		.amdhsa_user_sgpr_kernarg_preload_length 0
		.amdhsa_user_sgpr_kernarg_preload_offset 0
		.amdhsa_user_sgpr_private_segment_size 0
		.amdhsa_wavefront_size32 1
		.amdhsa_uses_dynamic_stack 0
		.amdhsa_enable_private_segment 0
		.amdhsa_system_sgpr_workgroup_id_x 1
		.amdhsa_system_sgpr_workgroup_id_y 0
		.amdhsa_system_sgpr_workgroup_id_z 1
		.amdhsa_system_sgpr_workgroup_info 0
		.amdhsa_system_vgpr_workitem_id 1
		.amdhsa_next_free_vgpr 72
		.amdhsa_next_free_sgpr 48
		.amdhsa_named_barrier_count 0
		.amdhsa_reserve_vcc 1
		.amdhsa_float_round_mode_32 0
		.amdhsa_float_round_mode_16_64 0
		.amdhsa_float_denorm_mode_32 3
		.amdhsa_float_denorm_mode_16_64 3
		.amdhsa_fp16_overflow 0
		.amdhsa_memory_ordered 1
		.amdhsa_forward_progress 1
		.amdhsa_inst_pref_size 29
		.amdhsa_round_robin_scheduling 0
		.amdhsa_exception_fp_ieee_invalid_op 0
		.amdhsa_exception_fp_denorm_src 0
		.amdhsa_exception_fp_ieee_div_zero 0
		.amdhsa_exception_fp_ieee_overflow 0
		.amdhsa_exception_fp_ieee_underflow 0
		.amdhsa_exception_fp_ieee_inexact 0
		.amdhsa_exception_int_div_zero 0
	.end_amdhsa_kernel
	.section	.text._ZL20rocblas_gemvn_kernelILi64ELi16ElPK16rocblas_bfloat16fKPS0_EviiT3_lPKT2_lT1_lS8_lS9_lS5_lPT4_lS9_li,"axG",@progbits,_ZL20rocblas_gemvn_kernelILi64ELi16ElPK16rocblas_bfloat16fKPS0_EviiT3_lPKT2_lT1_lS8_lS9_lS5_lPT4_lS9_li,comdat
.Lfunc_end597:
	.size	_ZL20rocblas_gemvn_kernelILi64ELi16ElPK16rocblas_bfloat16fKPS0_EviiT3_lPKT2_lT1_lS8_lS9_lS5_lPT4_lS9_li, .Lfunc_end597-_ZL20rocblas_gemvn_kernelILi64ELi16ElPK16rocblas_bfloat16fKPS0_EviiT3_lPKT2_lT1_lS8_lS9_lS5_lPT4_lS9_li
                                        ; -- End function
	.set _ZL20rocblas_gemvn_kernelILi64ELi16ElPK16rocblas_bfloat16fKPS0_EviiT3_lPKT2_lT1_lS8_lS9_lS5_lPT4_lS9_li.num_vgpr, 72
	.set _ZL20rocblas_gemvn_kernelILi64ELi16ElPK16rocblas_bfloat16fKPS0_EviiT3_lPKT2_lT1_lS8_lS9_lS5_lPT4_lS9_li.num_agpr, 0
	.set _ZL20rocblas_gemvn_kernelILi64ELi16ElPK16rocblas_bfloat16fKPS0_EviiT3_lPKT2_lT1_lS8_lS9_lS5_lPT4_lS9_li.numbered_sgpr, 48
	.set _ZL20rocblas_gemvn_kernelILi64ELi16ElPK16rocblas_bfloat16fKPS0_EviiT3_lPKT2_lT1_lS8_lS9_lS5_lPT4_lS9_li.num_named_barrier, 0
	.set _ZL20rocblas_gemvn_kernelILi64ELi16ElPK16rocblas_bfloat16fKPS0_EviiT3_lPKT2_lT1_lS8_lS9_lS5_lPT4_lS9_li.private_seg_size, 0
	.set _ZL20rocblas_gemvn_kernelILi64ELi16ElPK16rocblas_bfloat16fKPS0_EviiT3_lPKT2_lT1_lS8_lS9_lS5_lPT4_lS9_li.uses_vcc, 1
	.set _ZL20rocblas_gemvn_kernelILi64ELi16ElPK16rocblas_bfloat16fKPS0_EviiT3_lPKT2_lT1_lS8_lS9_lS5_lPT4_lS9_li.uses_flat_scratch, 1
	.set _ZL20rocblas_gemvn_kernelILi64ELi16ElPK16rocblas_bfloat16fKPS0_EviiT3_lPKT2_lT1_lS8_lS9_lS5_lPT4_lS9_li.has_dyn_sized_stack, 0
	.set _ZL20rocblas_gemvn_kernelILi64ELi16ElPK16rocblas_bfloat16fKPS0_EviiT3_lPKT2_lT1_lS8_lS9_lS5_lPT4_lS9_li.has_recursion, 0
	.set _ZL20rocblas_gemvn_kernelILi64ELi16ElPK16rocblas_bfloat16fKPS0_EviiT3_lPKT2_lT1_lS8_lS9_lS5_lPT4_lS9_li.has_indirect_call, 0
	.section	.AMDGPU.csdata,"",@progbits
; Kernel info:
; codeLenInByte = 3680
; TotalNumSgprs: 50
; NumVgprs: 72
; ScratchSize: 0
; MemoryBound: 0
; FloatMode: 240
; IeeeMode: 1
; LDSByteSize: 16384 bytes/workgroup (compile time only)
; SGPRBlocks: 0
; VGPRBlocks: 4
; NumSGPRsForWavesPerEU: 50
; NumVGPRsForWavesPerEU: 72
; NamedBarCnt: 0
; Occupancy: 12
; WaveLimiterHint : 1
; COMPUTE_PGM_RSRC2:SCRATCH_EN: 0
; COMPUTE_PGM_RSRC2:USER_SGPR: 2
; COMPUTE_PGM_RSRC2:TRAP_HANDLER: 0
; COMPUTE_PGM_RSRC2:TGID_X_EN: 1
; COMPUTE_PGM_RSRC2:TGID_Y_EN: 0
; COMPUTE_PGM_RSRC2:TGID_Z_EN: 1
; COMPUTE_PGM_RSRC2:TIDIG_COMP_CNT: 1
	.section	.text._ZL22rocblas_gemvtsm_kernelILb0ELi256EPK16rocblas_bfloat16PKfKPS0_EviiT2_lPKT1_lilSA_lilS7_lPT3_lil,"axG",@progbits,_ZL22rocblas_gemvtsm_kernelILb0ELi256EPK16rocblas_bfloat16PKfKPS0_EviiT2_lPKT1_lilSA_lilS7_lPT3_lil,comdat
	.globl	_ZL22rocblas_gemvtsm_kernelILb0ELi256EPK16rocblas_bfloat16PKfKPS0_EviiT2_lPKT1_lilSA_lilS7_lPT3_lil ; -- Begin function _ZL22rocblas_gemvtsm_kernelILb0ELi256EPK16rocblas_bfloat16PKfKPS0_EviiT2_lPKT1_lilSA_lilS7_lPT3_lil
	.p2align	8
	.type	_ZL22rocblas_gemvtsm_kernelILb0ELi256EPK16rocblas_bfloat16PKfKPS0_EviiT2_lPKT1_lilSA_lilS7_lPT3_lil,@function
_ZL22rocblas_gemvtsm_kernelILb0ELi256EPK16rocblas_bfloat16PKfKPS0_EviiT2_lPKT1_lilSA_lilS7_lPT3_lil: ; @_ZL22rocblas_gemvtsm_kernelILb0ELi256EPK16rocblas_bfloat16PKfKPS0_EviiT2_lPKT1_lilSA_lilS7_lPT3_lil
; %bb.0:
	s_clause 0x1
	s_load_b256 s[12:19], s[0:1], 0x8
	s_load_b256 s[4:11], s[0:1], 0x58
	s_bfe_u32 s2, ttmp6, 0x4000c
	s_and_b32 s3, ttmp6, 15
	s_add_co_i32 s2, s2, 1
	s_getreg_b32 s20, hwreg(HW_REG_IB_STS2, 6, 4)
	s_mul_i32 s2, ttmp9, s2
	s_delay_alu instid0(SALU_CYCLE_1)
	s_add_co_i32 s2, s3, s2
	s_cmp_eq_u32 s20, 0
	s_mov_b32 s3, 0
	s_cselect_b32 s2, ttmp9, s2
	s_wait_kmcnt 0x0
	s_mul_u64 s[14:15], s[14:15], s[2:3]
	s_mul_u64 s[6:7], s[6:7], s[2:3]
	s_lshl_b64 s[14:15], s[14:15], 2
	s_lshl_b64 s[6:7], s[6:7], 2
	s_add_nc_u64 s[12:13], s[12:13], s[14:15]
	s_add_nc_u64 s[4:5], s[4:5], s[6:7]
	s_load_b32 s21, s[12:13], 0x0
	s_load_b32 s20, s[4:5], 0x0
	s_wait_kmcnt 0x0
	s_cmp_eq_f32 s21, 0
	s_cselect_b32 s4, -1, 0
	s_cmp_eq_f32 s20, 1.0
	s_cselect_b32 s5, -1, 0
	s_delay_alu instid0(SALU_CYCLE_1) | instskip(NEXT) | instid1(SALU_CYCLE_1)
	s_and_b32 s4, s4, s5
	s_and_b32 vcc_lo, exec_lo, s4
	s_cbranch_vccnz .LBB598_74
; %bb.1:
	s_cmp_neq_f32 s21, 0
	s_mov_b64 s[12:13], 0
	s_mov_b64 s[6:7], 0
	s_cselect_b32 s4, -1, 0
	s_cmp_eq_f32 s21, 0
	s_cselect_b32 s5, -1, 0
	s_delay_alu instid0(SALU_CYCLE_1)
	s_and_b32 vcc_lo, exec_lo, s5
	s_cbranch_vccnz .LBB598_3
; %bb.2:
	s_lshl_b64 s[6:7], s[2:3], 3
	s_lshl_b64 s[14:15], s[18:19], 1
	s_add_nc_u64 s[6:7], s[16:17], s[6:7]
	s_load_b64 s[6:7], s[6:7], 0x0
	s_wait_kmcnt 0x0
	s_add_nc_u64 s[6:7], s[6:7], s[14:15]
.LBB598_3:
	s_and_not1_b32 vcc_lo, exec_lo, s4
	s_cbranch_vccnz .LBB598_5
; %bb.4:
	s_load_b128 s[12:15], s[0:1], 0x38
	s_lshl_b64 s[16:17], s[2:3], 3
	s_wait_kmcnt 0x0
	s_add_nc_u64 s[12:13], s[12:13], s[16:17]
	s_lshl_b64 s[14:15], s[14:15], 1
	s_load_b64 s[12:13], s[12:13], 0x0
	s_wait_kmcnt 0x0
	s_add_nc_u64 s[12:13], s[12:13], s[14:15]
.LBB598_5:
	s_lshl_b64 s[2:3], s[2:3], 3
	s_and_not1_b32 vcc_lo, exec_lo, s5
	s_add_nc_u64 s[14:15], s[8:9], s[2:3]
	s_clause 0x1
	s_load_b64 s[2:3], s[0:1], 0x0
	s_load_b32 s4, s[0:1], 0x78
	s_load_b64 s[8:9], s[14:15], 0x0
	s_mov_b32 s5, -1
	s_cbranch_vccnz .LBB598_24
; %bb.6:
	s_wait_kmcnt 0x0
	s_cmp_gt_i32 s3, 0
	s_cselect_b32 s16, -1, 0
	s_cmp_neq_f32 s20, 0
	v_cndmask_b32_e64 v1, 0, 1, s16
	s_delay_alu instid0(VALU_DEP_1)
	v_cmp_ne_u32_e32 vcc_lo, 1, v1
	s_cbranch_scc1 .LBB598_13
; %bb.7:
	s_and_b32 vcc_lo, exec_lo, vcc_lo
	s_cbranch_vccnz .LBB598_12
; %bb.8:
	v_mov_b32_e32 v1, 0
	s_ashr_i32 s5, s4, 31
	s_lshl_b64 s[14:15], s[10:11], 1
	s_delay_alu instid0(SALU_CYCLE_1) | instskip(NEXT) | instid1(VALU_DEP_1)
	s_add_nc_u64 s[14:15], s[8:9], s[14:15]
	v_mul_u64_e32 v[2:3], s[4:5], v[0:1]
	s_delay_alu instid0(VALU_DEP_1)
	v_lshl_add_u64 v[2:3], v[2:3], 1, s[14:15]
	s_lshl_b64 s[14:15], s[4:5], 9
	s_mov_b32 s5, 0
	s_branch .LBB598_10
.LBB598_9:                              ;   in Loop: Header=BB598_10 Depth=1
	s_wait_xcnt 0x0
	s_or_b32 exec_lo, exec_lo, s17
	v_add_nc_u64_e32 v[2:3], s[14:15], v[2:3]
	s_addk_co_i32 s5, 0x100
	s_delay_alu instid0(SALU_CYCLE_1)
	s_cmp_ge_i32 s5, s3
	s_cbranch_scc1 .LBB598_12
.LBB598_10:                             ; =>This Inner Loop Header: Depth=1
	v_add_nc_u32_e32 v4, s5, v0
	s_mov_b32 s17, exec_lo
	s_delay_alu instid0(VALU_DEP_1)
	v_cmpx_gt_i32_e64 s3, v4
	s_cbranch_execz .LBB598_9
; %bb.11:                               ;   in Loop: Header=BB598_10 Depth=1
	flat_store_b16 v[2:3], v1
	s_branch .LBB598_9
.LBB598_12:
	s_mov_b32 s5, 0
.LBB598_13:
	s_delay_alu instid0(SALU_CYCLE_1)
	s_and_not1_b32 vcc_lo, exec_lo, s5
	s_cbranch_vccnz .LBB598_23
; %bb.14:
	s_and_not1_b32 vcc_lo, exec_lo, s16
	s_cbranch_vccnz .LBB598_23
; %bb.15:
	v_mov_b32_e32 v1, 0
	s_ashr_i32 s5, s4, 31
	s_lshl_b64 s[14:15], s[10:11], 1
	s_delay_alu instid0(SALU_CYCLE_1) | instskip(NEXT) | instid1(VALU_DEP_1)
	s_add_nc_u64 s[14:15], s[8:9], s[14:15]
	v_mul_u64_e32 v[2:3], s[4:5], v[0:1]
	s_delay_alu instid0(VALU_DEP_1)
	v_lshl_add_u64 v[2:3], v[2:3], 1, s[14:15]
	s_lshl_b64 s[14:15], s[4:5], 9
	s_mov_b32 s5, 0
	s_branch .LBB598_18
.LBB598_16:                             ;   in Loop: Header=BB598_18 Depth=1
	s_or_b32 exec_lo, exec_lo, s17
	flat_store_d16_hi_b16 v[2:3], v4
.LBB598_17:                             ;   in Loop: Header=BB598_18 Depth=1
	s_wait_xcnt 0x0
	s_or_b32 exec_lo, exec_lo, s16
	v_add_nc_u64_e32 v[2:3], s[14:15], v[2:3]
	s_addk_co_i32 s5, 0x100
	s_delay_alu instid0(SALU_CYCLE_1)
	s_cmp_ge_i32 s5, s3
	s_cbranch_scc1 .LBB598_23
.LBB598_18:                             ; =>This Inner Loop Header: Depth=1
	v_add_nc_u32_e32 v1, s5, v0
	s_mov_b32 s16, exec_lo
	s_delay_alu instid0(VALU_DEP_1)
	v_cmpx_gt_i32_e64 s3, v1
	s_cbranch_execz .LBB598_17
; %bb.19:                               ;   in Loop: Header=BB598_18 Depth=1
	flat_load_u16 v1, v[2:3]
	s_wait_loadcnt_dscnt 0x0
	v_lshlrev_b32_e32 v1, 16, v1
	s_delay_alu instid0(VALU_DEP_1) | instskip(NEXT) | instid1(VALU_DEP_1)
	v_mul_f32_e32 v1, s20, v1
	v_and_b32_e32 v4, 0x7f800000, v1
	s_delay_alu instid0(VALU_DEP_1) | instskip(SKIP_2) | instid1(SALU_CYCLE_1)
	v_cmp_ne_u32_e32 vcc_lo, 0x7f800000, v4
                                        ; implicit-def: $vgpr4
	s_wait_xcnt 0x0
	s_and_saveexec_b32 s17, vcc_lo
	s_xor_b32 s17, exec_lo, s17
; %bb.20:                               ;   in Loop: Header=BB598_18 Depth=1
	v_bfe_u32 v4, v1, 16, 1
	s_delay_alu instid0(VALU_DEP_1)
	v_add3_u32 v4, v1, v4, 0x7fff
                                        ; implicit-def: $vgpr1
; %bb.21:                               ;   in Loop: Header=BB598_18 Depth=1
	s_and_not1_saveexec_b32 s17, s17
	s_cbranch_execz .LBB598_16
; %bb.22:                               ;   in Loop: Header=BB598_18 Depth=1
	v_and_b32_e32 v4, 0xffff, v1
	v_or_b32_e32 v5, 0x10000, v1
	s_delay_alu instid0(VALU_DEP_2) | instskip(NEXT) | instid1(VALU_DEP_2)
	v_cmp_eq_u32_e32 vcc_lo, 0, v4
	v_cndmask_b32_e32 v4, v5, v1, vcc_lo
	s_branch .LBB598_16
.LBB598_23:
	s_mov_b32 s5, 0
.LBB598_24:
	s_delay_alu instid0(SALU_CYCLE_1)
	s_and_not1_b32 vcc_lo, exec_lo, s5
	s_cbranch_vccnz .LBB598_74
; %bb.25:
	s_mov_b32 s5, exec_lo
	s_wait_kmcnt 0x0
	v_cmpx_gt_i32_e64 s2, v0
	s_cbranch_execz .LBB598_31
; %bb.26:
	s_load_b32 s14, s[0:1], 0x48
	v_mov_b32_e32 v1, 0
	s_wait_kmcnt 0x0
	s_ashr_i32 s15, s14, 31
	s_delay_alu instid0(VALU_DEP_1) | instid1(SALU_CYCLE_1)
	v_mul_u64_e32 v[2:3], s[14:15], v[0:1]
	s_delay_alu instid0(VALU_DEP_1) | instskip(SKIP_3) | instid1(VALU_DEP_1)
	v_lshl_add_u64 v[2:3], v[2:3], 1, s[12:13]
	flat_load_u16 v1, v[2:3]
	s_wait_loadcnt_dscnt 0x0
	v_lshlrev_b32_e32 v1, 16, v1
	v_mul_f32_e32 v1, s21, v1
	s_wait_xcnt 0x0
	s_delay_alu instid0(VALU_DEP_1) | instskip(NEXT) | instid1(VALU_DEP_1)
	v_and_b32_e32 v2, 0x7f800000, v1
	v_cmp_ne_u32_e32 vcc_lo, 0x7f800000, v2
                                        ; implicit-def: $vgpr2
	s_and_saveexec_b32 s12, vcc_lo
	s_delay_alu instid0(SALU_CYCLE_1)
	s_xor_b32 s12, exec_lo, s12
; %bb.27:
	v_bfe_u32 v2, v1, 16, 1
	s_delay_alu instid0(VALU_DEP_1)
	v_add3_u32 v2, v1, v2, 0x7fff
                                        ; implicit-def: $vgpr1
; %bb.28:
	s_and_not1_saveexec_b32 s12, s12
; %bb.29:
	v_and_b32_e32 v2, 0xffff, v1
	v_or_b32_e32 v3, 0x10000, v1
	s_delay_alu instid0(VALU_DEP_2) | instskip(NEXT) | instid1(VALU_DEP_2)
	v_cmp_eq_u32_e32 vcc_lo, 0, v2
	v_cndmask_b32_e32 v2, v3, v1, vcc_lo
; %bb.30:
	s_or_b32 exec_lo, exec_lo, s12
	s_delay_alu instid0(VALU_DEP_1)
	v_and_b32_e32 v1, 0xffff0000, v2
	v_lshlrev_b32_e32 v2, 2, v0
	ds_store_b32 v2, v1
.LBB598_31:
	s_or_b32 exec_lo, exec_lo, s5
	s_cmp_lt_i32 s3, 1
	s_wait_storecnt_dscnt 0x0
	s_barrier_signal -1
	s_barrier_wait -1
	s_cbranch_scc1 .LBB598_74
; %bb.32:
	s_load_b32 s16, s[0:1], 0x28
	v_mov_b32_e32 v3, 0
	s_wait_xcnt 0x0
	s_lshl_b64 s[0:1], s[10:11], 1
	s_ashr_i32 s5, s4, 31
	s_add_nc_u64 s[0:1], s[8:9], s[0:1]
	s_mov_b32 s15, 0
	v_mov_b32_e32 v1, v3
	s_wait_kmcnt 0x0
	s_ashr_i32 s17, s16, 31
	s_cmp_neq_f32 s20, 0
	s_delay_alu instid0(VALU_DEP_1)
	v_mul_u64_e32 v[4:5], s[16:17], v[0:1]
	s_cselect_b32 s10, -1, 0
	s_cmp_gt_i32 s2, 0
	s_cselect_b32 s11, -1, 0
	s_and_b32 s12, s2, 3
	s_cmp_gt_u32 s2, 3
	s_cselect_b32 s13, -1, 0
	s_and_b32 s2, s2, 0x7ffffffc
	s_cmp_lg_u32 s12, 0
	s_cselect_b32 s14, -1, 0
	s_lshl_b64 s[8:9], s[16:17], 9
	s_delay_alu instid0(VALU_DEP_1) | instskip(SKIP_1) | instid1(VALU_DEP_1)
	v_lshl_add_u64 v[4:5], v[4:5], 1, s[6:7]
	s_mov_b32 s7, 0
	v_add_nc_u64_e32 v[6:7], 4, v[4:5]
	s_branch .LBB598_35
.LBB598_33:                             ;   in Loop: Header=BB598_35 Depth=1
	s_or_b32 exec_lo, exec_lo, s6
	flat_store_d16_hi_b16 v[8:9], v2
.LBB598_34:                             ;   in Loop: Header=BB598_35 Depth=1
	s_wait_xcnt 0x0
	s_or_b32 exec_lo, exec_lo, s16
	v_add_nc_u64_e32 v[6:7], s[8:9], v[6:7]
	v_add_nc_u64_e32 v[4:5], s[8:9], v[4:5]
	s_addk_co_i32 s15, 0x100
	s_delay_alu instid0(SALU_CYCLE_1)
	s_cmp_ge_i32 s15, s3
	s_cbranch_scc1 .LBB598_74
.LBB598_35:                             ; =>This Loop Header: Depth=1
                                        ;     Child Loop BB598_46 Depth 2
                                        ;     Child Loop BB598_66 Depth 2
	v_add_nc_u32_e32 v2, s15, v0
	s_mov_b32 s16, exec_lo
	s_delay_alu instid0(VALU_DEP_1)
	v_cmpx_gt_i32_e64 s3, v2
	s_cbranch_execz .LBB598_34
; %bb.36:                               ;   in Loop: Header=BB598_35 Depth=1
	v_mul_u64_e32 v[8:9], s[4:5], v[2:3]
	s_and_not1_b32 vcc_lo, exec_lo, s10
	s_delay_alu instid0(VALU_DEP_1)
	v_lshl_add_u64 v[8:9], v[8:9], 1, s[0:1]
	s_cbranch_vccnz .LBB598_42
; %bb.37:                               ;   in Loop: Header=BB598_35 Depth=1
	flat_load_u16 v1, v[8:9]
	s_wait_loadcnt_dscnt 0x0
	v_lshlrev_b32_e32 v1, 16, v1
	s_delay_alu instid0(VALU_DEP_1) | instskip(NEXT) | instid1(VALU_DEP_1)
	v_mul_f32_e32 v1, s20, v1
	v_and_b32_e32 v2, 0x7f800000, v1
	s_delay_alu instid0(VALU_DEP_1) | instskip(SKIP_2) | instid1(SALU_CYCLE_1)
	v_cmp_ne_u32_e32 vcc_lo, 0x7f800000, v2
                                        ; implicit-def: $vgpr2
	s_wait_xcnt 0x0
	s_and_saveexec_b32 s6, vcc_lo
	s_xor_b32 s6, exec_lo, s6
; %bb.38:                               ;   in Loop: Header=BB598_35 Depth=1
	v_bfe_u32 v2, v1, 16, 1
	s_delay_alu instid0(VALU_DEP_1)
	v_add3_u32 v2, v1, v2, 0x7fff
                                        ; implicit-def: $vgpr1
; %bb.39:                               ;   in Loop: Header=BB598_35 Depth=1
	s_and_not1_saveexec_b32 s6, s6
; %bb.40:                               ;   in Loop: Header=BB598_35 Depth=1
	v_and_b32_e32 v2, 0xffff, v1
	v_or_b32_e32 v10, 0x10000, v1
	s_delay_alu instid0(VALU_DEP_2) | instskip(NEXT) | instid1(VALU_DEP_2)
	v_cmp_eq_u32_e32 vcc_lo, 0, v2
	v_cndmask_b32_e32 v2, v10, v1, vcc_lo
; %bb.41:                               ;   in Loop: Header=BB598_35 Depth=1
	s_or_b32 exec_lo, exec_lo, s6
	s_delay_alu instid0(VALU_DEP_1) | instskip(NEXT) | instid1(VALU_DEP_1)
	v_and_b32_e32 v1, 0xffff0000, v2
	v_cvt_i32_f32_e32 v1, v1
	s_delay_alu instid0(VALU_DEP_1)
	v_cvt_f32_i32_e32 v1, v1
	s_and_not1_b32 vcc_lo, exec_lo, s11
	s_cbranch_vccz .LBB598_43
	s_branch .LBB598_70
.LBB598_42:                             ;   in Loop: Header=BB598_35 Depth=1
	v_mov_b32_e32 v1, 0
	s_and_not1_b32 vcc_lo, exec_lo, s11
	s_cbranch_vccnz .LBB598_70
.LBB598_43:                             ;   in Loop: Header=BB598_35 Depth=1
	s_and_not1_b32 vcc_lo, exec_lo, s13
	s_mov_b32 s17, 0
	s_cbranch_vccnz .LBB598_63
; %bb.44:                               ;   in Loop: Header=BB598_35 Depth=1
	v_mov_b64_e32 v[10:11], v[6:7]
	s_mov_b32 s6, 0
	s_branch .LBB598_46
.LBB598_45:                             ;   in Loop: Header=BB598_46 Depth=2
	s_or_b32 exec_lo, exec_lo, s18
	v_and_b32_e32 v2, 0xffff0000, v2
	v_and_b32_e32 v12, 0xffff0000, v12
	v_add_nc_u64_e32 v[10:11], 8, v[10:11]
	s_add_co_i32 s17, s17, 4
	s_add_co_i32 s6, s6, 16
	v_add_f32_e32 v1, v1, v2
	v_and_b32_e32 v2, 0xffff0000, v13
	s_cmp_eq_u32 s2, s17
	s_delay_alu instid0(VALU_DEP_2) | instskip(SKIP_1) | instid1(VALU_DEP_2)
	v_add_f32_e32 v1, v1, v12
	v_and_b32_e32 v12, 0xffff0000, v14
	v_add_f32_e32 v1, v1, v2
	s_delay_alu instid0(VALU_DEP_1)
	v_add_f32_e32 v1, v1, v12
	s_cbranch_scc1 .LBB598_62
.LBB598_46:                             ;   Parent Loop BB598_35 Depth=1
                                        ; =>  This Inner Loop Header: Depth=2
	flat_load_u16 v2, v[10:11] offset:-4
	s_wait_loadcnt_dscnt 0x0
	v_dual_mov_b32 v12, s6 :: v_dual_lshlrev_b32 v2, 16, v2
	ds_load_b32 v12, v12
	s_wait_dscnt 0x0
	v_mul_f32_e32 v12, v12, v2
	s_delay_alu instid0(VALU_DEP_1) | instskip(NEXT) | instid1(VALU_DEP_1)
	v_and_b32_e32 v2, 0x7f800000, v12
	v_cmp_ne_u32_e32 vcc_lo, 0x7f800000, v2
                                        ; implicit-def: $vgpr2
	s_wait_xcnt 0x0
	s_and_saveexec_b32 s18, vcc_lo
	s_delay_alu instid0(SALU_CYCLE_1)
	s_xor_b32 s18, exec_lo, s18
; %bb.47:                               ;   in Loop: Header=BB598_46 Depth=2
	v_bfe_u32 v2, v12, 16, 1
	s_delay_alu instid0(VALU_DEP_1)
	v_add3_u32 v2, v12, v2, 0x7fff
                                        ; implicit-def: $vgpr12
; %bb.48:                               ;   in Loop: Header=BB598_46 Depth=2
	s_and_not1_saveexec_b32 s18, s18
; %bb.49:                               ;   in Loop: Header=BB598_46 Depth=2
	v_and_b32_e32 v2, 0xffff, v12
	v_or_b32_e32 v13, 0x10000, v12
	s_delay_alu instid0(VALU_DEP_2) | instskip(NEXT) | instid1(VALU_DEP_2)
	v_cmp_eq_u32_e32 vcc_lo, 0, v2
	v_cndmask_b32_e32 v2, v13, v12, vcc_lo
; %bb.50:                               ;   in Loop: Header=BB598_46 Depth=2
	s_or_b32 exec_lo, exec_lo, s18
	flat_load_u16 v12, v[10:11] offset:-2
	s_wait_loadcnt_dscnt 0x0
	v_dual_mov_b32 v13, s6 :: v_dual_lshlrev_b32 v12, 16, v12
	ds_load_b32 v13, v13 offset:4
	s_wait_dscnt 0x0
	v_mul_f32_e32 v13, v13, v12
	s_delay_alu instid0(VALU_DEP_1) | instskip(NEXT) | instid1(VALU_DEP_1)
	v_and_b32_e32 v12, 0x7f800000, v13
	v_cmp_ne_u32_e32 vcc_lo, 0x7f800000, v12
                                        ; implicit-def: $vgpr12
	s_wait_xcnt 0x0
	s_and_saveexec_b32 s18, vcc_lo
	s_delay_alu instid0(SALU_CYCLE_1)
	s_xor_b32 s18, exec_lo, s18
; %bb.51:                               ;   in Loop: Header=BB598_46 Depth=2
	v_bfe_u32 v12, v13, 16, 1
	s_delay_alu instid0(VALU_DEP_1)
	v_add3_u32 v12, v13, v12, 0x7fff
                                        ; implicit-def: $vgpr13
; %bb.52:                               ;   in Loop: Header=BB598_46 Depth=2
	s_and_not1_saveexec_b32 s18, s18
; %bb.53:                               ;   in Loop: Header=BB598_46 Depth=2
	v_and_b32_e32 v12, 0xffff, v13
	v_or_b32_e32 v14, 0x10000, v13
	s_delay_alu instid0(VALU_DEP_2) | instskip(NEXT) | instid1(VALU_DEP_2)
	v_cmp_eq_u32_e32 vcc_lo, 0, v12
	v_cndmask_b32_e32 v12, v14, v13, vcc_lo
; %bb.54:                               ;   in Loop: Header=BB598_46 Depth=2
	s_or_b32 exec_lo, exec_lo, s18
	flat_load_u16 v13, v[10:11]
	s_wait_loadcnt_dscnt 0x0
	v_dual_mov_b32 v14, s6 :: v_dual_lshlrev_b32 v13, 16, v13
	ds_load_b32 v14, v14 offset:8
	s_wait_dscnt 0x0
	v_mul_f32_e32 v14, v14, v13
	s_delay_alu instid0(VALU_DEP_1) | instskip(NEXT) | instid1(VALU_DEP_1)
	v_and_b32_e32 v13, 0x7f800000, v14
	v_cmp_ne_u32_e32 vcc_lo, 0x7f800000, v13
                                        ; implicit-def: $vgpr13
	s_wait_xcnt 0x0
	s_and_saveexec_b32 s18, vcc_lo
	s_delay_alu instid0(SALU_CYCLE_1)
	s_xor_b32 s18, exec_lo, s18
; %bb.55:                               ;   in Loop: Header=BB598_46 Depth=2
	v_bfe_u32 v13, v14, 16, 1
	s_delay_alu instid0(VALU_DEP_1)
	v_add3_u32 v13, v14, v13, 0x7fff
                                        ; implicit-def: $vgpr14
; %bb.56:                               ;   in Loop: Header=BB598_46 Depth=2
	s_and_not1_saveexec_b32 s18, s18
; %bb.57:                               ;   in Loop: Header=BB598_46 Depth=2
	v_and_b32_e32 v13, 0xffff, v14
	v_or_b32_e32 v15, 0x10000, v14
	s_delay_alu instid0(VALU_DEP_2) | instskip(NEXT) | instid1(VALU_DEP_2)
	v_cmp_eq_u32_e32 vcc_lo, 0, v13
	v_cndmask_b32_e32 v13, v15, v14, vcc_lo
; %bb.58:                               ;   in Loop: Header=BB598_46 Depth=2
	s_or_b32 exec_lo, exec_lo, s18
	flat_load_u16 v14, v[10:11] offset:2
	s_wait_loadcnt_dscnt 0x0
	v_dual_mov_b32 v15, s6 :: v_dual_lshlrev_b32 v14, 16, v14
	ds_load_b32 v15, v15 offset:12
	s_wait_dscnt 0x0
	v_mul_f32_e32 v15, v15, v14
	s_delay_alu instid0(VALU_DEP_1) | instskip(NEXT) | instid1(VALU_DEP_1)
	v_and_b32_e32 v14, 0x7f800000, v15
	v_cmp_ne_u32_e32 vcc_lo, 0x7f800000, v14
                                        ; implicit-def: $vgpr14
	s_wait_xcnt 0x0
	s_and_saveexec_b32 s18, vcc_lo
	s_delay_alu instid0(SALU_CYCLE_1)
	s_xor_b32 s18, exec_lo, s18
; %bb.59:                               ;   in Loop: Header=BB598_46 Depth=2
	v_bfe_u32 v14, v15, 16, 1
	s_delay_alu instid0(VALU_DEP_1)
	v_add3_u32 v14, v15, v14, 0x7fff
                                        ; implicit-def: $vgpr15
; %bb.60:                               ;   in Loop: Header=BB598_46 Depth=2
	s_and_not1_saveexec_b32 s18, s18
	s_cbranch_execz .LBB598_45
; %bb.61:                               ;   in Loop: Header=BB598_46 Depth=2
	v_and_b32_e32 v14, 0xffff, v15
	v_or_b32_e32 v16, 0x10000, v15
	s_delay_alu instid0(VALU_DEP_2) | instskip(NEXT) | instid1(VALU_DEP_2)
	v_cmp_eq_u32_e32 vcc_lo, 0, v14
	v_cndmask_b32_e32 v14, v16, v15, vcc_lo
	s_branch .LBB598_45
.LBB598_62:                             ;   in Loop: Header=BB598_35 Depth=1
	s_mov_b32 s17, s2
.LBB598_63:                             ;   in Loop: Header=BB598_35 Depth=1
	s_and_not1_b32 vcc_lo, exec_lo, s14
	s_cbranch_vccnz .LBB598_70
; %bb.64:                               ;   in Loop: Header=BB598_35 Depth=1
	s_lshl_b32 s6, s17, 1
	s_delay_alu instid0(SALU_CYCLE_1)
	v_add_nc_u64_e32 v[10:11], s[6:7], v[4:5]
	s_lshl_b32 s6, s17, 2
	s_mov_b32 s17, s12
	s_branch .LBB598_66
.LBB598_65:                             ;   in Loop: Header=BB598_66 Depth=2
	s_or_b32 exec_lo, exec_lo, s18
	s_delay_alu instid0(VALU_DEP_1)
	v_and_b32_e32 v2, 0xffff0000, v12
	v_add_nc_u64_e32 v[10:11], 2, v[10:11]
	s_add_co_i32 s17, s17, -1
	s_add_co_i32 s6, s6, 4
	s_cmp_lg_u32 s17, 0
	v_add_f32_e32 v1, v1, v2
	s_cbranch_scc0 .LBB598_70
.LBB598_66:                             ;   Parent Loop BB598_35 Depth=1
                                        ; =>  This Inner Loop Header: Depth=2
	flat_load_u16 v2, v[10:11]
	s_wait_loadcnt_dscnt 0x0
	v_dual_mov_b32 v12, s6 :: v_dual_lshlrev_b32 v2, 16, v2
	ds_load_b32 v12, v12
	s_wait_dscnt 0x0
	v_mul_f32_e32 v2, v12, v2
	s_delay_alu instid0(VALU_DEP_1) | instskip(NEXT) | instid1(VALU_DEP_1)
	v_and_b32_e32 v12, 0x7f800000, v2
	v_cmp_ne_u32_e32 vcc_lo, 0x7f800000, v12
                                        ; implicit-def: $vgpr12
	s_wait_xcnt 0x0
	s_and_saveexec_b32 s18, vcc_lo
	s_delay_alu instid0(SALU_CYCLE_1)
	s_xor_b32 s18, exec_lo, s18
; %bb.67:                               ;   in Loop: Header=BB598_66 Depth=2
	v_bfe_u32 v12, v2, 16, 1
	s_delay_alu instid0(VALU_DEP_1)
	v_add3_u32 v12, v2, v12, 0x7fff
                                        ; implicit-def: $vgpr2
; %bb.68:                               ;   in Loop: Header=BB598_66 Depth=2
	s_and_not1_saveexec_b32 s18, s18
	s_cbranch_execz .LBB598_65
; %bb.69:                               ;   in Loop: Header=BB598_66 Depth=2
	v_and_b32_e32 v12, 0xffff, v2
	v_or_b32_e32 v13, 0x10000, v2
	s_delay_alu instid0(VALU_DEP_2) | instskip(NEXT) | instid1(VALU_DEP_2)
	v_cmp_eq_u32_e32 vcc_lo, 0, v12
	v_cndmask_b32_e32 v12, v13, v2, vcc_lo
	s_branch .LBB598_65
.LBB598_70:                             ;   in Loop: Header=BB598_35 Depth=1
	s_delay_alu instid0(VALU_DEP_1) | instskip(NEXT) | instid1(VALU_DEP_1)
	v_and_b32_e32 v2, 0x7f800000, v1
	v_cmp_ne_u32_e32 vcc_lo, 0x7f800000, v2
                                        ; implicit-def: $vgpr2
	s_and_saveexec_b32 s6, vcc_lo
	s_delay_alu instid0(SALU_CYCLE_1)
	s_xor_b32 s6, exec_lo, s6
; %bb.71:                               ;   in Loop: Header=BB598_35 Depth=1
	v_bfe_u32 v2, v1, 16, 1
	s_delay_alu instid0(VALU_DEP_1)
	v_add3_u32 v2, v1, v2, 0x7fff
                                        ; implicit-def: $vgpr1
; %bb.72:                               ;   in Loop: Header=BB598_35 Depth=1
	s_and_not1_saveexec_b32 s6, s6
	s_cbranch_execz .LBB598_33
; %bb.73:                               ;   in Loop: Header=BB598_35 Depth=1
	v_and_b32_e32 v2, 0xffff, v1
	v_or_b32_e32 v10, 0x10000, v1
	s_delay_alu instid0(VALU_DEP_2) | instskip(NEXT) | instid1(VALU_DEP_2)
	v_cmp_eq_u32_e32 vcc_lo, 0, v2
	v_cndmask_b32_e32 v2, v10, v1, vcc_lo
	s_branch .LBB598_33
.LBB598_74:
	s_endpgm
	.section	.rodata,"a",@progbits
	.p2align	6, 0x0
	.amdhsa_kernel _ZL22rocblas_gemvtsm_kernelILb0ELi256EPK16rocblas_bfloat16PKfKPS0_EviiT2_lPKT1_lilSA_lilS7_lPT3_lil
		.amdhsa_group_segment_fixed_size 256
		.amdhsa_private_segment_fixed_size 0
		.amdhsa_kernarg_size 136
		.amdhsa_user_sgpr_count 2
		.amdhsa_user_sgpr_dispatch_ptr 0
		.amdhsa_user_sgpr_queue_ptr 0
		.amdhsa_user_sgpr_kernarg_segment_ptr 1
		.amdhsa_user_sgpr_dispatch_id 0
		.amdhsa_user_sgpr_kernarg_preload_length 0
		.amdhsa_user_sgpr_kernarg_preload_offset 0
		.amdhsa_user_sgpr_private_segment_size 0
		.amdhsa_wavefront_size32 1
		.amdhsa_uses_dynamic_stack 0
		.amdhsa_enable_private_segment 0
		.amdhsa_system_sgpr_workgroup_id_x 1
		.amdhsa_system_sgpr_workgroup_id_y 0
		.amdhsa_system_sgpr_workgroup_id_z 0
		.amdhsa_system_sgpr_workgroup_info 0
		.amdhsa_system_vgpr_workitem_id 0
		.amdhsa_next_free_vgpr 17
		.amdhsa_next_free_sgpr 22
		.amdhsa_named_barrier_count 0
		.amdhsa_reserve_vcc 1
		.amdhsa_float_round_mode_32 0
		.amdhsa_float_round_mode_16_64 0
		.amdhsa_float_denorm_mode_32 3
		.amdhsa_float_denorm_mode_16_64 3
		.amdhsa_fp16_overflow 0
		.amdhsa_memory_ordered 1
		.amdhsa_forward_progress 1
		.amdhsa_inst_pref_size 19
		.amdhsa_round_robin_scheduling 0
		.amdhsa_exception_fp_ieee_invalid_op 0
		.amdhsa_exception_fp_denorm_src 0
		.amdhsa_exception_fp_ieee_div_zero 0
		.amdhsa_exception_fp_ieee_overflow 0
		.amdhsa_exception_fp_ieee_underflow 0
		.amdhsa_exception_fp_ieee_inexact 0
		.amdhsa_exception_int_div_zero 0
	.end_amdhsa_kernel
	.section	.text._ZL22rocblas_gemvtsm_kernelILb0ELi256EPK16rocblas_bfloat16PKfKPS0_EviiT2_lPKT1_lilSA_lilS7_lPT3_lil,"axG",@progbits,_ZL22rocblas_gemvtsm_kernelILb0ELi256EPK16rocblas_bfloat16PKfKPS0_EviiT2_lPKT1_lilSA_lilS7_lPT3_lil,comdat
.Lfunc_end598:
	.size	_ZL22rocblas_gemvtsm_kernelILb0ELi256EPK16rocblas_bfloat16PKfKPS0_EviiT2_lPKT1_lilSA_lilS7_lPT3_lil, .Lfunc_end598-_ZL22rocblas_gemvtsm_kernelILb0ELi256EPK16rocblas_bfloat16PKfKPS0_EviiT2_lPKT1_lilSA_lilS7_lPT3_lil
                                        ; -- End function
	.set _ZL22rocblas_gemvtsm_kernelILb0ELi256EPK16rocblas_bfloat16PKfKPS0_EviiT2_lPKT1_lilSA_lilS7_lPT3_lil.num_vgpr, 17
	.set _ZL22rocblas_gemvtsm_kernelILb0ELi256EPK16rocblas_bfloat16PKfKPS0_EviiT2_lPKT1_lilSA_lilS7_lPT3_lil.num_agpr, 0
	.set _ZL22rocblas_gemvtsm_kernelILb0ELi256EPK16rocblas_bfloat16PKfKPS0_EviiT2_lPKT1_lilSA_lilS7_lPT3_lil.numbered_sgpr, 22
	.set _ZL22rocblas_gemvtsm_kernelILb0ELi256EPK16rocblas_bfloat16PKfKPS0_EviiT2_lPKT1_lilSA_lilS7_lPT3_lil.num_named_barrier, 0
	.set _ZL22rocblas_gemvtsm_kernelILb0ELi256EPK16rocblas_bfloat16PKfKPS0_EviiT2_lPKT1_lilSA_lilS7_lPT3_lil.private_seg_size, 0
	.set _ZL22rocblas_gemvtsm_kernelILb0ELi256EPK16rocblas_bfloat16PKfKPS0_EviiT2_lPKT1_lilSA_lilS7_lPT3_lil.uses_vcc, 1
	.set _ZL22rocblas_gemvtsm_kernelILb0ELi256EPK16rocblas_bfloat16PKfKPS0_EviiT2_lPKT1_lilSA_lilS7_lPT3_lil.uses_flat_scratch, 0
	.set _ZL22rocblas_gemvtsm_kernelILb0ELi256EPK16rocblas_bfloat16PKfKPS0_EviiT2_lPKT1_lilSA_lilS7_lPT3_lil.has_dyn_sized_stack, 0
	.set _ZL22rocblas_gemvtsm_kernelILb0ELi256EPK16rocblas_bfloat16PKfKPS0_EviiT2_lPKT1_lilSA_lilS7_lPT3_lil.has_recursion, 0
	.set _ZL22rocblas_gemvtsm_kernelILb0ELi256EPK16rocblas_bfloat16PKfKPS0_EviiT2_lPKT1_lilSA_lilS7_lPT3_lil.has_indirect_call, 0
	.section	.AMDGPU.csdata,"",@progbits
; Kernel info:
; codeLenInByte = 2336
; TotalNumSgprs: 24
; NumVgprs: 17
; ScratchSize: 0
; MemoryBound: 0
; FloatMode: 240
; IeeeMode: 1
; LDSByteSize: 256 bytes/workgroup (compile time only)
; SGPRBlocks: 0
; VGPRBlocks: 1
; NumSGPRsForWavesPerEU: 24
; NumVGPRsForWavesPerEU: 17
; NamedBarCnt: 0
; Occupancy: 16
; WaveLimiterHint : 1
; COMPUTE_PGM_RSRC2:SCRATCH_EN: 0
; COMPUTE_PGM_RSRC2:USER_SGPR: 2
; COMPUTE_PGM_RSRC2:TRAP_HANDLER: 0
; COMPUTE_PGM_RSRC2:TGID_X_EN: 1
; COMPUTE_PGM_RSRC2:TGID_Y_EN: 0
; COMPUTE_PGM_RSRC2:TGID_Z_EN: 0
; COMPUTE_PGM_RSRC2:TIDIG_COMP_CNT: 0
	.section	.text._ZL22rocblas_gemvtsm_kernelILb0ELi256EPK16rocblas_bfloat16fKPS0_EviiT2_lPKT1_lilS8_lilS5_lPT3_lil,"axG",@progbits,_ZL22rocblas_gemvtsm_kernelILb0ELi256EPK16rocblas_bfloat16fKPS0_EviiT2_lPKT1_lilS8_lilS5_lPT3_lil,comdat
	.globl	_ZL22rocblas_gemvtsm_kernelILb0ELi256EPK16rocblas_bfloat16fKPS0_EviiT2_lPKT1_lilS8_lilS5_lPT3_lil ; -- Begin function _ZL22rocblas_gemvtsm_kernelILb0ELi256EPK16rocblas_bfloat16fKPS0_EviiT2_lPKT1_lilS8_lilS5_lPT3_lil
	.p2align	8
	.type	_ZL22rocblas_gemvtsm_kernelILb0ELi256EPK16rocblas_bfloat16fKPS0_EviiT2_lPKT1_lilS8_lilS5_lPT3_lil,@function
_ZL22rocblas_gemvtsm_kernelILb0ELi256EPK16rocblas_bfloat16fKPS0_EviiT2_lPKT1_lilS8_lilS5_lPT3_lil: ; @_ZL22rocblas_gemvtsm_kernelILb0ELi256EPK16rocblas_bfloat16fKPS0_EviiT2_lPKT1_lilS8_lilS5_lPT3_lil
; %bb.0:
	s_clause 0x1
	s_load_b96 s[8:10], s[0:1], 0x0
	s_load_b32 s11, s[0:1], 0x58
	s_mov_b32 s5, 0
	s_wait_kmcnt 0x0
	s_cmp_eq_f32 s10, 0
	s_cselect_b32 s2, -1, 0
	s_cmp_eq_f32 s11, 1.0
	s_cselect_b32 s3, -1, 0
	s_delay_alu instid0(SALU_CYCLE_1) | instskip(NEXT) | instid1(SALU_CYCLE_1)
	s_and_b32 s2, s2, s3
	s_and_b32 vcc_lo, exec_lo, s2
	s_cbranch_vccnz .LBB599_76
; %bb.1:
	s_bfe_u32 s2, ttmp6, 0x4000c
	s_and_b32 s3, ttmp6, 15
	s_add_co_i32 s2, s2, 1
	s_getreg_b32 s4, hwreg(HW_REG_IB_STS2, 6, 4)
	s_mul_i32 s2, ttmp9, s2
	s_delay_alu instid0(SALU_CYCLE_1)
	s_add_co_i32 s3, s3, s2
	s_cmp_eq_u32 s4, 0
	s_cselect_b32 s4, ttmp9, s3
	s_cmp_neq_f32 s10, 0
	s_cselect_b32 s6, -1, 0
	s_cmp_eq_f32 s10, 0
	s_cselect_b32 s16, -1, 0
	s_and_b32 vcc_lo, exec_lo, s6
	s_cbranch_vccnz .LBB599_3
; %bb.2:
	s_mov_b32 s3, 0
	s_mov_b32 s2, s4
	;; [unrolled: 1-line block ×3, first 2 shown]
	s_mov_b64 s[14:15], 0
	s_and_not1_b32 vcc_lo, exec_lo, s7
	s_mov_b64 s[12:13], 0
	s_cbranch_vccz .LBB599_4
	s_branch .LBB599_5
.LBB599_3:
	s_mov_b64 s[2:3], s[4:5]
	s_mov_b64 s[14:15], 0
	s_mov_b64 s[12:13], 0
.LBB599_4:
	s_load_b128 s[20:23], s[0:1], 0x18
	s_lshl_b64 s[4:5], s[4:5], 3
	s_wait_kmcnt 0x0
	s_add_nc_u64 s[4:5], s[20:21], s[4:5]
	s_lshl_b64 s[12:13], s[22:23], 1
	s_load_b64 s[4:5], s[4:5], 0x0
	s_wait_kmcnt 0x0
	s_add_nc_u64 s[12:13], s[4:5], s[12:13]
.LBB599_5:
	s_and_not1_b32 vcc_lo, exec_lo, s6
	s_cbranch_vccnz .LBB599_7
; %bb.6:
	s_load_b128 s[4:7], s[0:1], 0x38
	s_lshl_b64 s[14:15], s[2:3], 3
	s_wait_kmcnt 0x0
	s_add_nc_u64 s[4:5], s[4:5], s[14:15]
	s_lshl_b64 s[6:7], s[6:7], 1
	s_load_b64 s[4:5], s[4:5], 0x0
	s_wait_kmcnt 0x0
	s_add_nc_u64 s[14:15], s[4:5], s[6:7]
.LBB599_7:
	s_load_b128 s[4:7], s[0:1], 0x68
	s_lshl_b64 s[18:19], s[2:3], 3
	s_load_b32 s2, s[0:1], 0x78
	s_and_not1_b32 vcc_lo, exec_lo, s16
	s_mov_b32 s3, -1
	s_wait_kmcnt 0x0
	s_add_nc_u64 s[4:5], s[4:5], s[18:19]
	s_load_b64 s[4:5], s[4:5], 0x0
	s_cbranch_vccnz .LBB599_26
; %bb.8:
	s_cmp_gt_i32 s9, 0
	s_cselect_b32 s18, -1, 0
	s_cmp_neq_f32 s11, 0
	v_cndmask_b32_e64 v1, 0, 1, s18
	s_delay_alu instid0(VALU_DEP_1)
	v_cmp_ne_u32_e32 vcc_lo, 1, v1
	s_cbranch_scc1 .LBB599_15
; %bb.9:
	s_and_b32 vcc_lo, exec_lo, vcc_lo
	s_cbranch_vccnz .LBB599_14
; %bb.10:
	v_mov_b32_e32 v1, 0
	s_ashr_i32 s3, s2, 31
	s_lshl_b64 s[16:17], s[6:7], 1
	s_wait_kmcnt 0x0
	s_add_nc_u64 s[16:17], s[4:5], s[16:17]
	v_mul_u64_e32 v[2:3], s[2:3], v[0:1]
	s_delay_alu instid0(VALU_DEP_1)
	v_lshl_add_u64 v[2:3], v[2:3], 1, s[16:17]
	s_lshl_b64 s[16:17], s[2:3], 9
	s_mov_b32 s3, 0
	s_branch .LBB599_12
.LBB599_11:                             ;   in Loop: Header=BB599_12 Depth=1
	s_wait_xcnt 0x0
	s_or_b32 exec_lo, exec_lo, s19
	v_add_nc_u64_e32 v[2:3], s[16:17], v[2:3]
	s_addk_co_i32 s3, 0x100
	s_delay_alu instid0(SALU_CYCLE_1)
	s_cmp_ge_i32 s3, s9
	s_cbranch_scc1 .LBB599_14
.LBB599_12:                             ; =>This Inner Loop Header: Depth=1
	v_add_nc_u32_e32 v4, s3, v0
	s_mov_b32 s19, exec_lo
	s_delay_alu instid0(VALU_DEP_1)
	v_cmpx_gt_i32_e64 s9, v4
	s_cbranch_execz .LBB599_11
; %bb.13:                               ;   in Loop: Header=BB599_12 Depth=1
	flat_store_b16 v[2:3], v1
	s_branch .LBB599_11
.LBB599_14:
	s_mov_b32 s3, 0
.LBB599_15:
	s_delay_alu instid0(SALU_CYCLE_1)
	s_and_not1_b32 vcc_lo, exec_lo, s3
	s_cbranch_vccnz .LBB599_25
; %bb.16:
	s_and_not1_b32 vcc_lo, exec_lo, s18
	s_cbranch_vccnz .LBB599_25
; %bb.17:
	v_mov_b32_e32 v1, 0
	s_ashr_i32 s3, s2, 31
	s_lshl_b64 s[16:17], s[6:7], 1
	s_wait_kmcnt 0x0
	s_add_nc_u64 s[16:17], s[4:5], s[16:17]
	v_mul_u64_e32 v[2:3], s[2:3], v[0:1]
	s_delay_alu instid0(VALU_DEP_1)
	v_lshl_add_u64 v[2:3], v[2:3], 1, s[16:17]
	s_lshl_b64 s[16:17], s[2:3], 9
	s_mov_b32 s3, 0
	s_branch .LBB599_20
.LBB599_18:                             ;   in Loop: Header=BB599_20 Depth=1
	s_or_b32 exec_lo, exec_lo, s19
	flat_store_d16_hi_b16 v[2:3], v4
.LBB599_19:                             ;   in Loop: Header=BB599_20 Depth=1
	s_wait_xcnt 0x0
	s_or_b32 exec_lo, exec_lo, s18
	v_add_nc_u64_e32 v[2:3], s[16:17], v[2:3]
	s_addk_co_i32 s3, 0x100
	s_delay_alu instid0(SALU_CYCLE_1)
	s_cmp_ge_i32 s3, s9
	s_cbranch_scc1 .LBB599_25
.LBB599_20:                             ; =>This Inner Loop Header: Depth=1
	v_add_nc_u32_e32 v1, s3, v0
	s_mov_b32 s18, exec_lo
	s_delay_alu instid0(VALU_DEP_1)
	v_cmpx_gt_i32_e64 s9, v1
	s_cbranch_execz .LBB599_19
; %bb.21:                               ;   in Loop: Header=BB599_20 Depth=1
	flat_load_u16 v1, v[2:3]
	s_wait_loadcnt_dscnt 0x0
	v_lshlrev_b32_e32 v1, 16, v1
	s_delay_alu instid0(VALU_DEP_1) | instskip(NEXT) | instid1(VALU_DEP_1)
	v_mul_f32_e32 v1, s11, v1
	v_and_b32_e32 v4, 0x7f800000, v1
	s_delay_alu instid0(VALU_DEP_1) | instskip(SKIP_2) | instid1(SALU_CYCLE_1)
	v_cmp_ne_u32_e32 vcc_lo, 0x7f800000, v4
                                        ; implicit-def: $vgpr4
	s_wait_xcnt 0x0
	s_and_saveexec_b32 s19, vcc_lo
	s_xor_b32 s19, exec_lo, s19
; %bb.22:                               ;   in Loop: Header=BB599_20 Depth=1
	v_bfe_u32 v4, v1, 16, 1
	s_delay_alu instid0(VALU_DEP_1)
	v_add3_u32 v4, v1, v4, 0x7fff
                                        ; implicit-def: $vgpr1
; %bb.23:                               ;   in Loop: Header=BB599_20 Depth=1
	s_and_not1_saveexec_b32 s19, s19
	s_cbranch_execz .LBB599_18
; %bb.24:                               ;   in Loop: Header=BB599_20 Depth=1
	v_and_b32_e32 v4, 0xffff, v1
	v_or_b32_e32 v5, 0x10000, v1
	s_delay_alu instid0(VALU_DEP_2) | instskip(NEXT) | instid1(VALU_DEP_2)
	v_cmp_eq_u32_e32 vcc_lo, 0, v4
	v_cndmask_b32_e32 v4, v5, v1, vcc_lo
	s_branch .LBB599_18
.LBB599_25:
	s_mov_b32 s3, 0
.LBB599_26:
	s_delay_alu instid0(SALU_CYCLE_1)
	s_and_not1_b32 vcc_lo, exec_lo, s3
	s_cbranch_vccnz .LBB599_76
; %bb.27:
	s_mov_b32 s3, exec_lo
	v_cmpx_gt_i32_e64 s8, v0
	s_cbranch_execz .LBB599_33
; %bb.28:
	s_load_b32 s16, s[0:1], 0x48
	v_mov_b32_e32 v1, 0
	s_wait_kmcnt 0x0
	s_ashr_i32 s17, s16, 31
	s_delay_alu instid0(VALU_DEP_1) | instid1(SALU_CYCLE_1)
	v_mul_u64_e32 v[2:3], s[16:17], v[0:1]
	s_delay_alu instid0(VALU_DEP_1) | instskip(SKIP_3) | instid1(VALU_DEP_1)
	v_lshl_add_u64 v[2:3], v[2:3], 1, s[14:15]
	flat_load_u16 v1, v[2:3]
	s_wait_loadcnt_dscnt 0x0
	v_lshlrev_b32_e32 v1, 16, v1
	v_mul_f32_e32 v1, s10, v1
	s_wait_xcnt 0x0
	s_delay_alu instid0(VALU_DEP_1) | instskip(NEXT) | instid1(VALU_DEP_1)
	v_and_b32_e32 v2, 0x7f800000, v1
	v_cmp_ne_u32_e32 vcc_lo, 0x7f800000, v2
                                        ; implicit-def: $vgpr2
	s_and_saveexec_b32 s10, vcc_lo
	s_delay_alu instid0(SALU_CYCLE_1)
	s_xor_b32 s10, exec_lo, s10
; %bb.29:
	v_bfe_u32 v2, v1, 16, 1
	s_delay_alu instid0(VALU_DEP_1)
	v_add3_u32 v2, v1, v2, 0x7fff
                                        ; implicit-def: $vgpr1
; %bb.30:
	s_and_not1_saveexec_b32 s10, s10
; %bb.31:
	v_and_b32_e32 v2, 0xffff, v1
	v_or_b32_e32 v3, 0x10000, v1
	s_delay_alu instid0(VALU_DEP_2) | instskip(NEXT) | instid1(VALU_DEP_2)
	v_cmp_eq_u32_e32 vcc_lo, 0, v2
	v_cndmask_b32_e32 v2, v3, v1, vcc_lo
; %bb.32:
	s_or_b32 exec_lo, exec_lo, s10
	s_delay_alu instid0(VALU_DEP_1)
	v_and_b32_e32 v1, 0xffff0000, v2
	v_lshlrev_b32_e32 v2, 2, v0
	ds_store_b32 v2, v1
.LBB599_33:
	s_or_b32 exec_lo, exec_lo, s3
	s_cmp_lt_i32 s9, 1
	s_wait_storecnt_dscnt 0x0
	s_barrier_signal -1
	s_barrier_wait -1
	s_cbranch_scc1 .LBB599_76
; %bb.34:
	s_load_b32 s16, s[0:1], 0x28
	v_mov_b32_e32 v3, 0
	s_wait_xcnt 0x0
	s_lshl_b64 s[0:1], s[6:7], 1
	s_ashr_i32 s3, s2, 31
	s_wait_kmcnt 0x0
	s_add_nc_u64 s[0:1], s[4:5], s[0:1]
	s_mov_b32 s5, 0
	v_mov_b32_e32 v1, v3
	s_ashr_i32 s17, s16, 31
	s_cmp_neq_f32 s11, 0
	s_delay_alu instid0(VALU_DEP_1)
	v_mul_u64_e32 v[4:5], s[16:17], v[0:1]
	s_cselect_b32 s10, -1, 0
	s_cmp_gt_i32 s8, 0
	s_cselect_b32 s14, -1, 0
	s_and_b32 s15, s8, 3
	s_cmp_gt_u32 s8, 3
	s_delay_alu instid0(VALU_DEP_1)
	v_lshl_add_u64 v[4:5], v[4:5], 1, s[12:13]
	s_cselect_b32 s12, -1, 0
	s_and_b32 s8, s8, 0x7ffffffc
	s_cmp_lg_u32 s15, 0
	s_cselect_b32 s13, -1, 0
	v_add_nc_u64_e32 v[6:7], 4, v[4:5]
	s_lshl_b64 s[6:7], s[16:17], 9
	s_mov_b32 s16, 0
	s_branch .LBB599_37
.LBB599_35:                             ;   in Loop: Header=BB599_37 Depth=1
	s_or_b32 exec_lo, exec_lo, s4
	flat_store_d16_hi_b16 v[8:9], v2
.LBB599_36:                             ;   in Loop: Header=BB599_37 Depth=1
	s_wait_xcnt 0x0
	s_or_b32 exec_lo, exec_lo, s17
	v_add_nc_u64_e32 v[6:7], s[6:7], v[6:7]
	v_add_nc_u64_e32 v[4:5], s[6:7], v[4:5]
	s_addk_co_i32 s16, 0x100
	s_delay_alu instid0(SALU_CYCLE_1)
	s_cmp_ge_i32 s16, s9
	s_cbranch_scc1 .LBB599_76
.LBB599_37:                             ; =>This Loop Header: Depth=1
                                        ;     Child Loop BB599_48 Depth 2
                                        ;     Child Loop BB599_68 Depth 2
	v_add_nc_u32_e32 v2, s16, v0
	s_mov_b32 s17, exec_lo
	s_delay_alu instid0(VALU_DEP_1)
	v_cmpx_gt_i32_e64 s9, v2
	s_cbranch_execz .LBB599_36
; %bb.38:                               ;   in Loop: Header=BB599_37 Depth=1
	v_mul_u64_e32 v[8:9], s[2:3], v[2:3]
	s_and_not1_b32 vcc_lo, exec_lo, s10
	s_delay_alu instid0(VALU_DEP_1)
	v_lshl_add_u64 v[8:9], v[8:9], 1, s[0:1]
	s_cbranch_vccnz .LBB599_44
; %bb.39:                               ;   in Loop: Header=BB599_37 Depth=1
	flat_load_u16 v1, v[8:9]
	s_wait_loadcnt_dscnt 0x0
	v_lshlrev_b32_e32 v1, 16, v1
	s_delay_alu instid0(VALU_DEP_1) | instskip(NEXT) | instid1(VALU_DEP_1)
	v_mul_f32_e32 v1, s11, v1
	v_and_b32_e32 v2, 0x7f800000, v1
	s_delay_alu instid0(VALU_DEP_1) | instskip(SKIP_2) | instid1(SALU_CYCLE_1)
	v_cmp_ne_u32_e32 vcc_lo, 0x7f800000, v2
                                        ; implicit-def: $vgpr2
	s_wait_xcnt 0x0
	s_and_saveexec_b32 s4, vcc_lo
	s_xor_b32 s4, exec_lo, s4
; %bb.40:                               ;   in Loop: Header=BB599_37 Depth=1
	v_bfe_u32 v2, v1, 16, 1
	s_delay_alu instid0(VALU_DEP_1)
	v_add3_u32 v2, v1, v2, 0x7fff
                                        ; implicit-def: $vgpr1
; %bb.41:                               ;   in Loop: Header=BB599_37 Depth=1
	s_and_not1_saveexec_b32 s4, s4
; %bb.42:                               ;   in Loop: Header=BB599_37 Depth=1
	v_and_b32_e32 v2, 0xffff, v1
	v_or_b32_e32 v10, 0x10000, v1
	s_delay_alu instid0(VALU_DEP_2) | instskip(NEXT) | instid1(VALU_DEP_2)
	v_cmp_eq_u32_e32 vcc_lo, 0, v2
	v_cndmask_b32_e32 v2, v10, v1, vcc_lo
; %bb.43:                               ;   in Loop: Header=BB599_37 Depth=1
	s_or_b32 exec_lo, exec_lo, s4
	s_delay_alu instid0(VALU_DEP_1) | instskip(NEXT) | instid1(VALU_DEP_1)
	v_and_b32_e32 v1, 0xffff0000, v2
	v_cvt_i32_f32_e32 v1, v1
	s_delay_alu instid0(VALU_DEP_1)
	v_cvt_f32_i32_e32 v1, v1
	s_and_not1_b32 vcc_lo, exec_lo, s14
	s_cbranch_vccz .LBB599_45
	s_branch .LBB599_72
.LBB599_44:                             ;   in Loop: Header=BB599_37 Depth=1
	v_mov_b32_e32 v1, 0
	s_and_not1_b32 vcc_lo, exec_lo, s14
	s_cbranch_vccnz .LBB599_72
.LBB599_45:                             ;   in Loop: Header=BB599_37 Depth=1
	s_and_not1_b32 vcc_lo, exec_lo, s12
	s_mov_b32 s18, 0
	s_cbranch_vccnz .LBB599_65
; %bb.46:                               ;   in Loop: Header=BB599_37 Depth=1
	v_mov_b64_e32 v[10:11], v[6:7]
	s_mov_b32 s4, 0
	s_branch .LBB599_48
.LBB599_47:                             ;   in Loop: Header=BB599_48 Depth=2
	s_or_b32 exec_lo, exec_lo, s19
	v_and_b32_e32 v2, 0xffff0000, v2
	v_and_b32_e32 v12, 0xffff0000, v12
	v_add_nc_u64_e32 v[10:11], 8, v[10:11]
	s_add_co_i32 s18, s18, 4
	s_add_co_i32 s4, s4, 16
	v_add_f32_e32 v1, v1, v2
	v_and_b32_e32 v2, 0xffff0000, v13
	s_cmp_eq_u32 s8, s18
	s_delay_alu instid0(VALU_DEP_2) | instskip(SKIP_1) | instid1(VALU_DEP_2)
	v_add_f32_e32 v1, v1, v12
	v_and_b32_e32 v12, 0xffff0000, v14
	v_add_f32_e32 v1, v1, v2
	s_delay_alu instid0(VALU_DEP_1)
	v_add_f32_e32 v1, v1, v12
	s_cbranch_scc1 .LBB599_64
.LBB599_48:                             ;   Parent Loop BB599_37 Depth=1
                                        ; =>  This Inner Loop Header: Depth=2
	flat_load_u16 v2, v[10:11] offset:-4
	s_wait_loadcnt_dscnt 0x0
	v_dual_mov_b32 v12, s4 :: v_dual_lshlrev_b32 v2, 16, v2
	ds_load_b32 v12, v12
	s_wait_dscnt 0x0
	v_mul_f32_e32 v12, v12, v2
	s_delay_alu instid0(VALU_DEP_1) | instskip(NEXT) | instid1(VALU_DEP_1)
	v_and_b32_e32 v2, 0x7f800000, v12
	v_cmp_ne_u32_e32 vcc_lo, 0x7f800000, v2
                                        ; implicit-def: $vgpr2
	s_wait_xcnt 0x0
	s_and_saveexec_b32 s19, vcc_lo
	s_delay_alu instid0(SALU_CYCLE_1)
	s_xor_b32 s19, exec_lo, s19
; %bb.49:                               ;   in Loop: Header=BB599_48 Depth=2
	v_bfe_u32 v2, v12, 16, 1
	s_delay_alu instid0(VALU_DEP_1)
	v_add3_u32 v2, v12, v2, 0x7fff
                                        ; implicit-def: $vgpr12
; %bb.50:                               ;   in Loop: Header=BB599_48 Depth=2
	s_and_not1_saveexec_b32 s19, s19
; %bb.51:                               ;   in Loop: Header=BB599_48 Depth=2
	v_and_b32_e32 v2, 0xffff, v12
	v_or_b32_e32 v13, 0x10000, v12
	s_delay_alu instid0(VALU_DEP_2) | instskip(NEXT) | instid1(VALU_DEP_2)
	v_cmp_eq_u32_e32 vcc_lo, 0, v2
	v_cndmask_b32_e32 v2, v13, v12, vcc_lo
; %bb.52:                               ;   in Loop: Header=BB599_48 Depth=2
	s_or_b32 exec_lo, exec_lo, s19
	flat_load_u16 v12, v[10:11] offset:-2
	s_wait_loadcnt_dscnt 0x0
	v_dual_mov_b32 v13, s4 :: v_dual_lshlrev_b32 v12, 16, v12
	ds_load_b32 v13, v13 offset:4
	s_wait_dscnt 0x0
	v_mul_f32_e32 v13, v13, v12
	s_delay_alu instid0(VALU_DEP_1) | instskip(NEXT) | instid1(VALU_DEP_1)
	v_and_b32_e32 v12, 0x7f800000, v13
	v_cmp_ne_u32_e32 vcc_lo, 0x7f800000, v12
                                        ; implicit-def: $vgpr12
	s_wait_xcnt 0x0
	s_and_saveexec_b32 s19, vcc_lo
	s_delay_alu instid0(SALU_CYCLE_1)
	s_xor_b32 s19, exec_lo, s19
; %bb.53:                               ;   in Loop: Header=BB599_48 Depth=2
	v_bfe_u32 v12, v13, 16, 1
	s_delay_alu instid0(VALU_DEP_1)
	v_add3_u32 v12, v13, v12, 0x7fff
                                        ; implicit-def: $vgpr13
; %bb.54:                               ;   in Loop: Header=BB599_48 Depth=2
	s_and_not1_saveexec_b32 s19, s19
; %bb.55:                               ;   in Loop: Header=BB599_48 Depth=2
	v_and_b32_e32 v12, 0xffff, v13
	v_or_b32_e32 v14, 0x10000, v13
	s_delay_alu instid0(VALU_DEP_2) | instskip(NEXT) | instid1(VALU_DEP_2)
	v_cmp_eq_u32_e32 vcc_lo, 0, v12
	v_cndmask_b32_e32 v12, v14, v13, vcc_lo
; %bb.56:                               ;   in Loop: Header=BB599_48 Depth=2
	s_or_b32 exec_lo, exec_lo, s19
	flat_load_u16 v13, v[10:11]
	s_wait_loadcnt_dscnt 0x0
	v_dual_mov_b32 v14, s4 :: v_dual_lshlrev_b32 v13, 16, v13
	ds_load_b32 v14, v14 offset:8
	s_wait_dscnt 0x0
	v_mul_f32_e32 v14, v14, v13
	s_delay_alu instid0(VALU_DEP_1) | instskip(NEXT) | instid1(VALU_DEP_1)
	v_and_b32_e32 v13, 0x7f800000, v14
	v_cmp_ne_u32_e32 vcc_lo, 0x7f800000, v13
                                        ; implicit-def: $vgpr13
	s_wait_xcnt 0x0
	s_and_saveexec_b32 s19, vcc_lo
	s_delay_alu instid0(SALU_CYCLE_1)
	s_xor_b32 s19, exec_lo, s19
; %bb.57:                               ;   in Loop: Header=BB599_48 Depth=2
	v_bfe_u32 v13, v14, 16, 1
	s_delay_alu instid0(VALU_DEP_1)
	v_add3_u32 v13, v14, v13, 0x7fff
                                        ; implicit-def: $vgpr14
; %bb.58:                               ;   in Loop: Header=BB599_48 Depth=2
	s_and_not1_saveexec_b32 s19, s19
; %bb.59:                               ;   in Loop: Header=BB599_48 Depth=2
	v_and_b32_e32 v13, 0xffff, v14
	v_or_b32_e32 v15, 0x10000, v14
	s_delay_alu instid0(VALU_DEP_2) | instskip(NEXT) | instid1(VALU_DEP_2)
	v_cmp_eq_u32_e32 vcc_lo, 0, v13
	v_cndmask_b32_e32 v13, v15, v14, vcc_lo
; %bb.60:                               ;   in Loop: Header=BB599_48 Depth=2
	s_or_b32 exec_lo, exec_lo, s19
	flat_load_u16 v14, v[10:11] offset:2
	s_wait_loadcnt_dscnt 0x0
	v_dual_mov_b32 v15, s4 :: v_dual_lshlrev_b32 v14, 16, v14
	ds_load_b32 v15, v15 offset:12
	s_wait_dscnt 0x0
	v_mul_f32_e32 v15, v15, v14
	s_delay_alu instid0(VALU_DEP_1) | instskip(NEXT) | instid1(VALU_DEP_1)
	v_and_b32_e32 v14, 0x7f800000, v15
	v_cmp_ne_u32_e32 vcc_lo, 0x7f800000, v14
                                        ; implicit-def: $vgpr14
	s_wait_xcnt 0x0
	s_and_saveexec_b32 s19, vcc_lo
	s_delay_alu instid0(SALU_CYCLE_1)
	s_xor_b32 s19, exec_lo, s19
; %bb.61:                               ;   in Loop: Header=BB599_48 Depth=2
	v_bfe_u32 v14, v15, 16, 1
	s_delay_alu instid0(VALU_DEP_1)
	v_add3_u32 v14, v15, v14, 0x7fff
                                        ; implicit-def: $vgpr15
; %bb.62:                               ;   in Loop: Header=BB599_48 Depth=2
	s_and_not1_saveexec_b32 s19, s19
	s_cbranch_execz .LBB599_47
; %bb.63:                               ;   in Loop: Header=BB599_48 Depth=2
	v_and_b32_e32 v14, 0xffff, v15
	v_or_b32_e32 v16, 0x10000, v15
	s_delay_alu instid0(VALU_DEP_2) | instskip(NEXT) | instid1(VALU_DEP_2)
	v_cmp_eq_u32_e32 vcc_lo, 0, v14
	v_cndmask_b32_e32 v14, v16, v15, vcc_lo
	s_branch .LBB599_47
.LBB599_64:                             ;   in Loop: Header=BB599_37 Depth=1
	s_mov_b32 s18, s8
.LBB599_65:                             ;   in Loop: Header=BB599_37 Depth=1
	s_and_not1_b32 vcc_lo, exec_lo, s13
	s_cbranch_vccnz .LBB599_72
; %bb.66:                               ;   in Loop: Header=BB599_37 Depth=1
	s_lshl_b32 s4, s18, 1
	s_delay_alu instid0(SALU_CYCLE_1)
	v_add_nc_u64_e32 v[10:11], s[4:5], v[4:5]
	s_lshl_b32 s4, s18, 2
	s_mov_b32 s18, s15
	s_branch .LBB599_68
.LBB599_67:                             ;   in Loop: Header=BB599_68 Depth=2
	s_or_b32 exec_lo, exec_lo, s19
	s_delay_alu instid0(VALU_DEP_1)
	v_and_b32_e32 v2, 0xffff0000, v12
	v_add_nc_u64_e32 v[10:11], 2, v[10:11]
	s_add_co_i32 s18, s18, -1
	s_add_co_i32 s4, s4, 4
	s_cmp_lg_u32 s18, 0
	v_add_f32_e32 v1, v1, v2
	s_cbranch_scc0 .LBB599_72
.LBB599_68:                             ;   Parent Loop BB599_37 Depth=1
                                        ; =>  This Inner Loop Header: Depth=2
	flat_load_u16 v2, v[10:11]
	s_wait_loadcnt_dscnt 0x0
	v_dual_mov_b32 v12, s4 :: v_dual_lshlrev_b32 v2, 16, v2
	ds_load_b32 v12, v12
	s_wait_dscnt 0x0
	v_mul_f32_e32 v2, v12, v2
	s_delay_alu instid0(VALU_DEP_1) | instskip(NEXT) | instid1(VALU_DEP_1)
	v_and_b32_e32 v12, 0x7f800000, v2
	v_cmp_ne_u32_e32 vcc_lo, 0x7f800000, v12
                                        ; implicit-def: $vgpr12
	s_wait_xcnt 0x0
	s_and_saveexec_b32 s19, vcc_lo
	s_delay_alu instid0(SALU_CYCLE_1)
	s_xor_b32 s19, exec_lo, s19
; %bb.69:                               ;   in Loop: Header=BB599_68 Depth=2
	v_bfe_u32 v12, v2, 16, 1
	s_delay_alu instid0(VALU_DEP_1)
	v_add3_u32 v12, v2, v12, 0x7fff
                                        ; implicit-def: $vgpr2
; %bb.70:                               ;   in Loop: Header=BB599_68 Depth=2
	s_and_not1_saveexec_b32 s19, s19
	s_cbranch_execz .LBB599_67
; %bb.71:                               ;   in Loop: Header=BB599_68 Depth=2
	v_and_b32_e32 v12, 0xffff, v2
	v_or_b32_e32 v13, 0x10000, v2
	s_delay_alu instid0(VALU_DEP_2) | instskip(NEXT) | instid1(VALU_DEP_2)
	v_cmp_eq_u32_e32 vcc_lo, 0, v12
	v_cndmask_b32_e32 v12, v13, v2, vcc_lo
	s_branch .LBB599_67
.LBB599_72:                             ;   in Loop: Header=BB599_37 Depth=1
	s_delay_alu instid0(VALU_DEP_1) | instskip(NEXT) | instid1(VALU_DEP_1)
	v_and_b32_e32 v2, 0x7f800000, v1
	v_cmp_ne_u32_e32 vcc_lo, 0x7f800000, v2
                                        ; implicit-def: $vgpr2
	s_and_saveexec_b32 s4, vcc_lo
	s_delay_alu instid0(SALU_CYCLE_1)
	s_xor_b32 s4, exec_lo, s4
; %bb.73:                               ;   in Loop: Header=BB599_37 Depth=1
	v_bfe_u32 v2, v1, 16, 1
	s_delay_alu instid0(VALU_DEP_1)
	v_add3_u32 v2, v1, v2, 0x7fff
                                        ; implicit-def: $vgpr1
; %bb.74:                               ;   in Loop: Header=BB599_37 Depth=1
	s_and_not1_saveexec_b32 s4, s4
	s_cbranch_execz .LBB599_35
; %bb.75:                               ;   in Loop: Header=BB599_37 Depth=1
	v_and_b32_e32 v2, 0xffff, v1
	v_or_b32_e32 v10, 0x10000, v1
	s_delay_alu instid0(VALU_DEP_2) | instskip(NEXT) | instid1(VALU_DEP_2)
	v_cmp_eq_u32_e32 vcc_lo, 0, v2
	v_cndmask_b32_e32 v2, v10, v1, vcc_lo
	s_branch .LBB599_35
.LBB599_76:
	s_endpgm
	.section	.rodata,"a",@progbits
	.p2align	6, 0x0
	.amdhsa_kernel _ZL22rocblas_gemvtsm_kernelILb0ELi256EPK16rocblas_bfloat16fKPS0_EviiT2_lPKT1_lilS8_lilS5_lPT3_lil
		.amdhsa_group_segment_fixed_size 256
		.amdhsa_private_segment_fixed_size 0
		.amdhsa_kernarg_size 136
		.amdhsa_user_sgpr_count 2
		.amdhsa_user_sgpr_dispatch_ptr 0
		.amdhsa_user_sgpr_queue_ptr 0
		.amdhsa_user_sgpr_kernarg_segment_ptr 1
		.amdhsa_user_sgpr_dispatch_id 0
		.amdhsa_user_sgpr_kernarg_preload_length 0
		.amdhsa_user_sgpr_kernarg_preload_offset 0
		.amdhsa_user_sgpr_private_segment_size 0
		.amdhsa_wavefront_size32 1
		.amdhsa_uses_dynamic_stack 0
		.amdhsa_enable_private_segment 0
		.amdhsa_system_sgpr_workgroup_id_x 1
		.amdhsa_system_sgpr_workgroup_id_y 0
		.amdhsa_system_sgpr_workgroup_id_z 0
		.amdhsa_system_sgpr_workgroup_info 0
		.amdhsa_system_vgpr_workitem_id 0
		.amdhsa_next_free_vgpr 17
		.amdhsa_next_free_sgpr 24
		.amdhsa_named_barrier_count 0
		.amdhsa_reserve_vcc 1
		.amdhsa_float_round_mode_32 0
		.amdhsa_float_round_mode_16_64 0
		.amdhsa_float_denorm_mode_32 3
		.amdhsa_float_denorm_mode_16_64 3
		.amdhsa_fp16_overflow 0
		.amdhsa_memory_ordered 1
		.amdhsa_forward_progress 1
		.amdhsa_inst_pref_size 19
		.amdhsa_round_robin_scheduling 0
		.amdhsa_exception_fp_ieee_invalid_op 0
		.amdhsa_exception_fp_denorm_src 0
		.amdhsa_exception_fp_ieee_div_zero 0
		.amdhsa_exception_fp_ieee_overflow 0
		.amdhsa_exception_fp_ieee_underflow 0
		.amdhsa_exception_fp_ieee_inexact 0
		.amdhsa_exception_int_div_zero 0
	.end_amdhsa_kernel
	.section	.text._ZL22rocblas_gemvtsm_kernelILb0ELi256EPK16rocblas_bfloat16fKPS0_EviiT2_lPKT1_lilS8_lilS5_lPT3_lil,"axG",@progbits,_ZL22rocblas_gemvtsm_kernelILb0ELi256EPK16rocblas_bfloat16fKPS0_EviiT2_lPKT1_lilS8_lilS5_lPT3_lil,comdat
.Lfunc_end599:
	.size	_ZL22rocblas_gemvtsm_kernelILb0ELi256EPK16rocblas_bfloat16fKPS0_EviiT2_lPKT1_lilS8_lilS5_lPT3_lil, .Lfunc_end599-_ZL22rocblas_gemvtsm_kernelILb0ELi256EPK16rocblas_bfloat16fKPS0_EviiT2_lPKT1_lilS8_lilS5_lPT3_lil
                                        ; -- End function
	.set _ZL22rocblas_gemvtsm_kernelILb0ELi256EPK16rocblas_bfloat16fKPS0_EviiT2_lPKT1_lilS8_lilS5_lPT3_lil.num_vgpr, 17
	.set _ZL22rocblas_gemvtsm_kernelILb0ELi256EPK16rocblas_bfloat16fKPS0_EviiT2_lPKT1_lilS8_lilS5_lPT3_lil.num_agpr, 0
	.set _ZL22rocblas_gemvtsm_kernelILb0ELi256EPK16rocblas_bfloat16fKPS0_EviiT2_lPKT1_lilS8_lilS5_lPT3_lil.numbered_sgpr, 24
	.set _ZL22rocblas_gemvtsm_kernelILb0ELi256EPK16rocblas_bfloat16fKPS0_EviiT2_lPKT1_lilS8_lilS5_lPT3_lil.num_named_barrier, 0
	.set _ZL22rocblas_gemvtsm_kernelILb0ELi256EPK16rocblas_bfloat16fKPS0_EviiT2_lPKT1_lilS8_lilS5_lPT3_lil.private_seg_size, 0
	.set _ZL22rocblas_gemvtsm_kernelILb0ELi256EPK16rocblas_bfloat16fKPS0_EviiT2_lPKT1_lilS8_lilS5_lPT3_lil.uses_vcc, 1
	.set _ZL22rocblas_gemvtsm_kernelILb0ELi256EPK16rocblas_bfloat16fKPS0_EviiT2_lPKT1_lilS8_lilS5_lPT3_lil.uses_flat_scratch, 0
	.set _ZL22rocblas_gemvtsm_kernelILb0ELi256EPK16rocblas_bfloat16fKPS0_EviiT2_lPKT1_lilS8_lilS5_lPT3_lil.has_dyn_sized_stack, 0
	.set _ZL22rocblas_gemvtsm_kernelILb0ELi256EPK16rocblas_bfloat16fKPS0_EviiT2_lPKT1_lilS8_lilS5_lPT3_lil.has_recursion, 0
	.set _ZL22rocblas_gemvtsm_kernelILb0ELi256EPK16rocblas_bfloat16fKPS0_EviiT2_lPKT1_lilS8_lilS5_lPT3_lil.has_indirect_call, 0
	.section	.AMDGPU.csdata,"",@progbits
; Kernel info:
; codeLenInByte = 2328
; TotalNumSgprs: 26
; NumVgprs: 17
; ScratchSize: 0
; MemoryBound: 0
; FloatMode: 240
; IeeeMode: 1
; LDSByteSize: 256 bytes/workgroup (compile time only)
; SGPRBlocks: 0
; VGPRBlocks: 1
; NumSGPRsForWavesPerEU: 26
; NumVGPRsForWavesPerEU: 17
; NamedBarCnt: 0
; Occupancy: 16
; WaveLimiterHint : 1
; COMPUTE_PGM_RSRC2:SCRATCH_EN: 0
; COMPUTE_PGM_RSRC2:USER_SGPR: 2
; COMPUTE_PGM_RSRC2:TRAP_HANDLER: 0
; COMPUTE_PGM_RSRC2:TGID_X_EN: 1
; COMPUTE_PGM_RSRC2:TGID_Y_EN: 0
; COMPUTE_PGM_RSRC2:TGID_Z_EN: 0
; COMPUTE_PGM_RSRC2:TIDIG_COMP_CNT: 0
	.section	.text._ZL23rocblas_gemvt_sn_kernelILb0ELi256ELi4EiPK16rocblas_bfloat16PKffEviiT4_lPKT3_lilS8_lilPT5_i,"axG",@progbits,_ZL23rocblas_gemvt_sn_kernelILb0ELi256ELi4EiPK16rocblas_bfloat16PKffEviiT4_lPKT3_lilS8_lilPT5_i,comdat
	.globl	_ZL23rocblas_gemvt_sn_kernelILb0ELi256ELi4EiPK16rocblas_bfloat16PKffEviiT4_lPKT3_lilS8_lilPT5_i ; -- Begin function _ZL23rocblas_gemvt_sn_kernelILb0ELi256ELi4EiPK16rocblas_bfloat16PKffEviiT4_lPKT3_lilS8_lilPT5_i
	.p2align	8
	.type	_ZL23rocblas_gemvt_sn_kernelILb0ELi256ELi4EiPK16rocblas_bfloat16PKffEviiT4_lPKT3_lilS8_lilPT5_i,@function
_ZL23rocblas_gemvt_sn_kernelILb0ELi256ELi4EiPK16rocblas_bfloat16PKffEviiT4_lPKT3_lilS8_lilPT5_i: ; @_ZL23rocblas_gemvt_sn_kernelILb0ELi256ELi4EiPK16rocblas_bfloat16PKffEviiT4_lPKT3_lilS8_lilPT5_i
; %bb.0:
	s_load_b32 s33, s[0:1], 0x60
	s_bfe_u32 s2, ttmp6, 0x40014
	s_lshr_b32 s3, ttmp7, 16
	s_add_co_i32 s2, s2, 1
	s_bfe_u32 s5, ttmp6, 0x40008
	s_mul_i32 s2, s3, s2
	s_getreg_b32 s4, hwreg(HW_REG_IB_STS2, 6, 4)
	s_add_co_i32 s5, s5, s2
	s_cmp_eq_u32 s4, 0
	s_mov_b32 s25, 0
	s_cselect_b32 s10, s3, s5
	s_wait_kmcnt 0x0
	s_cmp_ge_u32 s10, s33
	s_cbranch_scc1 .LBB600_92
; %bb.1:
	s_clause 0x6
	s_load_b64 s[26:27], s[0:1], 0x0
	s_load_b256 s[12:19], s[0:1], 0x8
	s_load_b32 s28, s[0:1], 0x28
	s_load_b128 s[20:23], s[0:1], 0x38
	s_load_b32 s66, s[0:1], 0x48
	s_load_b64 s[30:31], s[0:1], 0x58
	s_load_b32 s34, s[0:1], 0x68
	s_wait_xcnt 0x0
	v_cmp_eq_u32_e64 s0, 0, v0
	v_dual_lshrrev_b32 v2, 3, v0 :: v_dual_bitop2_b32 v1, 31, v0 bitop3:0x40
	v_cmp_gt_u32_e64 s1, 32, v0
	v_cmp_gt_u32_e64 s2, 8, v0
	v_mbcnt_lo_u32_b32 v42, -1, 0
	s_delay_alu instid0(VALU_DEP_4)
	v_cmp_eq_u32_e64 s3, 0, v1
	v_dual_lshlrev_b32 v40, 2, v1 :: v_dual_bitop2_b32 v41, 28, v2 bitop3:0x40
	v_mov_b64_e32 v[20:21], 0
	s_mov_b32 s35, s25
	s_mov_b32 s37, s25
	v_lshl_or_b32 v43, v42, 2, 64
	s_wait_kmcnt 0x0
	s_ashr_i32 s7, s27, 31
	s_cmp_gt_i32 s27, 0
	s_mov_b32 s6, s27
	s_cselect_b32 s5, -1, 0
	s_bfe_u32 s8, ttmp6, 0x4000c
	s_and_b32 s9, ttmp6, 15
	s_add_co_i32 s8, s8, 1
	s_and_b32 s67, s0, s5
	s_mul_i32 s8, ttmp9, s8
	s_mul_u64 s[38:39], s[6:7], s[34:35]
	s_add_co_i32 s9, s9, s8
	s_cmp_eq_u32 s4, 0
	s_mov_b32 s29, s25
	s_cselect_b32 s36, ttmp9, s9
	s_ashr_i32 s5, s26, 31
	s_lshl_b32 s8, s36, 10
	s_lshr_b32 s5, s5, 30
	v_lshl_or_b32 v8, v0, 2, s8
	s_add_co_i32 s5, s26, s5
	s_lshr_b32 s4, s7, 30
	s_and_b32 s5, s5, -4
	s_add_co_i32 s4, s27, s4
	v_mul_lo_u32 v10, s66, v8
	s_sub_co_i32 s69, s26, s5
	s_and_b32 s68, s4, -4
	v_add_nc_u32_e32 v1, s69, v8
	s_cmp_gt_i32 s68, 0
	v_dual_ashrrev_i32 v9, 31, v8 :: v_dual_add_nc_u32 v0, 4, v8
	s_cselect_b32 s70, -1, 0
	s_cmp_gt_i32 s69, 0
	s_mov_b32 s51, s25
	s_cselect_b32 s71, -1, 0
	s_delay_alu instid0(VALU_DEP_3)
	v_add_nc_u32_e32 v12, s66, v10
	s_cmp_gt_u32 s27, 1
	v_cmp_ge_i32_e64 s4, s26, v0
	s_cselect_b32 s8, -1, 0
	s_cmp_eq_u32 s34, 1
	v_dual_add_nc_u32 v14, s66, v12 :: v_dual_ashrrev_i32 v11, 31, v10
	s_cselect_b32 s9, -1, 0
	v_cmp_ge_i32_e64 s5, s26, v1
	s_and_b32 s26, s27, 0x7ffffffe
	v_dual_add_nc_u32 v16, s66, v14 :: v_dual_ashrrev_i32 v13, 31, v12
	s_and_b32 s72, s8, s9
	s_cmp_lg_u32 s27, s26
	v_lshlrev_b64_e32 v[18:19], 1, v[8:9]
	s_cselect_b32 s73, -1, 0
	s_lshl_b32 s24, s28, 1
	v_dual_ashrrev_i32 v15, 31, v14 :: v_dual_ashrrev_i32 v17, 31, v16
	v_mov_b32_e32 v0, 0
	s_lshl_b64 s[40:41], s[36:37], 2
	s_mov_b64 s[52:53], s[24:25]
	s_mul_i32 s24, s28, 3
	s_lshl_b64 s[42:43], s[38:39], 2
	s_add_nc_u64 s[44:45], s[30:31], s[40:41]
	s_lshl_b64 s[46:47], s[6:7], 2
	s_lshl_b64 s[48:49], s[34:35], 2
	s_lshl_b32 s50, s28, 2
	s_mov_b64 s[54:55], s[24:25]
	s_lshl_b64 s[18:19], s[18:19], 1
	s_lshl_b64 s[22:23], s[22:23], 1
	s_branch .LBB600_3
.LBB600_2:                              ;   in Loop: Header=BB600_3 Depth=1
	s_add_co_i32 s10, s10, 0x10000
	s_delay_alu instid0(SALU_CYCLE_1)
	s_cmp_lt_u32 s10, s33
	s_cbranch_scc0 .LBB600_92
.LBB600_3:                              ; =>This Loop Header: Depth=1
                                        ;     Child Loop BB600_11 Depth 2
                                        ;     Child Loop BB600_15 Depth 2
	;; [unrolled: 1-line block ×3, first 2 shown]
                                        ;       Child Loop BB600_52 Depth 3
                                        ;       Child Loop BB600_55 Depth 3
                                        ;     Child Loop BB600_71 Depth 2
                                        ;       Child Loop BB600_84 Depth 3
                                        ;       Child Loop BB600_87 Depth 3
	s_mov_b32 s11, s25
	v_mov_b64_e32 v[2:3], 0
	s_mul_u64 s[6:7], s[14:15], s[10:11]
	s_delay_alu instid0(SALU_CYCLE_1) | instskip(NEXT) | instid1(SALU_CYCLE_1)
	s_lshl_b64 s[6:7], s[6:7], 2
	s_add_nc_u64 s[6:7], s[12:13], s[6:7]
	global_load_b32 v44, v0, s[6:7]
	s_wait_loadcnt 0x0
	s_wait_xcnt 0x0
	v_cmp_eq_f32_e64 s6, 0, v44
	v_cmp_neq_f32_e64 s7, 0, v44
	s_and_b32 vcc_lo, exec_lo, s6
	s_cbranch_vccnz .LBB600_5
; %bb.4:                                ;   in Loop: Header=BB600_3 Depth=1
	s_lshl_b64 s[8:9], s[10:11], 3
	s_delay_alu instid0(SALU_CYCLE_1)
	s_add_nc_u64 s[8:9], s[16:17], s[8:9]
	global_load_b64 v[2:3], v0, s[8:9]
	s_wait_loadcnt 0x0
	v_add_nc_u64_e32 v[2:3], s[18:19], v[2:3]
.LBB600_5:                              ;   in Loop: Header=BB600_3 Depth=1
	v_mov_b64_e32 v[22:23], 0
	s_and_not1_b32 vcc_lo, exec_lo, s7
	s_cbranch_vccnz .LBB600_7
; %bb.6:                                ;   in Loop: Header=BB600_3 Depth=1
	s_wait_xcnt 0x0
	s_lshl_b64 s[8:9], s[10:11], 3
	s_delay_alu instid0(SALU_CYCLE_1)
	s_add_nc_u64 s[8:9], s[20:21], s[8:9]
	global_load_b64 v[4:5], v0, s[8:9]
	s_wait_loadcnt 0x0
	v_add_nc_u64_e32 v[22:23], s[22:23], v[4:5]
.LBB600_7:                              ;   in Loop: Header=BB600_3 Depth=1
	s_and_not1_b32 vcc_lo, exec_lo, s6
	s_mov_b32 s6, -1
	s_cbranch_vccnz .LBB600_17
; %bb.8:                                ;   in Loop: Header=BB600_3 Depth=1
	s_wait_xcnt 0x0
	s_and_saveexec_b32 s8, s67
	s_cbranch_execz .LBB600_16
; %bb.9:                                ;   in Loop: Header=BB600_3 Depth=1
	s_and_not1_b32 vcc_lo, exec_lo, s72
	s_cbranch_vccnz .LBB600_13
; %bb.10:                               ;   in Loop: Header=BB600_3 Depth=1
	s_mul_u64 s[6:7], s[42:43], s[10:11]
	s_mov_b32 s9, s26
	s_add_nc_u64 s[6:7], s[44:45], s[6:7]
.LBB600_11:                             ;   Parent Loop BB600_3 Depth=1
                                        ; =>  This Inner Loop Header: Depth=2
	s_add_co_i32 s9, s9, -2
	global_store_b64 v0, v[20:21], s[6:7]
	s_wait_xcnt 0x0
	s_add_nc_u64 s[6:7], s[6:7], 8
	s_mov_b32 s24, s26
	s_cmp_lg_u32 s9, 0
	s_mov_b32 s37, s73
	s_cbranch_scc1 .LBB600_11
; %bb.12:                               ;   in Loop: Header=BB600_3 Depth=1
	s_and_b32 vcc_lo, exec_lo, s37
	s_cbranch_vccnz .LBB600_14
	s_branch .LBB600_16
.LBB600_13:                             ;   in Loop: Header=BB600_3 Depth=1
	s_mov_b32 s24, 0
	s_cbranch_execz .LBB600_16
.LBB600_14:                             ;   in Loop: Header=BB600_3 Depth=1
	s_mul_u64 s[6:7], s[46:47], s[10:11]
	s_lshl_b64 s[56:57], s[24:25], 2
	s_sub_co_i32 s9, s27, s24
	s_add_nc_u64 s[6:7], s[6:7], s[56:57]
	s_delay_alu instid0(SALU_CYCLE_1) | instskip(NEXT) | instid1(SALU_CYCLE_1)
	s_mul_u64 s[6:7], s[34:35], s[6:7]
	s_add_nc_u64 s[6:7], s[44:45], s[6:7]
.LBB600_15:                             ;   Parent Loop BB600_3 Depth=1
                                        ; =>  This Inner Loop Header: Depth=2
	s_add_co_i32 s9, s9, -1
	global_store_b32 v0, v0, s[6:7]
	s_cmp_eq_u32 s9, 0
	s_wait_xcnt 0x0
	s_add_nc_u64 s[6:7], s[6:7], s[48:49]
	s_cbranch_scc0 .LBB600_15
.LBB600_16:                             ;   in Loop: Header=BB600_3 Depth=1
	s_or_b32 exec_lo, exec_lo, s8
	s_mov_b32 s6, 0
.LBB600_17:                             ;   in Loop: Header=BB600_3 Depth=1
	s_delay_alu instid0(SALU_CYCLE_1)
	s_and_not1_b32 vcc_lo, exec_lo, s6
	s_cbranch_vccnz .LBB600_2
; %bb.18:                               ;   in Loop: Header=BB600_3 Depth=1
	v_add_nc_u64_e32 v[34:35], v[2:3], v[18:19]
	s_mul_u64 s[56:57], s[38:39], s[10:11]
	v_lshl_add_u64 v[24:25], v[8:9], 1, v[2:3]
	v_lshl_add_u64 v[26:27], v[10:11], 1, v[22:23]
	;; [unrolled: 1-line block ×5, first 2 shown]
	s_wait_xcnt 0x0
	v_cmp_gt_u32_e64 s9, 24, v42
	v_cmp_gt_u32_e64 s8, 28, v42
	;; [unrolled: 1-line block ×3, first 2 shown]
	v_cmp_ne_u32_e64 s6, 31, v42
	s_lshl_b64 s[56:57], s[56:57], 2
	s_and_not1_b32 vcc_lo, exec_lo, s70
	s_add_nc_u64 s[56:57], s[30:31], s[56:57]
	s_cbranch_vccnz .LBB600_67
; %bb.19:                               ;   in Loop: Header=BB600_3 Depth=1
	v_cndmask_b32_e64 v1, 0, 8, s9
	v_cndmask_b32_e64 v4, 0, 4, s8
	;; [unrolled: 1-line block ×3, first 2 shown]
	s_wait_dscnt 0x0
	v_add_co_ci_u32_e64 v6, null, 0, v42, s6
	v_add_lshl_u32 v45, v1, v42, 2
	v_dual_mov_b32 v1, v0 :: v_dual_mov_b32 v2, v0
	s_delay_alu instid0(VALU_DEP_3) | instskip(SKIP_3) | instid1(VALU_DEP_3)
	v_dual_mov_b32 v3, v0 :: v_dual_lshlrev_b32 v48, 2, v6
	v_add_lshl_u32 v46, v4, v42, 2
	v_add_lshl_u32 v47, v5, v42, 2
	s_mov_b32 s58, 0
	v_mov_b64_e32 v[4:5], v[2:3]
	v_mov_b64_e32 v[2:3], v[0:1]
	s_mov_b64 s[8:9], s[54:55]
	s_mov_b64 s[60:61], s[52:53]
	;; [unrolled: 1-line block ×3, first 2 shown]
	s_mov_b32 s24, s58
	s_branch .LBB600_21
.LBB600_20:                             ;   in Loop: Header=BB600_21 Depth=2
	s_wait_xcnt 0x0
	s_or_b32 exec_lo, exec_lo, s6
	s_add_co_i32 s24, s24, 4
	s_add_co_i32 s58, s58, s50
	s_add_nc_u64 s[62:63], s[62:63], s[50:51]
	s_add_nc_u64 s[60:61], s[60:61], s[50:51]
	s_cmp_ge_i32 s24, s68
	s_add_nc_u64 s[8:9], s[8:9], s[50:51]
	s_cbranch_scc1 .LBB600_68
.LBB600_21:                             ;   Parent Loop BB600_3 Depth=1
                                        ; =>  This Loop Header: Depth=2
                                        ;       Child Loop BB600_52 Depth 3
                                        ;       Child Loop BB600_55 Depth 3
                                        ; implicit-def: $vgpr7
                                        ; implicit-def: $vgpr37
	s_and_saveexec_b32 s6, s4
	s_delay_alu instid0(SALU_CYCLE_1)
	s_xor_b32 s6, exec_lo, s6
	s_cbranch_execnz .LBB600_48
; %bb.22:                               ;   in Loop: Header=BB600_21 Depth=2
	s_and_not1_saveexec_b32 s11, s6
	s_cbranch_execnz .LBB600_49
.LBB600_23:                             ;   in Loop: Header=BB600_21 Depth=2
	s_or_b32 exec_lo, exec_lo, s11
	s_and_saveexec_b32 s6, s1
.LBB600_24:                             ;   in Loop: Header=BB600_21 Depth=2
	ds_store_b32 v40, v0
.LBB600_25:                             ;   in Loop: Header=BB600_21 Depth=2
	s_or_b32 exec_lo, exec_lo, s6
	ds_bpermute_b32 v1, v43, v36
	s_wait_storecnt_dscnt 0x0
	s_barrier_signal -1
	s_barrier_wait -1
	v_add_f32_e32 v1, v36, v1
	ds_bpermute_b32 v36, v45, v1
	s_wait_dscnt 0x0
	v_add_f32_e32 v1, v1, v36
	ds_bpermute_b32 v36, v46, v1
	s_wait_dscnt 0x0
	;; [unrolled: 3-line block ×3, first 2 shown]
	v_add_f32_e32 v1, v1, v36
	ds_bpermute_b32 v36, v48, v1
	s_and_saveexec_b32 s6, s3
	s_cbranch_execz .LBB600_27
; %bb.26:                               ;   in Loop: Header=BB600_21 Depth=2
	s_wait_dscnt 0x0
	v_add_f32_e32 v1, v1, v36
	ds_store_b32 v41, v1
.LBB600_27:                             ;   in Loop: Header=BB600_21 Depth=2
	s_or_b32 exec_lo, exec_lo, s6
	v_mov_b32_e32 v1, 0
	s_wait_dscnt 0x0
	s_barrier_signal -1
	s_barrier_wait -1
	s_and_saveexec_b32 s6, s2
	s_cbranch_execnz .LBB600_56
; %bb.28:                               ;   in Loop: Header=BB600_21 Depth=2
	s_or_b32 exec_lo, exec_lo, s6
	s_and_saveexec_b32 s6, s1
	s_cbranch_execnz .LBB600_57
.LBB600_29:                             ;   in Loop: Header=BB600_21 Depth=2
	s_or_b32 exec_lo, exec_lo, s6
	s_and_saveexec_b32 s6, s1
.LBB600_30:                             ;   in Loop: Header=BB600_21 Depth=2
	ds_store_b32 v40, v0
.LBB600_31:                             ;   in Loop: Header=BB600_21 Depth=2
	s_or_b32 exec_lo, exec_lo, s6
	ds_bpermute_b32 v36, v43, v37
	s_wait_dscnt 0x0
	s_barrier_signal -1
	s_barrier_wait -1
	v_add_f32_e32 v36, v37, v36
	ds_bpermute_b32 v37, v45, v36
	s_wait_dscnt 0x0
	v_add_f32_e32 v36, v36, v37
	ds_bpermute_b32 v37, v46, v36
	s_wait_dscnt 0x0
	;; [unrolled: 3-line block ×3, first 2 shown]
	v_add_f32_e32 v36, v36, v37
	ds_bpermute_b32 v37, v48, v36
	s_and_saveexec_b32 s6, s3
	s_cbranch_execz .LBB600_33
; %bb.32:                               ;   in Loop: Header=BB600_21 Depth=2
	s_wait_dscnt 0x0
	v_add_f32_e32 v36, v36, v37
	ds_store_b32 v41, v36
.LBB600_33:                             ;   in Loop: Header=BB600_21 Depth=2
	s_or_b32 exec_lo, exec_lo, s6
	v_mov_b32_e32 v36, 0
	s_wait_dscnt 0x0
	s_barrier_signal -1
	s_barrier_wait -1
	s_and_saveexec_b32 s6, s2
	s_cbranch_execnz .LBB600_58
; %bb.34:                               ;   in Loop: Header=BB600_21 Depth=2
	s_or_b32 exec_lo, exec_lo, s6
	s_and_saveexec_b32 s6, s1
	s_cbranch_execnz .LBB600_59
.LBB600_35:                             ;   in Loop: Header=BB600_21 Depth=2
	s_or_b32 exec_lo, exec_lo, s6
	s_and_saveexec_b32 s6, s1
.LBB600_36:                             ;   in Loop: Header=BB600_21 Depth=2
	ds_store_b32 v40, v0
.LBB600_37:                             ;   in Loop: Header=BB600_21 Depth=2
	s_or_b32 exec_lo, exec_lo, s6
	ds_bpermute_b32 v37, v43, v6
	s_wait_dscnt 0x0
	s_barrier_signal -1
	s_barrier_wait -1
	v_add_f32_e32 v6, v6, v37
	ds_bpermute_b32 v37, v45, v6
	s_wait_dscnt 0x0
	v_add_f32_e32 v6, v6, v37
	ds_bpermute_b32 v37, v46, v6
	s_wait_dscnt 0x0
	;; [unrolled: 3-line block ×3, first 2 shown]
	v_add_f32_e32 v6, v6, v37
	ds_bpermute_b32 v37, v48, v6
	s_and_saveexec_b32 s6, s3
	s_cbranch_execz .LBB600_39
; %bb.38:                               ;   in Loop: Header=BB600_21 Depth=2
	s_wait_dscnt 0x0
	v_add_f32_e32 v6, v6, v37
	ds_store_b32 v41, v6
.LBB600_39:                             ;   in Loop: Header=BB600_21 Depth=2
	s_or_b32 exec_lo, exec_lo, s6
	v_mov_b32_e32 v6, 0
	s_wait_dscnt 0x0
	s_barrier_signal -1
	s_barrier_wait -1
	s_and_saveexec_b32 s6, s2
	s_cbranch_execnz .LBB600_60
; %bb.40:                               ;   in Loop: Header=BB600_21 Depth=2
	s_or_b32 exec_lo, exec_lo, s6
	s_and_saveexec_b32 s6, s1
	s_cbranch_execnz .LBB600_61
.LBB600_41:                             ;   in Loop: Header=BB600_21 Depth=2
	s_or_b32 exec_lo, exec_lo, s6
	s_and_saveexec_b32 s6, s1
.LBB600_42:                             ;   in Loop: Header=BB600_21 Depth=2
	ds_store_b32 v40, v0
.LBB600_43:                             ;   in Loop: Header=BB600_21 Depth=2
	s_or_b32 exec_lo, exec_lo, s6
	ds_bpermute_b32 v37, v43, v7
	s_wait_dscnt 0x0
	s_barrier_signal -1
	s_barrier_wait -1
	v_add_f32_e32 v7, v7, v37
	ds_bpermute_b32 v37, v45, v7
	s_wait_dscnt 0x0
	v_add_f32_e32 v7, v7, v37
	ds_bpermute_b32 v37, v46, v7
	s_wait_dscnt 0x0
	;; [unrolled: 3-line block ×3, first 2 shown]
	v_add_f32_e32 v7, v7, v37
	ds_bpermute_b32 v37, v48, v7
	s_and_saveexec_b32 s6, s3
	s_cbranch_execz .LBB600_45
; %bb.44:                               ;   in Loop: Header=BB600_21 Depth=2
	s_wait_dscnt 0x0
	v_add_f32_e32 v7, v7, v37
	ds_store_b32 v41, v7
.LBB600_45:                             ;   in Loop: Header=BB600_21 Depth=2
	s_or_b32 exec_lo, exec_lo, s6
	v_mov_b32_e32 v7, 0
	s_wait_dscnt 0x0
	s_barrier_signal -1
	s_barrier_wait -1
	s_and_saveexec_b32 s6, s2
	s_cbranch_execnz .LBB600_62
; %bb.46:                               ;   in Loop: Header=BB600_21 Depth=2
	s_or_b32 exec_lo, exec_lo, s6
	s_and_saveexec_b32 s6, s1
	s_cbranch_execnz .LBB600_63
.LBB600_47:                             ;   in Loop: Header=BB600_21 Depth=2
	s_or_b32 exec_lo, exec_lo, s6
	s_and_saveexec_b32 s6, s0
	s_cbranch_execz .LBB600_20
	s_branch .LBB600_64
.LBB600_48:                             ;   in Loop: Header=BB600_21 Depth=2
	s_mul_i32 s64, s24, s28
	s_clause 0x3
	flat_load_u16 v1, v[26:27]
	flat_load_u16 v49, v[28:29]
	;; [unrolled: 1-line block ×4, first 2 shown]
	s_ashr_i32 s65, s64, 31
	s_add_co_i32 s74, s64, s28
	v_lshl_add_u64 v[2:3], s[64:65], 1, v[24:25]
	s_add_co_i32 s64, s74, s28
	s_ashr_i32 s75, s74, 31
	s_add_co_i32 s76, s64, s28
	s_ashr_i32 s65, s64, 31
	s_ashr_i32 s77, s76, 31
	v_lshl_add_u64 v[4:5], s[64:65], 1, v[24:25]
	s_wait_dscnt 0x4
	v_lshl_add_u64 v[6:7], s[76:77], 1, v[24:25]
	s_clause 0x2
	flat_load_b64 v[36:37], v[2:3]
	flat_load_b64 v[4:5], v[4:5]
	;; [unrolled: 1-line block ×3, first 2 shown]
	s_wait_xcnt 0x2
	v_lshl_add_u64 v[2:3], s[74:75], 1, v[24:25]
	flat_load_b64 v[38:39], v[2:3]
	s_wait_loadcnt_dscnt 0x707
	s_wait_xcnt 0x0
	v_lshlrev_b32_e32 v2, 16, v1
	s_wait_loadcnt_dscnt 0x505
	v_dual_lshlrev_b32 v51, 16, v49 :: v_dual_lshlrev_b32 v54, 16, v50
	s_wait_loadcnt_dscnt 0x404
	s_delay_alu instid0(VALU_DEP_1) | instskip(SKIP_1) | instid1(VALU_DEP_1)
	v_dual_mov_b32 v56, v51 :: v_dual_lshlrev_b32 v53, 16, v52
	s_wait_loadcnt_dscnt 0x303
	v_dual_mov_b32 v58, v53 :: v_dual_lshlrev_b32 v60, 16, v36
	s_wait_loadcnt_dscnt 0x202
	v_dual_lshlrev_b32 v62, 16, v37 :: v_dual_lshlrev_b32 v1, 16, v4
	s_wait_loadcnt_dscnt 0x101
	v_lshlrev_b32_e32 v50, 16, v6
	v_and_b32_e32 v3, 0xffff0000, v6
	v_and_b32_e32 v49, 0xffff0000, v4
	v_dual_lshlrev_b32 v57, 16, v5 :: v_dual_lshlrev_b32 v52, 16, v7
	v_and_b32_e32 v59, 0xffff0000, v5
	s_delay_alu instid0(VALU_DEP_4) | instskip(SKIP_3) | instid1(VALU_DEP_3)
	v_pk_mul_f32 v[4:5], v[50:51], v[2:3]
	v_and_b32_e32 v55, 0xffff0000, v7
	s_wait_loadcnt_dscnt 0x0
	v_dual_mul_f32 v6, v2, v1 :: v_dual_lshlrev_b32 v61, 16, v38
	v_dual_mov_b32 v3, v51 :: v_dual_mov_b32 v7, v4
	v_and_b32_e32 v36, 0xffff0000, v36
	v_and_b32_e32 v64, 0xffff0000, v37
	;; [unrolled: 1-line block ×3, first 2 shown]
	v_dual_mul_f32 v4, v51, v49 :: v_dual_lshlrev_b32 v63, 16, v39
	v_pk_mul_f32 v[50:51], v[52:53], v[54:55]
	v_pk_add_f32 v[6:7], v[6:7], 0 op_sel_hi:[1,0]
	v_pk_fma_f32 v[60:61], v[2:3], v[60:61], 0 op_sel_hi:[0,1,0]
	v_mul_f32_e32 v66, v54, v57
	v_and_b32_e32 v65, 0xffff0000, v39
	v_mov_b32_e32 v67, v50
	v_pk_add_f32 v[4:5], v[6:7], v[4:5]
	v_pk_fma_f32 v[6:7], v[56:57], v[36:37], v[60:61] op_sel_hi:[0,1,1]
	v_mul_f32_e32 v50, v53, v59
	s_delay_alu instid0(VALU_DEP_3) | instskip(NEXT) | instid1(VALU_DEP_3)
	v_pk_add_f32 v[36:37], v[4:5], v[66:67]
	v_pk_fma_f32 v[38:39], v[54:55], v[62:63], v[6:7] op_sel_hi:[0,1,1]
	v_dual_mov_b32 v4, v54 :: v_dual_mov_b32 v5, v53
	s_delay_alu instid0(VALU_DEP_3) | instskip(NEXT) | instid1(VALU_DEP_3)
	v_pk_add_f32 v[6:7], v[36:37], v[50:51]
	v_pk_fma_f32 v[36:37], v[58:59], v[64:65], v[38:39] op_sel_hi:[0,1,1]
	s_and_not1_saveexec_b32 s11, s6
	s_cbranch_execz .LBB600_23
.LBB600_49:                             ;   in Loop: Header=BB600_21 Depth=2
	s_wait_dscnt 0x0
	v_dual_mov_b32 v7, 0 :: v_dual_mov_b32 v6, 0
	v_dual_mov_b32 v37, 0 :: v_dual_mov_b32 v36, 0
	s_and_saveexec_b32 s37, s5
	s_cbranch_execz .LBB600_66
; %bb.50:                               ;   in Loop: Header=BB600_21 Depth=2
	s_and_not1_b32 vcc_lo, exec_lo, s71
	s_cbranch_vccnz .LBB600_53
; %bb.51:                               ;   in Loop: Header=BB600_21 Depth=2
	v_mov_b32_e32 v1, v10
	s_mov_b64 s[64:65], 0
.LBB600_52:                             ;   Parent Loop BB600_3 Depth=1
                                        ;     Parent Loop BB600_21 Depth=2
                                        ; =>    This Inner Loop Header: Depth=3
	v_readfirstlane_b32 s6, v22
	v_readfirstlane_b32 s7, v23
	s_cmp_eq_u32 s64, 3
	s_cselect_b32 vcc_lo, -1, 0
	s_cmp_eq_u32 s64, 2
	flat_load_u16 v6, v1, s[6:7] scale_offset
	s_wait_xcnt 0x0
	v_add_nc_u32_e32 v1, s66, v1
	s_cselect_b32 s6, -1, 0
	s_cmp_eq_u32 s64, 1
	s_cselect_b32 s7, -1, 0
	s_cmp_eq_u32 s64, 0
	s_add_nc_u64 s[64:65], s[64:65], 1
	s_wait_loadcnt_dscnt 0x0
	v_lshlrev_b32_e32 v6, 16, v6
	s_delay_alu instid0(VALU_DEP_1) | instskip(SKIP_1) | instid1(SALU_CYCLE_1)
	v_dual_cndmask_b32 v5, v5, v6, vcc_lo :: v_dual_cndmask_b32 v4, v4, v6, s6
	s_cselect_b32 vcc_lo, -1, 0
	v_dual_cndmask_b32 v3, v3, v6, s7 :: v_dual_cndmask_b32 v2, v2, v6, vcc_lo
	s_cmp_eq_u32 s69, s64
	s_cbranch_scc0 .LBB600_52
.LBB600_53:                             ;   in Loop: Header=BB600_21 Depth=2
	s_and_not1_b32 vcc_lo, exec_lo, s71
	s_cbranch_vccnz .LBB600_65
; %bb.54:                               ;   in Loop: Header=BB600_21 Depth=2
	v_mov_b32_e32 v36, 0
	s_ashr_i32 s59, s58, 31
	s_mov_b64 s[6:7], 0
	v_lshl_add_u64 v[38:39], s[58:59], 1, v[34:35]
	s_delay_alu instid0(VALU_DEP_2)
	v_dual_mov_b32 v37, v36 :: v_dual_mov_b32 v6, v36
	v_mov_b32_e32 v7, v36
.LBB600_55:                             ;   Parent Loop BB600_3 Depth=1
                                        ;     Parent Loop BB600_21 Depth=2
                                        ; =>    This Inner Loop Header: Depth=3
	s_cmp_eq_u32 s6, 1
	s_cselect_b32 vcc_lo, -1, 0
	s_cmp_eq_u32 s6, 2
	v_cndmask_b32_e32 v1, v2, v3, vcc_lo
	s_cselect_b32 vcc_lo, -1, 0
	s_cmp_eq_u32 s6, 3
	s_delay_alu instid0(VALU_DEP_1)
	v_cndmask_b32_e32 v1, v1, v4, vcc_lo
	s_cselect_b32 vcc_lo, -1, 0
	s_add_co_i32 s64, s62, s6
	s_add_co_i32 s76, s8, s6
	;; [unrolled: 1-line block ×3, first 2 shown]
	s_ashr_i32 s65, s64, 31
	s_ashr_i32 s77, s76, 31
	s_ashr_i32 s75, s74, 31
	v_lshl_add_u64 v[50:51], s[64:65], 1, v[24:25]
	v_lshl_add_u64 v[52:53], s[76:77], 1, v[24:25]
	;; [unrolled: 1-line block ×3, first 2 shown]
	flat_load_u16 v49, v[38:39]
	s_clause 0x2
	flat_load_u16 v51, v[50:51]
	flat_load_u16 v56, v[52:53]
	;; [unrolled: 1-line block ×3, first 2 shown]
	s_wait_xcnt 0x3
	v_add_nc_u64_e32 v[38:39], 2, v[38:39]
	s_add_nc_u64 s[6:7], s[6:7], 1
	s_delay_alu instid0(SALU_CYCLE_1)
	s_cmp_lg_u32 s69, s6
	s_wait_loadcnt_dscnt 0x202
	s_wait_xcnt 0x1
	v_dual_lshlrev_b32 v52, 16, v49 :: v_dual_lshlrev_b32 v53, 16, v51
	s_wait_loadcnt_dscnt 0x101
	s_wait_xcnt 0x0
	v_dual_cndmask_b32 v50, v1, v5 :: v_dual_lshlrev_b32 v55, 16, v56
	s_wait_loadcnt_dscnt 0x0
	v_lshlrev_b32_e32 v54, 16, v54
	s_delay_alu instid0(VALU_DEP_2) | instskip(NEXT) | instid1(VALU_DEP_2)
	v_pk_fma_f32 v[36:37], v[50:51], v[52:53], v[36:37] op_sel_hi:[0,1,1]
	v_pk_fma_f32 v[6:7], v[50:51], v[54:55], v[6:7] op_sel_hi:[0,1,1]
	s_cbranch_scc1 .LBB600_55
	s_branch .LBB600_66
.LBB600_56:                             ;   in Loop: Header=BB600_21 Depth=2
	ds_load_b32 v1, v40
	s_or_b32 exec_lo, exec_lo, s6
	s_and_saveexec_b32 s6, s1
	s_cbranch_execz .LBB600_29
.LBB600_57:                             ;   in Loop: Header=BB600_21 Depth=2
	s_wait_dscnt 0x0
	ds_bpermute_b32 v36, v46, v1
	s_wait_dscnt 0x0
	v_add_f32_e32 v1, v1, v36
	ds_bpermute_b32 v36, v47, v1
	s_wait_dscnt 0x0
	v_add_f32_e32 v1, v1, v36
	;; [unrolled: 3-line block ×3, first 2 shown]
	s_or_b32 exec_lo, exec_lo, s6
	s_and_saveexec_b32 s6, s1
	s_cbranch_execnz .LBB600_30
	s_branch .LBB600_31
.LBB600_58:                             ;   in Loop: Header=BB600_21 Depth=2
	ds_load_b32 v36, v40
	s_or_b32 exec_lo, exec_lo, s6
	s_and_saveexec_b32 s6, s1
	s_cbranch_execz .LBB600_35
.LBB600_59:                             ;   in Loop: Header=BB600_21 Depth=2
	s_wait_dscnt 0x0
	ds_bpermute_b32 v37, v46, v36
	s_wait_dscnt 0x0
	v_add_f32_e32 v36, v36, v37
	ds_bpermute_b32 v37, v47, v36
	s_wait_dscnt 0x0
	v_add_f32_e32 v36, v36, v37
	;; [unrolled: 3-line block ×3, first 2 shown]
	s_or_b32 exec_lo, exec_lo, s6
	s_and_saveexec_b32 s6, s1
	s_cbranch_execnz .LBB600_36
	s_branch .LBB600_37
.LBB600_60:                             ;   in Loop: Header=BB600_21 Depth=2
	ds_load_b32 v6, v40
	s_or_b32 exec_lo, exec_lo, s6
	s_and_saveexec_b32 s6, s1
	s_cbranch_execz .LBB600_41
.LBB600_61:                             ;   in Loop: Header=BB600_21 Depth=2
	s_wait_dscnt 0x0
	ds_bpermute_b32 v37, v46, v6
	s_wait_dscnt 0x0
	v_add_f32_e32 v6, v6, v37
	ds_bpermute_b32 v37, v47, v6
	s_wait_dscnt 0x0
	v_add_f32_e32 v6, v6, v37
	;; [unrolled: 3-line block ×3, first 2 shown]
	s_or_b32 exec_lo, exec_lo, s6
	s_and_saveexec_b32 s6, s1
	s_cbranch_execnz .LBB600_42
	s_branch .LBB600_43
.LBB600_62:                             ;   in Loop: Header=BB600_21 Depth=2
	ds_load_b32 v7, v40
	s_or_b32 exec_lo, exec_lo, s6
	s_and_saveexec_b32 s6, s1
	s_cbranch_execz .LBB600_47
.LBB600_63:                             ;   in Loop: Header=BB600_21 Depth=2
	s_wait_dscnt 0x0
	ds_bpermute_b32 v37, v46, v7
	s_wait_dscnt 0x0
	v_add_f32_e32 v7, v7, v37
	ds_bpermute_b32 v37, v47, v7
	s_wait_dscnt 0x0
	v_add_f32_e32 v7, v7, v37
	;; [unrolled: 3-line block ×3, first 2 shown]
	s_or_b32 exec_lo, exec_lo, s6
	s_and_saveexec_b32 s6, s0
	s_cbranch_execz .LBB600_20
.LBB600_64:                             ;   in Loop: Header=BB600_21 Depth=2
	s_mul_i32 s7, s24, s34
	v_dual_mul_f32 v1, v44, v1 :: v_dual_mul_f32 v36, v44, v36
	s_add_co_i32 s7, s7, s36
	s_delay_alu instid0(SALU_CYCLE_1) | instskip(NEXT) | instid1(SALU_CYCLE_1)
	s_add_co_i32 s11, s7, s34
	v_dual_mov_b32 v37, s7 :: v_dual_mov_b32 v38, s11
	s_add_co_i32 s7, s11, s34
	s_delay_alu instid0(SALU_CYCLE_1)
	v_dual_mul_f32 v6, v44, v6 :: v_dual_mov_b32 v39, s7
	s_add_co_i32 s7, s7, s34
	s_wait_dscnt 0x0
	v_dual_mul_f32 v7, v44, v7 :: v_dual_mov_b32 v49, s7
	s_clause 0x3
	global_store_b32 v37, v1, s[56:57] scale_offset
	global_store_b32 v38, v36, s[56:57] scale_offset
	;; [unrolled: 1-line block ×4, first 2 shown]
	s_branch .LBB600_20
.LBB600_65:                             ;   in Loop: Header=BB600_21 Depth=2
	v_mov_b32_e32 v7, 0
	s_delay_alu instid0(VALU_DEP_1)
	v_dual_mov_b32 v6, v7 :: v_dual_mov_b32 v37, v7
	v_mov_b32_e32 v36, v7
.LBB600_66:                             ;   in Loop: Header=BB600_21 Depth=2
	s_or_b32 exec_lo, exec_lo, s37
	s_delay_alu instid0(SALU_CYCLE_1)
	s_or_b32 exec_lo, exec_lo, s11
	s_and_saveexec_b32 s6, s1
	s_cbranch_execnz .LBB600_24
	s_branch .LBB600_25
.LBB600_67:                             ;   in Loop: Header=BB600_3 Depth=1
	v_dual_mov_b32 v1, v0 :: v_dual_mov_b32 v2, v0
	v_mov_b32_e32 v3, v0
	s_mov_b32 s24, 0
	s_delay_alu instid0(VALU_DEP_1) | instskip(NEXT) | instid1(VALU_DEP_3)
	v_mov_b64_e32 v[4:5], v[2:3]
	v_mov_b64_e32 v[2:3], v[0:1]
.LBB600_68:                             ;   in Loop: Header=BB600_3 Depth=1
	s_cmp_ge_i32 s24, s27
	s_cbranch_scc1 .LBB600_2
; %bb.69:                               ;   in Loop: Header=BB600_3 Depth=1
	v_cmp_gt_u32_e32 vcc_lo, 24, v42
	s_add_nc_u64 s[8:9], s[56:57], s[40:41]
	s_mul_i32 s56, s28, s24
	v_cndmask_b32_e64 v1, 0, 8, vcc_lo
	v_cmp_gt_u32_e32 vcc_lo, 28, v42
	s_delay_alu instid0(VALU_DEP_2) | instskip(SKIP_4) | instid1(VALU_DEP_2)
	v_add_lshl_u32 v1, v1, v42, 2
	s_wait_dscnt 0x0
	v_cndmask_b32_e64 v6, 0, 4, vcc_lo
	v_cmp_gt_u32_e32 vcc_lo, 30, v42
	s_wait_dscnt 0x0
	v_add_lshl_u32 v7, v6, v42, 2
	v_cndmask_b32_e64 v36, 0, 2, vcc_lo
	v_cmp_ne_u32_e32 vcc_lo, 31, v42
	s_delay_alu instid0(VALU_DEP_2) | instskip(SKIP_1) | instid1(VALU_DEP_1)
	v_add_lshl_u32 v38, v36, v42, 2
	v_add_co_ci_u32_e64 v37, null, 0, v42, vcc_lo
	v_lshlrev_b32_e32 v39, 2, v37
	s_branch .LBB600_71
.LBB600_70:                             ;   in Loop: Header=BB600_71 Depth=2
	s_wait_xcnt 0x0
	s_or_b32 exec_lo, exec_lo, s6
	s_add_co_i32 s24, s24, 1
	s_add_co_i32 s56, s56, s28
	s_cmp_ge_i32 s24, s27
	s_cbranch_scc1 .LBB600_2
.LBB600_71:                             ;   Parent Loop BB600_3 Depth=1
                                        ; =>  This Loop Header: Depth=2
                                        ;       Child Loop BB600_84 Depth 3
                                        ;       Child Loop BB600_87 Depth 3
	s_wait_dscnt 0x0
	v_mov_b32_e32 v6, s25
	s_and_saveexec_b32 s6, s4
	s_delay_alu instid0(SALU_CYCLE_1)
	s_xor_b32 s6, exec_lo, s6
	s_cbranch_execnz .LBB600_80
; %bb.72:                               ;   in Loop: Header=BB600_71 Depth=2
	s_and_not1_saveexec_b32 s11, s6
	s_cbranch_execnz .LBB600_81
.LBB600_73:                             ;   in Loop: Header=BB600_71 Depth=2
	s_or_b32 exec_lo, exec_lo, s11
	s_and_saveexec_b32 s6, s1
.LBB600_74:                             ;   in Loop: Header=BB600_71 Depth=2
	ds_store_b32 v40, v0
.LBB600_75:                             ;   in Loop: Header=BB600_71 Depth=2
	s_or_b32 exec_lo, exec_lo, s6
	ds_bpermute_b32 v36, v43, v6
	s_wait_storecnt_dscnt 0x0
	s_barrier_signal -1
	s_barrier_wait -1
	v_add_f32_e32 v6, v6, v36
	ds_bpermute_b32 v36, v1, v6
	s_wait_dscnt 0x0
	v_add_f32_e32 v6, v6, v36
	ds_bpermute_b32 v36, v7, v6
	s_wait_dscnt 0x0
	;; [unrolled: 3-line block ×3, first 2 shown]
	v_add_f32_e32 v6, v6, v36
	ds_bpermute_b32 v36, v39, v6
	s_and_saveexec_b32 s6, s3
	s_cbranch_execz .LBB600_77
; %bb.76:                               ;   in Loop: Header=BB600_71 Depth=2
	s_wait_dscnt 0x0
	v_add_f32_e32 v6, v6, v36
	ds_store_b32 v41, v6
.LBB600_77:                             ;   in Loop: Header=BB600_71 Depth=2
	s_or_b32 exec_lo, exec_lo, s6
	v_mov_b32_e32 v6, 0
	s_wait_dscnt 0x0
	s_barrier_signal -1
	s_barrier_wait -1
	s_and_saveexec_b32 s6, s2
	s_cbranch_execnz .LBB600_89
; %bb.78:                               ;   in Loop: Header=BB600_71 Depth=2
	s_or_b32 exec_lo, exec_lo, s6
	s_and_saveexec_b32 s6, s1
	s_cbranch_execnz .LBB600_90
.LBB600_79:                             ;   in Loop: Header=BB600_71 Depth=2
	s_or_b32 exec_lo, exec_lo, s6
	s_and_saveexec_b32 s6, s0
	s_cbranch_execz .LBB600_70
	s_branch .LBB600_91
.LBB600_80:                             ;   in Loop: Header=BB600_71 Depth=2
	s_mul_i32 s58, s24, s28
	s_delay_alu instid0(SALU_CYCLE_1) | instskip(NEXT) | instid1(SALU_CYCLE_1)
	s_ashr_i32 s59, s58, 31
	v_lshl_add_u64 v[2:3], s[58:59], 1, v[24:25]
	s_clause 0x1
	flat_load_u16 v4, v[28:29]
	flat_load_u16 v5, v[26:27]
	flat_load_b64 v[36:37], v[2:3]
	s_clause 0x1
	flat_load_u16 v6, v[32:33]
	flat_load_u16 v45, v[30:31]
	s_wait_loadcnt_dscnt 0x303
	s_wait_xcnt 0x2
	v_dual_lshlrev_b32 v3, 16, v4 :: v_dual_lshlrev_b32 v2, 16, v5
	s_wait_loadcnt_dscnt 0x202
	v_and_b32_e32 v5, 0xffff0000, v36
	v_lshlrev_b32_e32 v4, 16, v36
	v_and_b32_e32 v49, 0xffff0000, v37
	s_delay_alu instid0(VALU_DEP_2) | instskip(SKIP_2) | instid1(VALU_DEP_2)
	v_pk_mul_f32 v[46:47], v[2:3], v[4:5]
	s_wait_loadcnt_dscnt 0x0
	v_dual_lshlrev_b32 v5, 16, v6 :: v_dual_lshlrev_b32 v4, 16, v45
	v_dual_add_f32 v6, 0, v46 :: v_dual_lshlrev_b32 v48, 16, v37
	s_delay_alu instid0(VALU_DEP_1) | instskip(NEXT) | instid1(VALU_DEP_2)
	v_add_f32_e32 v6, v6, v47
	v_pk_mul_f32 v[36:37], v[4:5], v[48:49]
	s_delay_alu instid0(VALU_DEP_1) | instskip(NEXT) | instid1(VALU_DEP_1)
	v_add_f32_e32 v6, v6, v36
	v_add_f32_e32 v6, v6, v37
	s_wait_xcnt 0x0
	s_and_not1_saveexec_b32 s11, s6
	s_cbranch_execz .LBB600_73
.LBB600_81:                             ;   in Loop: Header=BB600_71 Depth=2
	s_and_saveexec_b32 s37, s5
	s_cbranch_execz .LBB600_88
; %bb.82:                               ;   in Loop: Header=BB600_71 Depth=2
	s_and_not1_b32 vcc_lo, exec_lo, s71
	s_cbranch_vccnz .LBB600_85
; %bb.83:                               ;   in Loop: Header=BB600_71 Depth=2
	v_mov_b32_e32 v36, v10
	s_mov_b64 s[58:59], 0
.LBB600_84:                             ;   Parent Loop BB600_3 Depth=1
                                        ;     Parent Loop BB600_71 Depth=2
                                        ; =>    This Inner Loop Header: Depth=3
	v_readfirstlane_b32 s6, v22
	v_readfirstlane_b32 s7, v23
	s_cmp_eq_u32 s58, 3
	s_cselect_b32 vcc_lo, -1, 0
	s_cmp_eq_u32 s58, 2
	flat_load_u16 v37, v36, s[6:7] scale_offset
	s_wait_xcnt 0x0
	v_add_nc_u32_e32 v36, s66, v36
	s_cselect_b32 s6, -1, 0
	s_cmp_eq_u32 s58, 1
	s_cselect_b32 s7, -1, 0
	s_cmp_eq_u32 s58, 0
	s_add_nc_u64 s[58:59], s[58:59], 1
	s_wait_loadcnt_dscnt 0x0
	v_lshlrev_b32_e32 v37, 16, v37
	s_delay_alu instid0(VALU_DEP_1) | instskip(SKIP_1) | instid1(SALU_CYCLE_1)
	v_dual_cndmask_b32 v5, v5, v37, vcc_lo :: v_dual_cndmask_b32 v4, v4, v37, s6
	s_cselect_b32 vcc_lo, -1, 0
	v_dual_cndmask_b32 v3, v3, v37, s7 :: v_dual_cndmask_b32 v2, v2, v37, vcc_lo
	s_cmp_eq_u32 s69, s58
	s_cbranch_scc0 .LBB600_84
.LBB600_85:                             ;   in Loop: Header=BB600_71 Depth=2
	s_and_not1_b32 vcc_lo, exec_lo, s71
	s_cbranch_vccnz .LBB600_88
; %bb.86:                               ;   in Loop: Header=BB600_71 Depth=2
	s_ashr_i32 s57, s56, 31
	s_mov_b64 s[6:7], 0
	v_lshl_add_u64 v[36:37], s[56:57], 1, v[34:35]
.LBB600_87:                             ;   Parent Loop BB600_3 Depth=1
                                        ;     Parent Loop BB600_71 Depth=2
                                        ; =>    This Inner Loop Header: Depth=3
	flat_load_u16 v45, v[36:37]
	s_cmp_eq_u32 s6, 1
	s_wait_xcnt 0x0
	v_add_nc_u64_e32 v[36:37], 2, v[36:37]
	s_cselect_b32 vcc_lo, -1, 0
	s_cmp_eq_u32 s6, 2
	v_cndmask_b32_e32 v46, v2, v3, vcc_lo
	s_cselect_b32 vcc_lo, -1, 0
	s_cmp_eq_u32 s6, 3
	s_add_nc_u64 s[6:7], s[6:7], 1
	s_delay_alu instid0(VALU_DEP_1) | instskip(SKIP_2) | instid1(VALU_DEP_1)
	v_cndmask_b32_e32 v46, v46, v4, vcc_lo
	s_cselect_b32 vcc_lo, -1, 0
	s_cmp_lg_u32 s69, s6
	v_cndmask_b32_e32 v46, v46, v5, vcc_lo
	s_wait_loadcnt_dscnt 0x0
	s_delay_alu instid0(VALU_DEP_1)
	v_fma_mix_f32_bf16 v6, v46, v45, v6 op_sel_hi:[0,1,0]
	s_cbranch_scc1 .LBB600_87
.LBB600_88:                             ;   in Loop: Header=BB600_71 Depth=2
	s_or_b32 exec_lo, exec_lo, s37
	s_delay_alu instid0(SALU_CYCLE_1)
	s_or_b32 exec_lo, exec_lo, s11
	s_and_saveexec_b32 s6, s1
	s_cbranch_execnz .LBB600_74
	s_branch .LBB600_75
.LBB600_89:                             ;   in Loop: Header=BB600_71 Depth=2
	ds_load_b32 v6, v40
	s_or_b32 exec_lo, exec_lo, s6
	s_and_saveexec_b32 s6, s1
	s_cbranch_execz .LBB600_79
.LBB600_90:                             ;   in Loop: Header=BB600_71 Depth=2
	s_wait_dscnt 0x0
	ds_bpermute_b32 v36, v7, v6
	s_wait_dscnt 0x0
	v_add_f32_e32 v6, v6, v36
	ds_bpermute_b32 v36, v38, v6
	s_wait_dscnt 0x0
	v_add_f32_e32 v6, v6, v36
	;; [unrolled: 3-line block ×3, first 2 shown]
	s_or_b32 exec_lo, exec_lo, s6
	s_and_saveexec_b32 s6, s0
	s_cbranch_execz .LBB600_70
.LBB600_91:                             ;   in Loop: Header=BB600_71 Depth=2
	s_mul_u64 s[58:59], s[24:25], s[34:35]
	s_wait_dscnt 0x0
	v_mul_f32_e32 v6, v44, v6
	s_lshl_b64 s[58:59], s[58:59], 2
	s_delay_alu instid0(SALU_CYCLE_1)
	s_add_nc_u64 s[58:59], s[8:9], s[58:59]
	global_store_b32 v0, v6, s[58:59]
	s_branch .LBB600_70
.LBB600_92:
	s_sendmsg sendmsg(MSG_DEALLOC_VGPRS)
	s_endpgm
	.section	.rodata,"a",@progbits
	.p2align	6, 0x0
	.amdhsa_kernel _ZL23rocblas_gemvt_sn_kernelILb0ELi256ELi4EiPK16rocblas_bfloat16PKffEviiT4_lPKT3_lilS8_lilPT5_i
		.amdhsa_group_segment_fixed_size 128
		.amdhsa_private_segment_fixed_size 0
		.amdhsa_kernarg_size 360
		.amdhsa_user_sgpr_count 2
		.amdhsa_user_sgpr_dispatch_ptr 0
		.amdhsa_user_sgpr_queue_ptr 0
		.amdhsa_user_sgpr_kernarg_segment_ptr 1
		.amdhsa_user_sgpr_dispatch_id 0
		.amdhsa_user_sgpr_kernarg_preload_length 0
		.amdhsa_user_sgpr_kernarg_preload_offset 0
		.amdhsa_user_sgpr_private_segment_size 0
		.amdhsa_wavefront_size32 1
		.amdhsa_uses_dynamic_stack 0
		.amdhsa_enable_private_segment 0
		.amdhsa_system_sgpr_workgroup_id_x 1
		.amdhsa_system_sgpr_workgroup_id_y 0
		.amdhsa_system_sgpr_workgroup_id_z 1
		.amdhsa_system_sgpr_workgroup_info 0
		.amdhsa_system_vgpr_workitem_id 0
		.amdhsa_next_free_vgpr 68
		.amdhsa_next_free_sgpr 78
		.amdhsa_named_barrier_count 0
		.amdhsa_reserve_vcc 1
		.amdhsa_float_round_mode_32 0
		.amdhsa_float_round_mode_16_64 0
		.amdhsa_float_denorm_mode_32 3
		.amdhsa_float_denorm_mode_16_64 3
		.amdhsa_fp16_overflow 0
		.amdhsa_memory_ordered 1
		.amdhsa_forward_progress 1
		.amdhsa_inst_pref_size 34
		.amdhsa_round_robin_scheduling 0
		.amdhsa_exception_fp_ieee_invalid_op 0
		.amdhsa_exception_fp_denorm_src 0
		.amdhsa_exception_fp_ieee_div_zero 0
		.amdhsa_exception_fp_ieee_overflow 0
		.amdhsa_exception_fp_ieee_underflow 0
		.amdhsa_exception_fp_ieee_inexact 0
		.amdhsa_exception_int_div_zero 0
	.end_amdhsa_kernel
	.section	.text._ZL23rocblas_gemvt_sn_kernelILb0ELi256ELi4EiPK16rocblas_bfloat16PKffEviiT4_lPKT3_lilS8_lilPT5_i,"axG",@progbits,_ZL23rocblas_gemvt_sn_kernelILb0ELi256ELi4EiPK16rocblas_bfloat16PKffEviiT4_lPKT3_lilS8_lilPT5_i,comdat
.Lfunc_end600:
	.size	_ZL23rocblas_gemvt_sn_kernelILb0ELi256ELi4EiPK16rocblas_bfloat16PKffEviiT4_lPKT3_lilS8_lilPT5_i, .Lfunc_end600-_ZL23rocblas_gemvt_sn_kernelILb0ELi256ELi4EiPK16rocblas_bfloat16PKffEviiT4_lPKT3_lilS8_lilPT5_i
                                        ; -- End function
	.set _ZL23rocblas_gemvt_sn_kernelILb0ELi256ELi4EiPK16rocblas_bfloat16PKffEviiT4_lPKT3_lilS8_lilPT5_i.num_vgpr, 68
	.set _ZL23rocblas_gemvt_sn_kernelILb0ELi256ELi4EiPK16rocblas_bfloat16PKffEviiT4_lPKT3_lilS8_lilPT5_i.num_agpr, 0
	.set _ZL23rocblas_gemvt_sn_kernelILb0ELi256ELi4EiPK16rocblas_bfloat16PKffEviiT4_lPKT3_lilS8_lilPT5_i.numbered_sgpr, 78
	.set _ZL23rocblas_gemvt_sn_kernelILb0ELi256ELi4EiPK16rocblas_bfloat16PKffEviiT4_lPKT3_lilS8_lilPT5_i.num_named_barrier, 0
	.set _ZL23rocblas_gemvt_sn_kernelILb0ELi256ELi4EiPK16rocblas_bfloat16PKffEviiT4_lPKT3_lilS8_lilPT5_i.private_seg_size, 0
	.set _ZL23rocblas_gemvt_sn_kernelILb0ELi256ELi4EiPK16rocblas_bfloat16PKffEviiT4_lPKT3_lilS8_lilPT5_i.uses_vcc, 1
	.set _ZL23rocblas_gemvt_sn_kernelILb0ELi256ELi4EiPK16rocblas_bfloat16PKffEviiT4_lPKT3_lilS8_lilPT5_i.uses_flat_scratch, 1
	.set _ZL23rocblas_gemvt_sn_kernelILb0ELi256ELi4EiPK16rocblas_bfloat16PKffEviiT4_lPKT3_lilS8_lilPT5_i.has_dyn_sized_stack, 0
	.set _ZL23rocblas_gemvt_sn_kernelILb0ELi256ELi4EiPK16rocblas_bfloat16PKffEviiT4_lPKT3_lilS8_lilPT5_i.has_recursion, 0
	.set _ZL23rocblas_gemvt_sn_kernelILb0ELi256ELi4EiPK16rocblas_bfloat16PKffEviiT4_lPKT3_lilS8_lilPT5_i.has_indirect_call, 0
	.section	.AMDGPU.csdata,"",@progbits
; Kernel info:
; codeLenInByte = 4240
; TotalNumSgprs: 80
; NumVgprs: 68
; ScratchSize: 0
; MemoryBound: 0
; FloatMode: 240
; IeeeMode: 1
; LDSByteSize: 128 bytes/workgroup (compile time only)
; SGPRBlocks: 0
; VGPRBlocks: 4
; NumSGPRsForWavesPerEU: 80
; NumVGPRsForWavesPerEU: 68
; NamedBarCnt: 0
; Occupancy: 12
; WaveLimiterHint : 0
; COMPUTE_PGM_RSRC2:SCRATCH_EN: 0
; COMPUTE_PGM_RSRC2:USER_SGPR: 2
; COMPUTE_PGM_RSRC2:TRAP_HANDLER: 0
; COMPUTE_PGM_RSRC2:TGID_X_EN: 1
; COMPUTE_PGM_RSRC2:TGID_Y_EN: 0
; COMPUTE_PGM_RSRC2:TGID_Z_EN: 1
; COMPUTE_PGM_RSRC2:TIDIG_COMP_CNT: 0
	.section	.text._ZL23rocblas_gemvt_sn_kernelILb0ELi256ELi4ElPK16rocblas_bfloat16PKffEviiT4_lPKT3_lilS8_lilPT5_i,"axG",@progbits,_ZL23rocblas_gemvt_sn_kernelILb0ELi256ELi4ElPK16rocblas_bfloat16PKffEviiT4_lPKT3_lilS8_lilPT5_i,comdat
	.globl	_ZL23rocblas_gemvt_sn_kernelILb0ELi256ELi4ElPK16rocblas_bfloat16PKffEviiT4_lPKT3_lilS8_lilPT5_i ; -- Begin function _ZL23rocblas_gemvt_sn_kernelILb0ELi256ELi4ElPK16rocblas_bfloat16PKffEviiT4_lPKT3_lilS8_lilPT5_i
	.p2align	8
	.type	_ZL23rocblas_gemvt_sn_kernelILb0ELi256ELi4ElPK16rocblas_bfloat16PKffEviiT4_lPKT3_lilS8_lilPT5_i,@function
_ZL23rocblas_gemvt_sn_kernelILb0ELi256ELi4ElPK16rocblas_bfloat16PKffEviiT4_lPKT3_lilS8_lilPT5_i: ; @_ZL23rocblas_gemvt_sn_kernelILb0ELi256ELi4ElPK16rocblas_bfloat16PKffEviiT4_lPKT3_lilS8_lilPT5_i
; %bb.0:
	s_load_b32 s33, s[0:1], 0x60
	s_bfe_u32 s2, ttmp6, 0x40014
	s_lshr_b32 s3, ttmp7, 16
	s_add_co_i32 s2, s2, 1
	s_bfe_u32 s5, ttmp6, 0x40008
	s_mul_i32 s2, s3, s2
	s_getreg_b32 s4, hwreg(HW_REG_IB_STS2, 6, 4)
	s_add_co_i32 s5, s5, s2
	s_cmp_eq_u32 s4, 0
	s_mov_b32 s25, 0
	s_cselect_b32 s10, s3, s5
	s_wait_kmcnt 0x0
	s_cmp_ge_u32 s10, s33
	s_cbranch_scc1 .LBB601_92
; %bb.1:
	s_clause 0x6
	s_load_b32 s26, s[0:1], 0x28
	s_load_b32 s6, s[0:1], 0x48
	s_load_b64 s[28:29], s[0:1], 0x0
	s_load_b32 s30, s[0:1], 0x68
	s_load_b256 s[12:19], s[0:1], 0x8
	s_load_b128 s[20:23], s[0:1], 0x38
	s_load_b64 s[34:35], s[0:1], 0x58
	s_wait_xcnt 0x0
	v_cmp_eq_u32_e64 s0, 0, v0
	v_dual_lshrrev_b32 v2, 3, v0 :: v_dual_bitop2_b32 v1, 31, v0 bitop3:0x40
	v_cmp_gt_u32_e64 s1, 32, v0
	v_cmp_gt_u32_e64 s2, 8, v0
	v_mbcnt_lo_u32_b32 v48, -1, 0
	s_delay_alu instid0(VALU_DEP_4)
	v_dual_lshlrev_b32 v46, 2, v1 :: v_dual_bitop2_b32 v47, 28, v2 bitop3:0x40
	v_cmp_eq_u32_e64 s3, 0, v1
	v_mov_b64_e32 v[22:23], 0
	s_mov_b32 s31, s25
	v_lshl_or_b32 v49, v48, 2, 64
	s_wait_kmcnt 0x0
	s_ashr_i32 s27, s26, 31
	s_ashr_i32 s7, s6, 31
	;; [unrolled: 1-line block ×3, first 2 shown]
	s_cmp_gt_i32 s29, 0
	s_mov_b32 s8, s29
	s_cselect_b32 s5, -1, 0
	s_bfe_u32 s11, ttmp6, 0x4000c
	s_and_b32 s24, ttmp6, 15
	s_add_co_i32 s11, s11, 1
	s_and_b32 s60, s0, s5
	s_mul_i32 s11, ttmp9, s11
	s_mul_u64 s[36:37], s[8:9], s[30:31]
	s_add_co_i32 s24, s24, s11
	s_cmp_eq_u32 s4, 0
	s_mul_u64 s[38:39], s[26:27], 6
	s_cselect_b32 s24, ttmp9, s24
	s_ashr_i32 s5, s28, 31
	s_lshl_b32 s11, s24, 10
	s_lshr_b32 s4, s9, 30
	v_lshl_or_b32 v8, v0, 2, s11
	s_lshr_b32 s5, s5, 30
	s_add_co_i32 s4, s29, s4
	s_add_co_i32 s5, s28, s5
	s_and_b32 s61, s4, -4
	s_and_b32 s4, s5, -4
	v_dual_ashrrev_i32 v9, 31, v8 :: v_dual_bitop2_b32 v0, 1, v8 bitop3:0x54
	s_sub_co_i32 s62, s28, s4
	v_dual_add_nc_u32 v6, 4, v8 :: v_dual_bitop2_b32 v2, 2, v8 bitop3:0x54
	v_dual_add_nc_u32 v7, s62, v8 :: v_dual_bitop2_b32 v4, 3, v8 bitop3:0x54
	s_delay_alu instid0(VALU_DEP_3) | instskip(NEXT) | instid1(VALU_DEP_3)
	v_mul_u64_e32 v[10:11], s[6:7], v[8:9]
	v_dual_ashrrev_i32 v1, 31, v0 :: v_dual_ashrrev_i32 v3, 31, v2
	s_delay_alu instid0(VALU_DEP_3) | instskip(SKIP_2) | instid1(VALU_DEP_3)
	v_ashrrev_i32_e32 v5, 31, v4
	s_cmp_gt_i32 s61, 0
	v_lshlrev_b64_e32 v[18:19], 1, v[8:9]
	v_mul_u64_e32 v[12:13], s[6:7], v[0:1]
	v_mul_u64_e32 v[14:15], s[6:7], v[2:3]
	v_mov_b32_e32 v0, 0
	v_mul_u64_e32 v[16:17], s[6:7], v[4:5]
	s_cselect_b32 s63, -1, 0
	s_cmp_gt_i32 s62, 0
	v_cmp_ge_i32_e64 s4, s28, v6
	s_cselect_b32 s64, -1, 0
	s_cmp_gt_u32 s29, 1
	s_cselect_b32 s5, -1, 0
	s_cmp_eq_u32 s30, 1
	s_cselect_b32 s11, -1, 0
	s_and_b32 s65, s29, 0x7ffffffe
	s_and_b32 s66, s5, s11
	s_cmp_lg_u32 s29, s65
	v_cmp_ge_i32_e64 s5, s28, v7
	s_cselect_b32 s28, -1, 0
	s_lshl_b64 s[40:41], s[24:25], 2
	s_lshl_b64 s[42:43], s[36:37], 2
	;; [unrolled: 1-line block ×7, first 2 shown]
	v_lshlrev_b64_e32 v[20:21], 1, v[10:11]
	s_add_nc_u64 s[54:55], s[34:35], s[40:41]
	s_lshl_b64 s[56:57], s[26:27], 1
	s_lshl_b64 s[18:19], s[18:19], 1
	;; [unrolled: 1-line block ×3, first 2 shown]
	s_branch .LBB601_3
.LBB601_2:                              ;   in Loop: Header=BB601_3 Depth=1
	s_add_co_i32 s10, s10, 0x10000
	s_delay_alu instid0(SALU_CYCLE_1)
	s_cmp_lt_u32 s10, s33
	s_cbranch_scc0 .LBB601_92
.LBB601_3:                              ; =>This Loop Header: Depth=1
                                        ;     Child Loop BB601_11 Depth 2
                                        ;     Child Loop BB601_15 Depth 2
	;; [unrolled: 1-line block ×3, first 2 shown]
                                        ;       Child Loop BB601_52 Depth 3
                                        ;       Child Loop BB601_55 Depth 3
                                        ;     Child Loop BB601_71 Depth 2
                                        ;       Child Loop BB601_84 Depth 3
                                        ;       Child Loop BB601_87 Depth 3
	s_mov_b32 s11, s25
	s_wait_dscnt 0x0
	v_mov_b64_e32 v[6:7], 0
	s_mul_u64 s[6:7], s[14:15], s[10:11]
	s_delay_alu instid0(SALU_CYCLE_1) | instskip(NEXT) | instid1(SALU_CYCLE_1)
	s_lshl_b64 s[6:7], s[6:7], 2
	s_add_nc_u64 s[6:7], s[12:13], s[6:7]
	global_load_b32 v50, v0, s[6:7]
	s_wait_loadcnt 0x0
	s_wait_xcnt 0x0
	v_cmp_eq_f32_e64 s6, 0, v50
	v_cmp_neq_f32_e64 s7, 0, v50
	s_and_b32 vcc_lo, exec_lo, s6
	s_cbranch_vccnz .LBB601_5
; %bb.4:                                ;   in Loop: Header=BB601_3 Depth=1
	s_lshl_b64 s[8:9], s[10:11], 3
	s_delay_alu instid0(SALU_CYCLE_1)
	s_add_nc_u64 s[8:9], s[16:17], s[8:9]
	global_load_b64 v[2:3], v0, s[8:9]
	s_wait_loadcnt 0x0
	v_add_nc_u64_e32 v[6:7], s[18:19], v[2:3]
.LBB601_5:                              ;   in Loop: Header=BB601_3 Depth=1
	v_mov_b64_e32 v[4:5], 0
	s_and_not1_b32 vcc_lo, exec_lo, s7
	s_cbranch_vccnz .LBB601_7
; %bb.6:                                ;   in Loop: Header=BB601_3 Depth=1
	s_wait_xcnt 0x0
	s_lshl_b64 s[8:9], s[10:11], 3
	s_delay_alu instid0(SALU_CYCLE_1)
	s_add_nc_u64 s[8:9], s[20:21], s[8:9]
	global_load_b64 v[2:3], v0, s[8:9]
	s_wait_loadcnt 0x0
	v_add_nc_u64_e32 v[4:5], s[22:23], v[2:3]
.LBB601_7:                              ;   in Loop: Header=BB601_3 Depth=1
	s_and_not1_b32 vcc_lo, exec_lo, s6
	s_mov_b32 s6, -1
	s_cbranch_vccnz .LBB601_17
; %bb.8:                                ;   in Loop: Header=BB601_3 Depth=1
	s_wait_xcnt 0x0
	s_and_saveexec_b32 s8, s60
	s_cbranch_execz .LBB601_16
; %bb.9:                                ;   in Loop: Header=BB601_3 Depth=1
	s_and_not1_b32 vcc_lo, exec_lo, s66
	s_cbranch_vccnz .LBB601_13
; %bb.10:                               ;   in Loop: Header=BB601_3 Depth=1
	s_mul_u64 s[6:7], s[42:43], s[10:11]
	s_mov_b32 s9, s65
	s_add_nc_u64 s[6:7], s[54:55], s[6:7]
.LBB601_11:                             ;   Parent Loop BB601_3 Depth=1
                                        ; =>  This Inner Loop Header: Depth=2
	s_add_co_i32 s9, s9, -2
	global_store_b64 v0, v[22:23], s[6:7]
	s_wait_xcnt 0x0
	s_add_nc_u64 s[6:7], s[6:7], 8
	s_mov_b32 s24, s65
	s_cmp_lg_u32 s9, 0
	s_mov_b32 s58, s28
	s_cbranch_scc1 .LBB601_11
; %bb.12:                               ;   in Loop: Header=BB601_3 Depth=1
	s_and_b32 vcc_lo, exec_lo, s58
	s_cbranch_vccnz .LBB601_14
	s_branch .LBB601_16
.LBB601_13:                             ;   in Loop: Header=BB601_3 Depth=1
	s_mov_b32 s24, 0
	s_cbranch_execz .LBB601_16
.LBB601_14:                             ;   in Loop: Header=BB601_3 Depth=1
	s_mul_u64 s[6:7], s[44:45], s[10:11]
	s_lshl_b64 s[58:59], s[24:25], 2
	s_sub_co_i32 s9, s29, s24
	s_add_nc_u64 s[6:7], s[6:7], s[58:59]
	s_delay_alu instid0(SALU_CYCLE_1) | instskip(NEXT) | instid1(SALU_CYCLE_1)
	s_mul_u64 s[6:7], s[30:31], s[6:7]
	s_add_nc_u64 s[6:7], s[54:55], s[6:7]
.LBB601_15:                             ;   Parent Loop BB601_3 Depth=1
                                        ; =>  This Inner Loop Header: Depth=2
	s_add_co_i32 s9, s9, -1
	global_store_b32 v0, v0, s[6:7]
	s_cmp_eq_u32 s9, 0
	s_wait_xcnt 0x0
	s_add_nc_u64 s[6:7], s[6:7], s[46:47]
	s_cbranch_scc0 .LBB601_15
.LBB601_16:                             ;   in Loop: Header=BB601_3 Depth=1
	s_or_b32 exec_lo, exec_lo, s8
	s_mov_b32 s6, 0
.LBB601_17:                             ;   in Loop: Header=BB601_3 Depth=1
	s_delay_alu instid0(SALU_CYCLE_1)
	s_and_not1_b32 vcc_lo, exec_lo, s6
	s_cbranch_vccnz .LBB601_2
; %bb.18:                               ;   in Loop: Header=BB601_3 Depth=1
	s_mul_u64 s[6:7], s[36:37], s[10:11]
	v_add_nc_u64_e32 v[34:35], v[4:5], v[20:21]
	s_lshl_b64 s[58:59], s[6:7], 2
	v_lshl_add_u64 v[24:25], v[8:9], 1, v[6:7]
	v_lshl_add_u64 v[26:27], v[10:11], 1, v[4:5]
	v_lshl_add_u64 v[28:29], v[12:13], 1, v[4:5]
	v_lshl_add_u64 v[30:31], v[14:15], 1, v[4:5]
	v_lshl_add_u64 v[32:33], v[16:17], 1, v[4:5]
	s_wait_xcnt 0x0
	v_cmp_gt_u32_e64 s8, 24, v48
	v_cmp_gt_u32_e64 s6, 28, v48
	v_cmp_gt_u32_e64 s9, 30, v48
	v_cmp_ne_u32_e64 s7, 31, v48
	s_add_nc_u64 s[58:59], s[34:35], s[58:59]
	s_and_not1_b32 vcc_lo, exec_lo, s63
	s_add_nc_u64 s[58:59], s[58:59], s[40:41]
	s_cbranch_vccnz .LBB601_67
; %bb.19:                               ;   in Loop: Header=BB601_3 Depth=1
	v_cndmask_b32_e64 v1, 0, 8, s8
	v_cndmask_b32_e64 v2, 0, 4, s6
	;; [unrolled: 1-line block ×3, first 2 shown]
	v_add_co_ci_u32_e64 v37, null, 0, v48, s7
	s_delay_alu instid0(VALU_DEP_4) | instskip(NEXT) | instid1(VALU_DEP_4)
	v_add_lshl_u32 v51, v1, v48, 2
	v_add_lshl_u32 v52, v2, v48, 2
	v_dual_mov_b32 v1, v0 :: v_dual_mov_b32 v2, v0
	s_delay_alu instid0(VALU_DEP_4) | instskip(SKIP_3) | instid1(VALU_DEP_4)
	v_dual_mov_b32 v3, v0 :: v_dual_lshlrev_b32 v54, 2, v37
	v_add_lshl_u32 v53, v36, v48, 2
	v_add_nc_u64_e32 v[36:37], v[4:5], v[20:21]
	v_mov_b64_e32 v[38:39], v[24:25]
	v_mov_b64_e32 v[4:5], v[2:3]
	;; [unrolled: 1-line block ×3, first 2 shown]
	s_mov_b32 s24, 0
	s_branch .LBB601_21
.LBB601_20:                             ;   in Loop: Header=BB601_21 Depth=2
	s_wait_xcnt 0x0
	s_or_b32 exec_lo, exec_lo, s6
	v_add_nc_u64_e32 v[38:39], s[50:51], v[38:39]
	s_add_co_i32 s24, s24, 4
	s_delay_alu instid0(SALU_CYCLE_1)
	s_cmp_ge_i32 s24, s61
	s_cbranch_scc1 .LBB601_68
.LBB601_21:                             ;   Parent Loop BB601_3 Depth=1
                                        ; =>  This Loop Header: Depth=2
                                        ;       Child Loop BB601_52 Depth 3
                                        ;       Child Loop BB601_55 Depth 3
                                        ; implicit-def: $vgpr41
                                        ; implicit-def: $vgpr43
	s_and_saveexec_b32 s6, s4
	s_delay_alu instid0(SALU_CYCLE_1)
	s_xor_b32 s6, exec_lo, s6
	s_cbranch_execnz .LBB601_48
; %bb.22:                               ;   in Loop: Header=BB601_21 Depth=2
	s_and_not1_saveexec_b32 s11, s6
	s_cbranch_execnz .LBB601_49
.LBB601_23:                             ;   in Loop: Header=BB601_21 Depth=2
	s_or_b32 exec_lo, exec_lo, s11
	s_and_saveexec_b32 s6, s1
.LBB601_24:                             ;   in Loop: Header=BB601_21 Depth=2
	ds_store_b32 v46, v0
.LBB601_25:                             ;   in Loop: Header=BB601_21 Depth=2
	s_or_b32 exec_lo, exec_lo, s6
	ds_bpermute_b32 v1, v49, v42
	s_wait_storecnt_dscnt 0x0
	s_barrier_signal -1
	s_barrier_wait -1
	v_add_f32_e32 v1, v42, v1
	ds_bpermute_b32 v42, v51, v1
	s_wait_dscnt 0x0
	v_add_f32_e32 v1, v1, v42
	ds_bpermute_b32 v42, v52, v1
	s_wait_dscnt 0x0
	;; [unrolled: 3-line block ×3, first 2 shown]
	v_add_f32_e32 v1, v1, v42
	ds_bpermute_b32 v42, v54, v1
	s_and_saveexec_b32 s6, s3
	s_cbranch_execz .LBB601_27
; %bb.26:                               ;   in Loop: Header=BB601_21 Depth=2
	s_wait_dscnt 0x0
	v_add_f32_e32 v1, v1, v42
	ds_store_b32 v47, v1
.LBB601_27:                             ;   in Loop: Header=BB601_21 Depth=2
	s_or_b32 exec_lo, exec_lo, s6
	v_mov_b32_e32 v1, 0
	s_wait_dscnt 0x0
	s_barrier_signal -1
	s_barrier_wait -1
	s_and_saveexec_b32 s6, s2
	s_cbranch_execnz .LBB601_56
; %bb.28:                               ;   in Loop: Header=BB601_21 Depth=2
	s_or_b32 exec_lo, exec_lo, s6
	s_and_saveexec_b32 s6, s1
	s_cbranch_execnz .LBB601_57
.LBB601_29:                             ;   in Loop: Header=BB601_21 Depth=2
	s_or_b32 exec_lo, exec_lo, s6
	s_and_saveexec_b32 s6, s1
.LBB601_30:                             ;   in Loop: Header=BB601_21 Depth=2
	ds_store_b32 v46, v0
.LBB601_31:                             ;   in Loop: Header=BB601_21 Depth=2
	s_or_b32 exec_lo, exec_lo, s6
	ds_bpermute_b32 v42, v49, v43
	s_wait_dscnt 0x0
	s_barrier_signal -1
	s_barrier_wait -1
	v_add_f32_e32 v42, v43, v42
	ds_bpermute_b32 v43, v51, v42
	s_wait_dscnt 0x0
	v_add_f32_e32 v42, v42, v43
	ds_bpermute_b32 v43, v52, v42
	s_wait_dscnt 0x0
	;; [unrolled: 3-line block ×3, first 2 shown]
	v_add_f32_e32 v42, v42, v43
	ds_bpermute_b32 v43, v54, v42
	s_and_saveexec_b32 s6, s3
	s_cbranch_execz .LBB601_33
; %bb.32:                               ;   in Loop: Header=BB601_21 Depth=2
	s_wait_dscnt 0x0
	v_add_f32_e32 v42, v42, v43
	ds_store_b32 v47, v42
.LBB601_33:                             ;   in Loop: Header=BB601_21 Depth=2
	s_or_b32 exec_lo, exec_lo, s6
	v_mov_b32_e32 v42, 0
	s_wait_dscnt 0x0
	s_barrier_signal -1
	s_barrier_wait -1
	s_and_saveexec_b32 s6, s2
	s_cbranch_execnz .LBB601_58
; %bb.34:                               ;   in Loop: Header=BB601_21 Depth=2
	s_or_b32 exec_lo, exec_lo, s6
	s_and_saveexec_b32 s6, s1
	s_cbranch_execnz .LBB601_59
.LBB601_35:                             ;   in Loop: Header=BB601_21 Depth=2
	s_or_b32 exec_lo, exec_lo, s6
	s_and_saveexec_b32 s6, s1
.LBB601_36:                             ;   in Loop: Header=BB601_21 Depth=2
	ds_store_b32 v46, v0
.LBB601_37:                             ;   in Loop: Header=BB601_21 Depth=2
	s_or_b32 exec_lo, exec_lo, s6
	ds_bpermute_b32 v43, v49, v40
	s_wait_dscnt 0x0
	s_barrier_signal -1
	s_barrier_wait -1
	v_add_f32_e32 v40, v40, v43
	ds_bpermute_b32 v43, v51, v40
	s_wait_dscnt 0x0
	v_add_f32_e32 v40, v40, v43
	ds_bpermute_b32 v43, v52, v40
	s_wait_dscnt 0x0
	;; [unrolled: 3-line block ×3, first 2 shown]
	v_add_f32_e32 v40, v40, v43
	ds_bpermute_b32 v43, v54, v40
	s_and_saveexec_b32 s6, s3
	s_cbranch_execz .LBB601_39
; %bb.38:                               ;   in Loop: Header=BB601_21 Depth=2
	s_wait_dscnt 0x0
	v_add_f32_e32 v40, v40, v43
	ds_store_b32 v47, v40
.LBB601_39:                             ;   in Loop: Header=BB601_21 Depth=2
	s_or_b32 exec_lo, exec_lo, s6
	v_mov_b32_e32 v40, 0
	s_wait_dscnt 0x0
	s_barrier_signal -1
	s_barrier_wait -1
	s_and_saveexec_b32 s6, s2
	s_cbranch_execnz .LBB601_60
; %bb.40:                               ;   in Loop: Header=BB601_21 Depth=2
	s_or_b32 exec_lo, exec_lo, s6
	s_and_saveexec_b32 s6, s1
	s_cbranch_execnz .LBB601_61
.LBB601_41:                             ;   in Loop: Header=BB601_21 Depth=2
	s_or_b32 exec_lo, exec_lo, s6
	s_and_saveexec_b32 s6, s1
.LBB601_42:                             ;   in Loop: Header=BB601_21 Depth=2
	ds_store_b32 v46, v0
.LBB601_43:                             ;   in Loop: Header=BB601_21 Depth=2
	s_or_b32 exec_lo, exec_lo, s6
	ds_bpermute_b32 v43, v49, v41
	s_wait_dscnt 0x0
	s_barrier_signal -1
	s_barrier_wait -1
	v_add_f32_e32 v41, v41, v43
	ds_bpermute_b32 v43, v51, v41
	s_wait_dscnt 0x0
	v_add_f32_e32 v41, v41, v43
	ds_bpermute_b32 v43, v52, v41
	s_wait_dscnt 0x0
	;; [unrolled: 3-line block ×3, first 2 shown]
	v_add_f32_e32 v41, v41, v43
	ds_bpermute_b32 v43, v54, v41
	s_and_saveexec_b32 s6, s3
	s_cbranch_execz .LBB601_45
; %bb.44:                               ;   in Loop: Header=BB601_21 Depth=2
	s_wait_dscnt 0x0
	v_add_f32_e32 v41, v41, v43
	ds_store_b32 v47, v41
.LBB601_45:                             ;   in Loop: Header=BB601_21 Depth=2
	s_or_b32 exec_lo, exec_lo, s6
	v_mov_b32_e32 v41, 0
	s_wait_dscnt 0x0
	s_barrier_signal -1
	s_barrier_wait -1
	s_and_saveexec_b32 s6, s2
	s_cbranch_execnz .LBB601_62
; %bb.46:                               ;   in Loop: Header=BB601_21 Depth=2
	s_or_b32 exec_lo, exec_lo, s6
	s_and_saveexec_b32 s6, s1
	s_cbranch_execnz .LBB601_63
.LBB601_47:                             ;   in Loop: Header=BB601_21 Depth=2
	s_or_b32 exec_lo, exec_lo, s6
	s_and_saveexec_b32 s6, s0
	s_cbranch_execz .LBB601_20
	s_branch .LBB601_64
.LBB601_48:                             ;   in Loop: Header=BB601_21 Depth=2
	s_mul_u64 s[8:9], s[24:25], s[26:27]
	s_or_b32 s68, s24, 2
	s_mov_b32 s69, s25
	v_lshl_add_u64 v[2:3], s[8:9], 1, v[24:25]
	s_or_b32 s8, s24, 3
	s_mov_b32 s9, s25
	s_mul_u64 s[68:69], s[68:69], s[26:27]
	s_mul_u64 s[8:9], s[8:9], s[26:27]
	v_lshl_add_u64 v[4:5], s[68:69], 1, v[24:25]
	s_wait_dscnt 0x0
	v_lshl_add_u64 v[40:41], s[8:9], 1, v[24:25]
	s_clause 0x3
	flat_load_u16 v1, v[26:27]
	flat_load_u16 v55, v[28:29]
	;; [unrolled: 1-line block ×4, first 2 shown]
	s_clause 0x2
	flat_load_b64 v[42:43], v[2:3]
	flat_load_b64 v[4:5], v[4:5]
	;; [unrolled: 1-line block ×3, first 2 shown]
	s_or_b32 s8, s24, 1
	s_mov_b32 s9, s25
	s_delay_alu instid0(SALU_CYCLE_1)
	s_mul_u64 s[8:9], s[8:9], s[26:27]
	s_wait_xcnt 0x2
	v_lshl_add_u64 v[2:3], s[8:9], 1, v[24:25]
	flat_load_b64 v[44:45], v[2:3]
	s_wait_loadcnt_dscnt 0x606
	s_wait_xcnt 0x0
	v_dual_lshlrev_b32 v2, 16, v1 :: v_dual_lshlrev_b32 v57, 16, v55
	s_wait_loadcnt_dscnt 0x404
	v_dual_lshlrev_b32 v60, 16, v56 :: v_dual_lshlrev_b32 v59, 16, v58
	s_wait_loadcnt_dscnt 0x303
	;; [unrolled: 2-line block ×3, first 2 shown]
	v_and_b32_e32 v3, 0xffff0000, v40
	v_dual_lshlrev_b32 v56, 16, v40 :: v_dual_lshlrev_b32 v58, 16, v41
	v_dual_lshlrev_b32 v1, 16, v4 :: v_dual_lshlrev_b32 v63, 16, v5
	v_and_b32_e32 v55, 0xffff0000, v4
	v_and_b32_e32 v65, 0xffff0000, v5
	s_delay_alu instid0(VALU_DEP_4) | instskip(SKIP_3) | instid1(VALU_DEP_3)
	v_pk_mul_f32 v[4:5], v[56:57], v[2:3]
	v_and_b32_e32 v61, 0xffff0000, v41
	v_dual_mul_f32 v40, v2, v1 :: v_dual_mov_b32 v3, v57
	s_wait_loadcnt_dscnt 0x0
	v_dual_lshlrev_b32 v67, 16, v44 :: v_dual_mov_b32 v41, v4
	v_dual_mov_b32 v62, v57 :: v_dual_mov_b32 v64, v59
	v_and_b32_e32 v42, 0xffff0000, v42
	v_and_b32_e32 v70, 0xffff0000, v43
	;; [unrolled: 1-line block ×3, first 2 shown]
	v_dual_mul_f32 v4, v57, v55 :: v_dual_lshlrev_b32 v69, 16, v45
	v_pk_mul_f32 v[56:57], v[58:59], v[60:61]
	v_pk_add_f32 v[40:41], v[40:41], 0 op_sel_hi:[1,0]
	v_pk_fma_f32 v[66:67], v[2:3], v[66:67], 0 op_sel_hi:[0,1,0]
	v_mul_f32_e32 v72, v60, v63
	v_and_b32_e32 v71, 0xffff0000, v45
	v_mov_b32_e32 v73, v56
	v_pk_add_f32 v[4:5], v[40:41], v[4:5]
	v_pk_fma_f32 v[40:41], v[62:63], v[42:43], v[66:67] op_sel_hi:[0,1,1]
	v_mul_f32_e32 v56, v59, v65
	s_delay_alu instid0(VALU_DEP_3) | instskip(NEXT) | instid1(VALU_DEP_3)
	v_pk_add_f32 v[42:43], v[4:5], v[72:73]
	v_pk_fma_f32 v[44:45], v[60:61], v[68:69], v[40:41] op_sel_hi:[0,1,1]
	v_dual_mov_b32 v4, v60 :: v_dual_mov_b32 v5, v59
	s_delay_alu instid0(VALU_DEP_3) | instskip(NEXT) | instid1(VALU_DEP_3)
	v_pk_add_f32 v[40:41], v[42:43], v[56:57]
	v_pk_fma_f32 v[42:43], v[64:65], v[70:71], v[44:45] op_sel_hi:[0,1,1]
	s_and_not1_saveexec_b32 s11, s6
	s_cbranch_execz .LBB601_23
.LBB601_49:                             ;   in Loop: Header=BB601_21 Depth=2
	s_wait_dscnt 0x0
	v_dual_mov_b32 v41, 0 :: v_dual_mov_b32 v40, 0
	v_dual_mov_b32 v43, 0 :: v_dual_mov_b32 v42, 0
	s_and_saveexec_b32 s67, s5
	s_cbranch_execz .LBB601_66
; %bb.50:                               ;   in Loop: Header=BB601_21 Depth=2
	s_and_not1_b32 vcc_lo, exec_lo, s64
	s_cbranch_vccnz .LBB601_53
; %bb.51:                               ;   in Loop: Header=BB601_21 Depth=2
	v_mov_b64_e32 v[40:41], v[36:37]
	s_mov_b64 s[8:9], 0
.LBB601_52:                             ;   Parent Loop BB601_3 Depth=1
                                        ;     Parent Loop BB601_21 Depth=2
                                        ; =>    This Inner Loop Header: Depth=3
	flat_load_u16 v1, v[40:41]
	s_cmp_eq_u32 s8, 3
	s_wait_xcnt 0x0
	v_add_nc_u64_e32 v[40:41], s[48:49], v[40:41]
	s_cselect_b32 vcc_lo, -1, 0
	s_cmp_eq_u32 s8, 2
	s_cselect_b32 s6, -1, 0
	s_cmp_eq_u32 s8, 1
	s_cselect_b32 s7, -1, 0
	s_cmp_eq_u32 s8, 0
	s_add_nc_u64 s[8:9], s[8:9], 1
	s_wait_loadcnt_dscnt 0x0
	v_lshlrev_b32_e32 v1, 16, v1
	s_delay_alu instid0(VALU_DEP_1) | instskip(SKIP_1) | instid1(SALU_CYCLE_1)
	v_dual_cndmask_b32 v5, v5, v1, vcc_lo :: v_dual_cndmask_b32 v4, v4, v1, s6
	s_cselect_b32 vcc_lo, -1, 0
	v_dual_cndmask_b32 v3, v3, v1, s7 :: v_dual_cndmask_b32 v2, v2, v1, vcc_lo
	s_cmp_eq_u32 s62, s8
	s_cbranch_scc0 .LBB601_52
.LBB601_53:                             ;   in Loop: Header=BB601_21 Depth=2
	s_and_not1_b32 vcc_lo, exec_lo, s64
	s_cbranch_vccnz .LBB601_65
; %bb.54:                               ;   in Loop: Header=BB601_21 Depth=2
	v_mov_b32_e32 v42, 0
	v_mov_b64_e32 v[44:45], v[38:39]
	s_mov_b64 s[6:7], 0
	s_delay_alu instid0(VALU_DEP_2)
	v_dual_mov_b32 v43, v42 :: v_dual_mov_b32 v40, v42
	v_mov_b32_e32 v41, v42
.LBB601_55:                             ;   Parent Loop BB601_3 Depth=1
                                        ;     Parent Loop BB601_21 Depth=2
                                        ; =>    This Inner Loop Header: Depth=3
	s_delay_alu instid0(VALU_DEP_3)
	v_add_nc_u64_e32 v[56:57], s[56:57], v[44:45]
	v_add_nc_u64_e32 v[58:59], s[38:39], v[44:45]
	;; [unrolled: 1-line block ×3, first 2 shown]
	s_cmp_eq_u32 s6, 1
	s_clause 0x3
	flat_load_u16 v1, v[44:45]
	flat_load_u16 v55, v[56:57]
	;; [unrolled: 1-line block ×4, first 2 shown]
	s_cselect_b32 vcc_lo, -1, 0
	s_cmp_eq_u32 s6, 2
	v_cndmask_b32_e32 v56, v2, v3, vcc_lo
	s_cselect_b32 vcc_lo, -1, 0
	s_cmp_eq_u32 s6, 3
	v_add_nc_u64_e32 v[44:45], 2, v[44:45]
	s_add_nc_u64 s[6:7], s[6:7], 1
	s_wait_loadcnt_dscnt 0x303
	s_wait_xcnt 0x1
	v_dual_lshlrev_b32 v58, 16, v1 :: v_dual_cndmask_b32 v56, v56, v4, vcc_lo
	s_wait_loadcnt_dscnt 0x202
	v_lshlrev_b32_e32 v59, 16, v55
	s_cselect_b32 vcc_lo, -1, 0
	s_wait_loadcnt_dscnt 0x0
	v_dual_lshlrev_b32 v61, 16, v57 :: v_dual_lshlrev_b32 v60, 16, v60
	v_cndmask_b32_e32 v56, v56, v5, vcc_lo
	s_cmp_lg_u32 s62, s6
	s_delay_alu instid0(VALU_DEP_1) | instskip(NEXT) | instid1(VALU_DEP_3)
	v_pk_fma_f32 v[42:43], v[56:57], v[58:59], v[42:43] op_sel_hi:[0,1,1]
	v_pk_fma_f32 v[40:41], v[56:57], v[60:61], v[40:41] op_sel_hi:[0,1,1]
	s_cbranch_scc1 .LBB601_55
	s_branch .LBB601_66
.LBB601_56:                             ;   in Loop: Header=BB601_21 Depth=2
	ds_load_b32 v1, v46
	s_or_b32 exec_lo, exec_lo, s6
	s_and_saveexec_b32 s6, s1
	s_cbranch_execz .LBB601_29
.LBB601_57:                             ;   in Loop: Header=BB601_21 Depth=2
	s_wait_dscnt 0x0
	ds_bpermute_b32 v42, v52, v1
	s_wait_dscnt 0x0
	v_add_f32_e32 v1, v1, v42
	ds_bpermute_b32 v42, v53, v1
	s_wait_dscnt 0x0
	v_add_f32_e32 v1, v1, v42
	;; [unrolled: 3-line block ×3, first 2 shown]
	s_or_b32 exec_lo, exec_lo, s6
	s_and_saveexec_b32 s6, s1
	s_cbranch_execnz .LBB601_30
	s_branch .LBB601_31
.LBB601_58:                             ;   in Loop: Header=BB601_21 Depth=2
	ds_load_b32 v42, v46
	s_or_b32 exec_lo, exec_lo, s6
	s_and_saveexec_b32 s6, s1
	s_cbranch_execz .LBB601_35
.LBB601_59:                             ;   in Loop: Header=BB601_21 Depth=2
	s_wait_dscnt 0x0
	ds_bpermute_b32 v43, v52, v42
	s_wait_dscnt 0x0
	v_add_f32_e32 v42, v42, v43
	ds_bpermute_b32 v43, v53, v42
	s_wait_dscnt 0x0
	v_add_f32_e32 v42, v42, v43
	;; [unrolled: 3-line block ×3, first 2 shown]
	s_or_b32 exec_lo, exec_lo, s6
	s_and_saveexec_b32 s6, s1
	s_cbranch_execnz .LBB601_36
	s_branch .LBB601_37
.LBB601_60:                             ;   in Loop: Header=BB601_21 Depth=2
	ds_load_b32 v40, v46
	s_or_b32 exec_lo, exec_lo, s6
	s_and_saveexec_b32 s6, s1
	s_cbranch_execz .LBB601_41
.LBB601_61:                             ;   in Loop: Header=BB601_21 Depth=2
	s_wait_dscnt 0x0
	ds_bpermute_b32 v43, v52, v40
	s_wait_dscnt 0x0
	v_add_f32_e32 v40, v40, v43
	ds_bpermute_b32 v43, v53, v40
	s_wait_dscnt 0x0
	v_add_f32_e32 v40, v40, v43
	;; [unrolled: 3-line block ×3, first 2 shown]
	s_or_b32 exec_lo, exec_lo, s6
	s_and_saveexec_b32 s6, s1
	s_cbranch_execnz .LBB601_42
	s_branch .LBB601_43
.LBB601_62:                             ;   in Loop: Header=BB601_21 Depth=2
	ds_load_b32 v41, v46
	s_or_b32 exec_lo, exec_lo, s6
	s_and_saveexec_b32 s6, s1
	s_cbranch_execz .LBB601_47
.LBB601_63:                             ;   in Loop: Header=BB601_21 Depth=2
	s_wait_dscnt 0x0
	ds_bpermute_b32 v43, v52, v41
	s_wait_dscnt 0x0
	v_add_f32_e32 v41, v41, v43
	ds_bpermute_b32 v43, v53, v41
	s_wait_dscnt 0x0
	v_add_f32_e32 v41, v41, v43
	;; [unrolled: 3-line block ×3, first 2 shown]
	s_or_b32 exec_lo, exec_lo, s6
	s_and_saveexec_b32 s6, s0
	s_cbranch_execz .LBB601_20
.LBB601_64:                             ;   in Loop: Header=BB601_21 Depth=2
	s_or_b32 s68, s24, 1
	s_mov_b32 s69, s25
	s_mul_u64 s[8:9], s[24:25], s[30:31]
	v_dual_mul_f32 v1, v50, v1 :: v_dual_mul_f32 v42, v50, v42
	s_mul_u64 s[68:69], s[68:69], s[30:31]
	s_lshl_b64 s[8:9], s[8:9], 2
	s_lshl_b64 s[68:69], s[68:69], 2
	s_add_nc_u64 s[8:9], s[58:59], s[8:9]
	s_add_nc_u64 s[68:69], s[58:59], s[68:69]
	s_clause 0x1
	global_store_b32 v0, v1, s[8:9]
	global_store_b32 v0, v42, s[68:69]
	s_wait_xcnt 0x1
	s_or_b32 s8, s24, 2
	s_mov_b32 s9, s25
	s_wait_xcnt 0x0
	s_or_b32 s68, s24, 3
	s_mov_b32 s69, s25
	s_mul_u64 s[8:9], s[8:9], s[30:31]
	s_wait_dscnt 0x0
	v_dual_mul_f32 v1, v50, v40 :: v_dual_mul_f32 v40, v50, v41
	s_mul_u64 s[68:69], s[68:69], s[30:31]
	s_lshl_b64 s[8:9], s[8:9], 2
	s_lshl_b64 s[68:69], s[68:69], 2
	s_add_nc_u64 s[8:9], s[58:59], s[8:9]
	s_add_nc_u64 s[68:69], s[58:59], s[68:69]
	s_clause 0x1
	global_store_b32 v0, v1, s[8:9]
	global_store_b32 v0, v40, s[68:69]
	s_branch .LBB601_20
.LBB601_65:                             ;   in Loop: Header=BB601_21 Depth=2
	v_mov_b32_e32 v41, 0
	s_delay_alu instid0(VALU_DEP_1)
	v_dual_mov_b32 v40, v41 :: v_dual_mov_b32 v43, v41
	v_mov_b32_e32 v42, v41
.LBB601_66:                             ;   in Loop: Header=BB601_21 Depth=2
	s_or_b32 exec_lo, exec_lo, s67
	s_delay_alu instid0(SALU_CYCLE_1)
	s_or_b32 exec_lo, exec_lo, s11
	s_and_saveexec_b32 s6, s1
	s_cbranch_execnz .LBB601_24
	s_branch .LBB601_25
.LBB601_67:                             ;   in Loop: Header=BB601_3 Depth=1
	v_dual_mov_b32 v1, v0 :: v_dual_mov_b32 v2, v0
	v_mov_b32_e32 v3, v0
	s_mov_b32 s24, 0
	s_delay_alu instid0(VALU_DEP_1) | instskip(NEXT) | instid1(VALU_DEP_3)
	v_mov_b64_e32 v[4:5], v[2:3]
	v_mov_b64_e32 v[2:3], v[0:1]
.LBB601_68:                             ;   in Loop: Header=BB601_3 Depth=1
	s_cmp_ge_i32 s24, s29
	s_cbranch_scc1 .LBB601_2
; %bb.69:                               ;   in Loop: Header=BB601_3 Depth=1
	v_cmp_gt_u32_e32 vcc_lo, 24, v48
	v_add_nc_u64_e32 v[6:7], v[6:7], v[18:19]
	v_cndmask_b32_e64 v1, 0, 8, vcc_lo
	v_cmp_gt_u32_e32 vcc_lo, 28, v48
	s_delay_alu instid0(VALU_DEP_3) | instskip(NEXT) | instid1(VALU_DEP_3)
	v_mad_nc_u64_u32 v[36:37], s56, s24, v[6:7]
	v_add_lshl_u32 v1, v1, v48, 2
	v_cndmask_b32_e64 v6, 0, 4, vcc_lo
	v_cmp_gt_u32_e32 vcc_lo, 30, v48
	s_delay_alu instid0(VALU_DEP_2) | instskip(SKIP_3) | instid1(VALU_DEP_3)
	v_add_lshl_u32 v7, v6, v48, 2
	v_cndmask_b32_e64 v38, 0, 2, vcc_lo
	v_cmp_ne_u32_e32 vcc_lo, 31, v48
	v_mad_u32 v37, s57, s24, v37
	v_add_lshl_u32 v40, v38, v48, 2
	v_add_co_ci_u32_e64 v39, null, 0, v48, vcc_lo
	s_wait_dscnt 0x0
	s_delay_alu instid0(VALU_DEP_1)
	v_lshlrev_b32_e32 v41, 2, v39
	s_branch .LBB601_71
.LBB601_70:                             ;   in Loop: Header=BB601_71 Depth=2
	s_wait_xcnt 0x0
	s_or_b32 exec_lo, exec_lo, s6
	v_add_nc_u64_e32 v[36:37], s[56:57], v[36:37]
	s_add_co_i32 s24, s24, 1
	s_delay_alu instid0(SALU_CYCLE_1)
	s_cmp_ge_i32 s24, s29
	s_cbranch_scc1 .LBB601_2
.LBB601_71:                             ;   Parent Loop BB601_3 Depth=1
                                        ; =>  This Loop Header: Depth=2
                                        ;       Child Loop BB601_84 Depth 3
                                        ;       Child Loop BB601_87 Depth 3
	s_wait_dscnt 0x0
	v_mov_b32_e32 v6, s25
	s_and_saveexec_b32 s6, s4
	s_delay_alu instid0(SALU_CYCLE_1)
	s_xor_b32 s6, exec_lo, s6
	s_cbranch_execnz .LBB601_80
; %bb.72:                               ;   in Loop: Header=BB601_71 Depth=2
	s_and_not1_saveexec_b32 s11, s6
	s_cbranch_execnz .LBB601_81
.LBB601_73:                             ;   in Loop: Header=BB601_71 Depth=2
	s_or_b32 exec_lo, exec_lo, s11
	s_and_saveexec_b32 s6, s1
.LBB601_74:                             ;   in Loop: Header=BB601_71 Depth=2
	ds_store_b32 v46, v0
.LBB601_75:                             ;   in Loop: Header=BB601_71 Depth=2
	s_or_b32 exec_lo, exec_lo, s6
	ds_bpermute_b32 v38, v49, v6
	s_wait_storecnt_dscnt 0x0
	s_barrier_signal -1
	s_barrier_wait -1
	v_add_f32_e32 v6, v6, v38
	ds_bpermute_b32 v38, v1, v6
	s_wait_dscnt 0x0
	v_add_f32_e32 v6, v6, v38
	ds_bpermute_b32 v38, v7, v6
	s_wait_dscnt 0x0
	;; [unrolled: 3-line block ×3, first 2 shown]
	v_add_f32_e32 v6, v6, v38
	ds_bpermute_b32 v38, v41, v6
	s_and_saveexec_b32 s6, s3
	s_cbranch_execz .LBB601_77
; %bb.76:                               ;   in Loop: Header=BB601_71 Depth=2
	s_wait_dscnt 0x0
	v_add_f32_e32 v6, v6, v38
	ds_store_b32 v47, v6
.LBB601_77:                             ;   in Loop: Header=BB601_71 Depth=2
	s_or_b32 exec_lo, exec_lo, s6
	v_mov_b32_e32 v6, 0
	s_wait_dscnt 0x0
	s_barrier_signal -1
	s_barrier_wait -1
	s_and_saveexec_b32 s6, s2
	s_cbranch_execnz .LBB601_89
; %bb.78:                               ;   in Loop: Header=BB601_71 Depth=2
	s_or_b32 exec_lo, exec_lo, s6
	s_and_saveexec_b32 s6, s1
	s_cbranch_execnz .LBB601_90
.LBB601_79:                             ;   in Loop: Header=BB601_71 Depth=2
	s_or_b32 exec_lo, exec_lo, s6
	s_and_saveexec_b32 s6, s0
	s_cbranch_execz .LBB601_70
	s_branch .LBB601_91
.LBB601_80:                             ;   in Loop: Header=BB601_71 Depth=2
	s_mul_u64 s[8:9], s[24:25], s[26:27]
	s_delay_alu instid0(SALU_CYCLE_1)
	v_lshl_add_u64 v[2:3], s[8:9], 1, v[24:25]
	s_clause 0x1
	flat_load_u16 v4, v[28:29]
	flat_load_u16 v5, v[26:27]
	flat_load_b64 v[38:39], v[2:3]
	s_clause 0x1
	flat_load_u16 v6, v[32:33]
	flat_load_u16 v44, v[30:31]
	s_wait_loadcnt_dscnt 0x303
	s_wait_xcnt 0x2
	v_dual_lshlrev_b32 v3, 16, v4 :: v_dual_lshlrev_b32 v2, 16, v5
	s_wait_loadcnt_dscnt 0x202
	v_and_b32_e32 v5, 0xffff0000, v38
	v_lshlrev_b32_e32 v4, 16, v38
	v_and_b32_e32 v45, 0xffff0000, v39
	s_delay_alu instid0(VALU_DEP_2) | instskip(SKIP_2) | instid1(VALU_DEP_2)
	v_pk_mul_f32 v[42:43], v[2:3], v[4:5]
	s_wait_loadcnt_dscnt 0x0
	v_dual_lshlrev_b32 v5, 16, v6 :: v_dual_lshlrev_b32 v4, 16, v44
	v_dual_lshlrev_b32 v44, 16, v39 :: v_dual_add_f32 v6, 0, v42
	s_delay_alu instid0(VALU_DEP_1) | instskip(NEXT) | instid1(VALU_DEP_2)
	v_pk_mul_f32 v[38:39], v[4:5], v[44:45]
	v_add_f32_e32 v6, v6, v43
	s_delay_alu instid0(VALU_DEP_1) | instskip(NEXT) | instid1(VALU_DEP_1)
	v_add_f32_e32 v6, v6, v38
	v_add_f32_e32 v6, v6, v39
	s_wait_xcnt 0x0
	s_and_not1_saveexec_b32 s11, s6
	s_cbranch_execz .LBB601_73
.LBB601_81:                             ;   in Loop: Header=BB601_71 Depth=2
	s_and_saveexec_b32 s67, s5
	s_cbranch_execz .LBB601_88
; %bb.82:                               ;   in Loop: Header=BB601_71 Depth=2
	s_and_not1_b32 vcc_lo, exec_lo, s64
	s_cbranch_vccnz .LBB601_85
; %bb.83:                               ;   in Loop: Header=BB601_71 Depth=2
	v_mov_b64_e32 v[38:39], v[34:35]
	s_mov_b64 s[8:9], 0
.LBB601_84:                             ;   Parent Loop BB601_3 Depth=1
                                        ;     Parent Loop BB601_71 Depth=2
                                        ; =>    This Inner Loop Header: Depth=3
	flat_load_u16 v42, v[38:39]
	s_cmp_eq_u32 s8, 3
	s_wait_xcnt 0x0
	v_add_nc_u64_e32 v[38:39], s[48:49], v[38:39]
	s_cselect_b32 vcc_lo, -1, 0
	s_cmp_eq_u32 s8, 2
	s_cselect_b32 s6, -1, 0
	s_cmp_eq_u32 s8, 1
	s_cselect_b32 s7, -1, 0
	s_cmp_eq_u32 s8, 0
	s_add_nc_u64 s[8:9], s[8:9], 1
	s_wait_loadcnt_dscnt 0x0
	v_lshlrev_b32_e32 v42, 16, v42
	s_delay_alu instid0(VALU_DEP_1) | instskip(SKIP_1) | instid1(SALU_CYCLE_1)
	v_dual_cndmask_b32 v5, v5, v42, vcc_lo :: v_dual_cndmask_b32 v4, v4, v42, s6
	s_cselect_b32 vcc_lo, -1, 0
	v_dual_cndmask_b32 v3, v3, v42, s7 :: v_dual_cndmask_b32 v2, v2, v42, vcc_lo
	s_cmp_eq_u32 s62, s8
	s_cbranch_scc0 .LBB601_84
.LBB601_85:                             ;   in Loop: Header=BB601_71 Depth=2
	s_and_not1_b32 vcc_lo, exec_lo, s64
	s_cbranch_vccnz .LBB601_88
; %bb.86:                               ;   in Loop: Header=BB601_71 Depth=2
	v_mov_b64_e32 v[38:39], v[36:37]
	s_mov_b64 s[6:7], 0
.LBB601_87:                             ;   Parent Loop BB601_3 Depth=1
                                        ;     Parent Loop BB601_71 Depth=2
                                        ; =>    This Inner Loop Header: Depth=3
	flat_load_u16 v42, v[38:39]
	s_cmp_eq_u32 s6, 1
	s_wait_xcnt 0x0
	v_add_nc_u64_e32 v[38:39], 2, v[38:39]
	s_cselect_b32 vcc_lo, -1, 0
	s_cmp_eq_u32 s6, 2
	v_cndmask_b32_e32 v43, v2, v3, vcc_lo
	s_cselect_b32 vcc_lo, -1, 0
	s_cmp_eq_u32 s6, 3
	s_add_nc_u64 s[6:7], s[6:7], 1
	s_delay_alu instid0(VALU_DEP_1) | instskip(SKIP_2) | instid1(VALU_DEP_1)
	v_cndmask_b32_e32 v43, v43, v4, vcc_lo
	s_cselect_b32 vcc_lo, -1, 0
	s_cmp_lg_u32 s62, s6
	v_cndmask_b32_e32 v43, v43, v5, vcc_lo
	s_wait_loadcnt_dscnt 0x0
	s_delay_alu instid0(VALU_DEP_1)
	v_fma_mix_f32_bf16 v6, v43, v42, v6 op_sel_hi:[0,1,0]
	s_cbranch_scc1 .LBB601_87
.LBB601_88:                             ;   in Loop: Header=BB601_71 Depth=2
	s_or_b32 exec_lo, exec_lo, s67
	s_delay_alu instid0(SALU_CYCLE_1)
	s_or_b32 exec_lo, exec_lo, s11
	s_and_saveexec_b32 s6, s1
	s_cbranch_execnz .LBB601_74
	s_branch .LBB601_75
.LBB601_89:                             ;   in Loop: Header=BB601_71 Depth=2
	ds_load_b32 v6, v46
	s_or_b32 exec_lo, exec_lo, s6
	s_and_saveexec_b32 s6, s1
	s_cbranch_execz .LBB601_79
.LBB601_90:                             ;   in Loop: Header=BB601_71 Depth=2
	s_wait_dscnt 0x0
	ds_bpermute_b32 v38, v7, v6
	s_wait_dscnt 0x0
	v_add_f32_e32 v6, v6, v38
	ds_bpermute_b32 v38, v40, v6
	s_wait_dscnt 0x0
	v_add_f32_e32 v6, v6, v38
	;; [unrolled: 3-line block ×3, first 2 shown]
	s_or_b32 exec_lo, exec_lo, s6
	s_and_saveexec_b32 s6, s0
	s_cbranch_execz .LBB601_70
.LBB601_91:                             ;   in Loop: Header=BB601_71 Depth=2
	s_mul_u64 s[8:9], s[24:25], s[30:31]
	s_wait_dscnt 0x0
	v_mul_f32_e32 v6, v50, v6
	s_lshl_b64 s[8:9], s[8:9], 2
	s_delay_alu instid0(SALU_CYCLE_1)
	s_add_nc_u64 s[8:9], s[58:59], s[8:9]
	global_store_b32 v0, v6, s[8:9]
	s_branch .LBB601_70
.LBB601_92:
	s_sendmsg sendmsg(MSG_DEALLOC_VGPRS)
	s_endpgm
	.section	.rodata,"a",@progbits
	.p2align	6, 0x0
	.amdhsa_kernel _ZL23rocblas_gemvt_sn_kernelILb0ELi256ELi4ElPK16rocblas_bfloat16PKffEviiT4_lPKT3_lilS8_lilPT5_i
		.amdhsa_group_segment_fixed_size 128
		.amdhsa_private_segment_fixed_size 0
		.amdhsa_kernarg_size 360
		.amdhsa_user_sgpr_count 2
		.amdhsa_user_sgpr_dispatch_ptr 0
		.amdhsa_user_sgpr_queue_ptr 0
		.amdhsa_user_sgpr_kernarg_segment_ptr 1
		.amdhsa_user_sgpr_dispatch_id 0
		.amdhsa_user_sgpr_kernarg_preload_length 0
		.amdhsa_user_sgpr_kernarg_preload_offset 0
		.amdhsa_user_sgpr_private_segment_size 0
		.amdhsa_wavefront_size32 1
		.amdhsa_uses_dynamic_stack 0
		.amdhsa_enable_private_segment 0
		.amdhsa_system_sgpr_workgroup_id_x 1
		.amdhsa_system_sgpr_workgroup_id_y 0
		.amdhsa_system_sgpr_workgroup_id_z 1
		.amdhsa_system_sgpr_workgroup_info 0
		.amdhsa_system_vgpr_workitem_id 0
		.amdhsa_next_free_vgpr 74
		.amdhsa_next_free_sgpr 70
		.amdhsa_named_barrier_count 0
		.amdhsa_reserve_vcc 1
		.amdhsa_float_round_mode_32 0
		.amdhsa_float_round_mode_16_64 0
		.amdhsa_float_denorm_mode_32 3
		.amdhsa_float_denorm_mode_16_64 3
		.amdhsa_fp16_overflow 0
		.amdhsa_memory_ordered 1
		.amdhsa_forward_progress 1
		.amdhsa_inst_pref_size 33
		.amdhsa_round_robin_scheduling 0
		.amdhsa_exception_fp_ieee_invalid_op 0
		.amdhsa_exception_fp_denorm_src 0
		.amdhsa_exception_fp_ieee_div_zero 0
		.amdhsa_exception_fp_ieee_overflow 0
		.amdhsa_exception_fp_ieee_underflow 0
		.amdhsa_exception_fp_ieee_inexact 0
		.amdhsa_exception_int_div_zero 0
	.end_amdhsa_kernel
	.section	.text._ZL23rocblas_gemvt_sn_kernelILb0ELi256ELi4ElPK16rocblas_bfloat16PKffEviiT4_lPKT3_lilS8_lilPT5_i,"axG",@progbits,_ZL23rocblas_gemvt_sn_kernelILb0ELi256ELi4ElPK16rocblas_bfloat16PKffEviiT4_lPKT3_lilS8_lilPT5_i,comdat
.Lfunc_end601:
	.size	_ZL23rocblas_gemvt_sn_kernelILb0ELi256ELi4ElPK16rocblas_bfloat16PKffEviiT4_lPKT3_lilS8_lilPT5_i, .Lfunc_end601-_ZL23rocblas_gemvt_sn_kernelILb0ELi256ELi4ElPK16rocblas_bfloat16PKffEviiT4_lPKT3_lilS8_lilPT5_i
                                        ; -- End function
	.set _ZL23rocblas_gemvt_sn_kernelILb0ELi256ELi4ElPK16rocblas_bfloat16PKffEviiT4_lPKT3_lilS8_lilPT5_i.num_vgpr, 74
	.set _ZL23rocblas_gemvt_sn_kernelILb0ELi256ELi4ElPK16rocblas_bfloat16PKffEviiT4_lPKT3_lilS8_lilPT5_i.num_agpr, 0
	.set _ZL23rocblas_gemvt_sn_kernelILb0ELi256ELi4ElPK16rocblas_bfloat16PKffEviiT4_lPKT3_lilS8_lilPT5_i.numbered_sgpr, 70
	.set _ZL23rocblas_gemvt_sn_kernelILb0ELi256ELi4ElPK16rocblas_bfloat16PKffEviiT4_lPKT3_lilS8_lilPT5_i.num_named_barrier, 0
	.set _ZL23rocblas_gemvt_sn_kernelILb0ELi256ELi4ElPK16rocblas_bfloat16PKffEviiT4_lPKT3_lilS8_lilPT5_i.private_seg_size, 0
	.set _ZL23rocblas_gemvt_sn_kernelILb0ELi256ELi4ElPK16rocblas_bfloat16PKffEviiT4_lPKT3_lilS8_lilPT5_i.uses_vcc, 1
	.set _ZL23rocblas_gemvt_sn_kernelILb0ELi256ELi4ElPK16rocblas_bfloat16PKffEviiT4_lPKT3_lilS8_lilPT5_i.uses_flat_scratch, 1
	.set _ZL23rocblas_gemvt_sn_kernelILb0ELi256ELi4ElPK16rocblas_bfloat16PKffEviiT4_lPKT3_lilS8_lilPT5_i.has_dyn_sized_stack, 0
	.set _ZL23rocblas_gemvt_sn_kernelILb0ELi256ELi4ElPK16rocblas_bfloat16PKffEviiT4_lPKT3_lilS8_lilPT5_i.has_recursion, 0
	.set _ZL23rocblas_gemvt_sn_kernelILb0ELi256ELi4ElPK16rocblas_bfloat16PKffEviiT4_lPKT3_lilS8_lilPT5_i.has_indirect_call, 0
	.section	.AMDGPU.csdata,"",@progbits
; Kernel info:
; codeLenInByte = 4220
; TotalNumSgprs: 72
; NumVgprs: 74
; ScratchSize: 0
; MemoryBound: 0
; FloatMode: 240
; IeeeMode: 1
; LDSByteSize: 128 bytes/workgroup (compile time only)
; SGPRBlocks: 0
; VGPRBlocks: 4
; NumSGPRsForWavesPerEU: 72
; NumVGPRsForWavesPerEU: 74
; NamedBarCnt: 0
; Occupancy: 12
; WaveLimiterHint : 0
; COMPUTE_PGM_RSRC2:SCRATCH_EN: 0
; COMPUTE_PGM_RSRC2:USER_SGPR: 2
; COMPUTE_PGM_RSRC2:TRAP_HANDLER: 0
; COMPUTE_PGM_RSRC2:TGID_X_EN: 1
; COMPUTE_PGM_RSRC2:TGID_Y_EN: 0
; COMPUTE_PGM_RSRC2:TGID_Z_EN: 1
; COMPUTE_PGM_RSRC2:TIDIG_COMP_CNT: 0
	.section	.text._ZL23rocblas_gemvt_sn_reduceILi256ELi8EfPKfKP16rocblas_bfloat16EviT2_lPT3_lilPT1_i,"axG",@progbits,_ZL23rocblas_gemvt_sn_reduceILi256ELi8EfPKfKP16rocblas_bfloat16EviT2_lPT3_lilPT1_i,comdat
	.globl	_ZL23rocblas_gemvt_sn_reduceILi256ELi8EfPKfKP16rocblas_bfloat16EviT2_lPT3_lilPT1_i ; -- Begin function _ZL23rocblas_gemvt_sn_reduceILi256ELi8EfPKfKP16rocblas_bfloat16EviT2_lPT3_lilPT1_i
	.p2align	8
	.type	_ZL23rocblas_gemvt_sn_reduceILi256ELi8EfPKfKP16rocblas_bfloat16EviT2_lPT3_lilPT1_i,@function
_ZL23rocblas_gemvt_sn_reduceILi256ELi8EfPKfKP16rocblas_bfloat16EviT2_lPT3_lilPT1_i: ; @_ZL23rocblas_gemvt_sn_reduceILi256ELi8EfPKfKP16rocblas_bfloat16EviT2_lPT3_lilPT1_i
; %bb.0:
	s_load_b32 s28, s[0:1], 0x40
	s_bfe_u32 s2, ttmp6, 0x40014
	s_lshr_b32 s3, ttmp7, 16
	s_add_co_i32 s2, s2, 1
	s_bfe_u32 s5, ttmp6, 0x40008
	s_mul_i32 s4, s3, s2
	s_getreg_b32 s2, hwreg(HW_REG_IB_STS2, 6, 4)
	s_add_co_i32 s5, s5, s4
	s_cmp_eq_u32 s2, 0
	s_mov_b32 s7, 0
	s_cselect_b32 s6, s3, s5
	s_wait_kmcnt 0x0
	s_cmp_ge_u32 s6, s28
	s_cbranch_scc1 .LBB602_31
; %bb.1:
	s_clause 0x5
	s_load_b32 s16, s[0:1], 0x0
	s_load_b32 s29, s[0:1], 0x4c
	;; [unrolled: 1-line block ×4, first 2 shown]
	s_load_b64 s[18:19], s[0:1], 0x38
	s_load_b256 s[8:15], s[0:1], 0x8
	v_mbcnt_lo_u32_b32 v6, -1, 0
	s_wait_xcnt 0x0
	s_bfe_u32 s0, ttmp6, 0x40010
	v_dual_mov_b32 v3, 0 :: v_dual_lshlrev_b32 v8, 3, v0
	v_and_b32_e32 v1, 31, v0
	v_cmp_gt_u32_e32 vcc_lo, 24, v6
	s_and_b32 s1, ttmp7, 0xffff
	s_add_co_i32 s5, s0, 1
	s_bfe_u32 s4, ttmp6, 0x40004
	s_mul_i32 s5, s1, s5
	v_cndmask_b32_e64 v4, 0, 8, vcc_lo
	v_cmp_gt_u32_e32 vcc_lo, 28, v6
	s_add_co_i32 s4, s4, s5
	v_cmp_gt_u32_e64 s0, 32, v0
	v_mov_b32_e32 v5, v3
	v_add_lshl_u32 v11, v4, v6, 2
	v_cndmask_b32_e64 v7, 0, 4, vcc_lo
	v_cmp_gt_u32_e32 vcc_lo, 30, v6
	v_dual_lshlrev_b32 v4, 5, v0 :: v_dual_lshlrev_b32 v9, 2, v1
	s_wait_kmcnt 0x0
	s_ashr_i32 s17, s16, 31
	s_ashr_i32 s23, s22, 31
	s_cmp_eq_u32 s2, 0
	v_cndmask_b32_e64 v13, 0, 2, vcc_lo
	s_cselect_b32 s20, s1, s4
	s_lshr_b32 s1, s17, 29
	v_cmp_ne_u32_e32 vcc_lo, 31, v6
	v_add_nc_u64_e32 v[4:5], s[18:19], v[4:5]
	s_add_co_i32 s1, s16, s1
	v_add_lshl_u32 v12, v7, v6, 2
	s_and_b32 s30, s1, -8
	v_add_co_ci_u32_e64 v14, null, 0, v6, vcc_lo
	v_lshrrev_b32_e32 v7, 3, v0
	s_sub_co_i32 s2, s16, s30
	v_xad_u32 v2, v0, -1, s16
	s_and_b32 s24, s3, 0xffff
	v_cmp_gt_u32_e64 s2, s2, v0
	v_cmp_eq_u32_e64 s3, 0, v1
	v_cmp_gt_u32_e64 s4, 8, v0
	v_cmp_eq_u32_e64 s5, 0, v0
	v_add_nc_u64_e32 v[0:1], 28, v[4:5]
	s_mov_b32 s21, s7
	v_cmp_gt_i32_e64 s1, s30, v8
	v_lshl_or_b32 v10, v6, 2, 64
	v_add_lshl_u32 v13, v13, v6, 2
	v_dual_lshlrev_b32 v14, 2, v14 :: v_dual_bitop2_b32 v15, 28, v7 bitop3:0x40
	s_mul_u64 s[26:27], s[22:23], s[20:21]
	s_mul_i32 s21, s6, s29
	s_lshl_b32 s31, s24, 3
	s_lshl_b64 s[22:23], s[16:17], 2
	s_add_co_i32 s21, s20, s21
	s_lshl_b32 s33, s29, 16
	s_lshl_b32 s24, s24, 5
	s_mov_b32 s25, s7
	s_lshl_b64 s[14:15], s[14:15], 1
	s_lshl_b64 s[26:27], s[26:27], 1
	s_branch .LBB602_5
.LBB602_2:                              ;   in Loop: Header=BB602_5 Depth=1
	s_or_b32 exec_lo, exec_lo, s35
.LBB602_3:                              ;   in Loop: Header=BB602_5 Depth=1
	flat_store_d16_hi_b16 v[4:5], v7
.LBB602_4:                              ;   in Loop: Header=BB602_5 Depth=1
	s_wait_xcnt 0x0
	s_or_b32 exec_lo, exec_lo, s34
	s_add_co_i32 s6, s6, 0x10000
	s_add_co_i32 s21, s21, s33
	s_cmp_lt_u32 s6, s28
	s_cbranch_scc0 .LBB602_31
.LBB602_5:                              ; =>This Loop Header: Depth=1
                                        ;     Child Loop BB602_15 Depth 2
	s_wait_dscnt 0x0
	v_dual_mov_b32 v6, s6 :: v_dual_mov_b32 v17, 0
	s_mul_u64 s[34:35], s[10:11], s[6:7]
	s_delay_alu instid0(SALU_CYCLE_1) | instskip(NEXT) | instid1(SALU_CYCLE_1)
	s_lshl_b64 s[34:35], s[34:35], 2
	s_add_nc_u64 s[34:35], s[8:9], s[34:35]
	global_load_b64 v[4:5], v6, s[12:13] scale_offset
	global_load_b32 v16, v3, s[34:35]
	s_wait_xcnt 0x0
	s_and_saveexec_b32 s34, s1
	s_cbranch_execnz .LBB602_14
; %bb.6:                                ;   in Loop: Header=BB602_5 Depth=1
	s_or_b32 exec_lo, exec_lo, s34
	s_and_saveexec_b32 s34, s2
	s_cbranch_execnz .LBB602_17
.LBB602_7:                              ;   in Loop: Header=BB602_5 Depth=1
	s_or_b32 exec_lo, exec_lo, s34
	s_and_saveexec_b32 s34, s0
.LBB602_8:                              ;   in Loop: Header=BB602_5 Depth=1
	ds_store_b32 v9, v3
.LBB602_9:                              ;   in Loop: Header=BB602_5 Depth=1
	s_or_b32 exec_lo, exec_lo, s34
	ds_bpermute_b32 v6, v10, v17
	s_wait_loadcnt_dscnt 0x0
	s_barrier_signal -1
	s_barrier_wait -1
	v_add_f32_e32 v6, v17, v6
	ds_bpermute_b32 v7, v11, v6
	s_wait_dscnt 0x0
	v_add_f32_e32 v6, v6, v7
	ds_bpermute_b32 v7, v12, v6
	s_wait_dscnt 0x0
	;; [unrolled: 3-line block ×3, first 2 shown]
	v_add_f32_e32 v6, v6, v7
	ds_bpermute_b32 v7, v14, v6
	s_and_saveexec_b32 s34, s3
	s_cbranch_execz .LBB602_11
; %bb.10:                               ;   in Loop: Header=BB602_5 Depth=1
	s_wait_dscnt 0x0
	v_add_f32_e32 v6, v6, v7
	ds_store_b32 v15, v6
.LBB602_11:                             ;   in Loop: Header=BB602_5 Depth=1
	s_or_b32 exec_lo, exec_lo, s34
	v_mov_b32_e32 v6, 0
	s_wait_dscnt 0x0
	s_barrier_signal -1
	s_barrier_wait -1
	s_and_saveexec_b32 s34, s4
	s_cbranch_execnz .LBB602_18
; %bb.12:                               ;   in Loop: Header=BB602_5 Depth=1
	s_or_b32 exec_lo, exec_lo, s34
	s_and_saveexec_b32 s34, s0
	s_cbranch_execnz .LBB602_19
.LBB602_13:                             ;   in Loop: Header=BB602_5 Depth=1
	s_or_b32 exec_lo, exec_lo, s34
	s_and_saveexec_b32 s34, s5
	s_cbranch_execz .LBB602_4
	s_branch .LBB602_20
.LBB602_14:                             ;   in Loop: Header=BB602_5 Depth=1
	v_mad_nc_u64_u32 v[6:7], s22, s21, v[0:1]
	v_dual_mov_b32 v17, 0 :: v_dual_mov_b32 v18, v8
	s_mov_b32 s35, 0
	s_delay_alu instid0(VALU_DEP_2)
	v_mad_u32 v7, s23, s21, v7
.LBB602_15:                             ;   Parent Loop BB602_5 Depth=1
                                        ; =>  This Inner Loop Header: Depth=2
	s_clause 0x1
	global_load_b128 v[20:23], v[6:7], off offset:-28
	global_load_b128 v[24:27], v[6:7], off offset:-12
	s_wait_xcnt 0x0
	v_add_nc_u64_e32 v[6:7], s[24:25], v[6:7]
	v_add_nc_u32_e32 v18, s31, v18
	s_delay_alu instid0(VALU_DEP_1) | instskip(SKIP_3) | instid1(VALU_DEP_1)
	v_cmp_le_i32_e32 vcc_lo, s30, v18
	s_or_b32 s35, vcc_lo, s35
	s_wait_loadcnt 0x1
	v_add_f32_e32 v17, v17, v20
	v_add_f32_e32 v17, v17, v21
	s_delay_alu instid0(VALU_DEP_1) | instskip(NEXT) | instid1(VALU_DEP_1)
	v_add_f32_e32 v17, v17, v22
	v_add_f32_e32 v17, v17, v23
	s_wait_loadcnt 0x0
	s_delay_alu instid0(VALU_DEP_1) | instskip(NEXT) | instid1(VALU_DEP_1)
	v_add_f32_e32 v17, v17, v24
	v_add_f32_e32 v17, v17, v25
	s_delay_alu instid0(VALU_DEP_1) | instskip(NEXT) | instid1(VALU_DEP_1)
	v_add_f32_e32 v17, v17, v26
	v_add_f32_e32 v17, v17, v27
	s_and_not1_b32 exec_lo, exec_lo, s35
	s_cbranch_execnz .LBB602_15
; %bb.16:                               ;   in Loop: Header=BB602_5 Depth=1
	s_or_b32 exec_lo, exec_lo, s35
	s_delay_alu instid0(SALU_CYCLE_1)
	s_or_b32 exec_lo, exec_lo, s34
	s_and_saveexec_b32 s34, s2
	s_cbranch_execz .LBB602_7
.LBB602_17:                             ;   in Loop: Header=BB602_5 Depth=1
	s_mul_i32 s35, s29, s6
	s_mov_b32 s37, s7
	s_add_co_i32 s36, s35, s20
	s_delay_alu instid0(SALU_CYCLE_1) | instskip(NEXT) | instid1(SALU_CYCLE_1)
	s_mul_u64 s[36:37], s[36:37], s[16:17]
	s_lshl_b64 s[36:37], s[36:37], 2
	s_delay_alu instid0(SALU_CYCLE_1) | instskip(NEXT) | instid1(SALU_CYCLE_1)
	s_add_nc_u64 s[36:37], s[18:19], s[36:37]
	v_lshl_add_u64 v[6:7], v[2:3], 2, s[36:37]
	global_load_b32 v6, v[6:7], off
	s_wait_loadcnt 0x0
	v_add_f32_e32 v17, v17, v6
	s_wait_xcnt 0x0
	s_or_b32 exec_lo, exec_lo, s34
	s_and_saveexec_b32 s34, s0
	s_cbranch_execnz .LBB602_8
	s_branch .LBB602_9
.LBB602_18:                             ;   in Loop: Header=BB602_5 Depth=1
	ds_load_b32 v6, v9
	s_or_b32 exec_lo, exec_lo, s34
	s_and_saveexec_b32 s34, s0
	s_cbranch_execz .LBB602_13
.LBB602_19:                             ;   in Loop: Header=BB602_5 Depth=1
	s_wait_dscnt 0x0
	ds_bpermute_b32 v7, v12, v6
	s_wait_dscnt 0x0
	v_add_f32_e32 v6, v6, v7
	ds_bpermute_b32 v7, v13, v6
	s_wait_dscnt 0x0
	v_add_f32_e32 v6, v6, v7
	;; [unrolled: 3-line block ×3, first 2 shown]
	s_or_b32 exec_lo, exec_lo, s34
	s_and_saveexec_b32 s34, s5
	s_cbranch_execz .LBB602_4
.LBB602_20:                             ;   in Loop: Header=BB602_5 Depth=1
	v_cmp_eq_f32_e32 vcc_lo, 0, v16
	s_cbranch_vccz .LBB602_26
; %bb.21:                               ;   in Loop: Header=BB602_5 Depth=1
	s_wait_dscnt 0x0
	v_and_b32_e32 v7, 0x7f800000, v6
	s_delay_alu instid0(VALU_DEP_1) | instskip(SKIP_1) | instid1(SALU_CYCLE_1)
	v_cmp_ne_u32_e32 vcc_lo, 0x7f800000, v7
                                        ; implicit-def: $vgpr7
	s_and_saveexec_b32 s35, vcc_lo
	s_xor_b32 s35, exec_lo, s35
; %bb.22:                               ;   in Loop: Header=BB602_5 Depth=1
	v_bfe_u32 v7, v6, 16, 1
	s_delay_alu instid0(VALU_DEP_1)
	v_add3_u32 v7, v6, v7, 0x7fff
; %bb.23:                               ;   in Loop: Header=BB602_5 Depth=1
	s_and_not1_saveexec_b32 s35, s35
; %bb.24:                               ;   in Loop: Header=BB602_5 Depth=1
	v_and_b32_e32 v7, 0xffff, v6
	v_or_b32_e32 v17, 0x10000, v6
	s_delay_alu instid0(VALU_DEP_2) | instskip(NEXT) | instid1(VALU_DEP_2)
	v_cmp_eq_u32_e32 vcc_lo, 0, v7
	v_cndmask_b32_e32 v7, v17, v6, vcc_lo
; %bb.25:                               ;   in Loop: Header=BB602_5 Depth=1
	s_or_b32 exec_lo, exec_lo, s35
	v_add_nc_u64_e32 v[4:5], s[14:15], v[4:5]
	s_delay_alu instid0(VALU_DEP_1)
	v_add_nc_u64_e32 v[4:5], s[26:27], v[4:5]
	s_cbranch_execnz .LBB602_3
	s_branch .LBB602_27
.LBB602_26:                             ;   in Loop: Header=BB602_5 Depth=1
                                        ; implicit-def: $vgpr7
	v_add_nc_u64_e32 v[4:5], s[14:15], v[4:5]
	s_delay_alu instid0(VALU_DEP_1)
	v_add_nc_u64_e32 v[4:5], s[26:27], v[4:5]
.LBB602_27:                             ;   in Loop: Header=BB602_5 Depth=1
	flat_load_u16 v7, v[4:5]
	s_wait_loadcnt_dscnt 0x0
	v_fma_mix_f32_bf16 v6, v16, v7, v6 op_sel_hi:[0,1,0]
	s_delay_alu instid0(VALU_DEP_1) | instskip(NEXT) | instid1(VALU_DEP_1)
	v_and_b32_e32 v7, 0x7f800000, v6
	v_cmp_ne_u32_e32 vcc_lo, 0x7f800000, v7
                                        ; implicit-def: $vgpr7
	s_wait_xcnt 0x0
	s_and_saveexec_b32 s35, vcc_lo
	s_delay_alu instid0(SALU_CYCLE_1)
	s_xor_b32 s35, exec_lo, s35
; %bb.28:                               ;   in Loop: Header=BB602_5 Depth=1
	v_bfe_u32 v7, v6, 16, 1
	s_delay_alu instid0(VALU_DEP_1)
	v_add3_u32 v7, v6, v7, 0x7fff
                                        ; implicit-def: $vgpr6
; %bb.29:                               ;   in Loop: Header=BB602_5 Depth=1
	s_and_not1_saveexec_b32 s35, s35
	s_cbranch_execz .LBB602_2
; %bb.30:                               ;   in Loop: Header=BB602_5 Depth=1
	v_and_b32_e32 v7, 0xffff, v6
	v_or_b32_e32 v16, 0x10000, v6
	s_delay_alu instid0(VALU_DEP_2) | instskip(NEXT) | instid1(VALU_DEP_2)
	v_cmp_eq_u32_e32 vcc_lo, 0, v7
	v_cndmask_b32_e32 v7, v16, v6, vcc_lo
	s_branch .LBB602_2
.LBB602_31:
	s_endpgm
	.section	.rodata,"a",@progbits
	.p2align	6, 0x0
	.amdhsa_kernel _ZL23rocblas_gemvt_sn_reduceILi256ELi8EfPKfKP16rocblas_bfloat16EviT2_lPT3_lilPT1_i
		.amdhsa_group_segment_fixed_size 128
		.amdhsa_private_segment_fixed_size 0
		.amdhsa_kernarg_size 328
		.amdhsa_user_sgpr_count 2
		.amdhsa_user_sgpr_dispatch_ptr 0
		.amdhsa_user_sgpr_queue_ptr 0
		.amdhsa_user_sgpr_kernarg_segment_ptr 1
		.amdhsa_user_sgpr_dispatch_id 0
		.amdhsa_user_sgpr_kernarg_preload_length 0
		.amdhsa_user_sgpr_kernarg_preload_offset 0
		.amdhsa_user_sgpr_private_segment_size 0
		.amdhsa_wavefront_size32 1
		.amdhsa_uses_dynamic_stack 0
		.amdhsa_enable_private_segment 0
		.amdhsa_system_sgpr_workgroup_id_x 1
		.amdhsa_system_sgpr_workgroup_id_y 1
		.amdhsa_system_sgpr_workgroup_id_z 1
		.amdhsa_system_sgpr_workgroup_info 0
		.amdhsa_system_vgpr_workitem_id 0
		.amdhsa_next_free_vgpr 28
		.amdhsa_next_free_sgpr 38
		.amdhsa_named_barrier_count 0
		.amdhsa_reserve_vcc 1
		.amdhsa_float_round_mode_32 0
		.amdhsa_float_round_mode_16_64 0
		.amdhsa_float_denorm_mode_32 3
		.amdhsa_float_denorm_mode_16_64 3
		.amdhsa_fp16_overflow 0
		.amdhsa_memory_ordered 1
		.amdhsa_forward_progress 1
		.amdhsa_inst_pref_size 11
		.amdhsa_round_robin_scheduling 0
		.amdhsa_exception_fp_ieee_invalid_op 0
		.amdhsa_exception_fp_denorm_src 0
		.amdhsa_exception_fp_ieee_div_zero 0
		.amdhsa_exception_fp_ieee_overflow 0
		.amdhsa_exception_fp_ieee_underflow 0
		.amdhsa_exception_fp_ieee_inexact 0
		.amdhsa_exception_int_div_zero 0
	.end_amdhsa_kernel
	.section	.text._ZL23rocblas_gemvt_sn_reduceILi256ELi8EfPKfKP16rocblas_bfloat16EviT2_lPT3_lilPT1_i,"axG",@progbits,_ZL23rocblas_gemvt_sn_reduceILi256ELi8EfPKfKP16rocblas_bfloat16EviT2_lPT3_lilPT1_i,comdat
.Lfunc_end602:
	.size	_ZL23rocblas_gemvt_sn_reduceILi256ELi8EfPKfKP16rocblas_bfloat16EviT2_lPT3_lilPT1_i, .Lfunc_end602-_ZL23rocblas_gemvt_sn_reduceILi256ELi8EfPKfKP16rocblas_bfloat16EviT2_lPT3_lilPT1_i
                                        ; -- End function
	.set _ZL23rocblas_gemvt_sn_reduceILi256ELi8EfPKfKP16rocblas_bfloat16EviT2_lPT3_lilPT1_i.num_vgpr, 28
	.set _ZL23rocblas_gemvt_sn_reduceILi256ELi8EfPKfKP16rocblas_bfloat16EviT2_lPT3_lilPT1_i.num_agpr, 0
	.set _ZL23rocblas_gemvt_sn_reduceILi256ELi8EfPKfKP16rocblas_bfloat16EviT2_lPT3_lilPT1_i.numbered_sgpr, 38
	.set _ZL23rocblas_gemvt_sn_reduceILi256ELi8EfPKfKP16rocblas_bfloat16EviT2_lPT3_lilPT1_i.num_named_barrier, 0
	.set _ZL23rocblas_gemvt_sn_reduceILi256ELi8EfPKfKP16rocblas_bfloat16EviT2_lPT3_lilPT1_i.private_seg_size, 0
	.set _ZL23rocblas_gemvt_sn_reduceILi256ELi8EfPKfKP16rocblas_bfloat16EviT2_lPT3_lilPT1_i.uses_vcc, 1
	.set _ZL23rocblas_gemvt_sn_reduceILi256ELi8EfPKfKP16rocblas_bfloat16EviT2_lPT3_lilPT1_i.uses_flat_scratch, 0
	.set _ZL23rocblas_gemvt_sn_reduceILi256ELi8EfPKfKP16rocblas_bfloat16EviT2_lPT3_lilPT1_i.has_dyn_sized_stack, 0
	.set _ZL23rocblas_gemvt_sn_reduceILi256ELi8EfPKfKP16rocblas_bfloat16EviT2_lPT3_lilPT1_i.has_recursion, 0
	.set _ZL23rocblas_gemvt_sn_reduceILi256ELi8EfPKfKP16rocblas_bfloat16EviT2_lPT3_lilPT1_i.has_indirect_call, 0
	.section	.AMDGPU.csdata,"",@progbits
; Kernel info:
; codeLenInByte = 1336
; TotalNumSgprs: 40
; NumVgprs: 28
; ScratchSize: 0
; MemoryBound: 0
; FloatMode: 240
; IeeeMode: 1
; LDSByteSize: 128 bytes/workgroup (compile time only)
; SGPRBlocks: 0
; VGPRBlocks: 1
; NumSGPRsForWavesPerEU: 40
; NumVGPRsForWavesPerEU: 28
; NamedBarCnt: 0
; Occupancy: 16
; WaveLimiterHint : 1
; COMPUTE_PGM_RSRC2:SCRATCH_EN: 0
; COMPUTE_PGM_RSRC2:USER_SGPR: 2
; COMPUTE_PGM_RSRC2:TRAP_HANDLER: 0
; COMPUTE_PGM_RSRC2:TGID_X_EN: 1
; COMPUTE_PGM_RSRC2:TGID_Y_EN: 1
; COMPUTE_PGM_RSRC2:TGID_Z_EN: 1
; COMPUTE_PGM_RSRC2:TIDIG_COMP_CNT: 0
	.section	.text._ZL23rocblas_gemvt_sn_kernelILb0ELi256ELi4EiPK16rocblas_bfloat16ffEviiT4_lPKT3_lilS6_lilPT5_i,"axG",@progbits,_ZL23rocblas_gemvt_sn_kernelILb0ELi256ELi4EiPK16rocblas_bfloat16ffEviiT4_lPKT3_lilS6_lilPT5_i,comdat
	.globl	_ZL23rocblas_gemvt_sn_kernelILb0ELi256ELi4EiPK16rocblas_bfloat16ffEviiT4_lPKT3_lilS6_lilPT5_i ; -- Begin function _ZL23rocblas_gemvt_sn_kernelILb0ELi256ELi4EiPK16rocblas_bfloat16ffEviiT4_lPKT3_lilS6_lilPT5_i
	.p2align	8
	.type	_ZL23rocblas_gemvt_sn_kernelILb0ELi256ELi4EiPK16rocblas_bfloat16ffEviiT4_lPKT3_lilS6_lilPT5_i,@function
_ZL23rocblas_gemvt_sn_kernelILb0ELi256ELi4EiPK16rocblas_bfloat16ffEviiT4_lPKT3_lilS6_lilPT5_i: ; @_ZL23rocblas_gemvt_sn_kernelILb0ELi256ELi4EiPK16rocblas_bfloat16ffEviiT4_lPKT3_lilS6_lilPT5_i
; %bb.0:
	s_load_b32 s23, s[0:1], 0x60
	s_bfe_u32 s2, ttmp6, 0x40014
	s_lshr_b32 s3, ttmp7, 16
	s_add_co_i32 s2, s2, 1
	s_bfe_u32 s5, ttmp6, 0x40008
	s_mul_i32 s2, s3, s2
	s_getreg_b32 s4, hwreg(HW_REG_IB_STS2, 6, 4)
	s_add_co_i32 s5, s5, s2
	s_cmp_eq_u32 s4, 0
	s_mov_b32 s25, 0
	s_cselect_b32 s10, s3, s5
	s_wait_kmcnt 0x0
	s_cmp_ge_u32 s10, s23
	s_cbranch_scc1 .LBB603_94
; %bb.1:
	s_clause 0x6
	s_load_b96 s[20:22], s[0:1], 0x0
	s_load_b128 s[12:15], s[0:1], 0x18
	s_load_b32 s26, s[0:1], 0x28
	s_load_b128 s[16:19], s[0:1], 0x38
	s_load_b32 s33, s[0:1], 0x48
	s_load_b64 s[28:29], s[0:1], 0x58
	s_load_b32 s30, s[0:1], 0x68
	s_wait_xcnt 0x0
	v_cmp_eq_u32_e64 s0, 0, v0
	v_dual_lshrrev_b32 v2, 3, v0 :: v_dual_bitop2_b32 v1, 31, v0 bitop3:0x40
	v_cmp_gt_u32_e64 s1, 32, v0
	v_cmp_gt_u32_e64 s2, 8, v0
	v_mbcnt_lo_u32_b32 v40, -1, 0
	s_delay_alu instid0(VALU_DEP_4)
	v_cmp_eq_u32_e64 s3, 0, v1
	v_dual_lshlrev_b32 v38, 2, v1 :: v_dual_bitop2_b32 v39, 28, v2 bitop3:0x40
	v_mov_b64_e32 v[18:19], 0
	s_mov_b32 s35, s25
	v_lshl_or_b32 v41, v40, 2, 64
	s_mov_b32 s31, s25
	s_wait_kmcnt 0x0
	s_cmp_neq_f32 s22, 0
	s_mov_b32 s6, s21
	s_mov_b32 s27, s25
	;; [unrolled: 1-line block ×3, first 2 shown]
	s_cselect_b32 s62, -1, 0
	s_cmp_eq_f32 s22, 0
	s_cselect_b32 s63, -1, 0
	s_ashr_i32 s7, s21, 31
	s_cmp_gt_i32 s21, 0
	s_mul_u64 s[36:37], s[6:7], s[30:31]
	s_cselect_b32 s5, -1, 0
	s_bfe_u32 s8, ttmp6, 0x4000c
	s_and_b32 s9, ttmp6, 15
	s_add_co_i32 s8, s8, 1
	s_and_b32 s64, s0, s5
	s_mul_i32 s8, ttmp9, s8
	s_delay_alu instid0(SALU_CYCLE_1)
	s_add_co_i32 s9, s9, s8
	s_cmp_eq_u32 s4, 0
	s_cselect_b32 s34, ttmp9, s9
	s_ashr_i32 s5, s20, 31
	s_lshl_b32 s8, s34, 10
	s_lshr_b32 s5, s5, 30
	v_lshl_or_b32 v8, v0, 2, s8
	s_add_co_i32 s5, s20, s5
	s_lshr_b32 s4, s7, 30
	s_and_b32 s5, s5, -4
	s_add_co_i32 s4, s21, s4
	v_mul_lo_u32 v10, s33, v8
	s_sub_co_i32 s66, s20, s5
	s_and_b32 s65, s4, -4
	v_add_nc_u32_e32 v1, s66, v8
	s_cmp_gt_i32 s65, 0
	v_dual_ashrrev_i32 v9, 31, v8 :: v_dual_add_nc_u32 v0, 4, v8
	s_cselect_b32 s67, -1, 0
	s_cmp_gt_i32 s66, 0
	s_cselect_b32 s68, -1, 0
	s_delay_alu instid0(VALU_DEP_3)
	v_add_nc_u32_e32 v12, s33, v10
	s_cmp_gt_u32 s21, 1
	v_ashrrev_i32_e32 v11, 31, v10
	s_cselect_b32 s8, -1, 0
	s_cmp_eq_u32 s30, 1
	v_add_nc_u32_e32 v14, s33, v12
	s_cselect_b32 s9, -1, 0
	v_cmp_ge_i32_e64 s4, s20, v0
	v_cmp_ge_i32_e64 s5, s20, v1
	s_and_b32 s20, s21, 0x7ffffffe
	v_dual_add_nc_u32 v16, s33, v14 :: v_dual_ashrrev_i32 v13, 31, v12
	s_and_b32 s69, s8, s9
	s_cmp_lg_u32 s21, s20
	s_delay_alu instid0(VALU_DEP_1)
	v_dual_ashrrev_i32 v15, 31, v14 :: v_dual_ashrrev_i32 v17, 31, v16
	s_cselect_b32 s70, -1, 0
	s_lshl_b32 s24, s26, 1
	v_mov_b32_e32 v0, 0
	s_lshl_b64 s[38:39], s[34:35], 2
	s_mov_b64 s[48:49], s[24:25]
	s_mul_i32 s24, s26, 3
	s_lshl_b64 s[40:41], s[6:7], 2
	s_lshl_b64 s[42:43], s[30:31], 2
	s_lshl_b32 s44, s26, 2
	s_add_nc_u64 s[46:47], s[28:29], s[38:39]
	s_mov_b64 s[50:51], s[24:25]
	s_lshl_b64 s[14:15], s[14:15], 1
	s_lshl_b64 s[18:19], s[18:19], 1
	s_branch .LBB603_3
.LBB603_2:                              ;   in Loop: Header=BB603_3 Depth=1
	s_add_co_i32 s10, s10, 0x10000
	s_delay_alu instid0(SALU_CYCLE_1)
	s_cmp_lt_u32 s10, s23
	s_cbranch_scc0 .LBB603_94
.LBB603_3:                              ; =>This Loop Header: Depth=1
                                        ;     Child Loop BB603_11 Depth 2
                                        ;     Child Loop BB603_17 Depth 2
	;; [unrolled: 1-line block ×3, first 2 shown]
                                        ;       Child Loop BB603_54 Depth 3
                                        ;       Child Loop BB603_57 Depth 3
                                        ;     Child Loop BB603_73 Depth 2
                                        ;       Child Loop BB603_86 Depth 3
                                        ;       Child Loop BB603_89 Depth 3
	s_mov_b32 s11, s25
	s_and_not1_b32 vcc_lo, exec_lo, s63
	s_mov_b32 s6, -1
	s_cbranch_vccz .LBB603_13
; %bb.4:                                ;   in Loop: Header=BB603_3 Depth=1
	v_mov_b64_e32 v[20:21], 0
	v_mov_b64_e32 v[2:3], 0
	s_and_not1_b32 vcc_lo, exec_lo, s6
	s_cbranch_vccz .LBB603_14
.LBB603_5:                              ;   in Loop: Header=BB603_3 Depth=1
	s_and_not1_b32 vcc_lo, exec_lo, s62
	s_cbranch_vccnz .LBB603_7
.LBB603_6:                              ;   in Loop: Header=BB603_3 Depth=1
	s_wait_xcnt 0x0
	s_lshl_b64 s[6:7], s[10:11], 3
	s_delay_alu instid0(SALU_CYCLE_1)
	s_add_nc_u64 s[6:7], s[16:17], s[6:7]
	global_load_b64 v[4:5], v0, s[6:7]
	s_wait_loadcnt 0x0
	v_add_nc_u64_e32 v[20:21], s[18:19], v[4:5]
.LBB603_7:                              ;   in Loop: Header=BB603_3 Depth=1
	s_wait_xcnt 0x0
	s_mul_u64 s[6:7], s[36:37], s[10:11]
	s_and_not1_b32 vcc_lo, exec_lo, s63
	s_lshl_b64 s[6:7], s[6:7], 2
	s_delay_alu instid0(SALU_CYCLE_1)
	s_add_nc_u64 s[52:53], s[28:29], s[6:7]
	s_mov_b32 s6, -1
	s_cbranch_vccnz .LBB603_19
; %bb.8:                                ;   in Loop: Header=BB603_3 Depth=1
	s_and_saveexec_b32 s8, s64
	s_cbranch_execz .LBB603_18
; %bb.9:                                ;   in Loop: Header=BB603_3 Depth=1
	s_and_not1_b32 vcc_lo, exec_lo, s69
	s_cbranch_vccnz .LBB603_15
; %bb.10:                               ;   in Loop: Header=BB603_3 Depth=1
	s_add_nc_u64 s[6:7], s[52:53], s[38:39]
	s_mov_b32 s9, s20
.LBB603_11:                             ;   Parent Loop BB603_3 Depth=1
                                        ; =>  This Inner Loop Header: Depth=2
	s_delay_alu instid0(SALU_CYCLE_1)
	s_add_co_i32 s9, s9, -2
	global_store_b64 v0, v[18:19], s[6:7]
	s_wait_xcnt 0x0
	s_add_nc_u64 s[6:7], s[6:7], 8
	s_mov_b32 s24, s20
	s_cmp_lg_u32 s9, 0
	s_mov_b32 s35, s70
	s_cbranch_scc1 .LBB603_11
; %bb.12:                               ;   in Loop: Header=BB603_3 Depth=1
	s_and_b32 vcc_lo, exec_lo, s35
	s_cbranch_vccnz .LBB603_16
	s_branch .LBB603_18
.LBB603_13:                             ;   in Loop: Header=BB603_3 Depth=1
	v_mov_b64_e32 v[20:21], 0
	v_mov_b64_e32 v[2:3], 0
	s_cbranch_execnz .LBB603_5
.LBB603_14:                             ;   in Loop: Header=BB603_3 Depth=1
	s_lshl_b64 s[6:7], s[10:11], 3
	s_delay_alu instid0(SALU_CYCLE_1)
	s_add_nc_u64 s[6:7], s[12:13], s[6:7]
	global_load_b64 v[2:3], v0, s[6:7]
	s_wait_loadcnt 0x0
	v_add_nc_u64_e32 v[2:3], s[14:15], v[2:3]
	s_and_not1_b32 vcc_lo, exec_lo, s62
	s_cbranch_vccz .LBB603_6
	s_branch .LBB603_7
.LBB603_15:                             ;   in Loop: Header=BB603_3 Depth=1
	s_mov_b32 s24, 0
	s_cbranch_execz .LBB603_18
.LBB603_16:                             ;   in Loop: Header=BB603_3 Depth=1
	s_mul_u64 s[6:7], s[40:41], s[10:11]
	s_lshl_b64 s[54:55], s[24:25], 2
	s_sub_co_i32 s9, s21, s24
	s_add_nc_u64 s[6:7], s[6:7], s[54:55]
	s_delay_alu instid0(SALU_CYCLE_1) | instskip(NEXT) | instid1(SALU_CYCLE_1)
	s_mul_u64 s[6:7], s[30:31], s[6:7]
	s_add_nc_u64 s[6:7], s[46:47], s[6:7]
.LBB603_17:                             ;   Parent Loop BB603_3 Depth=1
                                        ; =>  This Inner Loop Header: Depth=2
	s_add_co_i32 s9, s9, -1
	global_store_b32 v0, v0, s[6:7]
	s_cmp_eq_u32 s9, 0
	s_wait_xcnt 0x0
	s_add_nc_u64 s[6:7], s[6:7], s[42:43]
	s_cbranch_scc0 .LBB603_17
.LBB603_18:                             ;   in Loop: Header=BB603_3 Depth=1
	s_or_b32 exec_lo, exec_lo, s8
	s_mov_b32 s6, 0
.LBB603_19:                             ;   in Loop: Header=BB603_3 Depth=1
	s_delay_alu instid0(SALU_CYCLE_1)
	s_and_not1_b32 vcc_lo, exec_lo, s6
	s_cbranch_vccnz .LBB603_2
; %bb.20:                               ;   in Loop: Header=BB603_3 Depth=1
	v_lshlrev_b64_e32 v[4:5], 1, v[8:9]
	v_lshl_add_u64 v[22:23], v[8:9], 1, v[2:3]
	v_lshl_add_u64 v[24:25], v[10:11], 1, v[20:21]
	;; [unrolled: 1-line block ×5, first 2 shown]
	v_cmp_gt_u32_e64 s9, 24, v40
	v_add_nc_u64_e32 v[32:33], v[2:3], v[4:5]
	v_cmp_gt_u32_e64 s8, 28, v40
	v_cmp_gt_u32_e64 s7, 30, v40
	v_cmp_ne_u32_e64 s6, 31, v40
	s_and_not1_b32 vcc_lo, exec_lo, s67
	s_cbranch_vccnz .LBB603_69
; %bb.21:                               ;   in Loop: Header=BB603_3 Depth=1
	v_cndmask_b32_e64 v1, 0, 8, s9
	v_cndmask_b32_e64 v4, 0, 4, s8
	;; [unrolled: 1-line block ×3, first 2 shown]
	s_wait_dscnt 0x0
	v_add_co_ci_u32_e64 v6, null, 0, v40, s6
	v_add_lshl_u32 v42, v1, v40, 2
	v_dual_mov_b32 v1, v0 :: v_dual_mov_b32 v2, v0
	s_delay_alu instid0(VALU_DEP_3) | instskip(SKIP_3) | instid1(VALU_DEP_3)
	v_dual_mov_b32 v3, v0 :: v_dual_lshlrev_b32 v45, 2, v6
	v_add_lshl_u32 v43, v4, v40, 2
	v_add_lshl_u32 v44, v5, v40, 2
	s_mov_b32 s54, 0
	v_mov_b64_e32 v[4:5], v[2:3]
	v_mov_b64_e32 v[2:3], v[0:1]
	s_mov_b64 s[8:9], s[50:51]
	s_mov_b64 s[56:57], s[48:49]
	;; [unrolled: 1-line block ×3, first 2 shown]
	s_mov_b32 s24, s54
	s_branch .LBB603_23
.LBB603_22:                             ;   in Loop: Header=BB603_23 Depth=2
	s_wait_xcnt 0x0
	s_or_b32 exec_lo, exec_lo, s6
	s_add_co_i32 s24, s24, 4
	s_add_co_i32 s54, s54, s44
	s_add_nc_u64 s[58:59], s[58:59], s[44:45]
	s_add_nc_u64 s[56:57], s[56:57], s[44:45]
	s_cmp_ge_i32 s24, s65
	s_add_nc_u64 s[8:9], s[8:9], s[44:45]
	s_cbranch_scc1 .LBB603_70
.LBB603_23:                             ;   Parent Loop BB603_3 Depth=1
                                        ; =>  This Loop Header: Depth=2
                                        ;       Child Loop BB603_54 Depth 3
                                        ;       Child Loop BB603_57 Depth 3
                                        ; implicit-def: $vgpr7
                                        ; implicit-def: $vgpr35
	s_and_saveexec_b32 s6, s4
	s_delay_alu instid0(SALU_CYCLE_1)
	s_xor_b32 s6, exec_lo, s6
	s_cbranch_execnz .LBB603_50
; %bb.24:                               ;   in Loop: Header=BB603_23 Depth=2
	s_and_not1_saveexec_b32 s11, s6
	s_cbranch_execnz .LBB603_51
.LBB603_25:                             ;   in Loop: Header=BB603_23 Depth=2
	s_or_b32 exec_lo, exec_lo, s11
	s_and_saveexec_b32 s6, s1
.LBB603_26:                             ;   in Loop: Header=BB603_23 Depth=2
	ds_store_b32 v38, v0
.LBB603_27:                             ;   in Loop: Header=BB603_23 Depth=2
	s_or_b32 exec_lo, exec_lo, s6
	ds_bpermute_b32 v1, v41, v34
	s_wait_storecnt_dscnt 0x0
	s_barrier_signal -1
	s_barrier_wait -1
	v_add_f32_e32 v1, v34, v1
	ds_bpermute_b32 v34, v42, v1
	s_wait_dscnt 0x0
	v_add_f32_e32 v1, v1, v34
	ds_bpermute_b32 v34, v43, v1
	s_wait_dscnt 0x0
	;; [unrolled: 3-line block ×3, first 2 shown]
	v_add_f32_e32 v1, v1, v34
	ds_bpermute_b32 v34, v45, v1
	s_and_saveexec_b32 s6, s3
	s_cbranch_execz .LBB603_29
; %bb.28:                               ;   in Loop: Header=BB603_23 Depth=2
	s_wait_dscnt 0x0
	v_add_f32_e32 v1, v1, v34
	ds_store_b32 v39, v1
.LBB603_29:                             ;   in Loop: Header=BB603_23 Depth=2
	s_or_b32 exec_lo, exec_lo, s6
	v_mov_b32_e32 v1, 0
	s_wait_dscnt 0x0
	s_barrier_signal -1
	s_barrier_wait -1
	s_and_saveexec_b32 s6, s2
	s_cbranch_execnz .LBB603_58
; %bb.30:                               ;   in Loop: Header=BB603_23 Depth=2
	s_or_b32 exec_lo, exec_lo, s6
	s_and_saveexec_b32 s6, s1
	s_cbranch_execnz .LBB603_59
.LBB603_31:                             ;   in Loop: Header=BB603_23 Depth=2
	s_or_b32 exec_lo, exec_lo, s6
	s_and_saveexec_b32 s6, s1
.LBB603_32:                             ;   in Loop: Header=BB603_23 Depth=2
	ds_store_b32 v38, v0
.LBB603_33:                             ;   in Loop: Header=BB603_23 Depth=2
	s_or_b32 exec_lo, exec_lo, s6
	ds_bpermute_b32 v34, v41, v35
	s_wait_dscnt 0x0
	s_barrier_signal -1
	s_barrier_wait -1
	v_add_f32_e32 v34, v35, v34
	ds_bpermute_b32 v35, v42, v34
	s_wait_dscnt 0x0
	v_add_f32_e32 v34, v34, v35
	ds_bpermute_b32 v35, v43, v34
	s_wait_dscnt 0x0
	;; [unrolled: 3-line block ×3, first 2 shown]
	v_add_f32_e32 v34, v34, v35
	ds_bpermute_b32 v35, v45, v34
	s_and_saveexec_b32 s6, s3
	s_cbranch_execz .LBB603_35
; %bb.34:                               ;   in Loop: Header=BB603_23 Depth=2
	s_wait_dscnt 0x0
	v_add_f32_e32 v34, v34, v35
	ds_store_b32 v39, v34
.LBB603_35:                             ;   in Loop: Header=BB603_23 Depth=2
	s_or_b32 exec_lo, exec_lo, s6
	v_mov_b32_e32 v34, 0
	s_wait_dscnt 0x0
	s_barrier_signal -1
	s_barrier_wait -1
	s_and_saveexec_b32 s6, s2
	s_cbranch_execnz .LBB603_60
; %bb.36:                               ;   in Loop: Header=BB603_23 Depth=2
	s_or_b32 exec_lo, exec_lo, s6
	s_and_saveexec_b32 s6, s1
	s_cbranch_execnz .LBB603_61
.LBB603_37:                             ;   in Loop: Header=BB603_23 Depth=2
	s_or_b32 exec_lo, exec_lo, s6
	s_and_saveexec_b32 s6, s1
.LBB603_38:                             ;   in Loop: Header=BB603_23 Depth=2
	ds_store_b32 v38, v0
.LBB603_39:                             ;   in Loop: Header=BB603_23 Depth=2
	s_or_b32 exec_lo, exec_lo, s6
	ds_bpermute_b32 v35, v41, v6
	s_wait_dscnt 0x0
	s_barrier_signal -1
	s_barrier_wait -1
	v_add_f32_e32 v6, v6, v35
	ds_bpermute_b32 v35, v42, v6
	s_wait_dscnt 0x0
	v_add_f32_e32 v6, v6, v35
	ds_bpermute_b32 v35, v43, v6
	s_wait_dscnt 0x0
	;; [unrolled: 3-line block ×3, first 2 shown]
	v_add_f32_e32 v6, v6, v35
	ds_bpermute_b32 v35, v45, v6
	s_and_saveexec_b32 s6, s3
	s_cbranch_execz .LBB603_41
; %bb.40:                               ;   in Loop: Header=BB603_23 Depth=2
	s_wait_dscnt 0x0
	v_add_f32_e32 v6, v6, v35
	ds_store_b32 v39, v6
.LBB603_41:                             ;   in Loop: Header=BB603_23 Depth=2
	s_or_b32 exec_lo, exec_lo, s6
	v_mov_b32_e32 v6, 0
	s_wait_dscnt 0x0
	s_barrier_signal -1
	s_barrier_wait -1
	s_and_saveexec_b32 s6, s2
	s_cbranch_execnz .LBB603_62
; %bb.42:                               ;   in Loop: Header=BB603_23 Depth=2
	s_or_b32 exec_lo, exec_lo, s6
	s_and_saveexec_b32 s6, s1
	s_cbranch_execnz .LBB603_63
.LBB603_43:                             ;   in Loop: Header=BB603_23 Depth=2
	s_or_b32 exec_lo, exec_lo, s6
	s_and_saveexec_b32 s6, s1
.LBB603_44:                             ;   in Loop: Header=BB603_23 Depth=2
	ds_store_b32 v38, v0
.LBB603_45:                             ;   in Loop: Header=BB603_23 Depth=2
	s_or_b32 exec_lo, exec_lo, s6
	ds_bpermute_b32 v35, v41, v7
	s_wait_dscnt 0x0
	s_barrier_signal -1
	s_barrier_wait -1
	v_add_f32_e32 v7, v7, v35
	ds_bpermute_b32 v35, v42, v7
	s_wait_dscnt 0x0
	v_add_f32_e32 v7, v7, v35
	ds_bpermute_b32 v35, v43, v7
	s_wait_dscnt 0x0
	;; [unrolled: 3-line block ×3, first 2 shown]
	v_add_f32_e32 v7, v7, v35
	ds_bpermute_b32 v35, v45, v7
	s_and_saveexec_b32 s6, s3
	s_cbranch_execz .LBB603_47
; %bb.46:                               ;   in Loop: Header=BB603_23 Depth=2
	s_wait_dscnt 0x0
	v_add_f32_e32 v7, v7, v35
	ds_store_b32 v39, v7
.LBB603_47:                             ;   in Loop: Header=BB603_23 Depth=2
	s_or_b32 exec_lo, exec_lo, s6
	v_mov_b32_e32 v7, 0
	s_wait_dscnt 0x0
	s_barrier_signal -1
	s_barrier_wait -1
	s_and_saveexec_b32 s6, s2
	s_cbranch_execnz .LBB603_64
; %bb.48:                               ;   in Loop: Header=BB603_23 Depth=2
	s_or_b32 exec_lo, exec_lo, s6
	s_and_saveexec_b32 s6, s1
	s_cbranch_execnz .LBB603_65
.LBB603_49:                             ;   in Loop: Header=BB603_23 Depth=2
	s_or_b32 exec_lo, exec_lo, s6
	s_and_saveexec_b32 s6, s0
	s_cbranch_execz .LBB603_22
	s_branch .LBB603_66
.LBB603_50:                             ;   in Loop: Header=BB603_23 Depth=2
	s_mul_i32 s60, s24, s26
	s_clause 0x3
	flat_load_u16 v1, v[24:25]
	flat_load_u16 v46, v[26:27]
	;; [unrolled: 1-line block ×4, first 2 shown]
	s_ashr_i32 s61, s60, 31
	s_add_co_i32 s72, s60, s26
	v_lshl_add_u64 v[2:3], s[60:61], 1, v[22:23]
	s_add_co_i32 s60, s72, s26
	s_ashr_i32 s73, s72, 31
	s_add_co_i32 s74, s60, s26
	s_ashr_i32 s61, s60, 31
	s_ashr_i32 s75, s74, 31
	v_lshl_add_u64 v[4:5], s[60:61], 1, v[22:23]
	s_wait_dscnt 0x4
	v_lshl_add_u64 v[6:7], s[74:75], 1, v[22:23]
	s_clause 0x2
	flat_load_b64 v[34:35], v[2:3]
	flat_load_b64 v[4:5], v[4:5]
	;; [unrolled: 1-line block ×3, first 2 shown]
	s_wait_xcnt 0x2
	v_lshl_add_u64 v[2:3], s[72:73], 1, v[22:23]
	flat_load_b64 v[36:37], v[2:3]
	s_wait_loadcnt_dscnt 0x606
	s_wait_xcnt 0x0
	v_dual_lshlrev_b32 v2, 16, v1 :: v_dual_lshlrev_b32 v47, 16, v46
	s_wait_loadcnt_dscnt 0x404
	v_dual_lshlrev_b32 v50, 16, v48 :: v_dual_lshlrev_b32 v49, 16, v49
	s_delay_alu instid0(VALU_DEP_1)
	v_dual_mov_b32 v52, v47 :: v_dual_mov_b32 v54, v49
	s_wait_loadcnt_dscnt 0x303
	v_dual_lshlrev_b32 v56, 16, v34 :: v_dual_lshlrev_b32 v58, 16, v35
	s_wait_loadcnt_dscnt 0x101
	v_dual_lshlrev_b32 v1, 16, v4 :: v_dual_lshlrev_b32 v46, 16, v6
	v_and_b32_e32 v3, 0xffff0000, v6
	v_and_b32_e32 v53, 0xffff0000, v4
	v_dual_lshlrev_b32 v55, 16, v5 :: v_dual_lshlrev_b32 v48, 16, v7
	v_and_b32_e32 v64, 0xffff0000, v5
	s_delay_alu instid0(VALU_DEP_4) | instskip(SKIP_3) | instid1(VALU_DEP_3)
	v_pk_mul_f32 v[4:5], v[46:47], v[2:3]
	v_and_b32_e32 v51, 0xffff0000, v7
	s_wait_loadcnt_dscnt 0x0
	v_dual_mul_f32 v6, v2, v1 :: v_dual_lshlrev_b32 v57, 16, v36
	v_dual_mov_b32 v3, v47 :: v_dual_mov_b32 v7, v4
	v_and_b32_e32 v34, 0xffff0000, v34
	v_and_b32_e32 v60, 0xffff0000, v35
	v_and_b32_e32 v35, 0xffff0000, v36
	v_dual_mul_f32 v4, v47, v53 :: v_dual_mul_f32 v62, v50, v55
	v_pk_mul_f32 v[46:47], v[48:49], v[50:51]
	v_pk_add_f32 v[6:7], v[6:7], 0 op_sel_hi:[1,0]
	v_pk_fma_f32 v[56:57], v[2:3], v[56:57], 0 op_sel_hi:[0,1,0]
	v_lshlrev_b32_e32 v59, 16, v37
	v_and_b32_e32 v61, 0xffff0000, v37
	v_mov_b32_e32 v63, v46
	v_pk_add_f32 v[4:5], v[6:7], v[4:5]
	v_pk_fma_f32 v[6:7], v[52:53], v[34:35], v[56:57] op_sel_hi:[0,1,1]
	v_mul_f32_e32 v46, v49, v64
	s_delay_alu instid0(VALU_DEP_3) | instskip(NEXT) | instid1(VALU_DEP_3)
	v_pk_add_f32 v[34:35], v[4:5], v[62:63]
	v_pk_fma_f32 v[36:37], v[50:51], v[58:59], v[6:7] op_sel_hi:[0,1,1]
	v_dual_mov_b32 v4, v50 :: v_dual_mov_b32 v5, v49
	s_delay_alu instid0(VALU_DEP_3) | instskip(NEXT) | instid1(VALU_DEP_3)
	v_pk_add_f32 v[6:7], v[34:35], v[46:47]
	v_pk_fma_f32 v[34:35], v[54:55], v[60:61], v[36:37] op_sel_hi:[0,1,1]
	s_and_not1_saveexec_b32 s11, s6
	s_cbranch_execz .LBB603_25
.LBB603_51:                             ;   in Loop: Header=BB603_23 Depth=2
	s_wait_dscnt 0x0
	v_dual_mov_b32 v7, 0 :: v_dual_mov_b32 v6, 0
	v_dual_mov_b32 v35, 0 :: v_dual_mov_b32 v34, 0
	s_and_saveexec_b32 s35, s5
	s_cbranch_execz .LBB603_68
; %bb.52:                               ;   in Loop: Header=BB603_23 Depth=2
	s_and_not1_b32 vcc_lo, exec_lo, s68
	s_cbranch_vccnz .LBB603_55
; %bb.53:                               ;   in Loop: Header=BB603_23 Depth=2
	v_mov_b32_e32 v1, v10
	s_mov_b64 s[60:61], 0
.LBB603_54:                             ;   Parent Loop BB603_3 Depth=1
                                        ;     Parent Loop BB603_23 Depth=2
                                        ; =>    This Inner Loop Header: Depth=3
	v_readfirstlane_b32 s6, v20
	v_readfirstlane_b32 s7, v21
	s_cmp_eq_u32 s60, 3
	s_cselect_b32 vcc_lo, -1, 0
	s_cmp_eq_u32 s60, 2
	flat_load_u16 v6, v1, s[6:7] scale_offset
	s_wait_xcnt 0x0
	v_add_nc_u32_e32 v1, s33, v1
	s_cselect_b32 s6, -1, 0
	s_cmp_eq_u32 s60, 1
	s_cselect_b32 s7, -1, 0
	s_cmp_eq_u32 s60, 0
	s_add_nc_u64 s[60:61], s[60:61], 1
	s_wait_loadcnt_dscnt 0x0
	v_lshlrev_b32_e32 v6, 16, v6
	s_delay_alu instid0(VALU_DEP_1) | instskip(SKIP_1) | instid1(SALU_CYCLE_1)
	v_dual_cndmask_b32 v5, v5, v6, vcc_lo :: v_dual_cndmask_b32 v4, v4, v6, s6
	s_cselect_b32 vcc_lo, -1, 0
	v_dual_cndmask_b32 v3, v3, v6, s7 :: v_dual_cndmask_b32 v2, v2, v6, vcc_lo
	s_cmp_eq_u32 s66, s60
	s_cbranch_scc0 .LBB603_54
.LBB603_55:                             ;   in Loop: Header=BB603_23 Depth=2
	s_and_not1_b32 vcc_lo, exec_lo, s68
	s_cbranch_vccnz .LBB603_67
; %bb.56:                               ;   in Loop: Header=BB603_23 Depth=2
	v_mov_b32_e32 v34, 0
	s_ashr_i32 s55, s54, 31
	s_mov_b64 s[6:7], 0
	v_lshl_add_u64 v[36:37], s[54:55], 1, v[32:33]
	s_delay_alu instid0(VALU_DEP_2)
	v_dual_mov_b32 v35, v34 :: v_dual_mov_b32 v6, v34
	v_mov_b32_e32 v7, v34
.LBB603_57:                             ;   Parent Loop BB603_3 Depth=1
                                        ;     Parent Loop BB603_23 Depth=2
                                        ; =>    This Inner Loop Header: Depth=3
	s_cmp_eq_u32 s6, 1
	s_cselect_b32 vcc_lo, -1, 0
	s_cmp_eq_u32 s6, 2
	v_cndmask_b32_e32 v1, v2, v3, vcc_lo
	s_cselect_b32 vcc_lo, -1, 0
	s_cmp_eq_u32 s6, 3
	s_delay_alu instid0(VALU_DEP_1)
	v_cndmask_b32_e32 v1, v1, v4, vcc_lo
	s_cselect_b32 vcc_lo, -1, 0
	s_add_co_i32 s60, s58, s6
	s_add_co_i32 s74, s8, s6
	;; [unrolled: 1-line block ×3, first 2 shown]
	s_ashr_i32 s61, s60, 31
	s_ashr_i32 s75, s74, 31
	;; [unrolled: 1-line block ×3, first 2 shown]
	v_lshl_add_u64 v[46:47], s[60:61], 1, v[22:23]
	v_lshl_add_u64 v[48:49], s[74:75], 1, v[22:23]
	;; [unrolled: 1-line block ×3, first 2 shown]
	flat_load_u16 v52, v[36:37]
	s_clause 0x2
	flat_load_u16 v47, v[46:47]
	flat_load_u16 v53, v[48:49]
	;; [unrolled: 1-line block ×3, first 2 shown]
	s_wait_xcnt 0x3
	v_add_nc_u64_e32 v[36:37], 2, v[36:37]
	s_add_nc_u64 s[6:7], s[6:7], 1
	s_delay_alu instid0(SALU_CYCLE_1)
	s_cmp_lg_u32 s66, s6
	s_wait_loadcnt_dscnt 0x202
	s_wait_xcnt 0x1
	v_dual_lshlrev_b32 v48, 16, v52 :: v_dual_lshlrev_b32 v49, 16, v47
	s_wait_loadcnt_dscnt 0x0
	v_dual_cndmask_b32 v46, v1, v5, vcc_lo :: v_dual_lshlrev_b32 v50, 16, v50
	v_lshlrev_b32_e32 v51, 16, v53
	s_delay_alu instid0(VALU_DEP_2) | instskip(NEXT) | instid1(VALU_DEP_2)
	v_pk_fma_f32 v[34:35], v[46:47], v[48:49], v[34:35] op_sel_hi:[0,1,1]
	v_pk_fma_f32 v[6:7], v[46:47], v[50:51], v[6:7] op_sel_hi:[0,1,1]
	s_cbranch_scc1 .LBB603_57
	s_branch .LBB603_68
.LBB603_58:                             ;   in Loop: Header=BB603_23 Depth=2
	ds_load_b32 v1, v38
	s_or_b32 exec_lo, exec_lo, s6
	s_and_saveexec_b32 s6, s1
	s_cbranch_execz .LBB603_31
.LBB603_59:                             ;   in Loop: Header=BB603_23 Depth=2
	s_wait_dscnt 0x0
	ds_bpermute_b32 v34, v43, v1
	s_wait_dscnt 0x0
	v_add_f32_e32 v1, v1, v34
	ds_bpermute_b32 v34, v44, v1
	s_wait_dscnt 0x0
	v_add_f32_e32 v1, v1, v34
	ds_bpermute_b32 v34, v45, v1
	s_wait_dscnt 0x0
	v_add_f32_e32 v1, v1, v34
	s_or_b32 exec_lo, exec_lo, s6
	s_and_saveexec_b32 s6, s1
	s_cbranch_execnz .LBB603_32
	s_branch .LBB603_33
.LBB603_60:                             ;   in Loop: Header=BB603_23 Depth=2
	ds_load_b32 v34, v38
	s_or_b32 exec_lo, exec_lo, s6
	s_and_saveexec_b32 s6, s1
	s_cbranch_execz .LBB603_37
.LBB603_61:                             ;   in Loop: Header=BB603_23 Depth=2
	s_wait_dscnt 0x0
	ds_bpermute_b32 v35, v43, v34
	s_wait_dscnt 0x0
	v_add_f32_e32 v34, v34, v35
	ds_bpermute_b32 v35, v44, v34
	s_wait_dscnt 0x0
	v_add_f32_e32 v34, v34, v35
	;; [unrolled: 3-line block ×3, first 2 shown]
	s_or_b32 exec_lo, exec_lo, s6
	s_and_saveexec_b32 s6, s1
	s_cbranch_execnz .LBB603_38
	s_branch .LBB603_39
.LBB603_62:                             ;   in Loop: Header=BB603_23 Depth=2
	ds_load_b32 v6, v38
	s_or_b32 exec_lo, exec_lo, s6
	s_and_saveexec_b32 s6, s1
	s_cbranch_execz .LBB603_43
.LBB603_63:                             ;   in Loop: Header=BB603_23 Depth=2
	s_wait_dscnt 0x0
	ds_bpermute_b32 v35, v43, v6
	s_wait_dscnt 0x0
	v_add_f32_e32 v6, v6, v35
	ds_bpermute_b32 v35, v44, v6
	s_wait_dscnt 0x0
	v_add_f32_e32 v6, v6, v35
	;; [unrolled: 3-line block ×3, first 2 shown]
	s_or_b32 exec_lo, exec_lo, s6
	s_and_saveexec_b32 s6, s1
	s_cbranch_execnz .LBB603_44
	s_branch .LBB603_45
.LBB603_64:                             ;   in Loop: Header=BB603_23 Depth=2
	ds_load_b32 v7, v38
	s_or_b32 exec_lo, exec_lo, s6
	s_and_saveexec_b32 s6, s1
	s_cbranch_execz .LBB603_49
.LBB603_65:                             ;   in Loop: Header=BB603_23 Depth=2
	s_wait_dscnt 0x0
	ds_bpermute_b32 v35, v43, v7
	s_wait_dscnt 0x0
	v_add_f32_e32 v7, v7, v35
	ds_bpermute_b32 v35, v44, v7
	s_wait_dscnt 0x0
	v_add_f32_e32 v7, v7, v35
	;; [unrolled: 3-line block ×3, first 2 shown]
	s_or_b32 exec_lo, exec_lo, s6
	s_and_saveexec_b32 s6, s0
	s_cbranch_execz .LBB603_22
.LBB603_66:                             ;   in Loop: Header=BB603_23 Depth=2
	s_mul_i32 s7, s24, s30
	v_dual_mul_f32 v1, s22, v1 :: v_dual_mul_f32 v34, s22, v34
	s_add_co_i32 s7, s7, s34
	s_delay_alu instid0(SALU_CYCLE_1) | instskip(NEXT) | instid1(SALU_CYCLE_1)
	s_add_co_i32 s11, s7, s30
	v_dual_mov_b32 v35, s7 :: v_dual_mov_b32 v36, s11
	s_add_co_i32 s7, s11, s30
	s_delay_alu instid0(SALU_CYCLE_1)
	v_dual_mul_f32 v6, s22, v6 :: v_dual_mov_b32 v37, s7
	s_add_co_i32 s7, s7, s30
	s_wait_dscnt 0x0
	v_dual_mul_f32 v7, s22, v7 :: v_dual_mov_b32 v46, s7
	s_clause 0x3
	global_store_b32 v35, v1, s[52:53] scale_offset
	global_store_b32 v36, v34, s[52:53] scale_offset
	;; [unrolled: 1-line block ×4, first 2 shown]
	s_branch .LBB603_22
.LBB603_67:                             ;   in Loop: Header=BB603_23 Depth=2
	v_mov_b32_e32 v7, 0
	s_delay_alu instid0(VALU_DEP_1)
	v_dual_mov_b32 v6, v7 :: v_dual_mov_b32 v35, v7
	v_mov_b32_e32 v34, v7
.LBB603_68:                             ;   in Loop: Header=BB603_23 Depth=2
	s_or_b32 exec_lo, exec_lo, s35
	s_delay_alu instid0(SALU_CYCLE_1)
	s_or_b32 exec_lo, exec_lo, s11
	s_and_saveexec_b32 s6, s1
	s_cbranch_execnz .LBB603_26
	s_branch .LBB603_27
.LBB603_69:                             ;   in Loop: Header=BB603_3 Depth=1
	v_dual_mov_b32 v1, v0 :: v_dual_mov_b32 v2, v0
	v_mov_b32_e32 v3, v0
	s_mov_b32 s24, 0
	s_delay_alu instid0(VALU_DEP_1) | instskip(NEXT) | instid1(VALU_DEP_3)
	v_mov_b64_e32 v[4:5], v[2:3]
	v_mov_b64_e32 v[2:3], v[0:1]
.LBB603_70:                             ;   in Loop: Header=BB603_3 Depth=1
	s_cmp_ge_i32 s24, s21
	s_cbranch_scc1 .LBB603_2
; %bb.71:                               ;   in Loop: Header=BB603_3 Depth=1
	v_cmp_gt_u32_e32 vcc_lo, 24, v40
	s_add_nc_u64 s[8:9], s[52:53], s[38:39]
	s_mul_i32 s52, s26, s24
	v_cndmask_b32_e64 v1, 0, 8, vcc_lo
	v_cmp_gt_u32_e32 vcc_lo, 28, v40
	s_delay_alu instid0(VALU_DEP_2) | instskip(SKIP_4) | instid1(VALU_DEP_2)
	v_add_lshl_u32 v1, v1, v40, 2
	s_wait_dscnt 0x0
	v_cndmask_b32_e64 v6, 0, 4, vcc_lo
	v_cmp_gt_u32_e32 vcc_lo, 30, v40
	s_wait_dscnt 0x0
	v_add_lshl_u32 v7, v6, v40, 2
	v_cndmask_b32_e64 v34, 0, 2, vcc_lo
	v_cmp_ne_u32_e32 vcc_lo, 31, v40
	s_delay_alu instid0(VALU_DEP_2) | instskip(SKIP_1) | instid1(VALU_DEP_1)
	v_add_lshl_u32 v36, v34, v40, 2
	v_add_co_ci_u32_e64 v35, null, 0, v40, vcc_lo
	v_lshlrev_b32_e32 v37, 2, v35
	s_branch .LBB603_73
.LBB603_72:                             ;   in Loop: Header=BB603_73 Depth=2
	s_wait_xcnt 0x0
	s_or_b32 exec_lo, exec_lo, s6
	s_add_co_i32 s24, s24, 1
	s_add_co_i32 s52, s52, s26
	s_cmp_ge_i32 s24, s21
	s_cbranch_scc1 .LBB603_2
.LBB603_73:                             ;   Parent Loop BB603_3 Depth=1
                                        ; =>  This Loop Header: Depth=2
                                        ;       Child Loop BB603_86 Depth 3
                                        ;       Child Loop BB603_89 Depth 3
	s_wait_dscnt 0x0
	v_mov_b32_e32 v6, s25
	s_and_saveexec_b32 s6, s4
	s_delay_alu instid0(SALU_CYCLE_1)
	s_xor_b32 s6, exec_lo, s6
	s_cbranch_execnz .LBB603_82
; %bb.74:                               ;   in Loop: Header=BB603_73 Depth=2
	s_and_not1_saveexec_b32 s11, s6
	s_cbranch_execnz .LBB603_83
.LBB603_75:                             ;   in Loop: Header=BB603_73 Depth=2
	s_or_b32 exec_lo, exec_lo, s11
	s_and_saveexec_b32 s6, s1
.LBB603_76:                             ;   in Loop: Header=BB603_73 Depth=2
	ds_store_b32 v38, v0
.LBB603_77:                             ;   in Loop: Header=BB603_73 Depth=2
	s_or_b32 exec_lo, exec_lo, s6
	ds_bpermute_b32 v34, v41, v6
	s_wait_storecnt_dscnt 0x0
	s_barrier_signal -1
	s_barrier_wait -1
	v_add_f32_e32 v6, v6, v34
	ds_bpermute_b32 v34, v1, v6
	s_wait_dscnt 0x0
	v_add_f32_e32 v6, v6, v34
	ds_bpermute_b32 v34, v7, v6
	s_wait_dscnt 0x0
	;; [unrolled: 3-line block ×3, first 2 shown]
	v_add_f32_e32 v6, v6, v34
	ds_bpermute_b32 v34, v37, v6
	s_and_saveexec_b32 s6, s3
	s_cbranch_execz .LBB603_79
; %bb.78:                               ;   in Loop: Header=BB603_73 Depth=2
	s_wait_dscnt 0x0
	v_add_f32_e32 v6, v6, v34
	ds_store_b32 v39, v6
.LBB603_79:                             ;   in Loop: Header=BB603_73 Depth=2
	s_or_b32 exec_lo, exec_lo, s6
	v_mov_b32_e32 v6, 0
	s_wait_dscnt 0x0
	s_barrier_signal -1
	s_barrier_wait -1
	s_and_saveexec_b32 s6, s2
	s_cbranch_execnz .LBB603_91
; %bb.80:                               ;   in Loop: Header=BB603_73 Depth=2
	s_or_b32 exec_lo, exec_lo, s6
	s_and_saveexec_b32 s6, s1
	s_cbranch_execnz .LBB603_92
.LBB603_81:                             ;   in Loop: Header=BB603_73 Depth=2
	s_or_b32 exec_lo, exec_lo, s6
	s_and_saveexec_b32 s6, s0
	s_cbranch_execz .LBB603_72
	s_branch .LBB603_93
.LBB603_82:                             ;   in Loop: Header=BB603_73 Depth=2
	s_mul_i32 s54, s24, s26
	s_delay_alu instid0(SALU_CYCLE_1) | instskip(NEXT) | instid1(SALU_CYCLE_1)
	s_ashr_i32 s55, s54, 31
	v_lshl_add_u64 v[2:3], s[54:55], 1, v[22:23]
	s_clause 0x1
	flat_load_u16 v4, v[26:27]
	flat_load_u16 v5, v[24:25]
	flat_load_b64 v[34:35], v[2:3]
	s_clause 0x1
	flat_load_u16 v6, v[30:31]
	flat_load_u16 v44, v[28:29]
	s_wait_loadcnt_dscnt 0x303
	s_wait_xcnt 0x2
	v_dual_lshlrev_b32 v3, 16, v4 :: v_dual_lshlrev_b32 v2, 16, v5
	s_wait_loadcnt_dscnt 0x202
	v_and_b32_e32 v5, 0xffff0000, v34
	v_lshlrev_b32_e32 v4, 16, v34
	v_and_b32_e32 v45, 0xffff0000, v35
	s_delay_alu instid0(VALU_DEP_2) | instskip(SKIP_2) | instid1(VALU_DEP_2)
	v_pk_mul_f32 v[42:43], v[2:3], v[4:5]
	s_wait_loadcnt_dscnt 0x0
	v_dual_lshlrev_b32 v5, 16, v6 :: v_dual_lshlrev_b32 v4, 16, v44
	v_dual_lshlrev_b32 v44, 16, v35 :: v_dual_add_f32 v6, 0, v42
	s_delay_alu instid0(VALU_DEP_1) | instskip(NEXT) | instid1(VALU_DEP_2)
	v_pk_mul_f32 v[34:35], v[4:5], v[44:45]
	v_add_f32_e32 v6, v6, v43
	s_delay_alu instid0(VALU_DEP_1) | instskip(NEXT) | instid1(VALU_DEP_1)
	v_add_f32_e32 v6, v6, v34
	v_add_f32_e32 v6, v6, v35
	s_wait_xcnt 0x0
	s_and_not1_saveexec_b32 s11, s6
	s_cbranch_execz .LBB603_75
.LBB603_83:                             ;   in Loop: Header=BB603_73 Depth=2
	s_and_saveexec_b32 s35, s5
	s_cbranch_execz .LBB603_90
; %bb.84:                               ;   in Loop: Header=BB603_73 Depth=2
	s_and_not1_b32 vcc_lo, exec_lo, s68
	s_cbranch_vccnz .LBB603_87
; %bb.85:                               ;   in Loop: Header=BB603_73 Depth=2
	v_mov_b32_e32 v34, v10
	s_mov_b64 s[54:55], 0
.LBB603_86:                             ;   Parent Loop BB603_3 Depth=1
                                        ;     Parent Loop BB603_73 Depth=2
                                        ; =>    This Inner Loop Header: Depth=3
	v_readfirstlane_b32 s6, v20
	v_readfirstlane_b32 s7, v21
	s_cmp_eq_u32 s54, 3
	s_cselect_b32 vcc_lo, -1, 0
	s_cmp_eq_u32 s54, 2
	flat_load_u16 v35, v34, s[6:7] scale_offset
	s_wait_xcnt 0x0
	v_add_nc_u32_e32 v34, s33, v34
	s_cselect_b32 s6, -1, 0
	s_cmp_eq_u32 s54, 1
	s_cselect_b32 s7, -1, 0
	s_cmp_eq_u32 s54, 0
	s_add_nc_u64 s[54:55], s[54:55], 1
	s_wait_loadcnt_dscnt 0x0
	v_lshlrev_b32_e32 v35, 16, v35
	s_delay_alu instid0(VALU_DEP_1) | instskip(SKIP_1) | instid1(SALU_CYCLE_1)
	v_dual_cndmask_b32 v5, v5, v35, vcc_lo :: v_dual_cndmask_b32 v4, v4, v35, s6
	s_cselect_b32 vcc_lo, -1, 0
	v_dual_cndmask_b32 v3, v3, v35, s7 :: v_dual_cndmask_b32 v2, v2, v35, vcc_lo
	s_cmp_eq_u32 s66, s54
	s_cbranch_scc0 .LBB603_86
.LBB603_87:                             ;   in Loop: Header=BB603_73 Depth=2
	s_and_not1_b32 vcc_lo, exec_lo, s68
	s_cbranch_vccnz .LBB603_90
; %bb.88:                               ;   in Loop: Header=BB603_73 Depth=2
	s_ashr_i32 s53, s52, 31
	s_mov_b64 s[6:7], 0
	v_lshl_add_u64 v[34:35], s[52:53], 1, v[32:33]
.LBB603_89:                             ;   Parent Loop BB603_3 Depth=1
                                        ;     Parent Loop BB603_73 Depth=2
                                        ; =>    This Inner Loop Header: Depth=3
	flat_load_u16 v42, v[34:35]
	s_cmp_eq_u32 s6, 1
	s_wait_xcnt 0x0
	v_add_nc_u64_e32 v[34:35], 2, v[34:35]
	s_cselect_b32 vcc_lo, -1, 0
	s_cmp_eq_u32 s6, 2
	v_cndmask_b32_e32 v43, v2, v3, vcc_lo
	s_cselect_b32 vcc_lo, -1, 0
	s_cmp_eq_u32 s6, 3
	s_add_nc_u64 s[6:7], s[6:7], 1
	s_delay_alu instid0(VALU_DEP_1) | instskip(SKIP_2) | instid1(VALU_DEP_1)
	v_cndmask_b32_e32 v43, v43, v4, vcc_lo
	s_cselect_b32 vcc_lo, -1, 0
	s_cmp_lg_u32 s66, s6
	v_cndmask_b32_e32 v43, v43, v5, vcc_lo
	s_wait_loadcnt_dscnt 0x0
	s_delay_alu instid0(VALU_DEP_1)
	v_fma_mix_f32_bf16 v6, v43, v42, v6 op_sel_hi:[0,1,0]
	s_cbranch_scc1 .LBB603_89
.LBB603_90:                             ;   in Loop: Header=BB603_73 Depth=2
	s_or_b32 exec_lo, exec_lo, s35
	s_delay_alu instid0(SALU_CYCLE_1)
	s_or_b32 exec_lo, exec_lo, s11
	s_and_saveexec_b32 s6, s1
	s_cbranch_execnz .LBB603_76
	s_branch .LBB603_77
.LBB603_91:                             ;   in Loop: Header=BB603_73 Depth=2
	ds_load_b32 v6, v38
	s_or_b32 exec_lo, exec_lo, s6
	s_and_saveexec_b32 s6, s1
	s_cbranch_execz .LBB603_81
.LBB603_92:                             ;   in Loop: Header=BB603_73 Depth=2
	s_wait_dscnt 0x0
	ds_bpermute_b32 v34, v7, v6
	s_wait_dscnt 0x0
	v_add_f32_e32 v6, v6, v34
	ds_bpermute_b32 v34, v36, v6
	s_wait_dscnt 0x0
	v_add_f32_e32 v6, v6, v34
	;; [unrolled: 3-line block ×3, first 2 shown]
	s_or_b32 exec_lo, exec_lo, s6
	s_and_saveexec_b32 s6, s0
	s_cbranch_execz .LBB603_72
.LBB603_93:                             ;   in Loop: Header=BB603_73 Depth=2
	s_mul_u64 s[54:55], s[24:25], s[30:31]
	s_wait_dscnt 0x0
	v_mul_f32_e32 v6, s22, v6
	s_lshl_b64 s[54:55], s[54:55], 2
	s_delay_alu instid0(SALU_CYCLE_1)
	s_add_nc_u64 s[54:55], s[8:9], s[54:55]
	global_store_b32 v0, v6, s[54:55]
	s_branch .LBB603_72
.LBB603_94:
	s_sendmsg sendmsg(MSG_DEALLOC_VGPRS)
	s_endpgm
	.section	.rodata,"a",@progbits
	.p2align	6, 0x0
	.amdhsa_kernel _ZL23rocblas_gemvt_sn_kernelILb0ELi256ELi4EiPK16rocblas_bfloat16ffEviiT4_lPKT3_lilS6_lilPT5_i
		.amdhsa_group_segment_fixed_size 128
		.amdhsa_private_segment_fixed_size 0
		.amdhsa_kernarg_size 360
		.amdhsa_user_sgpr_count 2
		.amdhsa_user_sgpr_dispatch_ptr 0
		.amdhsa_user_sgpr_queue_ptr 0
		.amdhsa_user_sgpr_kernarg_segment_ptr 1
		.amdhsa_user_sgpr_dispatch_id 0
		.amdhsa_user_sgpr_kernarg_preload_length 0
		.amdhsa_user_sgpr_kernarg_preload_offset 0
		.amdhsa_user_sgpr_private_segment_size 0
		.amdhsa_wavefront_size32 1
		.amdhsa_uses_dynamic_stack 0
		.amdhsa_enable_private_segment 0
		.amdhsa_system_sgpr_workgroup_id_x 1
		.amdhsa_system_sgpr_workgroup_id_y 0
		.amdhsa_system_sgpr_workgroup_id_z 1
		.amdhsa_system_sgpr_workgroup_info 0
		.amdhsa_system_vgpr_workitem_id 0
		.amdhsa_next_free_vgpr 65
		.amdhsa_next_free_sgpr 76
		.amdhsa_named_barrier_count 0
		.amdhsa_reserve_vcc 1
		.amdhsa_float_round_mode_32 0
		.amdhsa_float_round_mode_16_64 0
		.amdhsa_float_denorm_mode_32 3
		.amdhsa_float_denorm_mode_16_64 3
		.amdhsa_fp16_overflow 0
		.amdhsa_memory_ordered 1
		.amdhsa_forward_progress 1
		.amdhsa_inst_pref_size 34
		.amdhsa_round_robin_scheduling 0
		.amdhsa_exception_fp_ieee_invalid_op 0
		.amdhsa_exception_fp_denorm_src 0
		.amdhsa_exception_fp_ieee_div_zero 0
		.amdhsa_exception_fp_ieee_overflow 0
		.amdhsa_exception_fp_ieee_underflow 0
		.amdhsa_exception_fp_ieee_inexact 0
		.amdhsa_exception_int_div_zero 0
	.end_amdhsa_kernel
	.section	.text._ZL23rocblas_gemvt_sn_kernelILb0ELi256ELi4EiPK16rocblas_bfloat16ffEviiT4_lPKT3_lilS6_lilPT5_i,"axG",@progbits,_ZL23rocblas_gemvt_sn_kernelILb0ELi256ELi4EiPK16rocblas_bfloat16ffEviiT4_lPKT3_lilS6_lilPT5_i,comdat
.Lfunc_end603:
	.size	_ZL23rocblas_gemvt_sn_kernelILb0ELi256ELi4EiPK16rocblas_bfloat16ffEviiT4_lPKT3_lilS6_lilPT5_i, .Lfunc_end603-_ZL23rocblas_gemvt_sn_kernelILb0ELi256ELi4EiPK16rocblas_bfloat16ffEviiT4_lPKT3_lilS6_lilPT5_i
                                        ; -- End function
	.set _ZL23rocblas_gemvt_sn_kernelILb0ELi256ELi4EiPK16rocblas_bfloat16ffEviiT4_lPKT3_lilS6_lilPT5_i.num_vgpr, 65
	.set _ZL23rocblas_gemvt_sn_kernelILb0ELi256ELi4EiPK16rocblas_bfloat16ffEviiT4_lPKT3_lilS6_lilPT5_i.num_agpr, 0
	.set _ZL23rocblas_gemvt_sn_kernelILb0ELi256ELi4EiPK16rocblas_bfloat16ffEviiT4_lPKT3_lilS6_lilPT5_i.numbered_sgpr, 76
	.set _ZL23rocblas_gemvt_sn_kernelILb0ELi256ELi4EiPK16rocblas_bfloat16ffEviiT4_lPKT3_lilS6_lilPT5_i.num_named_barrier, 0
	.set _ZL23rocblas_gemvt_sn_kernelILb0ELi256ELi4EiPK16rocblas_bfloat16ffEviiT4_lPKT3_lilS6_lilPT5_i.private_seg_size, 0
	.set _ZL23rocblas_gemvt_sn_kernelILb0ELi256ELi4EiPK16rocblas_bfloat16ffEviiT4_lPKT3_lilS6_lilPT5_i.uses_vcc, 1
	.set _ZL23rocblas_gemvt_sn_kernelILb0ELi256ELi4EiPK16rocblas_bfloat16ffEviiT4_lPKT3_lilS6_lilPT5_i.uses_flat_scratch, 1
	.set _ZL23rocblas_gemvt_sn_kernelILb0ELi256ELi4EiPK16rocblas_bfloat16ffEviiT4_lPKT3_lilS6_lilPT5_i.has_dyn_sized_stack, 0
	.set _ZL23rocblas_gemvt_sn_kernelILb0ELi256ELi4EiPK16rocblas_bfloat16ffEviiT4_lPKT3_lilS6_lilPT5_i.has_recursion, 0
	.set _ZL23rocblas_gemvt_sn_kernelILb0ELi256ELi4EiPK16rocblas_bfloat16ffEviiT4_lPKT3_lilS6_lilPT5_i.has_indirect_call, 0
	.section	.AMDGPU.csdata,"",@progbits
; Kernel info:
; codeLenInByte = 4240
; TotalNumSgprs: 78
; NumVgprs: 65
; ScratchSize: 0
; MemoryBound: 0
; FloatMode: 240
; IeeeMode: 1
; LDSByteSize: 128 bytes/workgroup (compile time only)
; SGPRBlocks: 0
; VGPRBlocks: 4
; NumSGPRsForWavesPerEU: 78
; NumVGPRsForWavesPerEU: 65
; NamedBarCnt: 0
; Occupancy: 12
; WaveLimiterHint : 0
; COMPUTE_PGM_RSRC2:SCRATCH_EN: 0
; COMPUTE_PGM_RSRC2:USER_SGPR: 2
; COMPUTE_PGM_RSRC2:TRAP_HANDLER: 0
; COMPUTE_PGM_RSRC2:TGID_X_EN: 1
; COMPUTE_PGM_RSRC2:TGID_Y_EN: 0
; COMPUTE_PGM_RSRC2:TGID_Z_EN: 1
; COMPUTE_PGM_RSRC2:TIDIG_COMP_CNT: 0
	.section	.text._ZL23rocblas_gemvt_sn_kernelILb0ELi256ELi4ElPK16rocblas_bfloat16ffEviiT4_lPKT3_lilS6_lilPT5_i,"axG",@progbits,_ZL23rocblas_gemvt_sn_kernelILb0ELi256ELi4ElPK16rocblas_bfloat16ffEviiT4_lPKT3_lilS6_lilPT5_i,comdat
	.globl	_ZL23rocblas_gemvt_sn_kernelILb0ELi256ELi4ElPK16rocblas_bfloat16ffEviiT4_lPKT3_lilS6_lilPT5_i ; -- Begin function _ZL23rocblas_gemvt_sn_kernelILb0ELi256ELi4ElPK16rocblas_bfloat16ffEviiT4_lPKT3_lilS6_lilPT5_i
	.p2align	8
	.type	_ZL23rocblas_gemvt_sn_kernelILb0ELi256ELi4ElPK16rocblas_bfloat16ffEviiT4_lPKT3_lilS6_lilPT5_i,@function
_ZL23rocblas_gemvt_sn_kernelILb0ELi256ELi4ElPK16rocblas_bfloat16ffEviiT4_lPKT3_lilS6_lilPT5_i: ; @_ZL23rocblas_gemvt_sn_kernelILb0ELi256ELi4ElPK16rocblas_bfloat16ffEviiT4_lPKT3_lilS6_lilPT5_i
; %bb.0:
	s_load_b32 s23, s[0:1], 0x60
	s_bfe_u32 s2, ttmp6, 0x40014
	s_lshr_b32 s3, ttmp7, 16
	s_add_co_i32 s2, s2, 1
	s_bfe_u32 s5, ttmp6, 0x40008
	s_mul_i32 s2, s3, s2
	s_getreg_b32 s4, hwreg(HW_REG_IB_STS2, 6, 4)
	s_add_co_i32 s5, s5, s2
	s_cmp_eq_u32 s4, 0
	s_mov_b32 s25, 0
	s_cselect_b32 s10, s3, s5
	s_wait_kmcnt 0x0
	s_cmp_ge_u32 s10, s23
	s_cbranch_scc1 .LBB604_94
; %bb.1:
	s_clause 0x6
	s_load_b32 s26, s[0:1], 0x28
	s_load_b32 s6, s[0:1], 0x48
	s_load_b96 s[20:22], s[0:1], 0x0
	s_load_b128 s[12:15], s[0:1], 0x18
	s_load_b128 s[16:19], s[0:1], 0x38
	s_load_b64 s[28:29], s[0:1], 0x58
	s_load_b32 s30, s[0:1], 0x68
	s_wait_xcnt 0x0
	v_cmp_eq_u32_e64 s0, 0, v0
	v_dual_lshrrev_b32 v3, 3, v0 :: v_dual_bitop2_b32 v1, 31, v0 bitop3:0x40
	v_cmp_gt_u32_e64 s1, 32, v0
	v_cmp_gt_u32_e64 s2, 8, v0
	s_delay_alu instid0(VALU_DEP_3) | instskip(SKIP_4) | instid1(VALU_DEP_2)
	v_dual_mov_b32 v2, 0 :: v_dual_lshlrev_b32 v47, 2, v1
	v_cmp_eq_u32_e64 s3, 0, v1
	v_mbcnt_lo_u32_b32 v46, -1, 0
	v_mov_b64_e32 v[22:23], 0
	s_mov_b32 s31, s25
	v_lshl_or_b32 v49, v46, 2, 64
	s_wait_kmcnt 0x0
	s_ashr_i32 s27, s26, 31
	s_ashr_i32 s7, s6, 31
	s_cmp_neq_f32 s22, 0
	s_mov_b32 s8, s21
	s_mul_u64 s[34:35], s[26:27], 6
	s_cselect_b32 s33, -1, 0
	s_cmp_eq_f32 s22, 0
	s_cselect_b32 s56, -1, 0
	s_ashr_i32 s9, s21, 31
	s_cmp_gt_i32 s21, 0
	s_mul_u64 s[36:37], s[8:9], s[30:31]
	s_cselect_b32 s5, -1, 0
	s_bfe_u32 s11, ttmp6, 0x4000c
	s_and_b32 s24, ttmp6, 15
	s_add_co_i32 s11, s11, 1
	s_and_b32 s57, s0, s5
	s_mul_i32 s11, ttmp9, s11
	s_delay_alu instid0(SALU_CYCLE_1)
	s_add_co_i32 s24, s24, s11
	s_cmp_eq_u32 s4, 0
	s_cselect_b32 s24, ttmp9, s24
	s_ashr_i32 s5, s20, 31
	s_lshl_b32 s11, s24, 10
	s_lshr_b32 s4, s9, 30
	v_lshl_or_b32 v8, v0, 2, s11
	s_lshr_b32 s5, s5, 30
	s_add_co_i32 s4, s21, s4
	s_add_co_i32 s5, s20, s5
	s_delay_alu instid0(VALU_DEP_1)
	v_dual_ashrrev_i32 v9, 31, v8 :: v_dual_bitop2_b32 v48, 28, v3 bitop3:0x40
	s_and_b32 s58, s4, -4
	s_and_b32 s4, s5, -4
	v_dual_add_nc_u32 v3, 4, v8 :: v_dual_bitop2_b32 v4, 2, v8 bitop3:0x54
	s_sub_co_i32 s59, s20, s4
	v_or_b32_e32 v6, 3, v8
	v_or_b32_e32 v0, 1, v8
	v_mul_u64_e32 v[10:11], s[6:7], v[8:9]
	v_ashrrev_i32_e32 v5, 31, v4
	s_cmp_gt_i32 s58, 0
	s_delay_alu instid0(VALU_DEP_3) | instskip(SKIP_1) | instid1(VALU_DEP_2)
	v_dual_ashrrev_i32 v7, 31, v6 :: v_dual_ashrrev_i32 v1, 31, v0
	s_cselect_b32 s60, -1, 0
	v_mul_u64_e32 v[14:15], s[6:7], v[4:5]
	s_cmp_gt_i32 s59, 0
	v_cmp_ge_i32_e64 s4, s20, v3
	v_mul_u64_e32 v[12:13], s[6:7], v[0:1]
	v_add_nc_u32_e32 v0, s59, v8
	v_mul_u64_e32 v[16:17], s[6:7], v[6:7]
	s_cselect_b32 s61, -1, 0
	s_cmp_gt_u32 s21, 1
	v_lshlrev_b64_e32 v[18:19], 1, v[8:9]
	s_cselect_b32 s11, -1, 0
	s_cmp_eq_u32 s30, 1
	v_cmp_ge_i32_e64 s5, s20, v0
	s_cselect_b32 s38, -1, 0
	s_and_b32 s20, s21, 0x7ffffffe
	s_and_b32 s62, s11, s38
	s_cmp_lg_u32 s21, s20
	s_cselect_b32 s63, -1, 0
	s_lshl_b64 s[38:39], s[24:25], 2
	s_lshl_b64 s[40:41], s[8:9], 2
	;; [unrolled: 1-line block ×6, first 2 shown]
	s_add_nc_u64 s[50:51], s[28:29], s[38:39]
	s_lshl_b64 s[52:53], s[26:27], 1
	v_lshlrev_b64_e32 v[20:21], 1, v[10:11]
	s_lshl_b64 s[14:15], s[14:15], 1
	s_lshl_b64 s[18:19], s[18:19], 1
	s_branch .LBB604_3
.LBB604_2:                              ;   in Loop: Header=BB604_3 Depth=1
	s_add_co_i32 s10, s10, 0x10000
	s_delay_alu instid0(SALU_CYCLE_1)
	s_cmp_lt_u32 s10, s23
	s_cbranch_scc0 .LBB604_94
.LBB604_3:                              ; =>This Loop Header: Depth=1
                                        ;     Child Loop BB604_11 Depth 2
                                        ;     Child Loop BB604_17 Depth 2
	;; [unrolled: 1-line block ×3, first 2 shown]
                                        ;       Child Loop BB604_54 Depth 3
                                        ;       Child Loop BB604_57 Depth 3
                                        ;     Child Loop BB604_73 Depth 2
                                        ;       Child Loop BB604_86 Depth 3
                                        ;       Child Loop BB604_89 Depth 3
	s_mov_b32 s11, s25
	s_and_not1_b32 vcc_lo, exec_lo, s56
	s_mov_b32 s6, -1
	s_cbranch_vccz .LBB604_13
; %bb.4:                                ;   in Loop: Header=BB604_3 Depth=1
	v_mov_b64_e32 v[6:7], 0
	s_wait_dscnt 0x0
	v_mov_b64_e32 v[0:1], 0
	s_and_not1_b32 vcc_lo, exec_lo, s6
	s_cbranch_vccz .LBB604_14
.LBB604_5:                              ;   in Loop: Header=BB604_3 Depth=1
	s_and_not1_b32 vcc_lo, exec_lo, s33
	s_cbranch_vccnz .LBB604_7
.LBB604_6:                              ;   in Loop: Header=BB604_3 Depth=1
	s_wait_xcnt 0x0
	s_lshl_b64 s[6:7], s[10:11], 3
	s_delay_alu instid0(SALU_CYCLE_1)
	s_add_nc_u64 s[6:7], s[16:17], s[6:7]
	global_load_b64 v[4:5], v2, s[6:7]
	s_wait_loadcnt 0x0
	v_add_nc_u64_e32 v[6:7], s[18:19], v[4:5]
.LBB604_7:                              ;   in Loop: Header=BB604_3 Depth=1
	s_wait_xcnt 0x0
	s_mul_u64 s[6:7], s[36:37], s[10:11]
	s_and_not1_b32 vcc_lo, exec_lo, s56
	s_lshl_b64 s[6:7], s[6:7], 2
	s_delay_alu instid0(SALU_CYCLE_1)
	s_add_nc_u64 s[54:55], s[28:29], s[6:7]
	s_mov_b32 s6, -1
	s_cbranch_vccnz .LBB604_19
; %bb.8:                                ;   in Loop: Header=BB604_3 Depth=1
	s_and_saveexec_b32 s8, s57
	s_cbranch_execz .LBB604_18
; %bb.9:                                ;   in Loop: Header=BB604_3 Depth=1
	s_and_not1_b32 vcc_lo, exec_lo, s62
	s_cbranch_vccnz .LBB604_15
; %bb.10:                               ;   in Loop: Header=BB604_3 Depth=1
	s_add_nc_u64 s[6:7], s[54:55], s[38:39]
	s_mov_b32 s9, s20
.LBB604_11:                             ;   Parent Loop BB604_3 Depth=1
                                        ; =>  This Inner Loop Header: Depth=2
	s_delay_alu instid0(SALU_CYCLE_1)
	s_add_co_i32 s9, s9, -2
	global_store_b64 v2, v[22:23], s[6:7]
	s_wait_xcnt 0x0
	s_add_nc_u64 s[6:7], s[6:7], 8
	s_mov_b32 s24, s20
	s_cmp_lg_u32 s9, 0
	s_mov_b32 s64, s63
	s_cbranch_scc1 .LBB604_11
; %bb.12:                               ;   in Loop: Header=BB604_3 Depth=1
	s_and_b32 vcc_lo, exec_lo, s64
	s_cbranch_vccnz .LBB604_16
	s_branch .LBB604_18
.LBB604_13:                             ;   in Loop: Header=BB604_3 Depth=1
	v_mov_b64_e32 v[6:7], 0
	s_wait_dscnt 0x0
	v_mov_b64_e32 v[0:1], 0
	s_cbranch_execnz .LBB604_5
.LBB604_14:                             ;   in Loop: Header=BB604_3 Depth=1
	s_lshl_b64 s[6:7], s[10:11], 3
	s_delay_alu instid0(SALU_CYCLE_1)
	s_add_nc_u64 s[6:7], s[12:13], s[6:7]
	global_load_b64 v[0:1], v2, s[6:7]
	s_wait_loadcnt 0x0
	v_add_nc_u64_e32 v[0:1], s[14:15], v[0:1]
	s_and_not1_b32 vcc_lo, exec_lo, s33
	s_cbranch_vccz .LBB604_6
	s_branch .LBB604_7
.LBB604_15:                             ;   in Loop: Header=BB604_3 Depth=1
	s_mov_b32 s24, 0
	s_cbranch_execz .LBB604_18
.LBB604_16:                             ;   in Loop: Header=BB604_3 Depth=1
	s_mul_u64 s[6:7], s[40:41], s[10:11]
	s_lshl_b64 s[64:65], s[24:25], 2
	s_sub_co_i32 s9, s21, s24
	s_add_nc_u64 s[6:7], s[6:7], s[64:65]
	s_delay_alu instid0(SALU_CYCLE_1) | instskip(NEXT) | instid1(SALU_CYCLE_1)
	s_mul_u64 s[6:7], s[30:31], s[6:7]
	s_add_nc_u64 s[6:7], s[50:51], s[6:7]
.LBB604_17:                             ;   Parent Loop BB604_3 Depth=1
                                        ; =>  This Inner Loop Header: Depth=2
	s_add_co_i32 s9, s9, -1
	global_store_b32 v2, v2, s[6:7]
	s_cmp_eq_u32 s9, 0
	s_wait_xcnt 0x0
	s_add_nc_u64 s[6:7], s[6:7], s[42:43]
	s_cbranch_scc0 .LBB604_17
.LBB604_18:                             ;   in Loop: Header=BB604_3 Depth=1
	s_or_b32 exec_lo, exec_lo, s8
	s_mov_b32 s6, 0
.LBB604_19:                             ;   in Loop: Header=BB604_3 Depth=1
	s_delay_alu instid0(SALU_CYCLE_1)
	s_and_not1_b32 vcc_lo, exec_lo, s6
	s_cbranch_vccnz .LBB604_2
; %bb.20:                               ;   in Loop: Header=BB604_3 Depth=1
	v_add_nc_u64_e32 v[34:35], v[6:7], v[20:21]
	v_lshl_add_u64 v[24:25], v[8:9], 1, v[0:1]
	v_lshl_add_u64 v[26:27], v[10:11], 1, v[6:7]
	;; [unrolled: 1-line block ×5, first 2 shown]
	v_cmp_gt_u32_e64 s8, 24, v46
	v_cmp_gt_u32_e64 s6, 28, v46
	;; [unrolled: 1-line block ×3, first 2 shown]
	v_cmp_ne_u32_e64 s7, 31, v46
	s_and_not1_b32 vcc_lo, exec_lo, s60
	s_add_nc_u64 s[54:55], s[54:55], s[38:39]
	s_cbranch_vccnz .LBB604_69
; %bb.21:                               ;   in Loop: Header=BB604_3 Depth=1
	v_cndmask_b32_e64 v3, 0, 8, s8
	v_cndmask_b32_e64 v4, 0, 4, s6
	v_cndmask_b32_e64 v36, 0, 2, s9
	v_add_co_ci_u32_e64 v37, null, 0, v46, s7
	s_delay_alu instid0(VALU_DEP_4) | instskip(NEXT) | instid1(VALU_DEP_4)
	v_add_lshl_u32 v50, v3, v46, 2
	v_add_lshl_u32 v51, v4, v46, 2
	v_dual_mov_b32 v3, v2 :: v_dual_mov_b32 v4, v2
	s_delay_alu instid0(VALU_DEP_4) | instskip(SKIP_3) | instid1(VALU_DEP_4)
	v_dual_mov_b32 v5, v2 :: v_dual_lshlrev_b32 v53, 2, v37
	v_add_lshl_u32 v52, v36, v46, 2
	v_add_nc_u64_e32 v[36:37], v[6:7], v[20:21]
	v_mov_b64_e32 v[38:39], v[24:25]
	v_mov_b64_e32 v[6:7], v[4:5]
	;; [unrolled: 1-line block ×3, first 2 shown]
	s_mov_b32 s24, 0
	s_branch .LBB604_23
.LBB604_22:                             ;   in Loop: Header=BB604_23 Depth=2
	s_wait_xcnt 0x0
	s_or_b32 exec_lo, exec_lo, s6
	v_add_nc_u64_e32 v[38:39], s[46:47], v[38:39]
	s_add_co_i32 s24, s24, 4
	s_delay_alu instid0(SALU_CYCLE_1)
	s_cmp_ge_i32 s24, s58
	s_cbranch_scc1 .LBB604_70
.LBB604_23:                             ;   Parent Loop BB604_3 Depth=1
                                        ; =>  This Loop Header: Depth=2
                                        ;       Child Loop BB604_54 Depth 3
                                        ;       Child Loop BB604_57 Depth 3
                                        ; implicit-def: $vgpr41
                                        ; implicit-def: $vgpr43
	s_and_saveexec_b32 s6, s4
	s_delay_alu instid0(SALU_CYCLE_1)
	s_xor_b32 s6, exec_lo, s6
	s_cbranch_execnz .LBB604_50
; %bb.24:                               ;   in Loop: Header=BB604_23 Depth=2
	s_and_not1_saveexec_b32 s11, s6
	s_cbranch_execnz .LBB604_51
.LBB604_25:                             ;   in Loop: Header=BB604_23 Depth=2
	s_or_b32 exec_lo, exec_lo, s11
	s_and_saveexec_b32 s6, s1
.LBB604_26:                             ;   in Loop: Header=BB604_23 Depth=2
	ds_store_b32 v47, v2
.LBB604_27:                             ;   in Loop: Header=BB604_23 Depth=2
	s_or_b32 exec_lo, exec_lo, s6
	ds_bpermute_b32 v3, v49, v42
	s_wait_storecnt_dscnt 0x0
	s_barrier_signal -1
	s_barrier_wait -1
	v_add_f32_e32 v3, v42, v3
	ds_bpermute_b32 v42, v50, v3
	s_wait_dscnt 0x0
	v_add_f32_e32 v3, v3, v42
	ds_bpermute_b32 v42, v51, v3
	s_wait_dscnt 0x0
	;; [unrolled: 3-line block ×3, first 2 shown]
	v_add_f32_e32 v3, v3, v42
	ds_bpermute_b32 v42, v53, v3
	s_and_saveexec_b32 s6, s3
	s_cbranch_execz .LBB604_29
; %bb.28:                               ;   in Loop: Header=BB604_23 Depth=2
	s_wait_dscnt 0x0
	v_add_f32_e32 v3, v3, v42
	ds_store_b32 v48, v3
.LBB604_29:                             ;   in Loop: Header=BB604_23 Depth=2
	s_or_b32 exec_lo, exec_lo, s6
	v_mov_b32_e32 v3, 0
	s_wait_dscnt 0x0
	s_barrier_signal -1
	s_barrier_wait -1
	s_and_saveexec_b32 s6, s2
	s_cbranch_execnz .LBB604_58
; %bb.30:                               ;   in Loop: Header=BB604_23 Depth=2
	s_or_b32 exec_lo, exec_lo, s6
	s_and_saveexec_b32 s6, s1
	s_cbranch_execnz .LBB604_59
.LBB604_31:                             ;   in Loop: Header=BB604_23 Depth=2
	s_or_b32 exec_lo, exec_lo, s6
	s_and_saveexec_b32 s6, s1
.LBB604_32:                             ;   in Loop: Header=BB604_23 Depth=2
	ds_store_b32 v47, v2
.LBB604_33:                             ;   in Loop: Header=BB604_23 Depth=2
	s_or_b32 exec_lo, exec_lo, s6
	ds_bpermute_b32 v42, v49, v43
	s_wait_dscnt 0x0
	s_barrier_signal -1
	s_barrier_wait -1
	v_add_f32_e32 v42, v43, v42
	ds_bpermute_b32 v43, v50, v42
	s_wait_dscnt 0x0
	v_add_f32_e32 v42, v42, v43
	ds_bpermute_b32 v43, v51, v42
	s_wait_dscnt 0x0
	;; [unrolled: 3-line block ×3, first 2 shown]
	v_add_f32_e32 v42, v42, v43
	ds_bpermute_b32 v43, v53, v42
	s_and_saveexec_b32 s6, s3
	s_cbranch_execz .LBB604_35
; %bb.34:                               ;   in Loop: Header=BB604_23 Depth=2
	s_wait_dscnt 0x0
	v_add_f32_e32 v42, v42, v43
	ds_store_b32 v48, v42
.LBB604_35:                             ;   in Loop: Header=BB604_23 Depth=2
	s_or_b32 exec_lo, exec_lo, s6
	v_mov_b32_e32 v42, 0
	s_wait_dscnt 0x0
	s_barrier_signal -1
	s_barrier_wait -1
	s_and_saveexec_b32 s6, s2
	s_cbranch_execnz .LBB604_60
; %bb.36:                               ;   in Loop: Header=BB604_23 Depth=2
	s_or_b32 exec_lo, exec_lo, s6
	s_and_saveexec_b32 s6, s1
	s_cbranch_execnz .LBB604_61
.LBB604_37:                             ;   in Loop: Header=BB604_23 Depth=2
	s_or_b32 exec_lo, exec_lo, s6
	s_and_saveexec_b32 s6, s1
.LBB604_38:                             ;   in Loop: Header=BB604_23 Depth=2
	ds_store_b32 v47, v2
.LBB604_39:                             ;   in Loop: Header=BB604_23 Depth=2
	s_or_b32 exec_lo, exec_lo, s6
	ds_bpermute_b32 v43, v49, v40
	s_wait_dscnt 0x0
	s_barrier_signal -1
	s_barrier_wait -1
	v_add_f32_e32 v40, v40, v43
	ds_bpermute_b32 v43, v50, v40
	s_wait_dscnt 0x0
	v_add_f32_e32 v40, v40, v43
	ds_bpermute_b32 v43, v51, v40
	s_wait_dscnt 0x0
	;; [unrolled: 3-line block ×3, first 2 shown]
	v_add_f32_e32 v40, v40, v43
	ds_bpermute_b32 v43, v53, v40
	s_and_saveexec_b32 s6, s3
	s_cbranch_execz .LBB604_41
; %bb.40:                               ;   in Loop: Header=BB604_23 Depth=2
	s_wait_dscnt 0x0
	v_add_f32_e32 v40, v40, v43
	ds_store_b32 v48, v40
.LBB604_41:                             ;   in Loop: Header=BB604_23 Depth=2
	s_or_b32 exec_lo, exec_lo, s6
	v_mov_b32_e32 v40, 0
	s_wait_dscnt 0x0
	s_barrier_signal -1
	s_barrier_wait -1
	s_and_saveexec_b32 s6, s2
	s_cbranch_execnz .LBB604_62
; %bb.42:                               ;   in Loop: Header=BB604_23 Depth=2
	s_or_b32 exec_lo, exec_lo, s6
	s_and_saveexec_b32 s6, s1
	s_cbranch_execnz .LBB604_63
.LBB604_43:                             ;   in Loop: Header=BB604_23 Depth=2
	s_or_b32 exec_lo, exec_lo, s6
	s_and_saveexec_b32 s6, s1
.LBB604_44:                             ;   in Loop: Header=BB604_23 Depth=2
	ds_store_b32 v47, v2
.LBB604_45:                             ;   in Loop: Header=BB604_23 Depth=2
	s_or_b32 exec_lo, exec_lo, s6
	ds_bpermute_b32 v43, v49, v41
	s_wait_dscnt 0x0
	s_barrier_signal -1
	s_barrier_wait -1
	v_add_f32_e32 v41, v41, v43
	ds_bpermute_b32 v43, v50, v41
	s_wait_dscnt 0x0
	v_add_f32_e32 v41, v41, v43
	ds_bpermute_b32 v43, v51, v41
	s_wait_dscnt 0x0
	;; [unrolled: 3-line block ×3, first 2 shown]
	v_add_f32_e32 v41, v41, v43
	ds_bpermute_b32 v43, v53, v41
	s_and_saveexec_b32 s6, s3
	s_cbranch_execz .LBB604_47
; %bb.46:                               ;   in Loop: Header=BB604_23 Depth=2
	s_wait_dscnt 0x0
	v_add_f32_e32 v41, v41, v43
	ds_store_b32 v48, v41
.LBB604_47:                             ;   in Loop: Header=BB604_23 Depth=2
	s_or_b32 exec_lo, exec_lo, s6
	v_mov_b32_e32 v41, 0
	s_wait_dscnt 0x0
	s_barrier_signal -1
	s_barrier_wait -1
	s_and_saveexec_b32 s6, s2
	s_cbranch_execnz .LBB604_64
; %bb.48:                               ;   in Loop: Header=BB604_23 Depth=2
	s_or_b32 exec_lo, exec_lo, s6
	s_and_saveexec_b32 s6, s1
	s_cbranch_execnz .LBB604_65
.LBB604_49:                             ;   in Loop: Header=BB604_23 Depth=2
	s_or_b32 exec_lo, exec_lo, s6
	s_and_saveexec_b32 s6, s0
	s_cbranch_execz .LBB604_22
	s_branch .LBB604_66
.LBB604_50:                             ;   in Loop: Header=BB604_23 Depth=2
	s_mul_u64 s[8:9], s[24:25], s[26:27]
	s_or_b32 s64, s24, 2
	s_mov_b32 s65, s25
	v_lshl_add_u64 v[4:5], s[8:9], 1, v[24:25]
	s_or_b32 s8, s24, 3
	s_mov_b32 s9, s25
	s_mul_u64 s[64:65], s[64:65], s[26:27]
	s_mul_u64 s[8:9], s[8:9], s[26:27]
	v_lshl_add_u64 v[6:7], s[64:65], 1, v[24:25]
	s_wait_dscnt 0x0
	v_lshl_add_u64 v[40:41], s[8:9], 1, v[24:25]
	s_clause 0x3
	flat_load_u16 v3, v[26:27]
	flat_load_u16 v54, v[28:29]
	flat_load_u16 v56, v[30:31]
	flat_load_u16 v57, v[32:33]
	s_clause 0x2
	flat_load_b64 v[42:43], v[4:5]
	flat_load_b64 v[6:7], v[6:7]
	;; [unrolled: 1-line block ×3, first 2 shown]
	s_or_b32 s8, s24, 1
	s_mov_b32 s9, s25
	s_delay_alu instid0(SALU_CYCLE_1)
	s_mul_u64 s[8:9], s[8:9], s[26:27]
	s_wait_xcnt 0x2
	v_lshl_add_u64 v[4:5], s[8:9], 1, v[24:25]
	flat_load_b64 v[44:45], v[4:5]
	s_wait_loadcnt_dscnt 0x606
	s_wait_xcnt 0x0
	v_dual_lshlrev_b32 v4, 16, v3 :: v_dual_lshlrev_b32 v55, 16, v54
	s_wait_loadcnt_dscnt 0x404
	v_dual_lshlrev_b32 v58, 16, v56 :: v_dual_lshlrev_b32 v57, 16, v57
	s_wait_loadcnt_dscnt 0x303
	;; [unrolled: 2-line block ×3, first 2 shown]
	v_dual_lshlrev_b32 v3, 16, v6 :: v_dual_lshlrev_b32 v54, 16, v40
	v_and_b32_e32 v5, 0xffff0000, v40
	v_and_b32_e32 v61, 0xffff0000, v6
	v_dual_lshlrev_b32 v63, 16, v7 :: v_dual_lshlrev_b32 v56, 16, v41
	v_and_b32_e32 v72, 0xffff0000, v7
	s_delay_alu instid0(VALU_DEP_4) | instskip(SKIP_3) | instid1(VALU_DEP_3)
	v_pk_mul_f32 v[6:7], v[54:55], v[4:5]
	v_and_b32_e32 v59, 0xffff0000, v41
	v_dual_mul_f32 v40, v4, v3 :: v_dual_mov_b32 v5, v55
	s_wait_loadcnt_dscnt 0x0
	v_dual_lshlrev_b32 v65, 16, v44 :: v_dual_mov_b32 v41, v6
	v_dual_mov_b32 v60, v55 :: v_dual_mov_b32 v62, v57
	v_and_b32_e32 v42, 0xffff0000, v42
	v_and_b32_e32 v68, 0xffff0000, v43
	;; [unrolled: 1-line block ×3, first 2 shown]
	v_dual_mul_f32 v6, v55, v61 :: v_dual_mul_f32 v70, v58, v63
	v_pk_mul_f32 v[54:55], v[56:57], v[58:59]
	v_pk_add_f32 v[40:41], v[40:41], 0 op_sel_hi:[1,0]
	v_pk_fma_f32 v[64:65], v[4:5], v[64:65], 0 op_sel_hi:[0,1,0]
	v_lshlrev_b32_e32 v67, 16, v45
	v_and_b32_e32 v69, 0xffff0000, v45
	v_mov_b32_e32 v71, v54
	v_pk_add_f32 v[6:7], v[40:41], v[6:7]
	v_pk_fma_f32 v[40:41], v[60:61], v[42:43], v[64:65] op_sel_hi:[0,1,1]
	v_mul_f32_e32 v54, v57, v72
	s_delay_alu instid0(VALU_DEP_3) | instskip(NEXT) | instid1(VALU_DEP_3)
	v_pk_add_f32 v[42:43], v[6:7], v[70:71]
	v_pk_fma_f32 v[44:45], v[58:59], v[66:67], v[40:41] op_sel_hi:[0,1,1]
	v_dual_mov_b32 v6, v58 :: v_dual_mov_b32 v7, v57
	s_delay_alu instid0(VALU_DEP_3) | instskip(NEXT) | instid1(VALU_DEP_3)
	v_pk_add_f32 v[40:41], v[42:43], v[54:55]
	v_pk_fma_f32 v[42:43], v[62:63], v[68:69], v[44:45] op_sel_hi:[0,1,1]
	s_and_not1_saveexec_b32 s11, s6
	s_cbranch_execz .LBB604_25
.LBB604_51:                             ;   in Loop: Header=BB604_23 Depth=2
	s_wait_dscnt 0x0
	v_dual_mov_b32 v41, 0 :: v_dual_mov_b32 v40, 0
	v_dual_mov_b32 v43, 0 :: v_dual_mov_b32 v42, 0
	s_and_saveexec_b32 s64, s5
	s_cbranch_execz .LBB604_68
; %bb.52:                               ;   in Loop: Header=BB604_23 Depth=2
	s_and_not1_b32 vcc_lo, exec_lo, s61
	s_cbranch_vccnz .LBB604_55
; %bb.53:                               ;   in Loop: Header=BB604_23 Depth=2
	v_mov_b64_e32 v[40:41], v[36:37]
	s_mov_b64 s[8:9], 0
.LBB604_54:                             ;   Parent Loop BB604_3 Depth=1
                                        ;     Parent Loop BB604_23 Depth=2
                                        ; =>    This Inner Loop Header: Depth=3
	flat_load_u16 v3, v[40:41]
	s_cmp_eq_u32 s8, 3
	s_wait_xcnt 0x0
	v_add_nc_u64_e32 v[40:41], s[44:45], v[40:41]
	s_cselect_b32 vcc_lo, -1, 0
	s_cmp_eq_u32 s8, 2
	s_cselect_b32 s6, -1, 0
	s_cmp_eq_u32 s8, 1
	s_cselect_b32 s7, -1, 0
	s_cmp_eq_u32 s8, 0
	s_add_nc_u64 s[8:9], s[8:9], 1
	s_wait_loadcnt_dscnt 0x0
	v_lshlrev_b32_e32 v3, 16, v3
	s_delay_alu instid0(VALU_DEP_1) | instskip(SKIP_1) | instid1(SALU_CYCLE_1)
	v_dual_cndmask_b32 v7, v7, v3, vcc_lo :: v_dual_cndmask_b32 v6, v6, v3, s6
	s_cselect_b32 vcc_lo, -1, 0
	v_dual_cndmask_b32 v5, v5, v3, s7 :: v_dual_cndmask_b32 v4, v4, v3, vcc_lo
	s_cmp_eq_u32 s59, s8
	s_cbranch_scc0 .LBB604_54
.LBB604_55:                             ;   in Loop: Header=BB604_23 Depth=2
	s_and_not1_b32 vcc_lo, exec_lo, s61
	s_cbranch_vccnz .LBB604_67
; %bb.56:                               ;   in Loop: Header=BB604_23 Depth=2
	v_mov_b32_e32 v42, 0
	v_mov_b64_e32 v[44:45], v[38:39]
	s_mov_b64 s[6:7], 0
	s_delay_alu instid0(VALU_DEP_2)
	v_dual_mov_b32 v43, v42 :: v_dual_mov_b32 v40, v42
	v_mov_b32_e32 v41, v42
.LBB604_57:                             ;   Parent Loop BB604_3 Depth=1
                                        ;     Parent Loop BB604_23 Depth=2
                                        ; =>    This Inner Loop Header: Depth=3
	s_delay_alu instid0(VALU_DEP_3)
	v_add_nc_u64_e32 v[54:55], s[52:53], v[44:45]
	v_add_nc_u64_e32 v[56:57], s[34:35], v[44:45]
	;; [unrolled: 1-line block ×3, first 2 shown]
	s_cmp_eq_u32 s6, 1
	s_clause 0x3
	flat_load_u16 v3, v[44:45]
	flat_load_u16 v55, v[54:55]
	;; [unrolled: 1-line block ×4, first 2 shown]
	s_cselect_b32 vcc_lo, -1, 0
	s_cmp_eq_u32 s6, 2
	s_wait_xcnt 0x2
	v_cndmask_b32_e32 v54, v4, v5, vcc_lo
	s_cselect_b32 vcc_lo, -1, 0
	s_cmp_eq_u32 s6, 3
	v_add_nc_u64_e32 v[44:45], 2, v[44:45]
	s_add_nc_u64 s[6:7], s[6:7], 1
	s_wait_loadcnt_dscnt 0x303
	s_wait_xcnt 0x1
	v_dual_lshlrev_b32 v56, 16, v3 :: v_dual_cndmask_b32 v54, v54, v6, vcc_lo
	s_wait_loadcnt_dscnt 0x202
	v_lshlrev_b32_e32 v57, 16, v55
	s_cselect_b32 vcc_lo, -1, 0
	s_wait_loadcnt_dscnt 0x0
	v_dual_lshlrev_b32 v58, 16, v58 :: v_dual_lshlrev_b32 v59, 16, v60
	v_cndmask_b32_e32 v54, v54, v7, vcc_lo
	s_cmp_lg_u32 s59, s6
	s_delay_alu instid0(VALU_DEP_1) | instskip(NEXT) | instid1(VALU_DEP_3)
	v_pk_fma_f32 v[42:43], v[54:55], v[56:57], v[42:43] op_sel_hi:[0,1,1]
	v_pk_fma_f32 v[40:41], v[54:55], v[58:59], v[40:41] op_sel_hi:[0,1,1]
	s_cbranch_scc1 .LBB604_57
	s_branch .LBB604_68
.LBB604_58:                             ;   in Loop: Header=BB604_23 Depth=2
	ds_load_b32 v3, v47
	s_or_b32 exec_lo, exec_lo, s6
	s_and_saveexec_b32 s6, s1
	s_cbranch_execz .LBB604_31
.LBB604_59:                             ;   in Loop: Header=BB604_23 Depth=2
	s_wait_dscnt 0x0
	ds_bpermute_b32 v42, v51, v3
	s_wait_dscnt 0x0
	v_add_f32_e32 v3, v3, v42
	ds_bpermute_b32 v42, v52, v3
	s_wait_dscnt 0x0
	v_add_f32_e32 v3, v3, v42
	ds_bpermute_b32 v42, v53, v3
	s_wait_dscnt 0x0
	v_add_f32_e32 v3, v3, v42
	s_or_b32 exec_lo, exec_lo, s6
	s_and_saveexec_b32 s6, s1
	s_cbranch_execnz .LBB604_32
	s_branch .LBB604_33
.LBB604_60:                             ;   in Loop: Header=BB604_23 Depth=2
	ds_load_b32 v42, v47
	s_or_b32 exec_lo, exec_lo, s6
	s_and_saveexec_b32 s6, s1
	s_cbranch_execz .LBB604_37
.LBB604_61:                             ;   in Loop: Header=BB604_23 Depth=2
	s_wait_dscnt 0x0
	ds_bpermute_b32 v43, v51, v42
	s_wait_dscnt 0x0
	v_add_f32_e32 v42, v42, v43
	ds_bpermute_b32 v43, v52, v42
	s_wait_dscnt 0x0
	v_add_f32_e32 v42, v42, v43
	;; [unrolled: 3-line block ×3, first 2 shown]
	s_or_b32 exec_lo, exec_lo, s6
	s_and_saveexec_b32 s6, s1
	s_cbranch_execnz .LBB604_38
	s_branch .LBB604_39
.LBB604_62:                             ;   in Loop: Header=BB604_23 Depth=2
	ds_load_b32 v40, v47
	s_or_b32 exec_lo, exec_lo, s6
	s_and_saveexec_b32 s6, s1
	s_cbranch_execz .LBB604_43
.LBB604_63:                             ;   in Loop: Header=BB604_23 Depth=2
	s_wait_dscnt 0x0
	ds_bpermute_b32 v43, v51, v40
	s_wait_dscnt 0x0
	v_add_f32_e32 v40, v40, v43
	ds_bpermute_b32 v43, v52, v40
	s_wait_dscnt 0x0
	v_add_f32_e32 v40, v40, v43
	;; [unrolled: 3-line block ×3, first 2 shown]
	s_or_b32 exec_lo, exec_lo, s6
	s_and_saveexec_b32 s6, s1
	s_cbranch_execnz .LBB604_44
	s_branch .LBB604_45
.LBB604_64:                             ;   in Loop: Header=BB604_23 Depth=2
	ds_load_b32 v41, v47
	s_or_b32 exec_lo, exec_lo, s6
	s_and_saveexec_b32 s6, s1
	s_cbranch_execz .LBB604_49
.LBB604_65:                             ;   in Loop: Header=BB604_23 Depth=2
	s_wait_dscnt 0x0
	ds_bpermute_b32 v43, v51, v41
	s_wait_dscnt 0x0
	v_add_f32_e32 v41, v41, v43
	ds_bpermute_b32 v43, v52, v41
	s_wait_dscnt 0x0
	v_add_f32_e32 v41, v41, v43
	;; [unrolled: 3-line block ×3, first 2 shown]
	s_or_b32 exec_lo, exec_lo, s6
	s_and_saveexec_b32 s6, s0
	s_cbranch_execz .LBB604_22
.LBB604_66:                             ;   in Loop: Header=BB604_23 Depth=2
	s_or_b32 s64, s24, 1
	s_mov_b32 s65, s25
	s_mul_u64 s[8:9], s[24:25], s[30:31]
	v_dual_mul_f32 v3, s22, v3 :: v_dual_mul_f32 v42, s22, v42
	s_mul_u64 s[64:65], s[64:65], s[30:31]
	s_lshl_b64 s[8:9], s[8:9], 2
	s_lshl_b64 s[64:65], s[64:65], 2
	s_add_nc_u64 s[8:9], s[54:55], s[8:9]
	s_add_nc_u64 s[64:65], s[54:55], s[64:65]
	s_clause 0x1
	global_store_b32 v2, v3, s[8:9]
	global_store_b32 v2, v42, s[64:65]
	s_wait_xcnt 0x1
	s_or_b32 s8, s24, 2
	s_mov_b32 s9, s25
	s_wait_xcnt 0x0
	s_or_b32 s64, s24, 3
	s_mov_b32 s65, s25
	s_mul_u64 s[8:9], s[8:9], s[30:31]
	s_wait_dscnt 0x0
	v_dual_mul_f32 v3, s22, v40 :: v_dual_mul_f32 v40, s22, v41
	s_mul_u64 s[64:65], s[64:65], s[30:31]
	s_lshl_b64 s[8:9], s[8:9], 2
	s_lshl_b64 s[64:65], s[64:65], 2
	s_add_nc_u64 s[8:9], s[54:55], s[8:9]
	s_add_nc_u64 s[64:65], s[54:55], s[64:65]
	s_clause 0x1
	global_store_b32 v2, v3, s[8:9]
	global_store_b32 v2, v40, s[64:65]
	s_branch .LBB604_22
.LBB604_67:                             ;   in Loop: Header=BB604_23 Depth=2
	v_mov_b32_e32 v41, 0
	s_delay_alu instid0(VALU_DEP_1)
	v_dual_mov_b32 v40, v41 :: v_dual_mov_b32 v43, v41
	v_mov_b32_e32 v42, v41
.LBB604_68:                             ;   in Loop: Header=BB604_23 Depth=2
	s_or_b32 exec_lo, exec_lo, s64
	s_delay_alu instid0(SALU_CYCLE_1)
	s_or_b32 exec_lo, exec_lo, s11
	s_and_saveexec_b32 s6, s1
	s_cbranch_execnz .LBB604_26
	s_branch .LBB604_27
.LBB604_69:                             ;   in Loop: Header=BB604_3 Depth=1
	v_dual_mov_b32 v3, v2 :: v_dual_mov_b32 v4, v2
	v_mov_b32_e32 v5, v2
	s_mov_b32 s24, 0
	s_delay_alu instid0(VALU_DEP_1) | instskip(NEXT) | instid1(VALU_DEP_3)
	v_mov_b64_e32 v[6:7], v[4:5]
	v_mov_b64_e32 v[4:5], v[2:3]
.LBB604_70:                             ;   in Loop: Header=BB604_3 Depth=1
	s_cmp_ge_i32 s24, s21
	s_cbranch_scc1 .LBB604_2
; %bb.71:                               ;   in Loop: Header=BB604_3 Depth=1
	v_add_nc_u64_e32 v[0:1], v[0:1], v[18:19]
	v_cmp_gt_u32_e32 vcc_lo, 24, v46
	s_delay_alu instid0(VALU_DEP_2) | instskip(SKIP_2) | instid1(VALU_DEP_2)
	v_mad_nc_u64_u32 v[36:37], s52, s24, v[0:1]
	v_cndmask_b32_e64 v0, 0, 8, vcc_lo
	v_cmp_gt_u32_e32 vcc_lo, 28, v46
	v_add_lshl_u32 v1, v0, v46, 2
	v_cndmask_b32_e64 v3, 0, 4, vcc_lo
	v_cmp_gt_u32_e32 vcc_lo, 30, v46
	v_mad_u32 v37, s53, s24, v37
	s_delay_alu instid0(VALU_DEP_3) | instskip(SKIP_2) | instid1(VALU_DEP_2)
	v_add_lshl_u32 v3, v3, v46, 2
	v_cndmask_b32_e64 v38, 0, 2, vcc_lo
	v_cmp_ne_u32_e32 vcc_lo, 31, v46
	v_add_lshl_u32 v40, v38, v46, 2
	v_add_co_ci_u32_e64 v39, null, 0, v46, vcc_lo
	s_wait_dscnt 0x0
	s_delay_alu instid0(VALU_DEP_1)
	v_lshlrev_b32_e32 v41, 2, v39
	s_branch .LBB604_73
.LBB604_72:                             ;   in Loop: Header=BB604_73 Depth=2
	s_wait_xcnt 0x0
	s_or_b32 exec_lo, exec_lo, s6
	v_add_nc_u64_e32 v[36:37], s[52:53], v[36:37]
	s_add_co_i32 s24, s24, 1
	s_delay_alu instid0(SALU_CYCLE_1)
	s_cmp_ge_i32 s24, s21
	s_cbranch_scc1 .LBB604_2
.LBB604_73:                             ;   Parent Loop BB604_3 Depth=1
                                        ; =>  This Loop Header: Depth=2
                                        ;       Child Loop BB604_86 Depth 3
                                        ;       Child Loop BB604_89 Depth 3
	s_wait_dscnt 0x0
	v_mov_b32_e32 v0, s25
	s_and_saveexec_b32 s6, s4
	s_delay_alu instid0(SALU_CYCLE_1)
	s_xor_b32 s6, exec_lo, s6
	s_cbranch_execnz .LBB604_82
; %bb.74:                               ;   in Loop: Header=BB604_73 Depth=2
	s_and_not1_saveexec_b32 s11, s6
	s_cbranch_execnz .LBB604_83
.LBB604_75:                             ;   in Loop: Header=BB604_73 Depth=2
	s_or_b32 exec_lo, exec_lo, s11
	s_and_saveexec_b32 s6, s1
.LBB604_76:                             ;   in Loop: Header=BB604_73 Depth=2
	ds_store_b32 v47, v2
.LBB604_77:                             ;   in Loop: Header=BB604_73 Depth=2
	s_or_b32 exec_lo, exec_lo, s6
	ds_bpermute_b32 v38, v49, v0
	s_wait_storecnt_dscnt 0x0
	s_barrier_signal -1
	s_barrier_wait -1
	v_add_f32_e32 v0, v0, v38
	ds_bpermute_b32 v38, v1, v0
	s_wait_dscnt 0x0
	v_add_f32_e32 v0, v0, v38
	ds_bpermute_b32 v38, v3, v0
	s_wait_dscnt 0x0
	;; [unrolled: 3-line block ×3, first 2 shown]
	v_add_f32_e32 v0, v0, v38
	ds_bpermute_b32 v38, v41, v0
	s_and_saveexec_b32 s6, s3
	s_cbranch_execz .LBB604_79
; %bb.78:                               ;   in Loop: Header=BB604_73 Depth=2
	s_wait_dscnt 0x0
	v_add_f32_e32 v0, v0, v38
	ds_store_b32 v48, v0
.LBB604_79:                             ;   in Loop: Header=BB604_73 Depth=2
	s_or_b32 exec_lo, exec_lo, s6
	v_mov_b32_e32 v0, 0
	s_wait_dscnt 0x0
	s_barrier_signal -1
	s_barrier_wait -1
	s_and_saveexec_b32 s6, s2
	s_cbranch_execnz .LBB604_91
; %bb.80:                               ;   in Loop: Header=BB604_73 Depth=2
	s_or_b32 exec_lo, exec_lo, s6
	s_and_saveexec_b32 s6, s1
	s_cbranch_execnz .LBB604_92
.LBB604_81:                             ;   in Loop: Header=BB604_73 Depth=2
	s_or_b32 exec_lo, exec_lo, s6
	s_and_saveexec_b32 s6, s0
	s_cbranch_execz .LBB604_72
	s_branch .LBB604_93
.LBB604_82:                             ;   in Loop: Header=BB604_73 Depth=2
	s_mul_u64 s[8:9], s[24:25], s[26:27]
	s_delay_alu instid0(SALU_CYCLE_1)
	v_lshl_add_u64 v[4:5], s[8:9], 1, v[24:25]
	s_clause 0x1
	flat_load_u16 v0, v[28:29]
	flat_load_u16 v6, v[26:27]
	flat_load_b64 v[38:39], v[4:5]
	s_clause 0x1
	flat_load_u16 v44, v[32:33]
	flat_load_u16 v45, v[30:31]
	s_wait_loadcnt_dscnt 0x303
	s_wait_xcnt 0x2
	v_dual_lshlrev_b32 v5, 16, v0 :: v_dual_lshlrev_b32 v4, 16, v6
	s_wait_loadcnt_dscnt 0x202
	v_and_b32_e32 v7, 0xffff0000, v38
	v_lshlrev_b32_e32 v6, 16, v38
	s_delay_alu instid0(VALU_DEP_1) | instskip(SKIP_3) | instid1(VALU_DEP_3)
	v_pk_mul_f32 v[42:43], v[4:5], v[6:7]
	s_wait_loadcnt_dscnt 0x0
	v_dual_lshlrev_b32 v6, 16, v45 :: v_dual_lshlrev_b32 v7, 16, v44
	v_and_b32_e32 v45, 0xffff0000, v39
	v_add_f32_e32 v0, 0, v42
	s_delay_alu instid0(VALU_DEP_1) | instskip(SKIP_1) | instid1(VALU_DEP_1)
	v_add_f32_e32 v0, v0, v43
	v_lshlrev_b32_e32 v44, 16, v39
	v_pk_mul_f32 v[38:39], v[6:7], v[44:45]
	s_delay_alu instid0(VALU_DEP_1) | instskip(NEXT) | instid1(VALU_DEP_1)
	v_add_f32_e32 v0, v0, v38
	v_add_f32_e32 v0, v0, v39
	s_wait_xcnt 0x0
	s_and_not1_saveexec_b32 s11, s6
	s_cbranch_execz .LBB604_75
.LBB604_83:                             ;   in Loop: Header=BB604_73 Depth=2
	s_and_saveexec_b32 s64, s5
	s_cbranch_execz .LBB604_90
; %bb.84:                               ;   in Loop: Header=BB604_73 Depth=2
	s_and_not1_b32 vcc_lo, exec_lo, s61
	s_cbranch_vccnz .LBB604_87
; %bb.85:                               ;   in Loop: Header=BB604_73 Depth=2
	v_mov_b64_e32 v[38:39], v[34:35]
	s_mov_b64 s[8:9], 0
.LBB604_86:                             ;   Parent Loop BB604_3 Depth=1
                                        ;     Parent Loop BB604_73 Depth=2
                                        ; =>    This Inner Loop Header: Depth=3
	flat_load_u16 v42, v[38:39]
	s_cmp_eq_u32 s8, 3
	s_wait_xcnt 0x0
	v_add_nc_u64_e32 v[38:39], s[44:45], v[38:39]
	s_cselect_b32 vcc_lo, -1, 0
	s_cmp_eq_u32 s8, 2
	s_cselect_b32 s6, -1, 0
	s_cmp_eq_u32 s8, 1
	s_cselect_b32 s7, -1, 0
	s_cmp_eq_u32 s8, 0
	s_add_nc_u64 s[8:9], s[8:9], 1
	s_wait_loadcnt_dscnt 0x0
	v_lshlrev_b32_e32 v42, 16, v42
	s_delay_alu instid0(VALU_DEP_1) | instskip(SKIP_1) | instid1(SALU_CYCLE_1)
	v_dual_cndmask_b32 v7, v7, v42, vcc_lo :: v_dual_cndmask_b32 v6, v6, v42, s6
	s_cselect_b32 vcc_lo, -1, 0
	v_dual_cndmask_b32 v5, v5, v42, s7 :: v_dual_cndmask_b32 v4, v4, v42, vcc_lo
	s_cmp_eq_u32 s59, s8
	s_cbranch_scc0 .LBB604_86
.LBB604_87:                             ;   in Loop: Header=BB604_73 Depth=2
	s_and_not1_b32 vcc_lo, exec_lo, s61
	s_cbranch_vccnz .LBB604_90
; %bb.88:                               ;   in Loop: Header=BB604_73 Depth=2
	v_mov_b64_e32 v[38:39], v[36:37]
	s_mov_b64 s[6:7], 0
.LBB604_89:                             ;   Parent Loop BB604_3 Depth=1
                                        ;     Parent Loop BB604_73 Depth=2
                                        ; =>    This Inner Loop Header: Depth=3
	flat_load_u16 v42, v[38:39]
	s_cmp_eq_u32 s6, 1
	s_wait_xcnt 0x0
	v_add_nc_u64_e32 v[38:39], 2, v[38:39]
	s_cselect_b32 vcc_lo, -1, 0
	s_cmp_eq_u32 s6, 2
	v_cndmask_b32_e32 v43, v4, v5, vcc_lo
	s_cselect_b32 vcc_lo, -1, 0
	s_cmp_eq_u32 s6, 3
	s_add_nc_u64 s[6:7], s[6:7], 1
	s_delay_alu instid0(VALU_DEP_1) | instskip(SKIP_2) | instid1(VALU_DEP_1)
	v_cndmask_b32_e32 v43, v43, v6, vcc_lo
	s_cselect_b32 vcc_lo, -1, 0
	s_cmp_lg_u32 s59, s6
	v_cndmask_b32_e32 v43, v43, v7, vcc_lo
	s_wait_loadcnt_dscnt 0x0
	s_delay_alu instid0(VALU_DEP_1)
	v_fma_mix_f32_bf16 v0, v43, v42, v0 op_sel_hi:[0,1,0]
	s_cbranch_scc1 .LBB604_89
.LBB604_90:                             ;   in Loop: Header=BB604_73 Depth=2
	s_or_b32 exec_lo, exec_lo, s64
	s_delay_alu instid0(SALU_CYCLE_1)
	s_or_b32 exec_lo, exec_lo, s11
	s_and_saveexec_b32 s6, s1
	s_cbranch_execnz .LBB604_76
	s_branch .LBB604_77
.LBB604_91:                             ;   in Loop: Header=BB604_73 Depth=2
	ds_load_b32 v0, v47
	s_or_b32 exec_lo, exec_lo, s6
	s_and_saveexec_b32 s6, s1
	s_cbranch_execz .LBB604_81
.LBB604_92:                             ;   in Loop: Header=BB604_73 Depth=2
	s_wait_dscnt 0x0
	ds_bpermute_b32 v38, v3, v0
	s_wait_dscnt 0x0
	v_add_f32_e32 v0, v0, v38
	ds_bpermute_b32 v38, v40, v0
	s_wait_dscnt 0x0
	v_add_f32_e32 v0, v0, v38
	;; [unrolled: 3-line block ×3, first 2 shown]
	s_or_b32 exec_lo, exec_lo, s6
	s_and_saveexec_b32 s6, s0
	s_cbranch_execz .LBB604_72
.LBB604_93:                             ;   in Loop: Header=BB604_73 Depth=2
	s_mul_u64 s[8:9], s[24:25], s[30:31]
	s_wait_dscnt 0x0
	v_mul_f32_e32 v0, s22, v0
	s_lshl_b64 s[8:9], s[8:9], 2
	s_delay_alu instid0(SALU_CYCLE_1)
	s_add_nc_u64 s[8:9], s[54:55], s[8:9]
	global_store_b32 v2, v0, s[8:9]
	s_branch .LBB604_72
.LBB604_94:
	s_sendmsg sendmsg(MSG_DEALLOC_VGPRS)
	s_endpgm
	.section	.rodata,"a",@progbits
	.p2align	6, 0x0
	.amdhsa_kernel _ZL23rocblas_gemvt_sn_kernelILb0ELi256ELi4ElPK16rocblas_bfloat16ffEviiT4_lPKT3_lilS6_lilPT5_i
		.amdhsa_group_segment_fixed_size 128
		.amdhsa_private_segment_fixed_size 0
		.amdhsa_kernarg_size 360
		.amdhsa_user_sgpr_count 2
		.amdhsa_user_sgpr_dispatch_ptr 0
		.amdhsa_user_sgpr_queue_ptr 0
		.amdhsa_user_sgpr_kernarg_segment_ptr 1
		.amdhsa_user_sgpr_dispatch_id 0
		.amdhsa_user_sgpr_kernarg_preload_length 0
		.amdhsa_user_sgpr_kernarg_preload_offset 0
		.amdhsa_user_sgpr_private_segment_size 0
		.amdhsa_wavefront_size32 1
		.amdhsa_uses_dynamic_stack 0
		.amdhsa_enable_private_segment 0
		.amdhsa_system_sgpr_workgroup_id_x 1
		.amdhsa_system_sgpr_workgroup_id_y 0
		.amdhsa_system_sgpr_workgroup_id_z 1
		.amdhsa_system_sgpr_workgroup_info 0
		.amdhsa_system_vgpr_workitem_id 0
		.amdhsa_next_free_vgpr 73
		.amdhsa_next_free_sgpr 66
		.amdhsa_named_barrier_count 0
		.amdhsa_reserve_vcc 1
		.amdhsa_float_round_mode_32 0
		.amdhsa_float_round_mode_16_64 0
		.amdhsa_float_denorm_mode_32 3
		.amdhsa_float_denorm_mode_16_64 3
		.amdhsa_fp16_overflow 0
		.amdhsa_memory_ordered 1
		.amdhsa_forward_progress 1
		.amdhsa_inst_pref_size 33
		.amdhsa_round_robin_scheduling 0
		.amdhsa_exception_fp_ieee_invalid_op 0
		.amdhsa_exception_fp_denorm_src 0
		.amdhsa_exception_fp_ieee_div_zero 0
		.amdhsa_exception_fp_ieee_overflow 0
		.amdhsa_exception_fp_ieee_underflow 0
		.amdhsa_exception_fp_ieee_inexact 0
		.amdhsa_exception_int_div_zero 0
	.end_amdhsa_kernel
	.section	.text._ZL23rocblas_gemvt_sn_kernelILb0ELi256ELi4ElPK16rocblas_bfloat16ffEviiT4_lPKT3_lilS6_lilPT5_i,"axG",@progbits,_ZL23rocblas_gemvt_sn_kernelILb0ELi256ELi4ElPK16rocblas_bfloat16ffEviiT4_lPKT3_lilS6_lilPT5_i,comdat
.Lfunc_end604:
	.size	_ZL23rocblas_gemvt_sn_kernelILb0ELi256ELi4ElPK16rocblas_bfloat16ffEviiT4_lPKT3_lilS6_lilPT5_i, .Lfunc_end604-_ZL23rocblas_gemvt_sn_kernelILb0ELi256ELi4ElPK16rocblas_bfloat16ffEviiT4_lPKT3_lilS6_lilPT5_i
                                        ; -- End function
	.set _ZL23rocblas_gemvt_sn_kernelILb0ELi256ELi4ElPK16rocblas_bfloat16ffEviiT4_lPKT3_lilS6_lilPT5_i.num_vgpr, 73
	.set _ZL23rocblas_gemvt_sn_kernelILb0ELi256ELi4ElPK16rocblas_bfloat16ffEviiT4_lPKT3_lilS6_lilPT5_i.num_agpr, 0
	.set _ZL23rocblas_gemvt_sn_kernelILb0ELi256ELi4ElPK16rocblas_bfloat16ffEviiT4_lPKT3_lilS6_lilPT5_i.numbered_sgpr, 66
	.set _ZL23rocblas_gemvt_sn_kernelILb0ELi256ELi4ElPK16rocblas_bfloat16ffEviiT4_lPKT3_lilS6_lilPT5_i.num_named_barrier, 0
	.set _ZL23rocblas_gemvt_sn_kernelILb0ELi256ELi4ElPK16rocblas_bfloat16ffEviiT4_lPKT3_lilS6_lilPT5_i.private_seg_size, 0
	.set _ZL23rocblas_gemvt_sn_kernelILb0ELi256ELi4ElPK16rocblas_bfloat16ffEviiT4_lPKT3_lilS6_lilPT5_i.uses_vcc, 1
	.set _ZL23rocblas_gemvt_sn_kernelILb0ELi256ELi4ElPK16rocblas_bfloat16ffEviiT4_lPKT3_lilS6_lilPT5_i.uses_flat_scratch, 1
	.set _ZL23rocblas_gemvt_sn_kernelILb0ELi256ELi4ElPK16rocblas_bfloat16ffEviiT4_lPKT3_lilS6_lilPT5_i.has_dyn_sized_stack, 0
	.set _ZL23rocblas_gemvt_sn_kernelILb0ELi256ELi4ElPK16rocblas_bfloat16ffEviiT4_lPKT3_lilS6_lilPT5_i.has_recursion, 0
	.set _ZL23rocblas_gemvt_sn_kernelILb0ELi256ELi4ElPK16rocblas_bfloat16ffEviiT4_lPKT3_lilS6_lilPT5_i.has_indirect_call, 0
	.section	.AMDGPU.csdata,"",@progbits
; Kernel info:
; codeLenInByte = 4224
; TotalNumSgprs: 68
; NumVgprs: 73
; ScratchSize: 0
; MemoryBound: 0
; FloatMode: 240
; IeeeMode: 1
; LDSByteSize: 128 bytes/workgroup (compile time only)
; SGPRBlocks: 0
; VGPRBlocks: 4
; NumSGPRsForWavesPerEU: 68
; NumVGPRsForWavesPerEU: 73
; NamedBarCnt: 0
; Occupancy: 12
; WaveLimiterHint : 0
; COMPUTE_PGM_RSRC2:SCRATCH_EN: 0
; COMPUTE_PGM_RSRC2:USER_SGPR: 2
; COMPUTE_PGM_RSRC2:TRAP_HANDLER: 0
; COMPUTE_PGM_RSRC2:TGID_X_EN: 1
; COMPUTE_PGM_RSRC2:TGID_Y_EN: 0
; COMPUTE_PGM_RSRC2:TGID_Z_EN: 1
; COMPUTE_PGM_RSRC2:TIDIG_COMP_CNT: 0
	.section	.text._ZL23rocblas_gemvt_sn_reduceILi256ELi8EffKP16rocblas_bfloat16EviT2_lPT3_lilPT1_i,"axG",@progbits,_ZL23rocblas_gemvt_sn_reduceILi256ELi8EffKP16rocblas_bfloat16EviT2_lPT3_lilPT1_i,comdat
	.globl	_ZL23rocblas_gemvt_sn_reduceILi256ELi8EffKP16rocblas_bfloat16EviT2_lPT3_lilPT1_i ; -- Begin function _ZL23rocblas_gemvt_sn_reduceILi256ELi8EffKP16rocblas_bfloat16EviT2_lPT3_lilPT1_i
	.p2align	8
	.type	_ZL23rocblas_gemvt_sn_reduceILi256ELi8EffKP16rocblas_bfloat16EviT2_lPT3_lilPT1_i,@function
_ZL23rocblas_gemvt_sn_reduceILi256ELi8EffKP16rocblas_bfloat16EviT2_lPT3_lilPT1_i: ; @_ZL23rocblas_gemvt_sn_reduceILi256ELi8EffKP16rocblas_bfloat16EviT2_lPT3_lilPT1_i
; %bb.0:
	s_load_b32 s26, s[0:1], 0x38
	s_bfe_u32 s2, ttmp6, 0x40014
	s_lshr_b32 s3, ttmp7, 16
	s_add_co_i32 s2, s2, 1
	s_bfe_u32 s5, ttmp6, 0x40008
	s_mul_i32 s4, s3, s2
	s_getreg_b32 s2, hwreg(HW_REG_IB_STS2, 6, 4)
	s_add_co_i32 s5, s5, s4
	s_cmp_eq_u32 s2, 0
	s_mov_b32 s7, 0
	s_cselect_b32 s27, s3, s5
	s_wait_kmcnt 0x0
	s_cmp_ge_u32 s27, s26
	s_cbranch_scc1 .LBB605_31
; %bb.1:
	v_mbcnt_lo_u32_b32 v1, -1, 0
	s_clause 0x5
	s_load_b32 s28, s[0:1], 0x44
	s_load_b32 s3, s[0:1], 0x4c
	;; [unrolled: 1-line block ×3, first 2 shown]
	s_load_b64 s[12:13], s[0:1], 0x0
	s_load_b64 s[14:15], s[0:1], 0x30
	s_load_b128 s[8:11], s[0:1], 0x10
	s_wait_xcnt 0x0
	s_bfe_u32 s1, ttmp6, 0x40010
	v_dual_mov_b32 v3, 0 :: v_dual_lshlrev_b32 v8, 3, v0
	v_cmp_gt_u32_e32 vcc_lo, 24, v1
	v_dual_lshrrev_b32 v15, 3, v0 :: v_dual_bitop2_b32 v6, 31, v0 bitop3:0x40
	s_and_b32 s0, ttmp7, 0xffff
	s_add_co_i32 s1, s1, 1
	v_cndmask_b32_e64 v4, 0, 8, vcc_lo
	v_cmp_gt_u32_e32 vcc_lo, 28, v1
	s_bfe_u32 s4, ttmp6, 0x40004
	s_mul_i32 s1, s0, s1
	v_lshlrev_b32_e32 v9, 2, v6
	v_add_lshl_u32 v11, v4, v1, 2
	v_cndmask_b32_e64 v5, 0, 4, vcc_lo
	v_cmp_gt_u32_e32 vcc_lo, 30, v1
	v_lshlrev_b32_e32 v4, 5, v0
	s_add_co_i32 s4, s4, s1
	s_wait_kmcnt 0x0
	s_ashr_i32 s21, s20, 31
	v_add_lshl_u32 v12, v5, v1, 2
	v_cndmask_b32_e64 v7, 0, 2, vcc_lo
	v_cmp_ne_u32_e32 vcc_lo, 31, v1
	s_ashr_i32 s17, s12, 31
	s_cmp_eq_u32 s2, 0
	v_xad_u32 v2, v0, -1, s12
	s_cselect_b32 s18, s0, s4
	v_add_co_ci_u32_e64 v14, null, 0, v1, vcc_lo
	v_mov_b32_e32 v5, v3
	s_lshr_b32 s0, s17, 29
	s_and_b32 s6, s3, 0xffff
	s_delay_alu instid0(VALU_DEP_2)
	v_lshlrev_b32_e32 v14, 2, v14
	s_add_co_i32 s0, s12, s0
	v_add_nc_u64_e32 v[4:5], s[14:15], v[4:5]
	s_and_b32 s29, s0, -8
	s_lshl_b32 s30, s6, 3
	s_sub_co_i32 s1, s12, s29
	v_cmp_gt_u32_e64 s2, 32, v0
	v_cmp_gt_u32_e64 s1, s1, v0
	v_lshl_or_b32 v10, v1, 2, 64
	v_add_lshl_u32 v13, v7, v1, 2
	v_cmp_gt_u32_e64 s4, 8, v0
	v_cmp_eq_u32_e64 s5, 0, v0
	v_add_nc_u64_e32 v[0:1], 28, v[4:5]
	s_cmp_eq_f32 s13, 0
	s_mov_b32 s19, s7
	v_cmp_gt_i32_e64 s0, s29, v8
	v_cmp_eq_u32_e64 s3, 0, v6
	v_and_b32_e32 v15, 28, v15
	s_mov_b32 s16, s12
	s_mul_u64 s[24:25], s[20:21], s[18:19]
	s_mul_i32 s19, s27, s28
	s_cselect_b32 s12, -1, 0
	s_lshl_b64 s[20:21], s[16:17], 2
	s_add_co_i32 s19, s18, s19
	s_lshl_b32 s31, s28, 16
	s_lshl_b32 s22, s6, 5
	s_mov_b32 s23, s7
	s_lshl_b64 s[10:11], s[10:11], 1
	s_lshl_b64 s[24:25], s[24:25], 1
	s_branch .LBB605_5
.LBB605_2:                              ;   in Loop: Header=BB605_5 Depth=1
	s_or_b32 exec_lo, exec_lo, s33
.LBB605_3:                              ;   in Loop: Header=BB605_5 Depth=1
	flat_store_d16_hi_b16 v[4:5], v7
.LBB605_4:                              ;   in Loop: Header=BB605_5 Depth=1
	s_wait_xcnt 0x0
	s_or_b32 exec_lo, exec_lo, s6
	s_add_co_i32 s27, s27, 0x10000
	s_add_co_i32 s19, s19, s31
	s_cmp_lt_u32 s27, s26
	s_cbranch_scc0 .LBB605_31
.LBB605_5:                              ; =>This Loop Header: Depth=1
                                        ;     Child Loop BB605_15 Depth 2
	v_dual_mov_b32 v4, s27 :: v_dual_mov_b32 v16, 0
	global_load_b64 v[4:5], v4, s[8:9] scale_offset
	s_wait_xcnt 0x0
	s_and_saveexec_b32 s6, s0
	s_cbranch_execnz .LBB605_14
; %bb.6:                                ;   in Loop: Header=BB605_5 Depth=1
	s_or_b32 exec_lo, exec_lo, s6
	s_and_saveexec_b32 s33, s1
	s_cbranch_execnz .LBB605_17
.LBB605_7:                              ;   in Loop: Header=BB605_5 Depth=1
	s_or_b32 exec_lo, exec_lo, s33
	s_and_saveexec_b32 s6, s2
.LBB605_8:                              ;   in Loop: Header=BB605_5 Depth=1
	ds_store_b32 v9, v3
.LBB605_9:                              ;   in Loop: Header=BB605_5 Depth=1
	s_or_b32 exec_lo, exec_lo, s6
	s_wait_dscnt 0x0
	ds_bpermute_b32 v6, v10, v16
	s_wait_loadcnt_dscnt 0x0
	s_barrier_signal -1
	s_barrier_wait -1
	v_add_f32_e32 v6, v16, v6
	ds_bpermute_b32 v7, v11, v6
	s_wait_dscnt 0x0
	v_add_f32_e32 v6, v6, v7
	ds_bpermute_b32 v7, v12, v6
	s_wait_dscnt 0x0
	;; [unrolled: 3-line block ×3, first 2 shown]
	v_add_f32_e32 v6, v6, v7
	ds_bpermute_b32 v7, v14, v6
	s_and_saveexec_b32 s6, s3
	s_cbranch_execz .LBB605_11
; %bb.10:                               ;   in Loop: Header=BB605_5 Depth=1
	s_wait_dscnt 0x0
	v_add_f32_e32 v6, v6, v7
	ds_store_b32 v15, v6
.LBB605_11:                             ;   in Loop: Header=BB605_5 Depth=1
	s_or_b32 exec_lo, exec_lo, s6
	v_mov_b32_e32 v6, 0
	s_wait_dscnt 0x0
	s_barrier_signal -1
	s_barrier_wait -1
	s_and_saveexec_b32 s6, s4
	s_cbranch_execnz .LBB605_18
; %bb.12:                               ;   in Loop: Header=BB605_5 Depth=1
	s_or_b32 exec_lo, exec_lo, s6
	s_and_saveexec_b32 s6, s2
	s_cbranch_execnz .LBB605_19
.LBB605_13:                             ;   in Loop: Header=BB605_5 Depth=1
	s_or_b32 exec_lo, exec_lo, s6
	s_and_saveexec_b32 s6, s5
	s_cbranch_execz .LBB605_4
	s_branch .LBB605_20
.LBB605_14:                             ;   in Loop: Header=BB605_5 Depth=1
	s_wait_dscnt 0x0
	v_mad_nc_u64_u32 v[6:7], s20, s19, v[0:1]
	v_dual_mov_b32 v16, 0 :: v_dual_mov_b32 v17, v8
	s_mov_b32 s33, 0
	s_delay_alu instid0(VALU_DEP_2)
	v_mad_u32 v7, s21, s19, v7
.LBB605_15:                             ;   Parent Loop BB605_5 Depth=1
                                        ; =>  This Inner Loop Header: Depth=2
	s_clause 0x1
	global_load_b128 v[18:21], v[6:7], off offset:-28
	global_load_b128 v[22:25], v[6:7], off offset:-12
	s_wait_xcnt 0x0
	v_add_nc_u64_e32 v[6:7], s[22:23], v[6:7]
	v_add_nc_u32_e32 v17, s30, v17
	s_delay_alu instid0(VALU_DEP_1) | instskip(SKIP_3) | instid1(VALU_DEP_1)
	v_cmp_le_i32_e32 vcc_lo, s29, v17
	s_or_b32 s33, vcc_lo, s33
	s_wait_loadcnt 0x1
	v_add_f32_e32 v16, v16, v18
	v_add_f32_e32 v16, v16, v19
	s_delay_alu instid0(VALU_DEP_1) | instskip(NEXT) | instid1(VALU_DEP_1)
	v_add_f32_e32 v16, v16, v20
	v_add_f32_e32 v16, v16, v21
	s_wait_loadcnt 0x0
	s_delay_alu instid0(VALU_DEP_1) | instskip(NEXT) | instid1(VALU_DEP_1)
	v_add_f32_e32 v16, v16, v22
	v_add_f32_e32 v16, v16, v23
	s_delay_alu instid0(VALU_DEP_1) | instskip(NEXT) | instid1(VALU_DEP_1)
	v_add_f32_e32 v16, v16, v24
	v_add_f32_e32 v16, v16, v25
	s_and_not1_b32 exec_lo, exec_lo, s33
	s_cbranch_execnz .LBB605_15
; %bb.16:                               ;   in Loop: Header=BB605_5 Depth=1
	s_or_b32 exec_lo, exec_lo, s33
	s_delay_alu instid0(SALU_CYCLE_1)
	s_or_b32 exec_lo, exec_lo, s6
	s_and_saveexec_b32 s33, s1
	s_cbranch_execz .LBB605_7
.LBB605_17:                             ;   in Loop: Header=BB605_5 Depth=1
	s_mul_i32 s6, s28, s27
	s_delay_alu instid0(SALU_CYCLE_1) | instskip(NEXT) | instid1(SALU_CYCLE_1)
	s_add_co_i32 s6, s6, s18
	s_mul_u64 s[34:35], s[6:7], s[16:17]
	s_delay_alu instid0(SALU_CYCLE_1) | instskip(NEXT) | instid1(SALU_CYCLE_1)
	s_lshl_b64 s[34:35], s[34:35], 2
	s_add_nc_u64 s[34:35], s[14:15], s[34:35]
	s_wait_dscnt 0x0
	v_lshl_add_u64 v[6:7], v[2:3], 2, s[34:35]
	global_load_b32 v6, v[6:7], off
	s_wait_loadcnt 0x0
	v_add_f32_e32 v16, v16, v6
	s_wait_xcnt 0x0
	s_or_b32 exec_lo, exec_lo, s33
	s_and_saveexec_b32 s6, s2
	s_cbranch_execnz .LBB605_8
	s_branch .LBB605_9
.LBB605_18:                             ;   in Loop: Header=BB605_5 Depth=1
	ds_load_b32 v6, v9
	s_or_b32 exec_lo, exec_lo, s6
	s_and_saveexec_b32 s6, s2
	s_cbranch_execz .LBB605_13
.LBB605_19:                             ;   in Loop: Header=BB605_5 Depth=1
	s_wait_dscnt 0x0
	ds_bpermute_b32 v7, v12, v6
	s_wait_dscnt 0x0
	v_add_f32_e32 v6, v6, v7
	ds_bpermute_b32 v7, v13, v6
	s_wait_dscnt 0x0
	v_add_f32_e32 v6, v6, v7
	;; [unrolled: 3-line block ×3, first 2 shown]
	s_or_b32 exec_lo, exec_lo, s6
	s_and_saveexec_b32 s6, s5
	s_cbranch_execz .LBB605_4
.LBB605_20:                             ;   in Loop: Header=BB605_5 Depth=1
	s_and_b32 vcc_lo, exec_lo, s12
	s_cbranch_vccz .LBB605_26
; %bb.21:                               ;   in Loop: Header=BB605_5 Depth=1
	s_wait_dscnt 0x0
	v_and_b32_e32 v7, 0x7f800000, v6
	s_delay_alu instid0(VALU_DEP_1) | instskip(SKIP_1) | instid1(SALU_CYCLE_1)
	v_cmp_ne_u32_e32 vcc_lo, 0x7f800000, v7
                                        ; implicit-def: $vgpr7
	s_and_saveexec_b32 s33, vcc_lo
	s_xor_b32 s33, exec_lo, s33
; %bb.22:                               ;   in Loop: Header=BB605_5 Depth=1
	v_bfe_u32 v7, v6, 16, 1
	s_delay_alu instid0(VALU_DEP_1)
	v_add3_u32 v7, v6, v7, 0x7fff
; %bb.23:                               ;   in Loop: Header=BB605_5 Depth=1
	s_and_not1_saveexec_b32 s33, s33
; %bb.24:                               ;   in Loop: Header=BB605_5 Depth=1
	v_and_b32_e32 v7, 0xffff, v6
	v_or_b32_e32 v16, 0x10000, v6
	s_delay_alu instid0(VALU_DEP_2) | instskip(NEXT) | instid1(VALU_DEP_2)
	v_cmp_eq_u32_e32 vcc_lo, 0, v7
	v_cndmask_b32_e32 v7, v16, v6, vcc_lo
; %bb.25:                               ;   in Loop: Header=BB605_5 Depth=1
	s_or_b32 exec_lo, exec_lo, s33
	v_add_nc_u64_e32 v[4:5], s[10:11], v[4:5]
	s_delay_alu instid0(VALU_DEP_1)
	v_add_nc_u64_e32 v[4:5], s[24:25], v[4:5]
	s_cbranch_execnz .LBB605_3
	s_branch .LBB605_27
.LBB605_26:                             ;   in Loop: Header=BB605_5 Depth=1
                                        ; implicit-def: $vgpr7
	v_add_nc_u64_e32 v[4:5], s[10:11], v[4:5]
	s_delay_alu instid0(VALU_DEP_1)
	v_add_nc_u64_e32 v[4:5], s[24:25], v[4:5]
.LBB605_27:                             ;   in Loop: Header=BB605_5 Depth=1
	flat_load_u16 v7, v[4:5]
	s_wait_loadcnt_dscnt 0x0
	v_fma_mix_f32_bf16 v6, s13, v7, v6 op_sel_hi:[0,1,0]
	s_delay_alu instid0(VALU_DEP_1) | instskip(NEXT) | instid1(VALU_DEP_1)
	v_and_b32_e32 v7, 0x7f800000, v6
	v_cmp_ne_u32_e32 vcc_lo, 0x7f800000, v7
                                        ; implicit-def: $vgpr7
	s_wait_xcnt 0x0
	s_and_saveexec_b32 s33, vcc_lo
	s_delay_alu instid0(SALU_CYCLE_1)
	s_xor_b32 s33, exec_lo, s33
; %bb.28:                               ;   in Loop: Header=BB605_5 Depth=1
	v_bfe_u32 v7, v6, 16, 1
	s_delay_alu instid0(VALU_DEP_1)
	v_add3_u32 v7, v6, v7, 0x7fff
                                        ; implicit-def: $vgpr6
; %bb.29:                               ;   in Loop: Header=BB605_5 Depth=1
	s_and_not1_saveexec_b32 s33, s33
	s_cbranch_execz .LBB605_2
; %bb.30:                               ;   in Loop: Header=BB605_5 Depth=1
	v_and_b32_e32 v7, 0xffff, v6
	v_or_b32_e32 v16, 0x10000, v6
	s_delay_alu instid0(VALU_DEP_2) | instskip(NEXT) | instid1(VALU_DEP_2)
	v_cmp_eq_u32_e32 vcc_lo, 0, v7
	v_cndmask_b32_e32 v7, v16, v6, vcc_lo
	s_branch .LBB605_2
.LBB605_31:
	s_endpgm
	.section	.rodata,"a",@progbits
	.p2align	6, 0x0
	.amdhsa_kernel _ZL23rocblas_gemvt_sn_reduceILi256ELi8EffKP16rocblas_bfloat16EviT2_lPT3_lilPT1_i
		.amdhsa_group_segment_fixed_size 128
		.amdhsa_private_segment_fixed_size 0
		.amdhsa_kernarg_size 320
		.amdhsa_user_sgpr_count 2
		.amdhsa_user_sgpr_dispatch_ptr 0
		.amdhsa_user_sgpr_queue_ptr 0
		.amdhsa_user_sgpr_kernarg_segment_ptr 1
		.amdhsa_user_sgpr_dispatch_id 0
		.amdhsa_user_sgpr_kernarg_preload_length 0
		.amdhsa_user_sgpr_kernarg_preload_offset 0
		.amdhsa_user_sgpr_private_segment_size 0
		.amdhsa_wavefront_size32 1
		.amdhsa_uses_dynamic_stack 0
		.amdhsa_enable_private_segment 0
		.amdhsa_system_sgpr_workgroup_id_x 1
		.amdhsa_system_sgpr_workgroup_id_y 1
		.amdhsa_system_sgpr_workgroup_id_z 1
		.amdhsa_system_sgpr_workgroup_info 0
		.amdhsa_system_vgpr_workitem_id 0
		.amdhsa_next_free_vgpr 26
		.amdhsa_next_free_sgpr 36
		.amdhsa_named_barrier_count 0
		.amdhsa_reserve_vcc 1
		.amdhsa_float_round_mode_32 0
		.amdhsa_float_round_mode_16_64 0
		.amdhsa_float_denorm_mode_32 3
		.amdhsa_float_denorm_mode_16_64 3
		.amdhsa_fp16_overflow 0
		.amdhsa_memory_ordered 1
		.amdhsa_forward_progress 1
		.amdhsa_inst_pref_size 11
		.amdhsa_round_robin_scheduling 0
		.amdhsa_exception_fp_ieee_invalid_op 0
		.amdhsa_exception_fp_denorm_src 0
		.amdhsa_exception_fp_ieee_div_zero 0
		.amdhsa_exception_fp_ieee_overflow 0
		.amdhsa_exception_fp_ieee_underflow 0
		.amdhsa_exception_fp_ieee_inexact 0
		.amdhsa_exception_int_div_zero 0
	.end_amdhsa_kernel
	.section	.text._ZL23rocblas_gemvt_sn_reduceILi256ELi8EffKP16rocblas_bfloat16EviT2_lPT3_lilPT1_i,"axG",@progbits,_ZL23rocblas_gemvt_sn_reduceILi256ELi8EffKP16rocblas_bfloat16EviT2_lPT3_lilPT1_i,comdat
.Lfunc_end605:
	.size	_ZL23rocblas_gemvt_sn_reduceILi256ELi8EffKP16rocblas_bfloat16EviT2_lPT3_lilPT1_i, .Lfunc_end605-_ZL23rocblas_gemvt_sn_reduceILi256ELi8EffKP16rocblas_bfloat16EviT2_lPT3_lilPT1_i
                                        ; -- End function
	.set _ZL23rocblas_gemvt_sn_reduceILi256ELi8EffKP16rocblas_bfloat16EviT2_lPT3_lilPT1_i.num_vgpr, 26
	.set _ZL23rocblas_gemvt_sn_reduceILi256ELi8EffKP16rocblas_bfloat16EviT2_lPT3_lilPT1_i.num_agpr, 0
	.set _ZL23rocblas_gemvt_sn_reduceILi256ELi8EffKP16rocblas_bfloat16EviT2_lPT3_lilPT1_i.numbered_sgpr, 36
	.set _ZL23rocblas_gemvt_sn_reduceILi256ELi8EffKP16rocblas_bfloat16EviT2_lPT3_lilPT1_i.num_named_barrier, 0
	.set _ZL23rocblas_gemvt_sn_reduceILi256ELi8EffKP16rocblas_bfloat16EviT2_lPT3_lilPT1_i.private_seg_size, 0
	.set _ZL23rocblas_gemvt_sn_reduceILi256ELi8EffKP16rocblas_bfloat16EviT2_lPT3_lilPT1_i.uses_vcc, 1
	.set _ZL23rocblas_gemvt_sn_reduceILi256ELi8EffKP16rocblas_bfloat16EviT2_lPT3_lilPT1_i.uses_flat_scratch, 0
	.set _ZL23rocblas_gemvt_sn_reduceILi256ELi8EffKP16rocblas_bfloat16EviT2_lPT3_lilPT1_i.has_dyn_sized_stack, 0
	.set _ZL23rocblas_gemvt_sn_reduceILi256ELi8EffKP16rocblas_bfloat16EviT2_lPT3_lilPT1_i.has_recursion, 0
	.set _ZL23rocblas_gemvt_sn_reduceILi256ELi8EffKP16rocblas_bfloat16EviT2_lPT3_lilPT1_i.has_indirect_call, 0
	.section	.AMDGPU.csdata,"",@progbits
; Kernel info:
; codeLenInByte = 1328
; TotalNumSgprs: 38
; NumVgprs: 26
; ScratchSize: 0
; MemoryBound: 0
; FloatMode: 240
; IeeeMode: 1
; LDSByteSize: 128 bytes/workgroup (compile time only)
; SGPRBlocks: 0
; VGPRBlocks: 1
; NumSGPRsForWavesPerEU: 38
; NumVGPRsForWavesPerEU: 26
; NamedBarCnt: 0
; Occupancy: 16
; WaveLimiterHint : 1
; COMPUTE_PGM_RSRC2:SCRATCH_EN: 0
; COMPUTE_PGM_RSRC2:USER_SGPR: 2
; COMPUTE_PGM_RSRC2:TRAP_HANDLER: 0
; COMPUTE_PGM_RSRC2:TGID_X_EN: 1
; COMPUTE_PGM_RSRC2:TGID_Y_EN: 1
; COMPUTE_PGM_RSRC2:TGID_Z_EN: 1
; COMPUTE_PGM_RSRC2:TIDIG_COMP_CNT: 0
	.section	.text._ZL32rocblas_gemvt_warp_reduce_kernelILb0ELi256EiPK16rocblas_bfloat16PKfKPS0_EviiT3_lPKT2_lT1_lSA_lSB_lS7_lPT4_lSB_li,"axG",@progbits,_ZL32rocblas_gemvt_warp_reduce_kernelILb0ELi256EiPK16rocblas_bfloat16PKfKPS0_EviiT3_lPKT2_lT1_lSA_lSB_lS7_lPT4_lSB_li,comdat
	.globl	_ZL32rocblas_gemvt_warp_reduce_kernelILb0ELi256EiPK16rocblas_bfloat16PKfKPS0_EviiT3_lPKT2_lT1_lSA_lSB_lS7_lPT4_lSB_li ; -- Begin function _ZL32rocblas_gemvt_warp_reduce_kernelILb0ELi256EiPK16rocblas_bfloat16PKfKPS0_EviiT3_lPKT2_lT1_lSA_lSB_lS7_lPT4_lSB_li
	.p2align	8
	.type	_ZL32rocblas_gemvt_warp_reduce_kernelILb0ELi256EiPK16rocblas_bfloat16PKfKPS0_EviiT3_lPKT2_lT1_lSA_lSB_lS7_lPT4_lSB_li,@function
_ZL32rocblas_gemvt_warp_reduce_kernelILb0ELi256EiPK16rocblas_bfloat16PKfKPS0_EviiT3_lPKT2_lT1_lSA_lSB_lS7_lPT4_lSB_li: ; @_ZL32rocblas_gemvt_warp_reduce_kernelILb0ELi256EiPK16rocblas_bfloat16PKfKPS0_EviiT3_lPKT2_lT1_lSA_lSB_lS7_lPT4_lSB_li
; %bb.0:
	s_load_b32 s33, s[0:1], 0x88
	s_bfe_u32 s2, ttmp6, 0x40014
	s_lshr_b32 s3, ttmp7, 16
	s_add_co_i32 s2, s2, 1
	s_bfe_u32 s5, ttmp6, 0x40008
	s_mul_i32 s4, s3, s2
	s_getreg_b32 s2, hwreg(HW_REG_IB_STS2, 6, 4)
	s_add_co_i32 s5, s5, s4
	s_cmp_eq_u32 s2, 0
	s_mov_b32 s29, 0
	s_cselect_b32 s28, s3, s5
	s_wait_kmcnt 0x0
	s_cmp_ge_u32 s28, s33
	s_cbranch_scc1 .LBB606_63
; %bb.1:
	s_clause 0x6
	s_load_b32 s5, s[0:1], 0x0
	s_load_b256 s[8:15], s[0:1], 0x8
	s_load_b32 s4, s[0:1], 0x28
	s_load_b128 s[24:27], s[0:1], 0x38
	s_load_b32 s7, s[0:1], 0x48
	s_load_b256 s[16:23], s[0:1], 0x58
	s_load_b32 s6, s[0:1], 0x78
	s_wait_xcnt 0x0
	s_bfe_u32 s1, ttmp6, 0x4000c
	s_and_b32 s3, ttmp6, 15
	s_add_co_i32 s1, s1, 1
	v_dual_mov_b32 v3, 0 :: v_dual_bitop2_b32 v2, 31, v0 bitop3:0x40
	s_mul_i32 s30, ttmp9, s1
	v_lshrrev_b32_e32 v4, 3, v0
	s_add_co_i32 s3, s3, s30
	s_cmp_eq_u32 s2, 0
	v_lshlrev_b32_e32 v14, 2, v2
	s_cselect_b32 s31, ttmp9, s3
	v_mbcnt_lo_u32_b32 v1, -1, 0
	v_cmp_eq_u32_e64 s0, 0, v0
	s_wait_kmcnt 0x0
	s_ashr_i32 s3, s5, 31
	v_cmp_gt_i32_e32 vcc_lo, s5, v0
	s_lshr_b32 s3, s3, 24
	v_cmp_gt_u32_e64 s1, 32, v0
	s_add_co_i32 s3, s5, s3
	v_mul_lo_u32 v16, v0, s7
	s_and_b32 s30, s3, 0xffffff00
	v_cmp_eq_u32_e64 s3, 0, v2
	v_dual_cndmask_b32 v2, 0, v0, vcc_lo :: v_dual_bitop2_b32 v5, s30, v0 bitop3:0x54
	v_and_b32_e32 v15, 28, v4
	s_mul_i32 s6, s6, s31
	v_cmp_gt_u32_e64 s2, 8, v0
	s_delay_alu instid0(VALU_DEP_3)
	v_mul_lo_u32 v4, s7, v5
	s_mul_i32 s34, s4, s31
	v_lshlrev_b32_e32 v2, 1, v2
	v_cmp_gt_i32_e64 s4, s30, v0
	v_cmp_gt_i32_e64 s5, s5, v5
	v_lshl_or_b32 v17, v1, 2, 64
	s_lshl_b32 s38, s7, 8
	s_ashr_i32 s7, s6, 31
	s_lshl_b64 s[14:15], s[14:15], 1
	s_ashr_i32 s35, s34, 31
	s_ashr_i32 s31, s30, 31
	v_ashrrev_i32_e32 v5, 31, v4
	s_lshl_b64 s[26:27], s[26:27], 1
	s_lshl_b64 s[22:23], s[22:23], 1
	;; [unrolled: 1-line block ×3, first 2 shown]
	s_branch .LBB606_4
.LBB606_2:                              ;   in Loop: Header=BB606_4 Depth=1
	s_wait_xcnt 0x0
	s_or_b32 exec_lo, exec_lo, s7
.LBB606_3:                              ;   in Loop: Header=BB606_4 Depth=1
	s_add_co_i32 s28, s28, 0x10000
	s_delay_alu instid0(SALU_CYCLE_1)
	s_cmp_lt_u32 s28, s33
	s_cbranch_scc0 .LBB606_63
.LBB606_4:                              ; =>This Loop Header: Depth=1
                                        ;     Child Loop BB606_31 Depth 2
	s_mul_u64 s[6:7], s[10:11], s[28:29]
	s_wait_xcnt 0x0
	s_mul_u64 s[40:41], s[18:19], s[28:29]
	s_lshl_b64 s[6:7], s[6:7], 2
	s_lshl_b64 s[40:41], s[40:41], 2
	s_add_nc_u64 s[6:7], s[8:9], s[6:7]
	s_add_nc_u64 s[40:41], s[16:17], s[40:41]
	s_clause 0x1
	global_load_b32 v18, v3, s[6:7]
	global_load_b32 v6, v3, s[40:41]
	s_wait_loadcnt 0x1
	s_wait_xcnt 0x1
	v_cmp_eq_f32_e64 s6, 0, v18
	s_wait_loadcnt 0x0
	v_cmp_eq_f32_e32 vcc_lo, 1.0, v6
	v_readfirstlane_b32 s39, v6
	s_and_b32 s7, s6, vcc_lo
	s_delay_alu instid0(SALU_CYCLE_1)
	s_and_b32 vcc_lo, exec_lo, s7
	s_cbranch_vccnz .LBB606_3
; %bb.5:                                ;   in Loop: Header=BB606_4 Depth=1
	v_mov_b64_e32 v[8:9], 0
	s_wait_dscnt 0x0
	v_mov_b64_e32 v[10:11], 0
	v_cmp_neq_f32_e64 s7, 0, v18
	s_and_b32 vcc_lo, exec_lo, s6
	s_cbranch_vccnz .LBB606_7
; %bb.6:                                ;   in Loop: Header=BB606_4 Depth=1
	s_wait_xcnt 0x0
	s_lshl_b64 s[40:41], s[28:29], 3
	s_delay_alu instid0(SALU_CYCLE_1)
	s_add_nc_u64 s[40:41], s[12:13], s[40:41]
	global_load_b64 v[6:7], v3, s[40:41]
	s_wait_loadcnt 0x0
	v_add_nc_u64_e32 v[10:11], s[14:15], v[6:7]
.LBB606_7:                              ;   in Loop: Header=BB606_4 Depth=1
	s_and_not1_b32 vcc_lo, exec_lo, s7
	s_cbranch_vccnz .LBB606_9
; %bb.8:                                ;   in Loop: Header=BB606_4 Depth=1
	s_wait_xcnt 0x0
	s_lshl_b64 s[40:41], s[28:29], 3
	s_delay_alu instid0(SALU_CYCLE_1)
	s_add_nc_u64 s[40:41], s[24:25], s[40:41]
	global_load_b64 v[6:7], v3, s[40:41]
	s_wait_loadcnt 0x0
	v_add_nc_u64_e32 v[8:9], s[26:27], v[6:7]
.LBB606_9:                              ;   in Loop: Header=BB606_4 Depth=1
	s_wait_xcnt 0x0
	s_lshl_b64 s[40:41], s[28:29], 3
	s_and_not1_b32 vcc_lo, exec_lo, s6
	s_add_nc_u64 s[40:41], s[20:21], s[40:41]
	global_load_b64 v[6:7], v3, s[40:41]
	s_wait_loadcnt 0x0
	v_add_nc_u64_e32 v[6:7], s[22:23], v[6:7]
	s_cbranch_vccnz .LBB606_17
; %bb.10:                               ;   in Loop: Header=BB606_4 Depth=1
	s_mov_b32 s7, 0
	s_mov_b32 s6, 0
                                        ; implicit-def: $vgpr12
	s_wait_xcnt 0x0
	s_and_saveexec_b32 s40, s0
	s_cbranch_execz .LBB606_18
; %bb.11:                               ;   in Loop: Header=BB606_4 Depth=1
	s_cmp_eq_f32 s39, 0
	s_cbranch_scc1 .LBB606_19
; %bb.12:                               ;   in Loop: Header=BB606_4 Depth=1
	v_add_nc_u64_e32 v[12:13], s[36:37], v[6:7]
	flat_load_u16 v12, v[12:13]
	s_wait_loadcnt_dscnt 0x0
	s_wait_xcnt 0x0
	v_lshlrev_b32_e32 v12, 16, v12
	s_delay_alu instid0(VALU_DEP_1) | instskip(NEXT) | instid1(VALU_DEP_1)
	v_mul_f32_e32 v12, s39, v12
	v_and_b32_e32 v13, 0x7f800000, v12
	s_delay_alu instid0(VALU_DEP_1) | instskip(SKIP_1) | instid1(SALU_CYCLE_1)
	v_cmp_ne_u32_e32 vcc_lo, 0x7f800000, v13
                                        ; implicit-def: $vgpr13
	s_and_saveexec_b32 s6, vcc_lo
	s_xor_b32 s6, exec_lo, s6
; %bb.13:                               ;   in Loop: Header=BB606_4 Depth=1
	v_bfe_u32 v13, v12, 16, 1
	s_delay_alu instid0(VALU_DEP_1)
	v_add3_u32 v13, v12, v13, 0x7fff
                                        ; implicit-def: $vgpr12
; %bb.14:                               ;   in Loop: Header=BB606_4 Depth=1
	s_and_not1_saveexec_b32 s6, s6
; %bb.15:                               ;   in Loop: Header=BB606_4 Depth=1
	v_and_b32_e32 v13, 0xffff, v12
	v_or_b32_e32 v19, 0x10000, v12
	s_delay_alu instid0(VALU_DEP_2) | instskip(NEXT) | instid1(VALU_DEP_2)
	v_cmp_eq_u32_e32 vcc_lo, 0, v13
	v_cndmask_b32_e32 v13, v19, v12, vcc_lo
; %bb.16:                               ;   in Loop: Header=BB606_4 Depth=1
	s_or_b32 exec_lo, exec_lo, s6
	s_delay_alu instid0(VALU_DEP_1) | instskip(SKIP_2) | instid1(SALU_CYCLE_1)
	v_lshrrev_b32_e32 v12, 16, v13
	s_mov_b32 s6, exec_lo
	s_or_b32 exec_lo, exec_lo, s40
	s_and_b32 vcc_lo, exec_lo, s7
	s_cbranch_vccnz .LBB606_20
	s_branch .LBB606_61
.LBB606_17:                             ;   in Loop: Header=BB606_4 Depth=1
	s_mov_b32 s6, 0
                                        ; implicit-def: $vgpr12
	s_cbranch_execnz .LBB606_20
	s_branch .LBB606_61
.LBB606_18:                             ;   in Loop: Header=BB606_4 Depth=1
	s_or_b32 exec_lo, exec_lo, s40
	s_delay_alu instid0(SALU_CYCLE_1)
	s_and_b32 vcc_lo, exec_lo, s7
	s_cbranch_vccnz .LBB606_20
	s_branch .LBB606_61
.LBB606_19:                             ;   in Loop: Header=BB606_4 Depth=1
	v_mov_b32_e32 v12, 0
	s_mov_b32 s6, exec_lo
	s_or_b32 exec_lo, exec_lo, s40
	s_delay_alu instid0(SALU_CYCLE_1)
	s_and_b32 vcc_lo, exec_lo, s7
	s_cbranch_vccz .LBB606_61
.LBB606_20:                             ;   in Loop: Header=BB606_4 Depth=1
	v_add_nc_u64_e32 v[10:11], v[10:11], v[2:3]
	v_mov_b32_e32 v19, 0
	s_delay_alu instid0(VALU_DEP_2)
	v_lshl_add_u64 v[10:11], s[34:35], 1, v[10:11]
	s_wait_xcnt 0x0
	s_and_saveexec_b32 s7, s4
	s_cbranch_execnz .LBB606_29
; %bb.21:                               ;   in Loop: Header=BB606_4 Depth=1
	s_or_b32 exec_lo, exec_lo, s7
	s_and_saveexec_b32 s7, s5
	s_cbranch_execnz .LBB606_44
.LBB606_22:                             ;   in Loop: Header=BB606_4 Depth=1
	s_or_b32 exec_lo, exec_lo, s7
	s_and_saveexec_b32 s7, s1
.LBB606_23:                             ;   in Loop: Header=BB606_4 Depth=1
	ds_store_b32 v14, v3
.LBB606_24:                             ;   in Loop: Header=BB606_4 Depth=1
	s_or_b32 exec_lo, exec_lo, s7
	ds_bpermute_b32 v8, v17, v19
	v_cmp_gt_u32_e32 vcc_lo, 24, v1
	s_wait_dscnt 0x0
	s_barrier_signal -1
	s_barrier_wait -1
	v_cndmask_b32_e64 v9, 0, 8, vcc_lo
	v_cmp_gt_u32_e32 vcc_lo, 28, v1
	s_delay_alu instid0(VALU_DEP_2)
	v_add_lshl_u32 v9, v9, v1, 2
	v_add_f32_e32 v10, v19, v8
	v_cndmask_b32_e64 v8, 0, 4, vcc_lo
	v_cmp_gt_u32_e32 vcc_lo, 30, v1
	ds_bpermute_b32 v9, v9, v10
	v_add_lshl_u32 v8, v8, v1, 2
	s_wait_dscnt 0x0
	v_add_f32_e32 v10, v10, v9
	v_cndmask_b32_e64 v9, 0, 2, vcc_lo
	v_cmp_ne_u32_e32 vcc_lo, 31, v1
	ds_bpermute_b32 v11, v8, v10
	v_add_lshl_u32 v9, v9, v1, 2
	v_add_co_ci_u32_e64 v12, null, 0, v1, vcc_lo
	s_wait_dscnt 0x0
	v_add_f32_e32 v10, v10, v11
	ds_bpermute_b32 v11, v9, v10
	s_wait_dscnt 0x0
	v_dual_add_f32 v11, v10, v11 :: v_dual_lshlrev_b32 v10, 2, v12
	ds_bpermute_b32 v12, v10, v11
	s_and_saveexec_b32 s7, s3
	s_cbranch_execz .LBB606_26
; %bb.25:                               ;   in Loop: Header=BB606_4 Depth=1
	s_wait_dscnt 0x0
	v_add_f32_e32 v11, v11, v12
	ds_store_b32 v15, v11
.LBB606_26:                             ;   in Loop: Header=BB606_4 Depth=1
	s_or_b32 exec_lo, exec_lo, s7
	v_mov_b32_e32 v11, 0
	s_wait_dscnt 0x0
	s_barrier_signal -1
	s_barrier_wait -1
	s_and_saveexec_b32 s7, s2
	s_cbranch_execnz .LBB606_35
; %bb.27:                               ;   in Loop: Header=BB606_4 Depth=1
	s_or_b32 exec_lo, exec_lo, s7
	s_and_saveexec_b32 s7, s1
	s_cbranch_execnz .LBB606_36
.LBB606_28:                             ;   in Loop: Header=BB606_4 Depth=1
	s_or_b32 exec_lo, exec_lo, s7
                                        ; implicit-def: $vgpr12
	s_and_saveexec_b32 s7, s0
	s_cbranch_execnz .LBB606_37
	s_branch .LBB606_60
.LBB606_29:                             ;   in Loop: Header=BB606_4 Depth=1
	s_delay_alu instid0(VALU_DEP_1)
	v_mov_b64_e32 v[12:13], v[10:11]
	v_dual_mov_b32 v19, 0 :: v_dual_mov_b32 v20, v16
	v_mov_b32_e32 v21, v0
	s_mov_b32 s40, 0
	s_branch .LBB606_31
.LBB606_30:                             ;   in Loop: Header=BB606_31 Depth=2
	s_or_b32 exec_lo, exec_lo, s41
	v_add_nc_u32_e32 v21, 0x100, v21
	s_delay_alu instid0(VALU_DEP_2) | instskip(SKIP_2) | instid1(VALU_DEP_4)
	v_and_b32_e32 v22, 0xffff0000, v23
	v_add_nc_u64_e32 v[12:13], 0x200, v[12:13]
	v_add_nc_u32_e32 v20, s38, v20
	v_cmp_le_i32_e32 vcc_lo, s30, v21
	s_delay_alu instid0(VALU_DEP_4) | instskip(SKIP_1) | instid1(SALU_CYCLE_1)
	v_add_f32_e32 v19, v19, v22
	s_or_b32 s40, vcc_lo, s40
	s_and_not1_b32 exec_lo, exec_lo, s40
	s_cbranch_execz .LBB606_43
.LBB606_31:                             ;   Parent Loop BB606_4 Depth=1
                                        ; =>  This Inner Loop Header: Depth=2
	v_readfirstlane_b32 s42, v8
	v_readfirstlane_b32 s43, v9
	flat_load_u16 v22, v[12:13]
	flat_load_u16 v23, v20, s[42:43] scale_offset
	s_wait_loadcnt_dscnt 0x0
	v_dual_lshlrev_b32 v22, 16, v22 :: v_dual_lshlrev_b32 v23, 16, v23
	s_delay_alu instid0(VALU_DEP_1) | instskip(NEXT) | instid1(VALU_DEP_1)
	v_mul_f32_e32 v22, v23, v22
	v_and_b32_e32 v23, 0x7f800000, v22
	s_delay_alu instid0(VALU_DEP_1) | instskip(SKIP_2) | instid1(SALU_CYCLE_1)
	v_cmp_ne_u32_e32 vcc_lo, 0x7f800000, v23
                                        ; implicit-def: $vgpr23
	s_wait_xcnt 0x0
	s_and_saveexec_b32 s41, vcc_lo
	s_xor_b32 s41, exec_lo, s41
; %bb.32:                               ;   in Loop: Header=BB606_31 Depth=2
	v_bfe_u32 v23, v22, 16, 1
	s_delay_alu instid0(VALU_DEP_1)
	v_add3_u32 v23, v22, v23, 0x7fff
                                        ; implicit-def: $vgpr22
; %bb.33:                               ;   in Loop: Header=BB606_31 Depth=2
	s_and_not1_saveexec_b32 s41, s41
	s_cbranch_execz .LBB606_30
; %bb.34:                               ;   in Loop: Header=BB606_31 Depth=2
	v_and_b32_e32 v23, 0xffff, v22
	v_or_b32_e32 v24, 0x10000, v22
	s_delay_alu instid0(VALU_DEP_2) | instskip(NEXT) | instid1(VALU_DEP_2)
	v_cmp_eq_u32_e32 vcc_lo, 0, v23
	v_cndmask_b32_e32 v23, v24, v22, vcc_lo
	s_branch .LBB606_30
.LBB606_35:                             ;   in Loop: Header=BB606_4 Depth=1
	ds_load_b32 v11, v14
	s_or_b32 exec_lo, exec_lo, s7
	s_and_saveexec_b32 s7, s1
	s_cbranch_execz .LBB606_28
.LBB606_36:                             ;   in Loop: Header=BB606_4 Depth=1
	s_wait_dscnt 0x0
	ds_bpermute_b32 v8, v8, v11
	s_wait_dscnt 0x0
	v_add_f32_e32 v8, v11, v8
	ds_bpermute_b32 v9, v9, v8
	s_wait_dscnt 0x0
	v_add_f32_e32 v8, v8, v9
	;; [unrolled: 3-line block ×3, first 2 shown]
	s_or_b32 exec_lo, exec_lo, s7
                                        ; implicit-def: $vgpr12
	s_and_saveexec_b32 s7, s0
	s_cbranch_execz .LBB606_60
.LBB606_37:                             ;   in Loop: Header=BB606_4 Depth=1
	s_wait_dscnt 0x0
	v_mul_f32_e32 v8, v18, v11
	s_cmp_eq_f32 s39, 0
	s_cbranch_scc0 .LBB606_49
; %bb.38:                               ;   in Loop: Header=BB606_4 Depth=1
	s_delay_alu instid0(VALU_DEP_1) | instskip(NEXT) | instid1(VALU_DEP_1)
	v_and_b32_e32 v9, 0x7f800000, v8
	v_cmp_ne_u32_e32 vcc_lo, 0x7f800000, v9
                                        ; implicit-def: $vgpr9
	s_and_saveexec_b32 s40, vcc_lo
	s_delay_alu instid0(SALU_CYCLE_1)
	s_xor_b32 s40, exec_lo, s40
; %bb.39:                               ;   in Loop: Header=BB606_4 Depth=1
	v_bfe_u32 v9, v8, 16, 1
	s_delay_alu instid0(VALU_DEP_1)
	v_add3_u32 v9, v8, v9, 0x7fff
; %bb.40:                               ;   in Loop: Header=BB606_4 Depth=1
	s_and_not1_saveexec_b32 s40, s40
; %bb.41:                               ;   in Loop: Header=BB606_4 Depth=1
	v_and_b32_e32 v9, 0xffff, v8
	v_or_b32_e32 v10, 0x10000, v8
	s_delay_alu instid0(VALU_DEP_2) | instskip(NEXT) | instid1(VALU_DEP_2)
	v_cmp_eq_u32_e32 vcc_lo, 0, v9
	v_cndmask_b32_e32 v9, v10, v8, vcc_lo
; %bb.42:                               ;   in Loop: Header=BB606_4 Depth=1
	s_or_b32 exec_lo, exec_lo, s40
	s_cbranch_execz .LBB606_50
	s_branch .LBB606_59
.LBB606_43:                             ;   in Loop: Header=BB606_4 Depth=1
	s_or_b32 exec_lo, exec_lo, s40
	s_delay_alu instid0(SALU_CYCLE_1)
	s_or_b32 exec_lo, exec_lo, s7
	s_and_saveexec_b32 s7, s5
	s_cbranch_execz .LBB606_22
.LBB606_44:                             ;   in Loop: Header=BB606_4 Depth=1
	v_lshl_add_u64 v[10:11], s[30:31], 1, v[10:11]
	v_lshl_add_u64 v[8:9], v[4:5], 1, v[8:9]
	flat_load_u16 v12, v[10:11]
	flat_load_u16 v13, v[8:9]
	s_wait_loadcnt_dscnt 0x0
	s_wait_xcnt 0x0
	v_dual_lshlrev_b32 v8, 16, v12 :: v_dual_lshlrev_b32 v9, 16, v13
	s_delay_alu instid0(VALU_DEP_1) | instskip(NEXT) | instid1(VALU_DEP_1)
	v_mul_f32_e32 v8, v9, v8
	v_and_b32_e32 v9, 0x7f800000, v8
	s_delay_alu instid0(VALU_DEP_1) | instskip(SKIP_1) | instid1(SALU_CYCLE_1)
	v_cmp_ne_u32_e32 vcc_lo, 0x7f800000, v9
                                        ; implicit-def: $vgpr9
	s_and_saveexec_b32 s40, vcc_lo
	s_xor_b32 s40, exec_lo, s40
; %bb.45:                               ;   in Loop: Header=BB606_4 Depth=1
	v_bfe_u32 v9, v8, 16, 1
	s_delay_alu instid0(VALU_DEP_1)
	v_add3_u32 v9, v8, v9, 0x7fff
                                        ; implicit-def: $vgpr8
; %bb.46:                               ;   in Loop: Header=BB606_4 Depth=1
	s_and_not1_saveexec_b32 s40, s40
; %bb.47:                               ;   in Loop: Header=BB606_4 Depth=1
	v_and_b32_e32 v9, 0xffff, v8
	v_or_b32_e32 v10, 0x10000, v8
	s_delay_alu instid0(VALU_DEP_2) | instskip(NEXT) | instid1(VALU_DEP_2)
	v_cmp_eq_u32_e32 vcc_lo, 0, v9
	v_cndmask_b32_e32 v9, v10, v8, vcc_lo
; %bb.48:                               ;   in Loop: Header=BB606_4 Depth=1
	s_or_b32 exec_lo, exec_lo, s40
	s_delay_alu instid0(VALU_DEP_1) | instskip(NEXT) | instid1(VALU_DEP_1)
	v_and_b32_e32 v8, 0xffff0000, v9
	v_add_f32_e32 v19, v19, v8
	s_or_b32 exec_lo, exec_lo, s7
	s_and_saveexec_b32 s7, s1
	s_cbranch_execnz .LBB606_23
	s_branch .LBB606_24
.LBB606_49:                             ;   in Loop: Header=BB606_4 Depth=1
                                        ; implicit-def: $vgpr9
.LBB606_50:                             ;   in Loop: Header=BB606_4 Depth=1
	v_add_nc_u64_e32 v[10:11], s[36:37], v[6:7]
	flat_load_u16 v9, v[10:11]
	s_wait_loadcnt_dscnt 0x0
	v_lshlrev_b32_e32 v9, 16, v9
	s_delay_alu instid0(VALU_DEP_1) | instskip(SKIP_1) | instid1(VALU_DEP_1)
	v_mul_f32_e32 v9, s39, v9
	s_wait_xcnt 0x0
	v_and_b32_e32 v10, 0x7f800000, v9
	s_delay_alu instid0(VALU_DEP_1) | instskip(SKIP_1) | instid1(SALU_CYCLE_1)
	v_cmp_ne_u32_e32 vcc_lo, 0x7f800000, v10
                                        ; implicit-def: $vgpr10
	s_and_saveexec_b32 s39, vcc_lo
	s_xor_b32 s39, exec_lo, s39
; %bb.51:                               ;   in Loop: Header=BB606_4 Depth=1
	v_bfe_u32 v10, v9, 16, 1
	s_delay_alu instid0(VALU_DEP_1)
	v_add3_u32 v10, v9, v10, 0x7fff
                                        ; implicit-def: $vgpr9
; %bb.52:                               ;   in Loop: Header=BB606_4 Depth=1
	s_and_not1_saveexec_b32 s39, s39
; %bb.53:                               ;   in Loop: Header=BB606_4 Depth=1
	v_and_b32_e32 v10, 0xffff, v9
	v_or_b32_e32 v11, 0x10000, v9
	s_delay_alu instid0(VALU_DEP_2) | instskip(NEXT) | instid1(VALU_DEP_2)
	v_cmp_eq_u32_e32 vcc_lo, 0, v10
	v_cndmask_b32_e32 v10, v11, v9, vcc_lo
; %bb.54:                               ;   in Loop: Header=BB606_4 Depth=1
	s_or_b32 exec_lo, exec_lo, s39
	s_delay_alu instid0(VALU_DEP_1) | instskip(NEXT) | instid1(VALU_DEP_1)
	v_and_b32_e32 v9, 0xffff0000, v10
	v_add_f32_e32 v8, v8, v9
	s_delay_alu instid0(VALU_DEP_1) | instskip(NEXT) | instid1(VALU_DEP_1)
	v_and_b32_e32 v9, 0x7f800000, v8
	v_cmp_ne_u32_e32 vcc_lo, 0x7f800000, v9
                                        ; implicit-def: $vgpr9
	s_and_saveexec_b32 s39, vcc_lo
	s_delay_alu instid0(SALU_CYCLE_1)
	s_xor_b32 s39, exec_lo, s39
; %bb.55:                               ;   in Loop: Header=BB606_4 Depth=1
	v_bfe_u32 v9, v8, 16, 1
	s_delay_alu instid0(VALU_DEP_1)
	v_add3_u32 v9, v8, v9, 0x7fff
                                        ; implicit-def: $vgpr8
; %bb.56:                               ;   in Loop: Header=BB606_4 Depth=1
	s_and_not1_saveexec_b32 s39, s39
; %bb.57:                               ;   in Loop: Header=BB606_4 Depth=1
	v_and_b32_e32 v9, 0xffff, v8
	v_or_b32_e32 v10, 0x10000, v8
	s_delay_alu instid0(VALU_DEP_2) | instskip(NEXT) | instid1(VALU_DEP_2)
	v_cmp_eq_u32_e32 vcc_lo, 0, v9
	v_cndmask_b32_e32 v9, v10, v8, vcc_lo
; %bb.58:                               ;   in Loop: Header=BB606_4 Depth=1
	s_or_b32 exec_lo, exec_lo, s39
.LBB606_59:                             ;   in Loop: Header=BB606_4 Depth=1
	s_delay_alu instid0(VALU_DEP_1)
	v_lshrrev_b32_e32 v12, 16, v9
	s_or_b32 s6, s6, exec_lo
.LBB606_60:                             ;   in Loop: Header=BB606_4 Depth=1
	s_or_b32 exec_lo, exec_lo, s7
.LBB606_61:                             ;   in Loop: Header=BB606_4 Depth=1
	s_wait_xcnt 0x0
	s_and_saveexec_b32 s7, s6
	s_cbranch_execz .LBB606_2
; %bb.62:                               ;   in Loop: Header=BB606_4 Depth=1
	v_add_nc_u64_e32 v[6:7], s[36:37], v[6:7]
	flat_store_b16 v[6:7], v12
	s_branch .LBB606_2
.LBB606_63:
	s_endpgm
	.section	.rodata,"a",@progbits
	.p2align	6, 0x0
	.amdhsa_kernel _ZL32rocblas_gemvt_warp_reduce_kernelILb0ELi256EiPK16rocblas_bfloat16PKfKPS0_EviiT3_lPKT2_lT1_lSA_lSB_lS7_lPT4_lSB_li
		.amdhsa_group_segment_fixed_size 128
		.amdhsa_private_segment_fixed_size 0
		.amdhsa_kernarg_size 140
		.amdhsa_user_sgpr_count 2
		.amdhsa_user_sgpr_dispatch_ptr 0
		.amdhsa_user_sgpr_queue_ptr 0
		.amdhsa_user_sgpr_kernarg_segment_ptr 1
		.amdhsa_user_sgpr_dispatch_id 0
		.amdhsa_user_sgpr_kernarg_preload_length 0
		.amdhsa_user_sgpr_kernarg_preload_offset 0
		.amdhsa_user_sgpr_private_segment_size 0
		.amdhsa_wavefront_size32 1
		.amdhsa_uses_dynamic_stack 0
		.amdhsa_enable_private_segment 0
		.amdhsa_system_sgpr_workgroup_id_x 1
		.amdhsa_system_sgpr_workgroup_id_y 0
		.amdhsa_system_sgpr_workgroup_id_z 1
		.amdhsa_system_sgpr_workgroup_info 0
		.amdhsa_system_vgpr_workitem_id 0
		.amdhsa_next_free_vgpr 25
		.amdhsa_next_free_sgpr 44
		.amdhsa_named_barrier_count 0
		.amdhsa_reserve_vcc 1
		.amdhsa_float_round_mode_32 0
		.amdhsa_float_round_mode_16_64 0
		.amdhsa_float_denorm_mode_32 3
		.amdhsa_float_denorm_mode_16_64 3
		.amdhsa_fp16_overflow 0
		.amdhsa_memory_ordered 1
		.amdhsa_forward_progress 1
		.amdhsa_inst_pref_size 17
		.amdhsa_round_robin_scheduling 0
		.amdhsa_exception_fp_ieee_invalid_op 0
		.amdhsa_exception_fp_denorm_src 0
		.amdhsa_exception_fp_ieee_div_zero 0
		.amdhsa_exception_fp_ieee_overflow 0
		.amdhsa_exception_fp_ieee_underflow 0
		.amdhsa_exception_fp_ieee_inexact 0
		.amdhsa_exception_int_div_zero 0
	.end_amdhsa_kernel
	.section	.text._ZL32rocblas_gemvt_warp_reduce_kernelILb0ELi256EiPK16rocblas_bfloat16PKfKPS0_EviiT3_lPKT2_lT1_lSA_lSB_lS7_lPT4_lSB_li,"axG",@progbits,_ZL32rocblas_gemvt_warp_reduce_kernelILb0ELi256EiPK16rocblas_bfloat16PKfKPS0_EviiT3_lPKT2_lT1_lSA_lSB_lS7_lPT4_lSB_li,comdat
.Lfunc_end606:
	.size	_ZL32rocblas_gemvt_warp_reduce_kernelILb0ELi256EiPK16rocblas_bfloat16PKfKPS0_EviiT3_lPKT2_lT1_lSA_lSB_lS7_lPT4_lSB_li, .Lfunc_end606-_ZL32rocblas_gemvt_warp_reduce_kernelILb0ELi256EiPK16rocblas_bfloat16PKfKPS0_EviiT3_lPKT2_lT1_lSA_lSB_lS7_lPT4_lSB_li
                                        ; -- End function
	.set _ZL32rocblas_gemvt_warp_reduce_kernelILb0ELi256EiPK16rocblas_bfloat16PKfKPS0_EviiT3_lPKT2_lT1_lSA_lSB_lS7_lPT4_lSB_li.num_vgpr, 25
	.set _ZL32rocblas_gemvt_warp_reduce_kernelILb0ELi256EiPK16rocblas_bfloat16PKfKPS0_EviiT3_lPKT2_lT1_lSA_lSB_lS7_lPT4_lSB_li.num_agpr, 0
	.set _ZL32rocblas_gemvt_warp_reduce_kernelILb0ELi256EiPK16rocblas_bfloat16PKfKPS0_EviiT3_lPKT2_lT1_lSA_lSB_lS7_lPT4_lSB_li.numbered_sgpr, 44
	.set _ZL32rocblas_gemvt_warp_reduce_kernelILb0ELi256EiPK16rocblas_bfloat16PKfKPS0_EviiT3_lPKT2_lT1_lSA_lSB_lS7_lPT4_lSB_li.num_named_barrier, 0
	.set _ZL32rocblas_gemvt_warp_reduce_kernelILb0ELi256EiPK16rocblas_bfloat16PKfKPS0_EviiT3_lPKT2_lT1_lSA_lSB_lS7_lPT4_lSB_li.private_seg_size, 0
	.set _ZL32rocblas_gemvt_warp_reduce_kernelILb0ELi256EiPK16rocblas_bfloat16PKfKPS0_EviiT3_lPKT2_lT1_lSA_lSB_lS7_lPT4_lSB_li.uses_vcc, 1
	.set _ZL32rocblas_gemvt_warp_reduce_kernelILb0ELi256EiPK16rocblas_bfloat16PKfKPS0_EviiT3_lPKT2_lT1_lSA_lSB_lS7_lPT4_lSB_li.uses_flat_scratch, 0
	.set _ZL32rocblas_gemvt_warp_reduce_kernelILb0ELi256EiPK16rocblas_bfloat16PKfKPS0_EviiT3_lPKT2_lT1_lSA_lSB_lS7_lPT4_lSB_li.has_dyn_sized_stack, 0
	.set _ZL32rocblas_gemvt_warp_reduce_kernelILb0ELi256EiPK16rocblas_bfloat16PKfKPS0_EviiT3_lPKT2_lT1_lSA_lSB_lS7_lPT4_lSB_li.has_recursion, 0
	.set _ZL32rocblas_gemvt_warp_reduce_kernelILb0ELi256EiPK16rocblas_bfloat16PKfKPS0_EviiT3_lPKT2_lT1_lSA_lSB_lS7_lPT4_lSB_li.has_indirect_call, 0
	.section	.AMDGPU.csdata,"",@progbits
; Kernel info:
; codeLenInByte = 2112
; TotalNumSgprs: 46
; NumVgprs: 25
; ScratchSize: 0
; MemoryBound: 0
; FloatMode: 240
; IeeeMode: 1
; LDSByteSize: 128 bytes/workgroup (compile time only)
; SGPRBlocks: 0
; VGPRBlocks: 1
; NumSGPRsForWavesPerEU: 46
; NumVGPRsForWavesPerEU: 25
; NamedBarCnt: 0
; Occupancy: 16
; WaveLimiterHint : 1
; COMPUTE_PGM_RSRC2:SCRATCH_EN: 0
; COMPUTE_PGM_RSRC2:USER_SGPR: 2
; COMPUTE_PGM_RSRC2:TRAP_HANDLER: 0
; COMPUTE_PGM_RSRC2:TGID_X_EN: 1
; COMPUTE_PGM_RSRC2:TGID_Y_EN: 0
; COMPUTE_PGM_RSRC2:TGID_Z_EN: 1
; COMPUTE_PGM_RSRC2:TIDIG_COMP_CNT: 0
	.section	.text._ZL32rocblas_gemvt_warp_reduce_kernelILb0ELi256ElPK16rocblas_bfloat16PKfKPS0_EviiT3_lPKT2_lT1_lSA_lSB_lS7_lPT4_lSB_li,"axG",@progbits,_ZL32rocblas_gemvt_warp_reduce_kernelILb0ELi256ElPK16rocblas_bfloat16PKfKPS0_EviiT3_lPKT2_lT1_lSA_lSB_lS7_lPT4_lSB_li,comdat
	.globl	_ZL32rocblas_gemvt_warp_reduce_kernelILb0ELi256ElPK16rocblas_bfloat16PKfKPS0_EviiT3_lPKT2_lT1_lSA_lSB_lS7_lPT4_lSB_li ; -- Begin function _ZL32rocblas_gemvt_warp_reduce_kernelILb0ELi256ElPK16rocblas_bfloat16PKfKPS0_EviiT3_lPKT2_lT1_lSA_lSB_lS7_lPT4_lSB_li
	.p2align	8
	.type	_ZL32rocblas_gemvt_warp_reduce_kernelILb0ELi256ElPK16rocblas_bfloat16PKfKPS0_EviiT3_lPKT2_lT1_lSA_lSB_lS7_lPT4_lSB_li,@function
_ZL32rocblas_gemvt_warp_reduce_kernelILb0ELi256ElPK16rocblas_bfloat16PKfKPS0_EviiT3_lPKT2_lT1_lSA_lSB_lS7_lPT4_lSB_li: ; @_ZL32rocblas_gemvt_warp_reduce_kernelILb0ELi256ElPK16rocblas_bfloat16PKfKPS0_EviiT3_lPKT2_lT1_lSA_lSB_lS7_lPT4_lSB_li
; %bb.0:
	s_load_b32 s33, s[0:1], 0x88
	s_bfe_u32 s2, ttmp6, 0x40014
	s_lshr_b32 s3, ttmp7, 16
	s_add_co_i32 s2, s2, 1
	s_bfe_u32 s5, ttmp6, 0x40008
	s_mul_i32 s4, s3, s2
	s_getreg_b32 s2, hwreg(HW_REG_IB_STS2, 6, 4)
	s_add_co_i32 s5, s5, s4
	s_cmp_eq_u32 s2, 0
	s_mov_b32 s29, 0
	s_cselect_b32 s28, s3, s5
	s_wait_kmcnt 0x0
	s_cmp_ge_u32 s28, s33
	s_cbranch_scc1 .LBB607_63
; %bb.1:
	s_clause 0x1
	s_load_b32 s31, s[0:1], 0x0
	s_load_b64 s[6:7], s[0:1], 0x48
	s_bfe_u32 s3, ttmp6, 0x4000c
	s_and_b32 s4, ttmp6, 15
	s_add_co_i32 s3, s3, 1
	s_clause 0x2
	s_load_b256 s[8:15], s[0:1], 0x8
	s_load_b128 s[24:27], s[0:1], 0x38
	s_load_b256 s[16:23], s[0:1], 0x58
	s_mul_i32 s3, ttmp9, s3
	v_mbcnt_lo_u32_b32 v19, -1, 0
	s_add_co_i32 s4, s4, s3
	s_cmp_eq_u32 s2, 0
	s_load_b64 s[34:35], s[0:1], 0x28
	s_cselect_b32 s2, ttmp9, s4
	s_load_b64 s[4:5], s[0:1], 0x78
	s_wait_xcnt 0x0
	v_cmp_eq_u32_e64 s0, 0, v0
	v_lshl_or_b32 v20, v19, 2, 64
	s_wait_kmcnt 0x0
	s_ashr_i32 s3, s31, 31
	v_cmp_gt_i32_e32 vcc_lo, s31, v0
	s_lshr_b32 s3, s3, 24
	s_lshl_b64 s[36:37], s[6:7], 9
	s_add_co_i32 s3, s31, s3
	s_lshl_b64 s[14:15], s[14:15], 1
	s_and_b32 s30, s3, 0xffffff00
	s_delay_alu instid0(SALU_CYCLE_1) | instskip(SKIP_3) | instid1(VALU_DEP_2)
	v_dual_mov_b32 v3, 0 :: v_dual_bitop2_b32 v6, s30, v0 bitop3:0x54
	s_ashr_i32 s3, s2, 31
	v_cndmask_b32_e32 v2, 0, v0, vcc_lo
	s_mul_u64 s[34:35], s[34:35], s[2:3]
	v_dual_mov_b32 v1, v3 :: v_dual_ashrrev_i32 v7, 31, v6
	s_mul_u64 s[38:39], s[4:5], s[2:3]
	v_cmp_gt_i32_e64 s2, s31, v6
	v_cmp_gt_i32_e64 s1, s30, v0
	s_delay_alu instid0(VALU_DEP_3) | instskip(SKIP_4) | instid1(VALU_DEP_3)
	v_mul_u64_e32 v[8:9], s[6:7], v[0:1]
	v_mul_u64_e32 v[4:5], s[6:7], v[6:7]
	v_dual_lshrrev_b32 v6, 3, v0 :: v_dual_bitop2_b32 v7, 31, v0 bitop3:0x40
	v_cmp_gt_u32_e64 s3, 32, v0
	v_cmp_gt_u32_e64 s5, 8, v0
	v_dual_lshlrev_b32 v2, 1, v2 :: v_dual_lshlrev_b32 v1, 2, v7
	v_cmp_eq_u32_e64 s4, 0, v7
	v_and_b32_e32 v18, 28, v6
	s_ashr_i32 s31, s30, 31
	s_lshl_b64 s[26:27], s[26:27], 1
	s_lshl_b64 s[22:23], s[22:23], 1
	;; [unrolled: 1-line block ×3, first 2 shown]
	v_lshlrev_b64_e32 v[6:7], 1, v[8:9]
	s_branch .LBB607_4
.LBB607_2:                              ;   in Loop: Header=BB607_4 Depth=1
	s_wait_xcnt 0x0
	s_or_b32 exec_lo, exec_lo, s7
.LBB607_3:                              ;   in Loop: Header=BB607_4 Depth=1
	s_add_co_i32 s28, s28, 0x10000
	s_delay_alu instid0(SALU_CYCLE_1)
	s_cmp_lt_u32 s28, s33
	s_cbranch_scc0 .LBB607_63
.LBB607_4:                              ; =>This Loop Header: Depth=1
                                        ;     Child Loop BB607_31 Depth 2
	s_mul_u64 s[6:7], s[10:11], s[28:29]
	s_mul_u64 s[40:41], s[18:19], s[28:29]
	s_lshl_b64 s[6:7], s[6:7], 2
	s_lshl_b64 s[40:41], s[40:41], 2
	s_add_nc_u64 s[6:7], s[8:9], s[6:7]
	s_add_nc_u64 s[40:41], s[16:17], s[40:41]
	s_clause 0x1
	global_load_b32 v21, v3, s[6:7]
	global_load_b32 v8, v3, s[40:41]
	s_wait_loadcnt 0x1
	s_wait_xcnt 0x1
	v_cmp_eq_f32_e64 s6, 0, v21
	s_wait_loadcnt 0x0
	v_cmp_eq_f32_e32 vcc_lo, 1.0, v8
	s_wait_xcnt 0x0
	v_readfirstlane_b32 s40, v8
	s_and_b32 s7, s6, vcc_lo
	s_delay_alu instid0(SALU_CYCLE_1)
	s_and_b32 vcc_lo, exec_lo, s7
	s_cbranch_vccnz .LBB607_3
; %bb.5:                                ;   in Loop: Header=BB607_4 Depth=1
	v_mov_b64_e32 v[10:11], 0
	s_wait_dscnt 0x0
	v_mov_b64_e32 v[12:13], 0
	v_cmp_neq_f32_e64 s7, 0, v21
	s_and_b32 vcc_lo, exec_lo, s6
	s_cbranch_vccnz .LBB607_7
; %bb.6:                                ;   in Loop: Header=BB607_4 Depth=1
	s_lshl_b64 s[42:43], s[28:29], 3
	s_delay_alu instid0(SALU_CYCLE_1)
	s_add_nc_u64 s[42:43], s[12:13], s[42:43]
	global_load_b64 v[8:9], v3, s[42:43]
	s_wait_loadcnt 0x0
	v_add_nc_u64_e32 v[12:13], s[14:15], v[8:9]
.LBB607_7:                              ;   in Loop: Header=BB607_4 Depth=1
	s_and_not1_b32 vcc_lo, exec_lo, s7
	s_cbranch_vccnz .LBB607_9
; %bb.8:                                ;   in Loop: Header=BB607_4 Depth=1
	s_wait_xcnt 0x0
	s_lshl_b64 s[42:43], s[28:29], 3
	s_delay_alu instid0(SALU_CYCLE_1)
	s_add_nc_u64 s[42:43], s[24:25], s[42:43]
	global_load_b64 v[8:9], v3, s[42:43]
	s_wait_loadcnt 0x0
	v_add_nc_u64_e32 v[10:11], s[26:27], v[8:9]
.LBB607_9:                              ;   in Loop: Header=BB607_4 Depth=1
	s_wait_xcnt 0x0
	s_lshl_b64 s[42:43], s[28:29], 3
	s_and_not1_b32 vcc_lo, exec_lo, s6
	s_add_nc_u64 s[42:43], s[20:21], s[42:43]
	global_load_b64 v[8:9], v3, s[42:43]
	s_wait_loadcnt 0x0
	v_add_nc_u64_e32 v[8:9], s[22:23], v[8:9]
	s_cbranch_vccnz .LBB607_17
; %bb.10:                               ;   in Loop: Header=BB607_4 Depth=1
	s_mov_b32 s7, 0
	s_mov_b32 s6, 0
                                        ; implicit-def: $vgpr14
	s_wait_xcnt 0x0
	s_and_saveexec_b32 s41, s0
	s_cbranch_execz .LBB607_18
; %bb.11:                               ;   in Loop: Header=BB607_4 Depth=1
	s_cmp_eq_f32 s40, 0
	s_cbranch_scc1 .LBB607_19
; %bb.12:                               ;   in Loop: Header=BB607_4 Depth=1
	v_add_nc_u64_e32 v[14:15], s[38:39], v[8:9]
	flat_load_u16 v14, v[14:15]
	s_wait_loadcnt_dscnt 0x0
	s_wait_xcnt 0x0
	v_lshlrev_b32_e32 v14, 16, v14
	s_delay_alu instid0(VALU_DEP_1) | instskip(NEXT) | instid1(VALU_DEP_1)
	v_mul_f32_e32 v14, s40, v14
	v_and_b32_e32 v15, 0x7f800000, v14
	s_delay_alu instid0(VALU_DEP_1) | instskip(SKIP_1) | instid1(SALU_CYCLE_1)
	v_cmp_ne_u32_e32 vcc_lo, 0x7f800000, v15
                                        ; implicit-def: $vgpr15
	s_and_saveexec_b32 s6, vcc_lo
	s_xor_b32 s6, exec_lo, s6
; %bb.13:                               ;   in Loop: Header=BB607_4 Depth=1
	v_bfe_u32 v15, v14, 16, 1
	s_delay_alu instid0(VALU_DEP_1)
	v_add3_u32 v15, v14, v15, 0x7fff
                                        ; implicit-def: $vgpr14
; %bb.14:                               ;   in Loop: Header=BB607_4 Depth=1
	s_and_not1_saveexec_b32 s6, s6
; %bb.15:                               ;   in Loop: Header=BB607_4 Depth=1
	v_and_b32_e32 v15, 0xffff, v14
	v_or_b32_e32 v16, 0x10000, v14
	s_delay_alu instid0(VALU_DEP_2) | instskip(NEXT) | instid1(VALU_DEP_2)
	v_cmp_eq_u32_e32 vcc_lo, 0, v15
	v_cndmask_b32_e32 v15, v16, v14, vcc_lo
; %bb.16:                               ;   in Loop: Header=BB607_4 Depth=1
	s_or_b32 exec_lo, exec_lo, s6
	s_delay_alu instid0(VALU_DEP_1) | instskip(SKIP_2) | instid1(SALU_CYCLE_1)
	v_lshrrev_b32_e32 v14, 16, v15
	s_mov_b32 s6, exec_lo
	s_or_b32 exec_lo, exec_lo, s41
	s_and_b32 vcc_lo, exec_lo, s7
	s_cbranch_vccnz .LBB607_20
	s_branch .LBB607_61
.LBB607_17:                             ;   in Loop: Header=BB607_4 Depth=1
	s_mov_b32 s6, 0
                                        ; implicit-def: $vgpr14
	s_cbranch_execnz .LBB607_20
	s_branch .LBB607_61
.LBB607_18:                             ;   in Loop: Header=BB607_4 Depth=1
	s_or_b32 exec_lo, exec_lo, s41
	s_delay_alu instid0(SALU_CYCLE_1)
	s_and_b32 vcc_lo, exec_lo, s7
	s_cbranch_vccnz .LBB607_20
	s_branch .LBB607_61
.LBB607_19:                             ;   in Loop: Header=BB607_4 Depth=1
	v_mov_b32_e32 v14, 0
	s_mov_b32 s6, exec_lo
	s_or_b32 exec_lo, exec_lo, s41
	s_delay_alu instid0(SALU_CYCLE_1)
	s_and_b32 vcc_lo, exec_lo, s7
	s_cbranch_vccz .LBB607_61
.LBB607_20:                             ;   in Loop: Header=BB607_4 Depth=1
	v_add_nc_u64_e32 v[12:13], v[12:13], v[2:3]
	v_mov_b32_e32 v22, 0
	s_delay_alu instid0(VALU_DEP_2)
	v_lshl_add_u64 v[12:13], s[34:35], 1, v[12:13]
	s_wait_xcnt 0x0
	s_and_saveexec_b32 s7, s1
	s_cbranch_execnz .LBB607_29
; %bb.21:                               ;   in Loop: Header=BB607_4 Depth=1
	s_or_b32 exec_lo, exec_lo, s7
	s_and_saveexec_b32 s7, s2
	s_cbranch_execnz .LBB607_44
.LBB607_22:                             ;   in Loop: Header=BB607_4 Depth=1
	s_or_b32 exec_lo, exec_lo, s7
	s_and_saveexec_b32 s7, s3
.LBB607_23:                             ;   in Loop: Header=BB607_4 Depth=1
	ds_store_b32 v1, v3
.LBB607_24:                             ;   in Loop: Header=BB607_4 Depth=1
	s_or_b32 exec_lo, exec_lo, s7
	ds_bpermute_b32 v10, v20, v22
	v_cmp_gt_u32_e32 vcc_lo, 24, v19
	s_wait_dscnt 0x0
	s_barrier_signal -1
	s_barrier_wait -1
	v_cndmask_b32_e64 v11, 0, 8, vcc_lo
	v_cmp_gt_u32_e32 vcc_lo, 28, v19
	s_delay_alu instid0(VALU_DEP_2)
	v_add_lshl_u32 v11, v11, v19, 2
	v_add_f32_e32 v12, v22, v10
	v_cndmask_b32_e64 v10, 0, 4, vcc_lo
	v_cmp_gt_u32_e32 vcc_lo, 30, v19
	ds_bpermute_b32 v11, v11, v12
	v_add_lshl_u32 v10, v10, v19, 2
	s_wait_dscnt 0x0
	v_add_f32_e32 v12, v12, v11
	v_cndmask_b32_e64 v11, 0, 2, vcc_lo
	v_cmp_ne_u32_e32 vcc_lo, 31, v19
	ds_bpermute_b32 v13, v10, v12
	v_add_lshl_u32 v11, v11, v19, 2
	v_add_co_ci_u32_e64 v14, null, 0, v19, vcc_lo
	s_wait_dscnt 0x0
	v_add_f32_e32 v12, v12, v13
	ds_bpermute_b32 v13, v11, v12
	s_wait_dscnt 0x0
	v_dual_add_f32 v13, v12, v13 :: v_dual_lshlrev_b32 v12, 2, v14
	ds_bpermute_b32 v14, v12, v13
	s_and_saveexec_b32 s7, s4
	s_cbranch_execz .LBB607_26
; %bb.25:                               ;   in Loop: Header=BB607_4 Depth=1
	s_wait_dscnt 0x0
	v_add_f32_e32 v13, v13, v14
	ds_store_b32 v18, v13
.LBB607_26:                             ;   in Loop: Header=BB607_4 Depth=1
	s_or_b32 exec_lo, exec_lo, s7
	v_mov_b32_e32 v13, 0
	s_wait_dscnt 0x0
	s_barrier_signal -1
	s_barrier_wait -1
	s_and_saveexec_b32 s7, s5
	s_cbranch_execnz .LBB607_35
; %bb.27:                               ;   in Loop: Header=BB607_4 Depth=1
	s_or_b32 exec_lo, exec_lo, s7
	s_and_saveexec_b32 s7, s3
	s_cbranch_execnz .LBB607_36
.LBB607_28:                             ;   in Loop: Header=BB607_4 Depth=1
	s_or_b32 exec_lo, exec_lo, s7
                                        ; implicit-def: $vgpr14
	s_and_saveexec_b32 s7, s0
	s_cbranch_execnz .LBB607_37
	s_branch .LBB607_60
.LBB607_29:                             ;   in Loop: Header=BB607_4 Depth=1
	v_add_nc_u64_e32 v[14:15], v[10:11], v[6:7]
	v_mov_b64_e32 v[16:17], v[12:13]
	v_dual_mov_b32 v22, 0 :: v_dual_mov_b32 v23, v0
	s_mov_b32 s41, 0
	s_branch .LBB607_31
.LBB607_30:                             ;   in Loop: Header=BB607_31 Depth=2
	s_or_b32 exec_lo, exec_lo, s42
	s_delay_alu instid0(VALU_DEP_1) | instskip(SKIP_3) | instid1(VALU_DEP_4)
	v_and_b32_e32 v24, 0xffff0000, v25
	v_add_nc_u32_e32 v23, 0x100, v23
	v_add_nc_u64_e32 v[16:17], 0x200, v[16:17]
	v_add_nc_u64_e32 v[14:15], s[36:37], v[14:15]
	v_add_f32_e32 v22, v22, v24
	s_delay_alu instid0(VALU_DEP_4) | instskip(SKIP_1) | instid1(SALU_CYCLE_1)
	v_cmp_le_i32_e32 vcc_lo, s30, v23
	s_or_b32 s41, vcc_lo, s41
	s_and_not1_b32 exec_lo, exec_lo, s41
	s_cbranch_execz .LBB607_43
.LBB607_31:                             ;   Parent Loop BB607_4 Depth=1
                                        ; =>  This Inner Loop Header: Depth=2
	flat_load_u16 v24, v[16:17]
	flat_load_u16 v25, v[14:15]
	s_wait_loadcnt_dscnt 0x0
	v_dual_lshlrev_b32 v24, 16, v24 :: v_dual_lshlrev_b32 v25, 16, v25
	s_delay_alu instid0(VALU_DEP_1) | instskip(NEXT) | instid1(VALU_DEP_1)
	v_mul_f32_e32 v24, v25, v24
	v_and_b32_e32 v25, 0x7f800000, v24
	s_delay_alu instid0(VALU_DEP_1) | instskip(SKIP_2) | instid1(SALU_CYCLE_1)
	v_cmp_ne_u32_e32 vcc_lo, 0x7f800000, v25
                                        ; implicit-def: $vgpr25
	s_wait_xcnt 0x0
	s_and_saveexec_b32 s42, vcc_lo
	s_xor_b32 s42, exec_lo, s42
; %bb.32:                               ;   in Loop: Header=BB607_31 Depth=2
	v_bfe_u32 v25, v24, 16, 1
	s_delay_alu instid0(VALU_DEP_1)
	v_add3_u32 v25, v24, v25, 0x7fff
                                        ; implicit-def: $vgpr24
; %bb.33:                               ;   in Loop: Header=BB607_31 Depth=2
	s_and_not1_saveexec_b32 s42, s42
	s_cbranch_execz .LBB607_30
; %bb.34:                               ;   in Loop: Header=BB607_31 Depth=2
	v_and_b32_e32 v25, 0xffff, v24
	v_or_b32_e32 v26, 0x10000, v24
	s_delay_alu instid0(VALU_DEP_2) | instskip(NEXT) | instid1(VALU_DEP_2)
	v_cmp_eq_u32_e32 vcc_lo, 0, v25
	v_cndmask_b32_e32 v25, v26, v24, vcc_lo
	s_branch .LBB607_30
.LBB607_35:                             ;   in Loop: Header=BB607_4 Depth=1
	ds_load_b32 v13, v1
	s_or_b32 exec_lo, exec_lo, s7
	s_and_saveexec_b32 s7, s3
	s_cbranch_execz .LBB607_28
.LBB607_36:                             ;   in Loop: Header=BB607_4 Depth=1
	s_wait_dscnt 0x0
	ds_bpermute_b32 v10, v10, v13
	s_wait_dscnt 0x0
	v_add_f32_e32 v10, v13, v10
	ds_bpermute_b32 v11, v11, v10
	s_wait_dscnt 0x0
	v_add_f32_e32 v10, v10, v11
	;; [unrolled: 3-line block ×3, first 2 shown]
	s_or_b32 exec_lo, exec_lo, s7
                                        ; implicit-def: $vgpr14
	s_and_saveexec_b32 s7, s0
	s_cbranch_execz .LBB607_60
.LBB607_37:                             ;   in Loop: Header=BB607_4 Depth=1
	s_wait_dscnt 0x0
	v_mul_f32_e32 v10, v21, v13
	s_cmp_eq_f32 s40, 0
	s_cbranch_scc0 .LBB607_49
; %bb.38:                               ;   in Loop: Header=BB607_4 Depth=1
	s_delay_alu instid0(VALU_DEP_1) | instskip(NEXT) | instid1(VALU_DEP_1)
	v_and_b32_e32 v11, 0x7f800000, v10
	v_cmp_ne_u32_e32 vcc_lo, 0x7f800000, v11
                                        ; implicit-def: $vgpr11
	s_and_saveexec_b32 s41, vcc_lo
	s_delay_alu instid0(SALU_CYCLE_1)
	s_xor_b32 s41, exec_lo, s41
; %bb.39:                               ;   in Loop: Header=BB607_4 Depth=1
	v_bfe_u32 v11, v10, 16, 1
	s_delay_alu instid0(VALU_DEP_1)
	v_add3_u32 v11, v10, v11, 0x7fff
; %bb.40:                               ;   in Loop: Header=BB607_4 Depth=1
	s_and_not1_saveexec_b32 s41, s41
; %bb.41:                               ;   in Loop: Header=BB607_4 Depth=1
	v_and_b32_e32 v11, 0xffff, v10
	v_or_b32_e32 v12, 0x10000, v10
	s_delay_alu instid0(VALU_DEP_2) | instskip(NEXT) | instid1(VALU_DEP_2)
	v_cmp_eq_u32_e32 vcc_lo, 0, v11
	v_cndmask_b32_e32 v11, v12, v10, vcc_lo
; %bb.42:                               ;   in Loop: Header=BB607_4 Depth=1
	s_or_b32 exec_lo, exec_lo, s41
	s_cbranch_execz .LBB607_50
	s_branch .LBB607_59
.LBB607_43:                             ;   in Loop: Header=BB607_4 Depth=1
	s_or_b32 exec_lo, exec_lo, s41
	s_delay_alu instid0(SALU_CYCLE_1)
	s_or_b32 exec_lo, exec_lo, s7
	s_and_saveexec_b32 s7, s2
	s_cbranch_execz .LBB607_22
.LBB607_44:                             ;   in Loop: Header=BB607_4 Depth=1
	v_lshl_add_u64 v[12:13], s[30:31], 1, v[12:13]
	v_lshl_add_u64 v[10:11], v[4:5], 1, v[10:11]
	flat_load_u16 v14, v[12:13]
	flat_load_u16 v15, v[10:11]
	s_wait_loadcnt_dscnt 0x0
	s_wait_xcnt 0x0
	v_dual_lshlrev_b32 v10, 16, v14 :: v_dual_lshlrev_b32 v11, 16, v15
	s_delay_alu instid0(VALU_DEP_1) | instskip(NEXT) | instid1(VALU_DEP_1)
	v_mul_f32_e32 v10, v11, v10
	v_and_b32_e32 v11, 0x7f800000, v10
	s_delay_alu instid0(VALU_DEP_1) | instskip(SKIP_1) | instid1(SALU_CYCLE_1)
	v_cmp_ne_u32_e32 vcc_lo, 0x7f800000, v11
                                        ; implicit-def: $vgpr11
	s_and_saveexec_b32 s41, vcc_lo
	s_xor_b32 s41, exec_lo, s41
; %bb.45:                               ;   in Loop: Header=BB607_4 Depth=1
	v_bfe_u32 v11, v10, 16, 1
	s_delay_alu instid0(VALU_DEP_1)
	v_add3_u32 v11, v10, v11, 0x7fff
                                        ; implicit-def: $vgpr10
; %bb.46:                               ;   in Loop: Header=BB607_4 Depth=1
	s_and_not1_saveexec_b32 s41, s41
; %bb.47:                               ;   in Loop: Header=BB607_4 Depth=1
	v_and_b32_e32 v11, 0xffff, v10
	v_or_b32_e32 v12, 0x10000, v10
	s_delay_alu instid0(VALU_DEP_2) | instskip(NEXT) | instid1(VALU_DEP_2)
	v_cmp_eq_u32_e32 vcc_lo, 0, v11
	v_cndmask_b32_e32 v11, v12, v10, vcc_lo
; %bb.48:                               ;   in Loop: Header=BB607_4 Depth=1
	s_or_b32 exec_lo, exec_lo, s41
	s_delay_alu instid0(VALU_DEP_1) | instskip(NEXT) | instid1(VALU_DEP_1)
	v_and_b32_e32 v10, 0xffff0000, v11
	v_add_f32_e32 v22, v22, v10
	s_or_b32 exec_lo, exec_lo, s7
	s_and_saveexec_b32 s7, s3
	s_cbranch_execnz .LBB607_23
	s_branch .LBB607_24
.LBB607_49:                             ;   in Loop: Header=BB607_4 Depth=1
                                        ; implicit-def: $vgpr11
.LBB607_50:                             ;   in Loop: Header=BB607_4 Depth=1
	v_add_nc_u64_e32 v[12:13], s[38:39], v[8:9]
	flat_load_u16 v11, v[12:13]
	s_wait_loadcnt_dscnt 0x0
	v_lshlrev_b32_e32 v11, 16, v11
	s_delay_alu instid0(VALU_DEP_1) | instskip(SKIP_1) | instid1(VALU_DEP_1)
	v_mul_f32_e32 v11, s40, v11
	s_wait_xcnt 0x0
	v_and_b32_e32 v12, 0x7f800000, v11
	s_delay_alu instid0(VALU_DEP_1) | instskip(SKIP_1) | instid1(SALU_CYCLE_1)
	v_cmp_ne_u32_e32 vcc_lo, 0x7f800000, v12
                                        ; implicit-def: $vgpr12
	s_and_saveexec_b32 s40, vcc_lo
	s_xor_b32 s40, exec_lo, s40
; %bb.51:                               ;   in Loop: Header=BB607_4 Depth=1
	v_bfe_u32 v12, v11, 16, 1
	s_delay_alu instid0(VALU_DEP_1)
	v_add3_u32 v12, v11, v12, 0x7fff
                                        ; implicit-def: $vgpr11
; %bb.52:                               ;   in Loop: Header=BB607_4 Depth=1
	s_and_not1_saveexec_b32 s40, s40
; %bb.53:                               ;   in Loop: Header=BB607_4 Depth=1
	v_and_b32_e32 v12, 0xffff, v11
	v_or_b32_e32 v13, 0x10000, v11
	s_delay_alu instid0(VALU_DEP_2) | instskip(NEXT) | instid1(VALU_DEP_2)
	v_cmp_eq_u32_e32 vcc_lo, 0, v12
	v_cndmask_b32_e32 v12, v13, v11, vcc_lo
; %bb.54:                               ;   in Loop: Header=BB607_4 Depth=1
	s_or_b32 exec_lo, exec_lo, s40
	s_delay_alu instid0(VALU_DEP_1) | instskip(NEXT) | instid1(VALU_DEP_1)
	v_and_b32_e32 v11, 0xffff0000, v12
	v_add_f32_e32 v10, v10, v11
	s_delay_alu instid0(VALU_DEP_1) | instskip(NEXT) | instid1(VALU_DEP_1)
	v_and_b32_e32 v11, 0x7f800000, v10
	v_cmp_ne_u32_e32 vcc_lo, 0x7f800000, v11
                                        ; implicit-def: $vgpr11
	s_and_saveexec_b32 s40, vcc_lo
	s_delay_alu instid0(SALU_CYCLE_1)
	s_xor_b32 s40, exec_lo, s40
; %bb.55:                               ;   in Loop: Header=BB607_4 Depth=1
	v_bfe_u32 v11, v10, 16, 1
	s_delay_alu instid0(VALU_DEP_1)
	v_add3_u32 v11, v10, v11, 0x7fff
                                        ; implicit-def: $vgpr10
; %bb.56:                               ;   in Loop: Header=BB607_4 Depth=1
	s_and_not1_saveexec_b32 s40, s40
; %bb.57:                               ;   in Loop: Header=BB607_4 Depth=1
	v_and_b32_e32 v11, 0xffff, v10
	v_or_b32_e32 v12, 0x10000, v10
	s_delay_alu instid0(VALU_DEP_2) | instskip(NEXT) | instid1(VALU_DEP_2)
	v_cmp_eq_u32_e32 vcc_lo, 0, v11
	v_cndmask_b32_e32 v11, v12, v10, vcc_lo
; %bb.58:                               ;   in Loop: Header=BB607_4 Depth=1
	s_or_b32 exec_lo, exec_lo, s40
.LBB607_59:                             ;   in Loop: Header=BB607_4 Depth=1
	s_delay_alu instid0(VALU_DEP_1)
	v_lshrrev_b32_e32 v14, 16, v11
	s_or_b32 s6, s6, exec_lo
.LBB607_60:                             ;   in Loop: Header=BB607_4 Depth=1
	s_or_b32 exec_lo, exec_lo, s7
.LBB607_61:                             ;   in Loop: Header=BB607_4 Depth=1
	s_wait_xcnt 0x0
	s_and_saveexec_b32 s7, s6
	s_cbranch_execz .LBB607_2
; %bb.62:                               ;   in Loop: Header=BB607_4 Depth=1
	v_add_nc_u64_e32 v[8:9], s[38:39], v[8:9]
	flat_store_b16 v[8:9], v14
	s_branch .LBB607_2
.LBB607_63:
	s_endpgm
	.section	.rodata,"a",@progbits
	.p2align	6, 0x0
	.amdhsa_kernel _ZL32rocblas_gemvt_warp_reduce_kernelILb0ELi256ElPK16rocblas_bfloat16PKfKPS0_EviiT3_lPKT2_lT1_lSA_lSB_lS7_lPT4_lSB_li
		.amdhsa_group_segment_fixed_size 128
		.amdhsa_private_segment_fixed_size 0
		.amdhsa_kernarg_size 140
		.amdhsa_user_sgpr_count 2
		.amdhsa_user_sgpr_dispatch_ptr 0
		.amdhsa_user_sgpr_queue_ptr 0
		.amdhsa_user_sgpr_kernarg_segment_ptr 1
		.amdhsa_user_sgpr_dispatch_id 0
		.amdhsa_user_sgpr_kernarg_preload_length 0
		.amdhsa_user_sgpr_kernarg_preload_offset 0
		.amdhsa_user_sgpr_private_segment_size 0
		.amdhsa_wavefront_size32 1
		.amdhsa_uses_dynamic_stack 0
		.amdhsa_enable_private_segment 0
		.amdhsa_system_sgpr_workgroup_id_x 1
		.amdhsa_system_sgpr_workgroup_id_y 0
		.amdhsa_system_sgpr_workgroup_id_z 1
		.amdhsa_system_sgpr_workgroup_info 0
		.amdhsa_system_vgpr_workitem_id 0
		.amdhsa_next_free_vgpr 27
		.amdhsa_next_free_sgpr 44
		.amdhsa_named_barrier_count 0
		.amdhsa_reserve_vcc 1
		.amdhsa_float_round_mode_32 0
		.amdhsa_float_round_mode_16_64 0
		.amdhsa_float_denorm_mode_32 3
		.amdhsa_float_denorm_mode_16_64 3
		.amdhsa_fp16_overflow 0
		.amdhsa_memory_ordered 1
		.amdhsa_forward_progress 1
		.amdhsa_inst_pref_size 17
		.amdhsa_round_robin_scheduling 0
		.amdhsa_exception_fp_ieee_invalid_op 0
		.amdhsa_exception_fp_denorm_src 0
		.amdhsa_exception_fp_ieee_div_zero 0
		.amdhsa_exception_fp_ieee_overflow 0
		.amdhsa_exception_fp_ieee_underflow 0
		.amdhsa_exception_fp_ieee_inexact 0
		.amdhsa_exception_int_div_zero 0
	.end_amdhsa_kernel
	.section	.text._ZL32rocblas_gemvt_warp_reduce_kernelILb0ELi256ElPK16rocblas_bfloat16PKfKPS0_EviiT3_lPKT2_lT1_lSA_lSB_lS7_lPT4_lSB_li,"axG",@progbits,_ZL32rocblas_gemvt_warp_reduce_kernelILb0ELi256ElPK16rocblas_bfloat16PKfKPS0_EviiT3_lPKT2_lT1_lSA_lSB_lS7_lPT4_lSB_li,comdat
.Lfunc_end607:
	.size	_ZL32rocblas_gemvt_warp_reduce_kernelILb0ELi256ElPK16rocblas_bfloat16PKfKPS0_EviiT3_lPKT2_lT1_lSA_lSB_lS7_lPT4_lSB_li, .Lfunc_end607-_ZL32rocblas_gemvt_warp_reduce_kernelILb0ELi256ElPK16rocblas_bfloat16PKfKPS0_EviiT3_lPKT2_lT1_lSA_lSB_lS7_lPT4_lSB_li
                                        ; -- End function
	.set _ZL32rocblas_gemvt_warp_reduce_kernelILb0ELi256ElPK16rocblas_bfloat16PKfKPS0_EviiT3_lPKT2_lT1_lSA_lSB_lS7_lPT4_lSB_li.num_vgpr, 27
	.set _ZL32rocblas_gemvt_warp_reduce_kernelILb0ELi256ElPK16rocblas_bfloat16PKfKPS0_EviiT3_lPKT2_lT1_lSA_lSB_lS7_lPT4_lSB_li.num_agpr, 0
	.set _ZL32rocblas_gemvt_warp_reduce_kernelILb0ELi256ElPK16rocblas_bfloat16PKfKPS0_EviiT3_lPKT2_lT1_lSA_lSB_lS7_lPT4_lSB_li.numbered_sgpr, 44
	.set _ZL32rocblas_gemvt_warp_reduce_kernelILb0ELi256ElPK16rocblas_bfloat16PKfKPS0_EviiT3_lPKT2_lT1_lSA_lSB_lS7_lPT4_lSB_li.num_named_barrier, 0
	.set _ZL32rocblas_gemvt_warp_reduce_kernelILb0ELi256ElPK16rocblas_bfloat16PKfKPS0_EviiT3_lPKT2_lT1_lSA_lSB_lS7_lPT4_lSB_li.private_seg_size, 0
	.set _ZL32rocblas_gemvt_warp_reduce_kernelILb0ELi256ElPK16rocblas_bfloat16PKfKPS0_EviiT3_lPKT2_lT1_lSA_lSB_lS7_lPT4_lSB_li.uses_vcc, 1
	.set _ZL32rocblas_gemvt_warp_reduce_kernelILb0ELi256ElPK16rocblas_bfloat16PKfKPS0_EviiT3_lPKT2_lT1_lSA_lSB_lS7_lPT4_lSB_li.uses_flat_scratch, 0
	.set _ZL32rocblas_gemvt_warp_reduce_kernelILb0ELi256ElPK16rocblas_bfloat16PKfKPS0_EviiT3_lPKT2_lT1_lSA_lSB_lS7_lPT4_lSB_li.has_dyn_sized_stack, 0
	.set _ZL32rocblas_gemvt_warp_reduce_kernelILb0ELi256ElPK16rocblas_bfloat16PKfKPS0_EviiT3_lPKT2_lT1_lSA_lSB_lS7_lPT4_lSB_li.has_recursion, 0
	.set _ZL32rocblas_gemvt_warp_reduce_kernelILb0ELi256ElPK16rocblas_bfloat16PKfKPS0_EviiT3_lPKT2_lT1_lSA_lSB_lS7_lPT4_lSB_li.has_indirect_call, 0
	.section	.AMDGPU.csdata,"",@progbits
; Kernel info:
; codeLenInByte = 2108
; TotalNumSgprs: 46
; NumVgprs: 27
; ScratchSize: 0
; MemoryBound: 0
; FloatMode: 240
; IeeeMode: 1
; LDSByteSize: 128 bytes/workgroup (compile time only)
; SGPRBlocks: 0
; VGPRBlocks: 1
; NumSGPRsForWavesPerEU: 46
; NumVGPRsForWavesPerEU: 27
; NamedBarCnt: 0
; Occupancy: 16
; WaveLimiterHint : 1
; COMPUTE_PGM_RSRC2:SCRATCH_EN: 0
; COMPUTE_PGM_RSRC2:USER_SGPR: 2
; COMPUTE_PGM_RSRC2:TRAP_HANDLER: 0
; COMPUTE_PGM_RSRC2:TGID_X_EN: 1
; COMPUTE_PGM_RSRC2:TGID_Y_EN: 0
; COMPUTE_PGM_RSRC2:TGID_Z_EN: 1
; COMPUTE_PGM_RSRC2:TIDIG_COMP_CNT: 0
	.section	.text._ZL32rocblas_gemvt_warp_reduce_kernelILb0ELi256EiPK16rocblas_bfloat16fKPS0_EviiT3_lPKT2_lT1_lS8_lS9_lS5_lPT4_lS9_li,"axG",@progbits,_ZL32rocblas_gemvt_warp_reduce_kernelILb0ELi256EiPK16rocblas_bfloat16fKPS0_EviiT3_lPKT2_lT1_lS8_lS9_lS5_lPT4_lS9_li,comdat
	.globl	_ZL32rocblas_gemvt_warp_reduce_kernelILb0ELi256EiPK16rocblas_bfloat16fKPS0_EviiT3_lPKT2_lT1_lS8_lS9_lS5_lPT4_lS9_li ; -- Begin function _ZL32rocblas_gemvt_warp_reduce_kernelILb0ELi256EiPK16rocblas_bfloat16fKPS0_EviiT3_lPKT2_lT1_lS8_lS9_lS5_lPT4_lS9_li
	.p2align	8
	.type	_ZL32rocblas_gemvt_warp_reduce_kernelILb0ELi256EiPK16rocblas_bfloat16fKPS0_EviiT3_lPKT2_lT1_lS8_lS9_lS5_lPT4_lS9_li,@function
_ZL32rocblas_gemvt_warp_reduce_kernelILb0ELi256EiPK16rocblas_bfloat16fKPS0_EviiT3_lPKT2_lT1_lS8_lS9_lS5_lPT4_lS9_li: ; @_ZL32rocblas_gemvt_warp_reduce_kernelILb0ELi256EiPK16rocblas_bfloat16fKPS0_EviiT3_lPKT2_lT1_lS8_lS9_lS5_lPT4_lS9_li
; %bb.0:
	s_load_b32 s26, s[0:1], 0x88
	s_bfe_u32 s2, ttmp6, 0x40014
	s_lshr_b32 s4, ttmp7, 16
	s_add_co_i32 s2, s2, 1
	s_bfe_u32 s5, ttmp6, 0x40008
	s_mul_i32 s2, s4, s2
	s_getreg_b32 s3, hwreg(HW_REG_IB_STS2, 6, 4)
	s_add_co_i32 s5, s5, s2
	s_cmp_eq_u32 s3, 0
	s_mov_b32 s7, 0
	s_cselect_b32 s6, s4, s5
	s_wait_kmcnt 0x0
	s_cmp_ge_u32 s6, s26
	s_cbranch_scc1 .LBB608_65
; %bb.1:
	s_clause 0x6
	s_load_b32 s27, s[0:1], 0x8
	s_load_b32 s28, s[0:1], 0x58
	s_load_b128 s[8:11], s[0:1], 0x18
	s_load_b32 s4, s[0:1], 0x28
	s_load_b32 s5, s[0:1], 0x0
	s_load_b128 s[12:15], s[0:1], 0x38
	s_load_b32 s21, s[0:1], 0x48
	v_dual_mov_b32 v3, 0 :: v_dual_bitop2_b32 v2, 31, v0 bitop3:0x40
	v_lshrrev_b32_e32 v4, 3, v0
	v_mbcnt_lo_u32_b32 v14, -1, 0
	s_delay_alu instid0(VALU_DEP_3) | instskip(NEXT) | instid1(VALU_DEP_2)
	v_lshlrev_b32_e32 v15, 2, v2
	v_lshl_or_b32 v18, v14, 2, 64
	s_wait_kmcnt 0x0
	s_cmp_eq_f32 s27, 0
	v_cmp_gt_i32_e32 vcc_lo, s5, v0
	v_mul_lo_u32 v17, v0, s21
	s_cselect_b32 s29, -1, 0
	s_cmp_neq_f32 s28, 1.0
	s_cselect_b32 s2, -1, 0
	s_cmp_neq_f32 s27, 0
	s_cselect_b32 s16, -1, 0
	s_delay_alu instid0(SALU_CYCLE_1)
	s_or_b32 s30, s16, s2
	s_cmp_neq_f32 s28, 0
	v_cndmask_b32_e64 v1, 0, 1, s16
	s_clause 0x1
	s_load_b128 s[16:19], s[0:1], 0x68
	s_load_b32 s22, s[0:1], 0x78
	s_wait_xcnt 0x0
	v_cmp_eq_u32_e64 s0, 0, v0
	s_cselect_b32 s31, -1, 0
	s_cmp_eq_f32 s28, 0
	v_cmp_gt_u32_e64 s1, 32, v0
	s_cselect_b32 s33, -1, 0
	s_bfe_u32 s2, ttmp6, 0x4000c
	s_and_b32 s20, ttmp6, 15
	s_add_co_i32 s2, s2, 1
	s_delay_alu instid0(SALU_CYCLE_1)
	s_mul_i32 s23, ttmp9, s2
	v_cmp_gt_u32_e64 s2, 8, v0
	s_add_co_i32 s20, s20, s23
	s_cmp_eq_u32 s3, 0
	s_cselect_b32 s23, ttmp9, s20
	s_ashr_i32 s3, s5, 31
	s_lshl_b32 s34, s21, 8
	s_lshr_b32 s20, s3, 24
	v_cmp_eq_u32_e64 s3, 0, v2
	s_add_co_i32 s20, s5, s20
	s_wait_kmcnt 0x0
	s_mul_i32 s24, s22, s23
	s_and_b32 s20, s20, 0xffffff00
	s_delay_alu instid0(SALU_CYCLE_1) | instskip(SKIP_3) | instid1(VALU_DEP_3)
	v_dual_cndmask_b32 v2, 0, v0, vcc_lo :: v_dual_bitop2_b32 v5, s20, v0 bitop3:0x54
	v_and_b32_e32 v16, 28, v4
	s_mul_i32 s22, s4, s23
	v_cmp_gt_i32_e64 s4, s20, v0
	v_lshlrev_b32_e32 v2, 1, v2
	v_mul_lo_u32 v4, s21, v5
	v_cmp_gt_i32_e64 s5, s5, v5
	s_ashr_i32 s25, s24, 31
	s_lshl_b64 s[10:11], s[10:11], 1
	s_ashr_i32 s23, s22, 31
	s_ashr_i32 s21, s20, 31
	s_lshl_b64 s[14:15], s[14:15], 1
	s_lshl_b64 s[18:19], s[18:19], 1
	;; [unrolled: 1-line block ×3, first 2 shown]
	v_ashrrev_i32_e32 v5, 31, v4
	s_branch .LBB608_4
.LBB608_2:                              ;   in Loop: Header=BB608_4 Depth=1
	s_wait_xcnt 0x0
	s_or_b32 exec_lo, exec_lo, s36
.LBB608_3:                              ;   in Loop: Header=BB608_4 Depth=1
	s_add_co_i32 s6, s6, 0x10000
	s_delay_alu instid0(SALU_CYCLE_1)
	s_cmp_lt_u32 s6, s26
	s_cbranch_scc0 .LBB608_65
.LBB608_4:                              ; =>This Loop Header: Depth=1
                                        ;     Child Loop BB608_33 Depth 2
	s_and_not1_b32 vcc_lo, exec_lo, s30
	s_cbranch_vccnz .LBB608_3
; %bb.5:                                ;   in Loop: Header=BB608_4 Depth=1
	s_and_not1_b32 vcc_lo, exec_lo, s29
	s_cbranch_vccnz .LBB608_7
; %bb.6:                                ;   in Loop: Header=BB608_4 Depth=1
	v_mov_b64_e32 v[8:9], 0
	s_wait_dscnt 0x0
	v_mov_b64_e32 v[10:11], 0
	s_cbranch_execz .LBB608_8
	s_branch .LBB608_9
.LBB608_7:                              ;   in Loop: Header=BB608_4 Depth=1
	v_mov_b64_e32 v[8:9], 0
	s_wait_dscnt 0x0
	v_mov_b64_e32 v[10:11], 0
.LBB608_8:                              ;   in Loop: Header=BB608_4 Depth=1
	s_lshl_b64 s[36:37], s[6:7], 3
	s_delay_alu instid0(SALU_CYCLE_1)
	s_add_nc_u64 s[36:37], s[8:9], s[36:37]
	global_load_b64 v[6:7], v3, s[36:37]
	s_wait_loadcnt 0x0
	v_add_nc_u64_e32 v[10:11], s[10:11], v[6:7]
.LBB608_9:                              ;   in Loop: Header=BB608_4 Depth=1
	v_cmp_ne_u32_e32 vcc_lo, 1, v1
	s_cbranch_vccnz .LBB608_11
; %bb.10:                               ;   in Loop: Header=BB608_4 Depth=1
	s_wait_xcnt 0x0
	s_lshl_b64 s[36:37], s[6:7], 3
	s_delay_alu instid0(SALU_CYCLE_1)
	s_add_nc_u64 s[36:37], s[12:13], s[36:37]
	global_load_b64 v[6:7], v3, s[36:37]
	s_wait_loadcnt 0x0
	v_add_nc_u64_e32 v[8:9], s[14:15], v[6:7]
.LBB608_11:                             ;   in Loop: Header=BB608_4 Depth=1
	s_wait_xcnt 0x0
	s_lshl_b64 s[36:37], s[6:7], 3
	s_and_not1_b32 vcc_lo, exec_lo, s29
	s_add_nc_u64 s[36:37], s[16:17], s[36:37]
	global_load_b64 v[6:7], v3, s[36:37]
	s_wait_loadcnt 0x0
	v_add_nc_u64_e32 v[6:7], s[18:19], v[6:7]
	s_cbranch_vccnz .LBB608_19
; %bb.12:                               ;   in Loop: Header=BB608_4 Depth=1
	s_wait_xcnt 0x0
	s_mov_b32 s36, 0
	s_mov_b32 s35, 0
                                        ; implicit-def: $vgpr12
	s_and_saveexec_b32 s37, s0
	s_cbranch_execz .LBB608_20
; %bb.13:                               ;   in Loop: Header=BB608_4 Depth=1
	s_and_not1_b32 vcc_lo, exec_lo, s31
	s_cbranch_vccnz .LBB608_21
; %bb.14:                               ;   in Loop: Header=BB608_4 Depth=1
	v_add_nc_u64_e32 v[12:13], s[24:25], v[6:7]
	flat_load_u16 v12, v[12:13]
	s_wait_loadcnt_dscnt 0x0
	s_wait_xcnt 0x0
	v_lshlrev_b32_e32 v12, 16, v12
	s_delay_alu instid0(VALU_DEP_1) | instskip(NEXT) | instid1(VALU_DEP_1)
	v_mul_f32_e32 v12, s28, v12
	v_and_b32_e32 v13, 0x7f800000, v12
	s_delay_alu instid0(VALU_DEP_1) | instskip(SKIP_1) | instid1(SALU_CYCLE_1)
	v_cmp_ne_u32_e32 vcc_lo, 0x7f800000, v13
                                        ; implicit-def: $vgpr13
	s_and_saveexec_b32 s35, vcc_lo
	s_xor_b32 s35, exec_lo, s35
; %bb.15:                               ;   in Loop: Header=BB608_4 Depth=1
	v_bfe_u32 v13, v12, 16, 1
	s_delay_alu instid0(VALU_DEP_1)
	v_add3_u32 v13, v12, v13, 0x7fff
                                        ; implicit-def: $vgpr12
; %bb.16:                               ;   in Loop: Header=BB608_4 Depth=1
	s_and_not1_saveexec_b32 s35, s35
; %bb.17:                               ;   in Loop: Header=BB608_4 Depth=1
	v_and_b32_e32 v13, 0xffff, v12
	v_or_b32_e32 v19, 0x10000, v12
	s_delay_alu instid0(VALU_DEP_2) | instskip(NEXT) | instid1(VALU_DEP_2)
	v_cmp_eq_u32_e32 vcc_lo, 0, v13
	v_cndmask_b32_e32 v13, v19, v12, vcc_lo
; %bb.18:                               ;   in Loop: Header=BB608_4 Depth=1
	s_or_b32 exec_lo, exec_lo, s35
	s_delay_alu instid0(VALU_DEP_1) | instskip(SKIP_2) | instid1(SALU_CYCLE_1)
	v_lshrrev_b32_e32 v12, 16, v13
	s_mov_b32 s35, exec_lo
	s_or_b32 exec_lo, exec_lo, s37
	s_and_b32 vcc_lo, exec_lo, s36
	s_cbranch_vccnz .LBB608_22
	s_branch .LBB608_57
.LBB608_19:                             ;   in Loop: Header=BB608_4 Depth=1
	s_wait_xcnt 0x0
	s_mov_b32 s35, 0
                                        ; implicit-def: $vgpr12
	s_cbranch_execnz .LBB608_22
	s_branch .LBB608_57
.LBB608_20:                             ;   in Loop: Header=BB608_4 Depth=1
	s_or_b32 exec_lo, exec_lo, s37
	s_delay_alu instid0(SALU_CYCLE_1)
	s_and_b32 vcc_lo, exec_lo, s36
	s_cbranch_vccnz .LBB608_22
	s_branch .LBB608_57
.LBB608_21:                             ;   in Loop: Header=BB608_4 Depth=1
	v_mov_b32_e32 v12, 0
	s_mov_b32 s35, exec_lo
	s_or_b32 exec_lo, exec_lo, s37
	s_delay_alu instid0(SALU_CYCLE_1)
	s_and_b32 vcc_lo, exec_lo, s36
	s_cbranch_vccz .LBB608_57
.LBB608_22:                             ;   in Loop: Header=BB608_4 Depth=1
	v_add_nc_u64_e32 v[10:11], v[10:11], v[2:3]
	v_mov_b32_e32 v19, 0
	s_delay_alu instid0(VALU_DEP_2)
	v_lshl_add_u64 v[10:11], s[22:23], 1, v[10:11]
	s_and_saveexec_b32 s36, s4
	s_cbranch_execnz .LBB608_31
; %bb.23:                               ;   in Loop: Header=BB608_4 Depth=1
	s_or_b32 exec_lo, exec_lo, s36
	s_and_saveexec_b32 s36, s5
	s_cbranch_execnz .LBB608_60
.LBB608_24:                             ;   in Loop: Header=BB608_4 Depth=1
	s_or_b32 exec_lo, exec_lo, s36
	s_and_saveexec_b32 s36, s1
.LBB608_25:                             ;   in Loop: Header=BB608_4 Depth=1
	ds_store_b32 v15, v3
.LBB608_26:                             ;   in Loop: Header=BB608_4 Depth=1
	s_or_b32 exec_lo, exec_lo, s36
	ds_bpermute_b32 v8, v18, v19
	v_cmp_gt_u32_e32 vcc_lo, 24, v14
	s_wait_dscnt 0x0
	s_barrier_signal -1
	s_barrier_wait -1
	v_cndmask_b32_e64 v9, 0, 8, vcc_lo
	v_cmp_gt_u32_e32 vcc_lo, 28, v14
	s_delay_alu instid0(VALU_DEP_2)
	v_add_lshl_u32 v9, v9, v14, 2
	v_add_f32_e32 v10, v19, v8
	v_cndmask_b32_e64 v8, 0, 4, vcc_lo
	v_cmp_gt_u32_e32 vcc_lo, 30, v14
	ds_bpermute_b32 v9, v9, v10
	v_add_lshl_u32 v8, v8, v14, 2
	s_wait_dscnt 0x0
	v_add_f32_e32 v10, v10, v9
	v_cndmask_b32_e64 v9, 0, 2, vcc_lo
	v_cmp_ne_u32_e32 vcc_lo, 31, v14
	ds_bpermute_b32 v11, v8, v10
	v_add_lshl_u32 v9, v9, v14, 2
	v_add_co_ci_u32_e64 v12, null, 0, v14, vcc_lo
	s_wait_dscnt 0x0
	v_add_f32_e32 v10, v10, v11
	ds_bpermute_b32 v11, v9, v10
	s_wait_dscnt 0x0
	v_dual_add_f32 v11, v10, v11 :: v_dual_lshlrev_b32 v10, 2, v12
	ds_bpermute_b32 v12, v10, v11
	s_and_saveexec_b32 s36, s3
	s_cbranch_execz .LBB608_28
; %bb.27:                               ;   in Loop: Header=BB608_4 Depth=1
	s_wait_dscnt 0x0
	v_add_f32_e32 v11, v11, v12
	ds_store_b32 v16, v11
.LBB608_28:                             ;   in Loop: Header=BB608_4 Depth=1
	s_or_b32 exec_lo, exec_lo, s36
	v_mov_b32_e32 v11, 0
	s_wait_dscnt 0x0
	s_barrier_signal -1
	s_barrier_wait -1
	s_and_saveexec_b32 s36, s2
	s_cbranch_execnz .LBB608_37
; %bb.29:                               ;   in Loop: Header=BB608_4 Depth=1
	s_or_b32 exec_lo, exec_lo, s36
	s_and_saveexec_b32 s36, s1
	s_cbranch_execnz .LBB608_38
.LBB608_30:                             ;   in Loop: Header=BB608_4 Depth=1
	s_or_b32 exec_lo, exec_lo, s36
                                        ; implicit-def: $vgpr12
	s_and_saveexec_b32 s36, s0
	s_cbranch_execnz .LBB608_39
	s_branch .LBB608_56
.LBB608_31:                             ;   in Loop: Header=BB608_4 Depth=1
	s_delay_alu instid0(VALU_DEP_1)
	v_mov_b64_e32 v[12:13], v[10:11]
	v_dual_mov_b32 v19, 0 :: v_dual_mov_b32 v20, v17
	v_mov_b32_e32 v21, v0
	s_mov_b32 s37, 0
	s_branch .LBB608_33
.LBB608_32:                             ;   in Loop: Header=BB608_33 Depth=2
	s_or_b32 exec_lo, exec_lo, s38
	v_add_nc_u32_e32 v21, 0x100, v21
	s_delay_alu instid0(VALU_DEP_2) | instskip(SKIP_2) | instid1(VALU_DEP_4)
	v_and_b32_e32 v22, 0xffff0000, v23
	v_add_nc_u64_e32 v[12:13], 0x200, v[12:13]
	v_add_nc_u32_e32 v20, s34, v20
	v_cmp_le_i32_e32 vcc_lo, s20, v21
	s_delay_alu instid0(VALU_DEP_4) | instskip(SKIP_1) | instid1(SALU_CYCLE_1)
	v_add_f32_e32 v19, v19, v22
	s_or_b32 s37, vcc_lo, s37
	s_and_not1_b32 exec_lo, exec_lo, s37
	s_cbranch_execz .LBB608_59
.LBB608_33:                             ;   Parent Loop BB608_4 Depth=1
                                        ; =>  This Inner Loop Header: Depth=2
	v_readfirstlane_b32 s38, v8
	v_readfirstlane_b32 s39, v9
	flat_load_u16 v22, v[12:13]
	flat_load_u16 v23, v20, s[38:39] scale_offset
	s_wait_loadcnt_dscnt 0x0
	v_dual_lshlrev_b32 v22, 16, v22 :: v_dual_lshlrev_b32 v23, 16, v23
	s_delay_alu instid0(VALU_DEP_1) | instskip(NEXT) | instid1(VALU_DEP_1)
	v_mul_f32_e32 v22, v23, v22
	v_and_b32_e32 v23, 0x7f800000, v22
	s_delay_alu instid0(VALU_DEP_1) | instskip(SKIP_2) | instid1(SALU_CYCLE_1)
	v_cmp_ne_u32_e32 vcc_lo, 0x7f800000, v23
                                        ; implicit-def: $vgpr23
	s_wait_xcnt 0x0
	s_and_saveexec_b32 s38, vcc_lo
	s_xor_b32 s38, exec_lo, s38
; %bb.34:                               ;   in Loop: Header=BB608_33 Depth=2
	v_bfe_u32 v23, v22, 16, 1
	s_delay_alu instid0(VALU_DEP_1)
	v_add3_u32 v23, v22, v23, 0x7fff
                                        ; implicit-def: $vgpr22
; %bb.35:                               ;   in Loop: Header=BB608_33 Depth=2
	s_and_not1_saveexec_b32 s38, s38
	s_cbranch_execz .LBB608_32
; %bb.36:                               ;   in Loop: Header=BB608_33 Depth=2
	v_and_b32_e32 v23, 0xffff, v22
	v_or_b32_e32 v24, 0x10000, v22
	s_delay_alu instid0(VALU_DEP_2) | instskip(NEXT) | instid1(VALU_DEP_2)
	v_cmp_eq_u32_e32 vcc_lo, 0, v23
	v_cndmask_b32_e32 v23, v24, v22, vcc_lo
	s_branch .LBB608_32
.LBB608_37:                             ;   in Loop: Header=BB608_4 Depth=1
	ds_load_b32 v11, v15
	s_or_b32 exec_lo, exec_lo, s36
	s_and_saveexec_b32 s36, s1
	s_cbranch_execz .LBB608_30
.LBB608_38:                             ;   in Loop: Header=BB608_4 Depth=1
	s_wait_dscnt 0x0
	ds_bpermute_b32 v8, v8, v11
	s_wait_dscnt 0x0
	v_add_f32_e32 v8, v11, v8
	ds_bpermute_b32 v9, v9, v8
	s_wait_dscnt 0x0
	v_add_f32_e32 v8, v8, v9
	;; [unrolled: 3-line block ×3, first 2 shown]
	s_or_b32 exec_lo, exec_lo, s36
                                        ; implicit-def: $vgpr12
	s_and_saveexec_b32 s36, s0
	s_cbranch_execz .LBB608_56
.LBB608_39:                             ;   in Loop: Header=BB608_4 Depth=1
	s_wait_dscnt 0x0
	v_mul_f32_e32 v8, s27, v11
	s_and_b32 vcc_lo, exec_lo, s33
	s_mov_b32 s37, -1
                                        ; implicit-def: $vgpr9
	s_cbranch_vccz .LBB608_45
; %bb.40:                               ;   in Loop: Header=BB608_4 Depth=1
	s_delay_alu instid0(VALU_DEP_1) | instskip(NEXT) | instid1(VALU_DEP_1)
	v_and_b32_e32 v9, 0x7f800000, v8
	v_cmp_ne_u32_e32 vcc_lo, 0x7f800000, v9
                                        ; implicit-def: $vgpr9
	s_and_saveexec_b32 s37, vcc_lo
	s_delay_alu instid0(SALU_CYCLE_1)
	s_xor_b32 s37, exec_lo, s37
; %bb.41:                               ;   in Loop: Header=BB608_4 Depth=1
	v_bfe_u32 v9, v8, 16, 1
	s_delay_alu instid0(VALU_DEP_1)
	v_add3_u32 v9, v8, v9, 0x7fff
; %bb.42:                               ;   in Loop: Header=BB608_4 Depth=1
	s_and_not1_saveexec_b32 s37, s37
; %bb.43:                               ;   in Loop: Header=BB608_4 Depth=1
	v_and_b32_e32 v9, 0xffff, v8
	v_or_b32_e32 v10, 0x10000, v8
	s_delay_alu instid0(VALU_DEP_2) | instskip(NEXT) | instid1(VALU_DEP_2)
	v_cmp_eq_u32_e32 vcc_lo, 0, v9
	v_cndmask_b32_e32 v9, v10, v8, vcc_lo
; %bb.44:                               ;   in Loop: Header=BB608_4 Depth=1
	s_or_b32 exec_lo, exec_lo, s37
	s_mov_b32 s37, 0
.LBB608_45:                             ;   in Loop: Header=BB608_4 Depth=1
	s_delay_alu instid0(SALU_CYCLE_1)
	s_and_not1_b32 vcc_lo, exec_lo, s37
	s_cbranch_vccnz .LBB608_55
; %bb.46:                               ;   in Loop: Header=BB608_4 Depth=1
	v_add_nc_u64_e32 v[10:11], s[24:25], v[6:7]
	flat_load_u16 v9, v[10:11]
	s_wait_loadcnt_dscnt 0x0
	v_lshlrev_b32_e32 v9, 16, v9
	s_delay_alu instid0(VALU_DEP_1) | instskip(SKIP_1) | instid1(VALU_DEP_1)
	v_mul_f32_e32 v9, s28, v9
	s_wait_xcnt 0x0
	v_and_b32_e32 v10, 0x7f800000, v9
	s_delay_alu instid0(VALU_DEP_1) | instskip(SKIP_1) | instid1(SALU_CYCLE_1)
	v_cmp_ne_u32_e32 vcc_lo, 0x7f800000, v10
                                        ; implicit-def: $vgpr10
	s_and_saveexec_b32 s37, vcc_lo
	s_xor_b32 s37, exec_lo, s37
; %bb.47:                               ;   in Loop: Header=BB608_4 Depth=1
	v_bfe_u32 v10, v9, 16, 1
	s_delay_alu instid0(VALU_DEP_1)
	v_add3_u32 v10, v9, v10, 0x7fff
                                        ; implicit-def: $vgpr9
; %bb.48:                               ;   in Loop: Header=BB608_4 Depth=1
	s_and_not1_saveexec_b32 s37, s37
; %bb.49:                               ;   in Loop: Header=BB608_4 Depth=1
	v_and_b32_e32 v10, 0xffff, v9
	v_or_b32_e32 v11, 0x10000, v9
	s_delay_alu instid0(VALU_DEP_2) | instskip(NEXT) | instid1(VALU_DEP_2)
	v_cmp_eq_u32_e32 vcc_lo, 0, v10
	v_cndmask_b32_e32 v10, v11, v9, vcc_lo
; %bb.50:                               ;   in Loop: Header=BB608_4 Depth=1
	s_or_b32 exec_lo, exec_lo, s37
	s_delay_alu instid0(VALU_DEP_1) | instskip(NEXT) | instid1(VALU_DEP_1)
	v_and_b32_e32 v9, 0xffff0000, v10
	v_add_f32_e32 v8, v8, v9
	s_delay_alu instid0(VALU_DEP_1) | instskip(NEXT) | instid1(VALU_DEP_1)
	v_and_b32_e32 v9, 0x7f800000, v8
	v_cmp_ne_u32_e32 vcc_lo, 0x7f800000, v9
                                        ; implicit-def: $vgpr9
	s_and_saveexec_b32 s37, vcc_lo
	s_delay_alu instid0(SALU_CYCLE_1)
	s_xor_b32 s37, exec_lo, s37
; %bb.51:                               ;   in Loop: Header=BB608_4 Depth=1
	v_bfe_u32 v9, v8, 16, 1
	s_delay_alu instid0(VALU_DEP_1)
	v_add3_u32 v9, v8, v9, 0x7fff
                                        ; implicit-def: $vgpr8
; %bb.52:                               ;   in Loop: Header=BB608_4 Depth=1
	s_and_not1_saveexec_b32 s37, s37
; %bb.53:                               ;   in Loop: Header=BB608_4 Depth=1
	v_and_b32_e32 v9, 0xffff, v8
	v_or_b32_e32 v10, 0x10000, v8
	s_delay_alu instid0(VALU_DEP_2) | instskip(NEXT) | instid1(VALU_DEP_2)
	v_cmp_eq_u32_e32 vcc_lo, 0, v9
	v_cndmask_b32_e32 v9, v10, v8, vcc_lo
; %bb.54:                               ;   in Loop: Header=BB608_4 Depth=1
	s_or_b32 exec_lo, exec_lo, s37
.LBB608_55:                             ;   in Loop: Header=BB608_4 Depth=1
	s_delay_alu instid0(VALU_DEP_1)
	v_lshrrev_b32_e32 v12, 16, v9
	s_or_b32 s35, s35, exec_lo
.LBB608_56:                             ;   in Loop: Header=BB608_4 Depth=1
	s_or_b32 exec_lo, exec_lo, s36
.LBB608_57:                             ;   in Loop: Header=BB608_4 Depth=1
	s_and_saveexec_b32 s36, s35
	s_cbranch_execz .LBB608_2
; %bb.58:                               ;   in Loop: Header=BB608_4 Depth=1
	v_add_nc_u64_e32 v[6:7], s[24:25], v[6:7]
	flat_store_b16 v[6:7], v12
	s_branch .LBB608_2
.LBB608_59:                             ;   in Loop: Header=BB608_4 Depth=1
	s_or_b32 exec_lo, exec_lo, s37
	s_delay_alu instid0(SALU_CYCLE_1)
	s_or_b32 exec_lo, exec_lo, s36
	s_and_saveexec_b32 s36, s5
	s_cbranch_execz .LBB608_24
.LBB608_60:                             ;   in Loop: Header=BB608_4 Depth=1
	v_lshl_add_u64 v[10:11], s[20:21], 1, v[10:11]
	v_lshl_add_u64 v[8:9], v[4:5], 1, v[8:9]
	flat_load_u16 v12, v[10:11]
	flat_load_u16 v13, v[8:9]
	s_wait_loadcnt_dscnt 0x0
	s_wait_xcnt 0x0
	v_dual_lshlrev_b32 v8, 16, v12 :: v_dual_lshlrev_b32 v9, 16, v13
	s_delay_alu instid0(VALU_DEP_1) | instskip(NEXT) | instid1(VALU_DEP_1)
	v_mul_f32_e32 v8, v9, v8
	v_and_b32_e32 v9, 0x7f800000, v8
	s_delay_alu instid0(VALU_DEP_1) | instskip(SKIP_1) | instid1(SALU_CYCLE_1)
	v_cmp_ne_u32_e32 vcc_lo, 0x7f800000, v9
                                        ; implicit-def: $vgpr9
	s_and_saveexec_b32 s37, vcc_lo
	s_xor_b32 s37, exec_lo, s37
; %bb.61:                               ;   in Loop: Header=BB608_4 Depth=1
	v_bfe_u32 v9, v8, 16, 1
	s_delay_alu instid0(VALU_DEP_1)
	v_add3_u32 v9, v8, v9, 0x7fff
                                        ; implicit-def: $vgpr8
; %bb.62:                               ;   in Loop: Header=BB608_4 Depth=1
	s_and_not1_saveexec_b32 s37, s37
; %bb.63:                               ;   in Loop: Header=BB608_4 Depth=1
	v_and_b32_e32 v9, 0xffff, v8
	v_or_b32_e32 v10, 0x10000, v8
	s_delay_alu instid0(VALU_DEP_2) | instskip(NEXT) | instid1(VALU_DEP_2)
	v_cmp_eq_u32_e32 vcc_lo, 0, v9
	v_cndmask_b32_e32 v9, v10, v8, vcc_lo
; %bb.64:                               ;   in Loop: Header=BB608_4 Depth=1
	s_or_b32 exec_lo, exec_lo, s37
	s_delay_alu instid0(VALU_DEP_1) | instskip(NEXT) | instid1(VALU_DEP_1)
	v_and_b32_e32 v8, 0xffff0000, v9
	v_add_f32_e32 v19, v19, v8
	s_or_b32 exec_lo, exec_lo, s36
	s_and_saveexec_b32 s36, s1
	s_cbranch_execnz .LBB608_25
	s_branch .LBB608_26
.LBB608_65:
	s_endpgm
	.section	.rodata,"a",@progbits
	.p2align	6, 0x0
	.amdhsa_kernel _ZL32rocblas_gemvt_warp_reduce_kernelILb0ELi256EiPK16rocblas_bfloat16fKPS0_EviiT3_lPKT2_lT1_lS8_lS9_lS5_lPT4_lS9_li
		.amdhsa_group_segment_fixed_size 128
		.amdhsa_private_segment_fixed_size 0
		.amdhsa_kernarg_size 140
		.amdhsa_user_sgpr_count 2
		.amdhsa_user_sgpr_dispatch_ptr 0
		.amdhsa_user_sgpr_queue_ptr 0
		.amdhsa_user_sgpr_kernarg_segment_ptr 1
		.amdhsa_user_sgpr_dispatch_id 0
		.amdhsa_user_sgpr_kernarg_preload_length 0
		.amdhsa_user_sgpr_kernarg_preload_offset 0
		.amdhsa_user_sgpr_private_segment_size 0
		.amdhsa_wavefront_size32 1
		.amdhsa_uses_dynamic_stack 0
		.amdhsa_enable_private_segment 0
		.amdhsa_system_sgpr_workgroup_id_x 1
		.amdhsa_system_sgpr_workgroup_id_y 0
		.amdhsa_system_sgpr_workgroup_id_z 1
		.amdhsa_system_sgpr_workgroup_info 0
		.amdhsa_system_vgpr_workitem_id 0
		.amdhsa_next_free_vgpr 25
		.amdhsa_next_free_sgpr 40
		.amdhsa_named_barrier_count 0
		.amdhsa_reserve_vcc 1
		.amdhsa_float_round_mode_32 0
		.amdhsa_float_round_mode_16_64 0
		.amdhsa_float_denorm_mode_32 3
		.amdhsa_float_denorm_mode_16_64 3
		.amdhsa_fp16_overflow 0
		.amdhsa_memory_ordered 1
		.amdhsa_forward_progress 1
		.amdhsa_inst_pref_size 17
		.amdhsa_round_robin_scheduling 0
		.amdhsa_exception_fp_ieee_invalid_op 0
		.amdhsa_exception_fp_denorm_src 0
		.amdhsa_exception_fp_ieee_div_zero 0
		.amdhsa_exception_fp_ieee_overflow 0
		.amdhsa_exception_fp_ieee_underflow 0
		.amdhsa_exception_fp_ieee_inexact 0
		.amdhsa_exception_int_div_zero 0
	.end_amdhsa_kernel
	.section	.text._ZL32rocblas_gemvt_warp_reduce_kernelILb0ELi256EiPK16rocblas_bfloat16fKPS0_EviiT3_lPKT2_lT1_lS8_lS9_lS5_lPT4_lS9_li,"axG",@progbits,_ZL32rocblas_gemvt_warp_reduce_kernelILb0ELi256EiPK16rocblas_bfloat16fKPS0_EviiT3_lPKT2_lT1_lS8_lS9_lS5_lPT4_lS9_li,comdat
.Lfunc_end608:
	.size	_ZL32rocblas_gemvt_warp_reduce_kernelILb0ELi256EiPK16rocblas_bfloat16fKPS0_EviiT3_lPKT2_lT1_lS8_lS9_lS5_lPT4_lS9_li, .Lfunc_end608-_ZL32rocblas_gemvt_warp_reduce_kernelILb0ELi256EiPK16rocblas_bfloat16fKPS0_EviiT3_lPKT2_lT1_lS8_lS9_lS5_lPT4_lS9_li
                                        ; -- End function
	.set _ZL32rocblas_gemvt_warp_reduce_kernelILb0ELi256EiPK16rocblas_bfloat16fKPS0_EviiT3_lPKT2_lT1_lS8_lS9_lS5_lPT4_lS9_li.num_vgpr, 25
	.set _ZL32rocblas_gemvt_warp_reduce_kernelILb0ELi256EiPK16rocblas_bfloat16fKPS0_EviiT3_lPKT2_lT1_lS8_lS9_lS5_lPT4_lS9_li.num_agpr, 0
	.set _ZL32rocblas_gemvt_warp_reduce_kernelILb0ELi256EiPK16rocblas_bfloat16fKPS0_EviiT3_lPKT2_lT1_lS8_lS9_lS5_lPT4_lS9_li.numbered_sgpr, 40
	.set _ZL32rocblas_gemvt_warp_reduce_kernelILb0ELi256EiPK16rocblas_bfloat16fKPS0_EviiT3_lPKT2_lT1_lS8_lS9_lS5_lPT4_lS9_li.num_named_barrier, 0
	.set _ZL32rocblas_gemvt_warp_reduce_kernelILb0ELi256EiPK16rocblas_bfloat16fKPS0_EviiT3_lPKT2_lT1_lS8_lS9_lS5_lPT4_lS9_li.private_seg_size, 0
	.set _ZL32rocblas_gemvt_warp_reduce_kernelILb0ELi256EiPK16rocblas_bfloat16fKPS0_EviiT3_lPKT2_lT1_lS8_lS9_lS5_lPT4_lS9_li.uses_vcc, 1
	.set _ZL32rocblas_gemvt_warp_reduce_kernelILb0ELi256EiPK16rocblas_bfloat16fKPS0_EviiT3_lPKT2_lT1_lS8_lS9_lS5_lPT4_lS9_li.uses_flat_scratch, 0
	.set _ZL32rocblas_gemvt_warp_reduce_kernelILb0ELi256EiPK16rocblas_bfloat16fKPS0_EviiT3_lPKT2_lT1_lS8_lS9_lS5_lPT4_lS9_li.has_dyn_sized_stack, 0
	.set _ZL32rocblas_gemvt_warp_reduce_kernelILb0ELi256EiPK16rocblas_bfloat16fKPS0_EviiT3_lPKT2_lT1_lS8_lS9_lS5_lPT4_lS9_li.has_recursion, 0
	.set _ZL32rocblas_gemvt_warp_reduce_kernelILb0ELi256EiPK16rocblas_bfloat16fKPS0_EviiT3_lPKT2_lT1_lS8_lS9_lS5_lPT4_lS9_li.has_indirect_call, 0
	.section	.AMDGPU.csdata,"",@progbits
; Kernel info:
; codeLenInByte = 2124
; TotalNumSgprs: 42
; NumVgprs: 25
; ScratchSize: 0
; MemoryBound: 0
; FloatMode: 240
; IeeeMode: 1
; LDSByteSize: 128 bytes/workgroup (compile time only)
; SGPRBlocks: 0
; VGPRBlocks: 1
; NumSGPRsForWavesPerEU: 42
; NumVGPRsForWavesPerEU: 25
; NamedBarCnt: 0
; Occupancy: 16
; WaveLimiterHint : 1
; COMPUTE_PGM_RSRC2:SCRATCH_EN: 0
; COMPUTE_PGM_RSRC2:USER_SGPR: 2
; COMPUTE_PGM_RSRC2:TRAP_HANDLER: 0
; COMPUTE_PGM_RSRC2:TGID_X_EN: 1
; COMPUTE_PGM_RSRC2:TGID_Y_EN: 0
; COMPUTE_PGM_RSRC2:TGID_Z_EN: 1
; COMPUTE_PGM_RSRC2:TIDIG_COMP_CNT: 0
	.section	.text._ZL32rocblas_gemvt_warp_reduce_kernelILb0ELi256ElPK16rocblas_bfloat16fKPS0_EviiT3_lPKT2_lT1_lS8_lS9_lS5_lPT4_lS9_li,"axG",@progbits,_ZL32rocblas_gemvt_warp_reduce_kernelILb0ELi256ElPK16rocblas_bfloat16fKPS0_EviiT3_lPKT2_lT1_lS8_lS9_lS5_lPT4_lS9_li,comdat
	.globl	_ZL32rocblas_gemvt_warp_reduce_kernelILb0ELi256ElPK16rocblas_bfloat16fKPS0_EviiT3_lPKT2_lT1_lS8_lS9_lS5_lPT4_lS9_li ; -- Begin function _ZL32rocblas_gemvt_warp_reduce_kernelILb0ELi256ElPK16rocblas_bfloat16fKPS0_EviiT3_lPKT2_lT1_lS8_lS9_lS5_lPT4_lS9_li
	.p2align	8
	.type	_ZL32rocblas_gemvt_warp_reduce_kernelILb0ELi256ElPK16rocblas_bfloat16fKPS0_EviiT3_lPKT2_lT1_lS8_lS9_lS5_lPT4_lS9_li,@function
_ZL32rocblas_gemvt_warp_reduce_kernelILb0ELi256ElPK16rocblas_bfloat16fKPS0_EviiT3_lPKT2_lT1_lS8_lS9_lS5_lPT4_lS9_li: ; @_ZL32rocblas_gemvt_warp_reduce_kernelILb0ELi256ElPK16rocblas_bfloat16fKPS0_EviiT3_lPKT2_lT1_lS8_lS9_lS5_lPT4_lS9_li
; %bb.0:
	s_load_b32 s28, s[0:1], 0x88
	s_bfe_u32 s2, ttmp6, 0x40014
	s_lshr_b32 s3, ttmp7, 16
	s_add_co_i32 s2, s2, 1
	s_bfe_u32 s5, ttmp6, 0x40008
	s_mul_i32 s4, s3, s2
	s_getreg_b32 s2, hwreg(HW_REG_IB_STS2, 6, 4)
	s_add_co_i32 s5, s5, s4
	s_cmp_eq_u32 s2, 0
	s_mov_b32 s7, 0
	s_cselect_b32 s6, s3, s5
	s_wait_kmcnt 0x0
	s_cmp_ge_u32 s6, s28
	s_cbranch_scc1 .LBB609_65
; %bb.1:
	s_clause 0x7
	s_load_b32 s29, s[0:1], 0x8
	s_load_b32 s30, s[0:1], 0x58
	s_load_b128 s[8:11], s[0:1], 0x18
	s_load_b64 s[4:5], s[0:1], 0x28
	s_load_b32 s21, s[0:1], 0x0
	s_load_b128 s[12:15], s[0:1], 0x68
	s_load_b64 s[24:25], s[0:1], 0x48
	s_load_b64 s[22:23], s[0:1], 0x78
	v_mbcnt_lo_u32_b32 v20, -1, 0
	s_delay_alu instid0(VALU_DEP_1)
	v_lshl_or_b32 v21, v20, 2, 64
	s_wait_kmcnt 0x0
	s_cmp_eq_f32 s29, 0
	s_cselect_b32 s31, -1, 0
	s_cmp_neq_f32 s30, 1.0
	s_cselect_b32 s3, -1, 0
	s_cmp_neq_f32 s29, 0
	s_cselect_b32 s16, -1, 0
	s_delay_alu instid0(SALU_CYCLE_1)
	s_or_b32 s33, s16, s3
	s_cmp_neq_f32 s30, 0
	v_cndmask_b32_e64 v18, 0, 1, s16
	s_cselect_b32 s34, -1, 0
	s_cmp_eq_f32 s30, 0
	s_cselect_b32 s35, -1, 0
	s_bfe_u32 s3, ttmp6, 0x4000c
	s_and_b32 s16, ttmp6, 15
	s_add_co_i32 s3, s3, 1
	s_delay_alu instid0(SALU_CYCLE_1) | instskip(NEXT) | instid1(SALU_CYCLE_1)
	s_mul_i32 s3, ttmp9, s3
	s_add_co_i32 s16, s16, s3
	s_cmp_eq_u32 s2, 0
	s_cselect_b32 s2, ttmp9, s16
	s_load_b128 s[16:19], s[0:1], 0x38
	s_ashr_i32 s3, s21, 31
	v_cmp_gt_i32_e32 vcc_lo, s21, v0
	s_lshr_b32 s3, s3, 24
	s_wait_xcnt 0x0
	v_cmp_eq_u32_e64 s0, 0, v0
	s_add_co_i32 s3, s21, s3
	s_lshl_b64 s[10:11], s[10:11], 1
	s_and_b32 s20, s3, 0xffffff00
	s_delay_alu instid0(SALU_CYCLE_1) | instskip(SKIP_3) | instid1(VALU_DEP_2)
	v_dual_mov_b32 v3, 0 :: v_dual_bitop2_b32 v8, s20, v0 bitop3:0x54
	s_ashr_i32 s3, s2, 31
	v_cndmask_b32_e32 v2, 0, v0, vcc_lo
	s_mul_u64 s[26:27], s[22:23], s[2:3]
	v_dual_mov_b32 v1, v3 :: v_dual_ashrrev_i32 v9, 31, v8
	s_mul_u64 s[22:23], s[4:5], s[2:3]
	v_cmp_gt_i32_e64 s2, s21, v8
	v_cmp_gt_i32_e64 s1, s20, v0
	s_delay_alu instid0(VALU_DEP_3) | instskip(SKIP_4) | instid1(VALU_DEP_3)
	v_mul_u64_e32 v[6:7], s[24:25], v[0:1]
	v_mul_u64_e32 v[4:5], s[24:25], v[8:9]
	v_dual_lshrrev_b32 v8, 3, v0 :: v_dual_bitop2_b32 v9, 31, v0 bitop3:0x40
	v_cmp_gt_u32_e64 s3, 32, v0
	v_cmp_gt_u32_e64 s5, 8, v0
	v_dual_lshlrev_b32 v2, 1, v2 :: v_dual_lshlrev_b32 v1, 2, v9
	v_cmp_eq_u32_e64 s4, 0, v9
	v_and_b32_e32 v19, 28, v8
	s_ashr_i32 s21, s20, 31
	s_lshl_b64 s[24:25], s[24:25], 9
	s_wait_kmcnt 0x0
	s_lshl_b64 s[18:19], s[18:19], 1
	s_lshl_b64 s[14:15], s[14:15], 1
	s_lshl_b64 s[26:27], s[26:27], 1
	v_lshlrev_b64_e32 v[6:7], 1, v[6:7]
	s_branch .LBB609_4
.LBB609_2:                              ;   in Loop: Header=BB609_4 Depth=1
	s_wait_xcnt 0x0
	s_or_b32 exec_lo, exec_lo, s37
.LBB609_3:                              ;   in Loop: Header=BB609_4 Depth=1
	s_add_co_i32 s6, s6, 0x10000
	s_delay_alu instid0(SALU_CYCLE_1)
	s_cmp_lt_u32 s6, s28
	s_cbranch_scc0 .LBB609_65
.LBB609_4:                              ; =>This Loop Header: Depth=1
                                        ;     Child Loop BB609_33 Depth 2
	s_and_not1_b32 vcc_lo, exec_lo, s33
	s_cbranch_vccnz .LBB609_3
; %bb.5:                                ;   in Loop: Header=BB609_4 Depth=1
	s_and_not1_b32 vcc_lo, exec_lo, s31
	s_cbranch_vccnz .LBB609_7
; %bb.6:                                ;   in Loop: Header=BB609_4 Depth=1
	v_mov_b64_e32 v[10:11], 0
	s_wait_dscnt 0x0
	v_mov_b64_e32 v[12:13], 0
	s_cbranch_execz .LBB609_8
	s_branch .LBB609_9
.LBB609_7:                              ;   in Loop: Header=BB609_4 Depth=1
	v_mov_b64_e32 v[10:11], 0
	s_wait_dscnt 0x0
	v_mov_b64_e32 v[12:13], 0
.LBB609_8:                              ;   in Loop: Header=BB609_4 Depth=1
	s_lshl_b64 s[36:37], s[6:7], 3
	s_delay_alu instid0(SALU_CYCLE_1)
	s_add_nc_u64 s[36:37], s[8:9], s[36:37]
	global_load_b64 v[8:9], v3, s[36:37]
	s_wait_loadcnt 0x0
	v_add_nc_u64_e32 v[12:13], s[10:11], v[8:9]
.LBB609_9:                              ;   in Loop: Header=BB609_4 Depth=1
	v_cmp_ne_u32_e32 vcc_lo, 1, v18
	s_cbranch_vccnz .LBB609_11
; %bb.10:                               ;   in Loop: Header=BB609_4 Depth=1
	s_wait_xcnt 0x0
	s_lshl_b64 s[36:37], s[6:7], 3
	s_delay_alu instid0(SALU_CYCLE_1)
	s_add_nc_u64 s[36:37], s[16:17], s[36:37]
	global_load_b64 v[8:9], v3, s[36:37]
	s_wait_loadcnt 0x0
	v_add_nc_u64_e32 v[10:11], s[18:19], v[8:9]
.LBB609_11:                             ;   in Loop: Header=BB609_4 Depth=1
	s_wait_xcnt 0x0
	s_lshl_b64 s[36:37], s[6:7], 3
	s_and_not1_b32 vcc_lo, exec_lo, s31
	s_add_nc_u64 s[36:37], s[12:13], s[36:37]
	global_load_b64 v[8:9], v3, s[36:37]
	s_wait_loadcnt 0x0
	v_add_nc_u64_e32 v[8:9], s[14:15], v[8:9]
	s_cbranch_vccnz .LBB609_19
; %bb.12:                               ;   in Loop: Header=BB609_4 Depth=1
	s_wait_xcnt 0x0
	s_mov_b32 s37, 0
	s_mov_b32 s36, 0
                                        ; implicit-def: $vgpr14
	s_and_saveexec_b32 s38, s0
	s_cbranch_execz .LBB609_20
; %bb.13:                               ;   in Loop: Header=BB609_4 Depth=1
	s_and_not1_b32 vcc_lo, exec_lo, s34
	s_cbranch_vccnz .LBB609_21
; %bb.14:                               ;   in Loop: Header=BB609_4 Depth=1
	v_add_nc_u64_e32 v[14:15], s[26:27], v[8:9]
	flat_load_u16 v14, v[14:15]
	s_wait_loadcnt_dscnt 0x0
	s_wait_xcnt 0x0
	v_lshlrev_b32_e32 v14, 16, v14
	s_delay_alu instid0(VALU_DEP_1) | instskip(NEXT) | instid1(VALU_DEP_1)
	v_mul_f32_e32 v14, s30, v14
	v_and_b32_e32 v15, 0x7f800000, v14
	s_delay_alu instid0(VALU_DEP_1) | instskip(SKIP_1) | instid1(SALU_CYCLE_1)
	v_cmp_ne_u32_e32 vcc_lo, 0x7f800000, v15
                                        ; implicit-def: $vgpr15
	s_and_saveexec_b32 s36, vcc_lo
	s_xor_b32 s36, exec_lo, s36
; %bb.15:                               ;   in Loop: Header=BB609_4 Depth=1
	v_bfe_u32 v15, v14, 16, 1
	s_delay_alu instid0(VALU_DEP_1)
	v_add3_u32 v15, v14, v15, 0x7fff
                                        ; implicit-def: $vgpr14
; %bb.16:                               ;   in Loop: Header=BB609_4 Depth=1
	s_and_not1_saveexec_b32 s36, s36
; %bb.17:                               ;   in Loop: Header=BB609_4 Depth=1
	v_and_b32_e32 v15, 0xffff, v14
	v_or_b32_e32 v16, 0x10000, v14
	s_delay_alu instid0(VALU_DEP_2) | instskip(NEXT) | instid1(VALU_DEP_2)
	v_cmp_eq_u32_e32 vcc_lo, 0, v15
	v_cndmask_b32_e32 v15, v16, v14, vcc_lo
; %bb.18:                               ;   in Loop: Header=BB609_4 Depth=1
	s_or_b32 exec_lo, exec_lo, s36
	s_delay_alu instid0(VALU_DEP_1) | instskip(SKIP_2) | instid1(SALU_CYCLE_1)
	v_lshrrev_b32_e32 v14, 16, v15
	s_mov_b32 s36, exec_lo
	s_or_b32 exec_lo, exec_lo, s38
	s_and_b32 vcc_lo, exec_lo, s37
	s_cbranch_vccnz .LBB609_22
	s_branch .LBB609_57
.LBB609_19:                             ;   in Loop: Header=BB609_4 Depth=1
	s_wait_xcnt 0x0
	s_mov_b32 s36, 0
                                        ; implicit-def: $vgpr14
	s_cbranch_execnz .LBB609_22
	s_branch .LBB609_57
.LBB609_20:                             ;   in Loop: Header=BB609_4 Depth=1
	s_or_b32 exec_lo, exec_lo, s38
	s_delay_alu instid0(SALU_CYCLE_1)
	s_and_b32 vcc_lo, exec_lo, s37
	s_cbranch_vccnz .LBB609_22
	s_branch .LBB609_57
.LBB609_21:                             ;   in Loop: Header=BB609_4 Depth=1
	v_mov_b32_e32 v14, 0
	s_mov_b32 s36, exec_lo
	s_or_b32 exec_lo, exec_lo, s38
	s_delay_alu instid0(SALU_CYCLE_1)
	s_and_b32 vcc_lo, exec_lo, s37
	s_cbranch_vccz .LBB609_57
.LBB609_22:                             ;   in Loop: Header=BB609_4 Depth=1
	v_add_nc_u64_e32 v[12:13], v[12:13], v[2:3]
	v_mov_b32_e32 v22, 0
	s_delay_alu instid0(VALU_DEP_2)
	v_lshl_add_u64 v[12:13], s[22:23], 1, v[12:13]
	s_and_saveexec_b32 s37, s1
	s_cbranch_execnz .LBB609_31
; %bb.23:                               ;   in Loop: Header=BB609_4 Depth=1
	s_or_b32 exec_lo, exec_lo, s37
	s_and_saveexec_b32 s37, s2
	s_cbranch_execnz .LBB609_60
.LBB609_24:                             ;   in Loop: Header=BB609_4 Depth=1
	s_or_b32 exec_lo, exec_lo, s37
	s_and_saveexec_b32 s37, s3
.LBB609_25:                             ;   in Loop: Header=BB609_4 Depth=1
	ds_store_b32 v1, v3
.LBB609_26:                             ;   in Loop: Header=BB609_4 Depth=1
	s_or_b32 exec_lo, exec_lo, s37
	ds_bpermute_b32 v10, v21, v22
	v_cmp_gt_u32_e32 vcc_lo, 24, v20
	s_wait_dscnt 0x0
	s_barrier_signal -1
	s_barrier_wait -1
	v_cndmask_b32_e64 v11, 0, 8, vcc_lo
	v_cmp_gt_u32_e32 vcc_lo, 28, v20
	s_delay_alu instid0(VALU_DEP_2)
	v_add_lshl_u32 v11, v11, v20, 2
	v_add_f32_e32 v12, v22, v10
	v_cndmask_b32_e64 v10, 0, 4, vcc_lo
	v_cmp_gt_u32_e32 vcc_lo, 30, v20
	ds_bpermute_b32 v11, v11, v12
	v_add_lshl_u32 v10, v10, v20, 2
	s_wait_dscnt 0x0
	v_add_f32_e32 v12, v12, v11
	v_cndmask_b32_e64 v11, 0, 2, vcc_lo
	v_cmp_ne_u32_e32 vcc_lo, 31, v20
	ds_bpermute_b32 v13, v10, v12
	v_add_lshl_u32 v11, v11, v20, 2
	v_add_co_ci_u32_e64 v14, null, 0, v20, vcc_lo
	s_wait_dscnt 0x0
	v_add_f32_e32 v12, v12, v13
	ds_bpermute_b32 v13, v11, v12
	s_wait_dscnt 0x0
	v_dual_add_f32 v13, v12, v13 :: v_dual_lshlrev_b32 v12, 2, v14
	ds_bpermute_b32 v14, v12, v13
	s_and_saveexec_b32 s37, s4
	s_cbranch_execz .LBB609_28
; %bb.27:                               ;   in Loop: Header=BB609_4 Depth=1
	s_wait_dscnt 0x0
	v_add_f32_e32 v13, v13, v14
	ds_store_b32 v19, v13
.LBB609_28:                             ;   in Loop: Header=BB609_4 Depth=1
	s_or_b32 exec_lo, exec_lo, s37
	v_mov_b32_e32 v13, 0
	s_wait_dscnt 0x0
	s_barrier_signal -1
	s_barrier_wait -1
	s_and_saveexec_b32 s37, s5
	s_cbranch_execnz .LBB609_37
; %bb.29:                               ;   in Loop: Header=BB609_4 Depth=1
	s_or_b32 exec_lo, exec_lo, s37
	s_and_saveexec_b32 s37, s3
	s_cbranch_execnz .LBB609_38
.LBB609_30:                             ;   in Loop: Header=BB609_4 Depth=1
	s_or_b32 exec_lo, exec_lo, s37
                                        ; implicit-def: $vgpr14
	s_and_saveexec_b32 s37, s0
	s_cbranch_execnz .LBB609_39
	s_branch .LBB609_56
.LBB609_31:                             ;   in Loop: Header=BB609_4 Depth=1
	v_add_nc_u64_e32 v[14:15], v[10:11], v[6:7]
	s_delay_alu instid0(VALU_DEP_2)
	v_mov_b64_e32 v[16:17], v[12:13]
	v_dual_mov_b32 v22, 0 :: v_dual_mov_b32 v23, v0
	s_mov_b32 s38, 0
	s_branch .LBB609_33
.LBB609_32:                             ;   in Loop: Header=BB609_33 Depth=2
	s_or_b32 exec_lo, exec_lo, s39
	s_delay_alu instid0(VALU_DEP_1) | instskip(SKIP_3) | instid1(VALU_DEP_4)
	v_and_b32_e32 v24, 0xffff0000, v25
	v_add_nc_u32_e32 v23, 0x100, v23
	v_add_nc_u64_e32 v[16:17], 0x200, v[16:17]
	v_add_nc_u64_e32 v[14:15], s[24:25], v[14:15]
	v_add_f32_e32 v22, v22, v24
	s_delay_alu instid0(VALU_DEP_4) | instskip(SKIP_1) | instid1(SALU_CYCLE_1)
	v_cmp_le_i32_e32 vcc_lo, s20, v23
	s_or_b32 s38, vcc_lo, s38
	s_and_not1_b32 exec_lo, exec_lo, s38
	s_cbranch_execz .LBB609_59
.LBB609_33:                             ;   Parent Loop BB609_4 Depth=1
                                        ; =>  This Inner Loop Header: Depth=2
	flat_load_u16 v24, v[16:17]
	flat_load_u16 v25, v[14:15]
	s_wait_loadcnt_dscnt 0x0
	v_dual_lshlrev_b32 v24, 16, v24 :: v_dual_lshlrev_b32 v25, 16, v25
	s_delay_alu instid0(VALU_DEP_1) | instskip(NEXT) | instid1(VALU_DEP_1)
	v_mul_f32_e32 v24, v25, v24
	v_and_b32_e32 v25, 0x7f800000, v24
	s_delay_alu instid0(VALU_DEP_1) | instskip(SKIP_2) | instid1(SALU_CYCLE_1)
	v_cmp_ne_u32_e32 vcc_lo, 0x7f800000, v25
                                        ; implicit-def: $vgpr25
	s_wait_xcnt 0x0
	s_and_saveexec_b32 s39, vcc_lo
	s_xor_b32 s39, exec_lo, s39
; %bb.34:                               ;   in Loop: Header=BB609_33 Depth=2
	v_bfe_u32 v25, v24, 16, 1
	s_delay_alu instid0(VALU_DEP_1)
	v_add3_u32 v25, v24, v25, 0x7fff
                                        ; implicit-def: $vgpr24
; %bb.35:                               ;   in Loop: Header=BB609_33 Depth=2
	s_and_not1_saveexec_b32 s39, s39
	s_cbranch_execz .LBB609_32
; %bb.36:                               ;   in Loop: Header=BB609_33 Depth=2
	v_and_b32_e32 v25, 0xffff, v24
	v_or_b32_e32 v26, 0x10000, v24
	s_delay_alu instid0(VALU_DEP_2) | instskip(NEXT) | instid1(VALU_DEP_2)
	v_cmp_eq_u32_e32 vcc_lo, 0, v25
	v_cndmask_b32_e32 v25, v26, v24, vcc_lo
	s_branch .LBB609_32
.LBB609_37:                             ;   in Loop: Header=BB609_4 Depth=1
	ds_load_b32 v13, v1
	s_or_b32 exec_lo, exec_lo, s37
	s_and_saveexec_b32 s37, s3
	s_cbranch_execz .LBB609_30
.LBB609_38:                             ;   in Loop: Header=BB609_4 Depth=1
	s_wait_dscnt 0x0
	ds_bpermute_b32 v10, v10, v13
	s_wait_dscnt 0x0
	v_add_f32_e32 v10, v13, v10
	ds_bpermute_b32 v11, v11, v10
	s_wait_dscnt 0x0
	v_add_f32_e32 v10, v10, v11
	;; [unrolled: 3-line block ×3, first 2 shown]
	s_or_b32 exec_lo, exec_lo, s37
                                        ; implicit-def: $vgpr14
	s_and_saveexec_b32 s37, s0
	s_cbranch_execz .LBB609_56
.LBB609_39:                             ;   in Loop: Header=BB609_4 Depth=1
	s_wait_dscnt 0x0
	v_mul_f32_e32 v10, s29, v13
	s_and_b32 vcc_lo, exec_lo, s35
	s_mov_b32 s38, -1
                                        ; implicit-def: $vgpr11
	s_cbranch_vccz .LBB609_45
; %bb.40:                               ;   in Loop: Header=BB609_4 Depth=1
	s_delay_alu instid0(VALU_DEP_1) | instskip(NEXT) | instid1(VALU_DEP_1)
	v_and_b32_e32 v11, 0x7f800000, v10
	v_cmp_ne_u32_e32 vcc_lo, 0x7f800000, v11
                                        ; implicit-def: $vgpr11
	s_and_saveexec_b32 s38, vcc_lo
	s_delay_alu instid0(SALU_CYCLE_1)
	s_xor_b32 s38, exec_lo, s38
; %bb.41:                               ;   in Loop: Header=BB609_4 Depth=1
	v_bfe_u32 v11, v10, 16, 1
	s_delay_alu instid0(VALU_DEP_1)
	v_add3_u32 v11, v10, v11, 0x7fff
; %bb.42:                               ;   in Loop: Header=BB609_4 Depth=1
	s_and_not1_saveexec_b32 s38, s38
; %bb.43:                               ;   in Loop: Header=BB609_4 Depth=1
	v_and_b32_e32 v11, 0xffff, v10
	v_or_b32_e32 v12, 0x10000, v10
	s_delay_alu instid0(VALU_DEP_2) | instskip(NEXT) | instid1(VALU_DEP_2)
	v_cmp_eq_u32_e32 vcc_lo, 0, v11
	v_cndmask_b32_e32 v11, v12, v10, vcc_lo
; %bb.44:                               ;   in Loop: Header=BB609_4 Depth=1
	s_or_b32 exec_lo, exec_lo, s38
	s_mov_b32 s38, 0
.LBB609_45:                             ;   in Loop: Header=BB609_4 Depth=1
	s_delay_alu instid0(SALU_CYCLE_1)
	s_and_not1_b32 vcc_lo, exec_lo, s38
	s_cbranch_vccnz .LBB609_55
; %bb.46:                               ;   in Loop: Header=BB609_4 Depth=1
	v_add_nc_u64_e32 v[12:13], s[26:27], v[8:9]
	flat_load_u16 v11, v[12:13]
	s_wait_loadcnt_dscnt 0x0
	v_lshlrev_b32_e32 v11, 16, v11
	s_delay_alu instid0(VALU_DEP_1) | instskip(SKIP_1) | instid1(VALU_DEP_1)
	v_mul_f32_e32 v11, s30, v11
	s_wait_xcnt 0x0
	v_and_b32_e32 v12, 0x7f800000, v11
	s_delay_alu instid0(VALU_DEP_1) | instskip(SKIP_1) | instid1(SALU_CYCLE_1)
	v_cmp_ne_u32_e32 vcc_lo, 0x7f800000, v12
                                        ; implicit-def: $vgpr12
	s_and_saveexec_b32 s38, vcc_lo
	s_xor_b32 s38, exec_lo, s38
; %bb.47:                               ;   in Loop: Header=BB609_4 Depth=1
	v_bfe_u32 v12, v11, 16, 1
	s_delay_alu instid0(VALU_DEP_1)
	v_add3_u32 v12, v11, v12, 0x7fff
                                        ; implicit-def: $vgpr11
; %bb.48:                               ;   in Loop: Header=BB609_4 Depth=1
	s_and_not1_saveexec_b32 s38, s38
; %bb.49:                               ;   in Loop: Header=BB609_4 Depth=1
	v_and_b32_e32 v12, 0xffff, v11
	v_or_b32_e32 v13, 0x10000, v11
	s_delay_alu instid0(VALU_DEP_2) | instskip(NEXT) | instid1(VALU_DEP_2)
	v_cmp_eq_u32_e32 vcc_lo, 0, v12
	v_cndmask_b32_e32 v12, v13, v11, vcc_lo
; %bb.50:                               ;   in Loop: Header=BB609_4 Depth=1
	s_or_b32 exec_lo, exec_lo, s38
	s_delay_alu instid0(VALU_DEP_1) | instskip(NEXT) | instid1(VALU_DEP_1)
	v_and_b32_e32 v11, 0xffff0000, v12
	v_add_f32_e32 v10, v10, v11
	s_delay_alu instid0(VALU_DEP_1) | instskip(NEXT) | instid1(VALU_DEP_1)
	v_and_b32_e32 v11, 0x7f800000, v10
	v_cmp_ne_u32_e32 vcc_lo, 0x7f800000, v11
                                        ; implicit-def: $vgpr11
	s_and_saveexec_b32 s38, vcc_lo
	s_delay_alu instid0(SALU_CYCLE_1)
	s_xor_b32 s38, exec_lo, s38
; %bb.51:                               ;   in Loop: Header=BB609_4 Depth=1
	v_bfe_u32 v11, v10, 16, 1
	s_delay_alu instid0(VALU_DEP_1)
	v_add3_u32 v11, v10, v11, 0x7fff
                                        ; implicit-def: $vgpr10
; %bb.52:                               ;   in Loop: Header=BB609_4 Depth=1
	s_and_not1_saveexec_b32 s38, s38
; %bb.53:                               ;   in Loop: Header=BB609_4 Depth=1
	v_and_b32_e32 v11, 0xffff, v10
	v_or_b32_e32 v12, 0x10000, v10
	s_delay_alu instid0(VALU_DEP_2) | instskip(NEXT) | instid1(VALU_DEP_2)
	v_cmp_eq_u32_e32 vcc_lo, 0, v11
	v_cndmask_b32_e32 v11, v12, v10, vcc_lo
; %bb.54:                               ;   in Loop: Header=BB609_4 Depth=1
	s_or_b32 exec_lo, exec_lo, s38
.LBB609_55:                             ;   in Loop: Header=BB609_4 Depth=1
	s_delay_alu instid0(VALU_DEP_1)
	v_lshrrev_b32_e32 v14, 16, v11
	s_or_b32 s36, s36, exec_lo
.LBB609_56:                             ;   in Loop: Header=BB609_4 Depth=1
	s_or_b32 exec_lo, exec_lo, s37
.LBB609_57:                             ;   in Loop: Header=BB609_4 Depth=1
	s_and_saveexec_b32 s37, s36
	s_cbranch_execz .LBB609_2
; %bb.58:                               ;   in Loop: Header=BB609_4 Depth=1
	v_add_nc_u64_e32 v[8:9], s[26:27], v[8:9]
	flat_store_b16 v[8:9], v14
	s_branch .LBB609_2
.LBB609_59:                             ;   in Loop: Header=BB609_4 Depth=1
	s_or_b32 exec_lo, exec_lo, s38
	s_delay_alu instid0(SALU_CYCLE_1)
	s_or_b32 exec_lo, exec_lo, s37
	s_and_saveexec_b32 s37, s2
	s_cbranch_execz .LBB609_24
.LBB609_60:                             ;   in Loop: Header=BB609_4 Depth=1
	v_lshl_add_u64 v[12:13], s[20:21], 1, v[12:13]
	v_lshl_add_u64 v[10:11], v[4:5], 1, v[10:11]
	flat_load_u16 v14, v[12:13]
	flat_load_u16 v15, v[10:11]
	s_wait_loadcnt_dscnt 0x0
	s_wait_xcnt 0x0
	v_dual_lshlrev_b32 v10, 16, v14 :: v_dual_lshlrev_b32 v11, 16, v15
	s_delay_alu instid0(VALU_DEP_1) | instskip(NEXT) | instid1(VALU_DEP_1)
	v_mul_f32_e32 v10, v11, v10
	v_and_b32_e32 v11, 0x7f800000, v10
	s_delay_alu instid0(VALU_DEP_1) | instskip(SKIP_1) | instid1(SALU_CYCLE_1)
	v_cmp_ne_u32_e32 vcc_lo, 0x7f800000, v11
                                        ; implicit-def: $vgpr11
	s_and_saveexec_b32 s38, vcc_lo
	s_xor_b32 s38, exec_lo, s38
; %bb.61:                               ;   in Loop: Header=BB609_4 Depth=1
	v_bfe_u32 v11, v10, 16, 1
	s_delay_alu instid0(VALU_DEP_1)
	v_add3_u32 v11, v10, v11, 0x7fff
                                        ; implicit-def: $vgpr10
; %bb.62:                               ;   in Loop: Header=BB609_4 Depth=1
	s_and_not1_saveexec_b32 s38, s38
; %bb.63:                               ;   in Loop: Header=BB609_4 Depth=1
	v_and_b32_e32 v11, 0xffff, v10
	v_or_b32_e32 v12, 0x10000, v10
	s_delay_alu instid0(VALU_DEP_2) | instskip(NEXT) | instid1(VALU_DEP_2)
	v_cmp_eq_u32_e32 vcc_lo, 0, v11
	v_cndmask_b32_e32 v11, v12, v10, vcc_lo
; %bb.64:                               ;   in Loop: Header=BB609_4 Depth=1
	s_or_b32 exec_lo, exec_lo, s38
	s_delay_alu instid0(VALU_DEP_1) | instskip(NEXT) | instid1(VALU_DEP_1)
	v_and_b32_e32 v10, 0xffff0000, v11
	v_add_f32_e32 v22, v22, v10
	s_or_b32 exec_lo, exec_lo, s37
	s_and_saveexec_b32 s37, s3
	s_cbranch_execnz .LBB609_25
	s_branch .LBB609_26
.LBB609_65:
	s_endpgm
	.section	.rodata,"a",@progbits
	.p2align	6, 0x0
	.amdhsa_kernel _ZL32rocblas_gemvt_warp_reduce_kernelILb0ELi256ElPK16rocblas_bfloat16fKPS0_EviiT3_lPKT2_lT1_lS8_lS9_lS5_lPT4_lS9_li
		.amdhsa_group_segment_fixed_size 128
		.amdhsa_private_segment_fixed_size 0
		.amdhsa_kernarg_size 140
		.amdhsa_user_sgpr_count 2
		.amdhsa_user_sgpr_dispatch_ptr 0
		.amdhsa_user_sgpr_queue_ptr 0
		.amdhsa_user_sgpr_kernarg_segment_ptr 1
		.amdhsa_user_sgpr_dispatch_id 0
		.amdhsa_user_sgpr_kernarg_preload_length 0
		.amdhsa_user_sgpr_kernarg_preload_offset 0
		.amdhsa_user_sgpr_private_segment_size 0
		.amdhsa_wavefront_size32 1
		.amdhsa_uses_dynamic_stack 0
		.amdhsa_enable_private_segment 0
		.amdhsa_system_sgpr_workgroup_id_x 1
		.amdhsa_system_sgpr_workgroup_id_y 0
		.amdhsa_system_sgpr_workgroup_id_z 1
		.amdhsa_system_sgpr_workgroup_info 0
		.amdhsa_system_vgpr_workitem_id 0
		.amdhsa_next_free_vgpr 27
		.amdhsa_next_free_sgpr 40
		.amdhsa_named_barrier_count 0
		.amdhsa_reserve_vcc 1
		.amdhsa_float_round_mode_32 0
		.amdhsa_float_round_mode_16_64 0
		.amdhsa_float_denorm_mode_32 3
		.amdhsa_float_denorm_mode_16_64 3
		.amdhsa_fp16_overflow 0
		.amdhsa_memory_ordered 1
		.amdhsa_forward_progress 1
		.amdhsa_inst_pref_size 17
		.amdhsa_round_robin_scheduling 0
		.amdhsa_exception_fp_ieee_invalid_op 0
		.amdhsa_exception_fp_denorm_src 0
		.amdhsa_exception_fp_ieee_div_zero 0
		.amdhsa_exception_fp_ieee_overflow 0
		.amdhsa_exception_fp_ieee_underflow 0
		.amdhsa_exception_fp_ieee_inexact 0
		.amdhsa_exception_int_div_zero 0
	.end_amdhsa_kernel
	.section	.text._ZL32rocblas_gemvt_warp_reduce_kernelILb0ELi256ElPK16rocblas_bfloat16fKPS0_EviiT3_lPKT2_lT1_lS8_lS9_lS5_lPT4_lS9_li,"axG",@progbits,_ZL32rocblas_gemvt_warp_reduce_kernelILb0ELi256ElPK16rocblas_bfloat16fKPS0_EviiT3_lPKT2_lT1_lS8_lS9_lS5_lPT4_lS9_li,comdat
.Lfunc_end609:
	.size	_ZL32rocblas_gemvt_warp_reduce_kernelILb0ELi256ElPK16rocblas_bfloat16fKPS0_EviiT3_lPKT2_lT1_lS8_lS9_lS5_lPT4_lS9_li, .Lfunc_end609-_ZL32rocblas_gemvt_warp_reduce_kernelILb0ELi256ElPK16rocblas_bfloat16fKPS0_EviiT3_lPKT2_lT1_lS8_lS9_lS5_lPT4_lS9_li
                                        ; -- End function
	.set _ZL32rocblas_gemvt_warp_reduce_kernelILb0ELi256ElPK16rocblas_bfloat16fKPS0_EviiT3_lPKT2_lT1_lS8_lS9_lS5_lPT4_lS9_li.num_vgpr, 27
	.set _ZL32rocblas_gemvt_warp_reduce_kernelILb0ELi256ElPK16rocblas_bfloat16fKPS0_EviiT3_lPKT2_lT1_lS8_lS9_lS5_lPT4_lS9_li.num_agpr, 0
	.set _ZL32rocblas_gemvt_warp_reduce_kernelILb0ELi256ElPK16rocblas_bfloat16fKPS0_EviiT3_lPKT2_lT1_lS8_lS9_lS5_lPT4_lS9_li.numbered_sgpr, 40
	.set _ZL32rocblas_gemvt_warp_reduce_kernelILb0ELi256ElPK16rocblas_bfloat16fKPS0_EviiT3_lPKT2_lT1_lS8_lS9_lS5_lPT4_lS9_li.num_named_barrier, 0
	.set _ZL32rocblas_gemvt_warp_reduce_kernelILb0ELi256ElPK16rocblas_bfloat16fKPS0_EviiT3_lPKT2_lT1_lS8_lS9_lS5_lPT4_lS9_li.private_seg_size, 0
	.set _ZL32rocblas_gemvt_warp_reduce_kernelILb0ELi256ElPK16rocblas_bfloat16fKPS0_EviiT3_lPKT2_lT1_lS8_lS9_lS5_lPT4_lS9_li.uses_vcc, 1
	.set _ZL32rocblas_gemvt_warp_reduce_kernelILb0ELi256ElPK16rocblas_bfloat16fKPS0_EviiT3_lPKT2_lT1_lS8_lS9_lS5_lPT4_lS9_li.uses_flat_scratch, 0
	.set _ZL32rocblas_gemvt_warp_reduce_kernelILb0ELi256ElPK16rocblas_bfloat16fKPS0_EviiT3_lPKT2_lT1_lS8_lS9_lS5_lPT4_lS9_li.has_dyn_sized_stack, 0
	.set _ZL32rocblas_gemvt_warp_reduce_kernelILb0ELi256ElPK16rocblas_bfloat16fKPS0_EviiT3_lPKT2_lT1_lS8_lS9_lS5_lPT4_lS9_li.has_recursion, 0
	.set _ZL32rocblas_gemvt_warp_reduce_kernelILb0ELi256ElPK16rocblas_bfloat16fKPS0_EviiT3_lPKT2_lT1_lS8_lS9_lS5_lPT4_lS9_li.has_indirect_call, 0
	.section	.AMDGPU.csdata,"",@progbits
; Kernel info:
; codeLenInByte = 2120
; TotalNumSgprs: 42
; NumVgprs: 27
; ScratchSize: 0
; MemoryBound: 0
; FloatMode: 240
; IeeeMode: 1
; LDSByteSize: 128 bytes/workgroup (compile time only)
; SGPRBlocks: 0
; VGPRBlocks: 1
; NumSGPRsForWavesPerEU: 42
; NumVGPRsForWavesPerEU: 27
; NamedBarCnt: 0
; Occupancy: 16
; WaveLimiterHint : 1
; COMPUTE_PGM_RSRC2:SCRATCH_EN: 0
; COMPUTE_PGM_RSRC2:USER_SGPR: 2
; COMPUTE_PGM_RSRC2:TRAP_HANDLER: 0
; COMPUTE_PGM_RSRC2:TGID_X_EN: 1
; COMPUTE_PGM_RSRC2:TGID_Y_EN: 0
; COMPUTE_PGM_RSRC2:TGID_Z_EN: 1
; COMPUTE_PGM_RSRC2:TIDIG_COMP_CNT: 0
	.section	.text._ZL20rocblas_gemvt_kernelILb0ELi256EPK16rocblas_bfloat16PKfKPS0_EviiT2_lPKT1_lilSA_lilS7_lPT3_lili,"axG",@progbits,_ZL20rocblas_gemvt_kernelILb0ELi256EPK16rocblas_bfloat16PKfKPS0_EviiT2_lPKT1_lilSA_lilS7_lPT3_lili,comdat
	.globl	_ZL20rocblas_gemvt_kernelILb0ELi256EPK16rocblas_bfloat16PKfKPS0_EviiT2_lPKT1_lilSA_lilS7_lPT3_lili ; -- Begin function _ZL20rocblas_gemvt_kernelILb0ELi256EPK16rocblas_bfloat16PKfKPS0_EviiT2_lPKT1_lilSA_lilS7_lPT3_lili
	.p2align	8
	.type	_ZL20rocblas_gemvt_kernelILb0ELi256EPK16rocblas_bfloat16PKfKPS0_EviiT2_lPKT1_lilSA_lilS7_lPT3_lili,@function
_ZL20rocblas_gemvt_kernelILb0ELi256EPK16rocblas_bfloat16PKfKPS0_EviiT2_lPKT1_lilSA_lilS7_lPT3_lili: ; @_ZL20rocblas_gemvt_kernelILb0ELi256EPK16rocblas_bfloat16PKfKPS0_EviiT2_lPKT1_lilSA_lilS7_lPT3_lili
; %bb.0:
	s_load_b32 s33, s[0:1], 0x88
	s_bfe_u32 s2, ttmp6, 0x40014
	s_lshr_b32 s3, ttmp7, 16
	s_add_co_i32 s2, s2, 1
	s_bfe_u32 s5, ttmp6, 0x40008
	s_mul_i32 s4, s3, s2
	s_getreg_b32 s2, hwreg(HW_REG_IB_STS2, 6, 4)
	s_add_co_i32 s5, s5, s4
	s_cmp_eq_u32 s2, 0
	s_mov_b32 s11, 0
	s_cselect_b32 s10, s3, s5
	s_wait_kmcnt 0x0
	s_cmp_ge_u32 s10, s33
	s_cbranch_scc1 .LBB610_70
; %bb.1:
	s_clause 0x3
	s_load_b32 s4, s[0:1], 0x28
	s_load_b32 s38, s[0:1], 0x48
	;; [unrolled: 1-line block ×4, first 2 shown]
	s_bfe_u32 s3, ttmp6, 0x4000c
	s_and_b32 s5, ttmp6, 15
	s_add_co_i32 s3, s3, 1
	s_load_b128 s[28:31], s[0:1], 0x38
	s_mul_i32 s3, ttmp9, s3
	s_clause 0x1
	s_load_b256 s[12:19], s[0:1], 0x8
	s_load_b256 s[20:27], s[0:1], 0x58
	s_add_co_i32 s3, s5, s3
	s_wait_xcnt 0x0
	v_cmp_eq_u32_e64 s0, 0, v0
	v_lshlrev_b32_e32 v16, 2, v0
	s_wait_kmcnt 0x0
	s_ashr_i32 s5, s4, 31
	s_ashr_i32 s39, s38, 31
	s_ashr_i32 s7, s6, 31
	s_cmp_eq_u32 s2, 0
	v_cmp_gt_i32_e32 vcc_lo, s8, v0
	s_cselect_b32 s2, ttmp9, s3
	s_ashr_i32 s3, s8, 31
	s_delay_alu instid0(SALU_CYCLE_1) | instskip(SKIP_2) | instid1(SALU_CYCLE_1)
	s_lshr_b32 s3, s3, 24
	v_cndmask_b32_e32 v8, 0, v0, vcc_lo
	s_add_co_i32 s3, s8, s3
	s_and_b32 s34, s3, 0xffffff00
	s_delay_alu instid0(SALU_CYCLE_1) | instskip(SKIP_3) | instid1(VALU_DEP_1)
	v_dual_mov_b32 v1, 0 :: v_dual_bitop2_b32 v4, s34, v0 bitop3:0x54
	s_ashr_i32 s3, s2, 31
	s_cmp_gt_i32 s8, 0xff
	s_mul_u64 s[40:41], s[6:7], s[2:3]
	v_mul_u64_e32 v[6:7], s[38:39], v[0:1]
	v_ashrrev_i32_e32 v5, 31, v4
	v_cmp_gt_i32_e64 s1, s8, v4
	s_mul_u64 s[36:37], s[4:5], s[2:3]
	v_cmp_gt_u32_e64 s2, 0x80, v0
	v_cmp_gt_u32_e64 s3, 64, v0
	v_mul_u64_e32 v[2:3], s[38:39], v[4:5]
	v_cmp_gt_u32_e64 s4, 32, v0
	v_cmp_gt_u32_e64 s5, 16, v0
	;; [unrolled: 1-line block ×5, first 2 shown]
	v_lshlrev_b32_e32 v0, 1, v8
	s_cselect_b32 s42, -1, 0
	s_ashr_i32 s35, s34, 31
	s_lshl_b64 s[38:39], s[38:39], 9
	s_lshl_b64 s[18:19], s[18:19], 1
	;; [unrolled: 1-line block ×5, first 2 shown]
	v_lshlrev_b64_e32 v[4:5], 1, v[6:7]
	s_branch .LBB610_4
.LBB610_2:                              ;   in Loop: Header=BB610_4 Depth=1
	s_wait_xcnt 0x0
	s_or_b32 exec_lo, exec_lo, s9
.LBB610_3:                              ;   in Loop: Header=BB610_4 Depth=1
	s_add_co_i32 s10, s10, 0x10000
	s_delay_alu instid0(SALU_CYCLE_1)
	s_cmp_lt_u32 s10, s33
	s_cbranch_scc0 .LBB610_70
.LBB610_4:                              ; =>This Loop Header: Depth=1
                                        ;     Child Loop BB610_23 Depth 2
	s_mul_u64 s[44:45], s[14:15], s[10:11]
	s_wait_xcnt 0x0
	s_mul_u64 s[46:47], s[22:23], s[10:11]
	s_lshl_b64 s[44:45], s[44:45], 2
	s_lshl_b64 s[46:47], s[46:47], 2
	s_add_nc_u64 s[44:45], s[12:13], s[44:45]
	s_add_nc_u64 s[46:47], s[20:21], s[46:47]
	s_clause 0x1
	global_load_b32 v6, v1, s[44:45]
	global_load_b32 v7, v1, s[46:47]
	s_wait_loadcnt 0x1
	v_cmp_eq_f32_e32 vcc_lo, 0, v6
	s_wait_loadcnt 0x0
	v_cmp_eq_f32_e64 s9, 1.0, v7
	s_wait_xcnt 0x1
	v_readfirstlane_b32 s44, v6
	s_and_b32 s43, vcc_lo, s9
	v_readfirstlane_b32 s9, v7
	s_and_b32 vcc_lo, exec_lo, s43
	s_cbranch_vccnz .LBB610_3
; %bb.5:                                ;   in Loop: Header=BB610_4 Depth=1
	s_cmp_neq_f32 s44, 0
	v_mov_b64_e32 v[8:9], 0
	v_mov_b64_e32 v[10:11], 0
	s_cselect_b32 s45, -1, 0
	s_cmp_eq_f32 s44, 0
	s_cselect_b32 s43, -1, 0
	s_delay_alu instid0(SALU_CYCLE_1)
	s_and_b32 vcc_lo, exec_lo, s43
	s_cbranch_vccnz .LBB610_7
; %bb.6:                                ;   in Loop: Header=BB610_4 Depth=1
	s_wait_xcnt 0x0
	s_lshl_b64 s[46:47], s[10:11], 3
	s_delay_alu instid0(SALU_CYCLE_1)
	s_add_nc_u64 s[46:47], s[16:17], s[46:47]
	global_load_b64 v[6:7], v1, s[46:47]
	s_wait_loadcnt 0x0
	v_add_nc_u64_e32 v[10:11], s[18:19], v[6:7]
.LBB610_7:                              ;   in Loop: Header=BB610_4 Depth=1
	s_and_not1_b32 vcc_lo, exec_lo, s45
	s_cbranch_vccnz .LBB610_9
; %bb.8:                                ;   in Loop: Header=BB610_4 Depth=1
	s_wait_xcnt 0x0
	s_lshl_b64 s[46:47], s[10:11], 3
	s_delay_alu instid0(SALU_CYCLE_1)
	s_add_nc_u64 s[46:47], s[28:29], s[46:47]
	global_load_b64 v[6:7], v1, s[46:47]
	s_wait_loadcnt 0x0
	v_add_nc_u64_e32 v[8:9], s[30:31], v[6:7]
.LBB610_9:                              ;   in Loop: Header=BB610_4 Depth=1
	s_wait_xcnt 0x0
	s_lshl_b64 s[46:47], s[10:11], 3
	s_and_not1_b32 vcc_lo, exec_lo, s43
	s_add_nc_u64 s[46:47], s[24:25], s[46:47]
	global_load_b64 v[6:7], v1, s[46:47]
	s_wait_loadcnt 0x0
	v_add_nc_u64_e32 v[6:7], s[26:27], v[6:7]
	s_cbranch_vccnz .LBB610_17
; %bb.10:                               ;   in Loop: Header=BB610_4 Depth=1
	s_mov_b32 s45, 0
	s_mov_b32 s43, 0
                                        ; implicit-def: $vgpr12
	s_wait_xcnt 0x0
	s_and_saveexec_b32 s46, s0
	s_cbranch_execz .LBB610_18
; %bb.11:                               ;   in Loop: Header=BB610_4 Depth=1
	s_cmp_eq_f32 s9, 0
	s_cbranch_scc1 .LBB610_19
; %bb.12:                               ;   in Loop: Header=BB610_4 Depth=1
	v_add_nc_u64_e32 v[12:13], s[40:41], v[6:7]
	flat_load_u16 v12, v[12:13]
	s_wait_loadcnt_dscnt 0x0
	s_wait_xcnt 0x0
	v_lshlrev_b32_e32 v12, 16, v12
	s_delay_alu instid0(VALU_DEP_1) | instskip(NEXT) | instid1(VALU_DEP_1)
	v_mul_f32_e32 v12, s9, v12
	v_and_b32_e32 v13, 0x7f800000, v12
	s_delay_alu instid0(VALU_DEP_1) | instskip(SKIP_1) | instid1(SALU_CYCLE_1)
	v_cmp_ne_u32_e32 vcc_lo, 0x7f800000, v13
                                        ; implicit-def: $vgpr13
	s_and_saveexec_b32 s43, vcc_lo
	s_xor_b32 s43, exec_lo, s43
; %bb.13:                               ;   in Loop: Header=BB610_4 Depth=1
	v_bfe_u32 v13, v12, 16, 1
	s_delay_alu instid0(VALU_DEP_1)
	v_add3_u32 v13, v12, v13, 0x7fff
                                        ; implicit-def: $vgpr12
; %bb.14:                               ;   in Loop: Header=BB610_4 Depth=1
	s_and_not1_saveexec_b32 s43, s43
; %bb.15:                               ;   in Loop: Header=BB610_4 Depth=1
	v_and_b32_e32 v13, 0xffff, v12
	v_or_b32_e32 v14, 0x10000, v12
	s_delay_alu instid0(VALU_DEP_2) | instskip(NEXT) | instid1(VALU_DEP_2)
	v_cmp_eq_u32_e32 vcc_lo, 0, v13
	v_cndmask_b32_e32 v13, v14, v12, vcc_lo
; %bb.16:                               ;   in Loop: Header=BB610_4 Depth=1
	s_or_b32 exec_lo, exec_lo, s43
	s_delay_alu instid0(VALU_DEP_1) | instskip(SKIP_2) | instid1(SALU_CYCLE_1)
	v_lshrrev_b32_e32 v12, 16, v13
	s_mov_b32 s43, exec_lo
	s_or_b32 exec_lo, exec_lo, s46
	s_and_b32 vcc_lo, exec_lo, s45
	s_cbranch_vccnz .LBB610_20
	s_branch .LBB610_68
.LBB610_17:                             ;   in Loop: Header=BB610_4 Depth=1
	s_mov_b32 s43, 0
                                        ; implicit-def: $vgpr12
	s_cbranch_execnz .LBB610_20
	s_branch .LBB610_68
.LBB610_18:                             ;   in Loop: Header=BB610_4 Depth=1
	s_or_b32 exec_lo, exec_lo, s46
	s_delay_alu instid0(SALU_CYCLE_1)
	s_and_b32 vcc_lo, exec_lo, s45
	s_cbranch_vccnz .LBB610_20
	s_branch .LBB610_68
.LBB610_19:                             ;   in Loop: Header=BB610_4 Depth=1
	v_mov_b32_e32 v12, 0
	s_mov_b32 s43, exec_lo
	s_or_b32 exec_lo, exec_lo, s46
	s_delay_alu instid0(SALU_CYCLE_1)
	s_and_b32 vcc_lo, exec_lo, s45
	s_cbranch_vccz .LBB610_68
.LBB610_20:                             ;   in Loop: Header=BB610_4 Depth=1
	v_add_nc_u64_e32 v[10:11], v[10:11], v[0:1]
	v_mov_b32_e32 v17, 0
	s_and_not1_b32 vcc_lo, exec_lo, s42
	s_delay_alu instid0(VALU_DEP_2)
	v_lshl_add_u64 v[10:11], s[36:37], 1, v[10:11]
	s_cbranch_vccnz .LBB610_27
; %bb.21:                               ;   in Loop: Header=BB610_4 Depth=1
	v_add_nc_u64_e32 v[12:13], v[8:9], v[4:5]
	s_delay_alu instid0(VALU_DEP_2)
	v_mov_b64_e32 v[14:15], v[10:11]
	v_mov_b32_e32 v17, 0
	s_mov_b32 s45, 0
	s_branch .LBB610_23
.LBB610_22:                             ;   in Loop: Header=BB610_23 Depth=2
	s_or_b32 exec_lo, exec_lo, s46
	s_delay_alu instid0(VALU_DEP_1) | instskip(SKIP_3) | instid1(SALU_CYCLE_1)
	v_and_b32_e32 v18, 0xffff0000, v19
	v_add_nc_u64_e32 v[12:13], s[38:39], v[12:13]
	v_add_nc_u64_e32 v[14:15], 0x200, v[14:15]
	s_addk_co_i32 s45, 0x100
	s_cmp_ge_i32 s45, s34
	v_add_f32_e32 v17, v17, v18
	s_cbranch_scc1 .LBB610_27
.LBB610_23:                             ;   Parent Loop BB610_4 Depth=1
                                        ; =>  This Inner Loop Header: Depth=2
	flat_load_u16 v18, v[14:15]
	flat_load_u16 v19, v[12:13]
	s_wait_loadcnt_dscnt 0x0
	v_dual_lshlrev_b32 v18, 16, v18 :: v_dual_lshlrev_b32 v19, 16, v19
	s_delay_alu instid0(VALU_DEP_1) | instskip(NEXT) | instid1(VALU_DEP_1)
	v_mul_f32_e32 v18, v19, v18
	v_and_b32_e32 v19, 0x7f800000, v18
	s_delay_alu instid0(VALU_DEP_1) | instskip(SKIP_2) | instid1(SALU_CYCLE_1)
	v_cmp_ne_u32_e32 vcc_lo, 0x7f800000, v19
                                        ; implicit-def: $vgpr19
	s_wait_xcnt 0x0
	s_and_saveexec_b32 s46, vcc_lo
	s_xor_b32 s46, exec_lo, s46
; %bb.24:                               ;   in Loop: Header=BB610_23 Depth=2
	v_bfe_u32 v19, v18, 16, 1
	s_delay_alu instid0(VALU_DEP_1)
	v_add3_u32 v19, v18, v19, 0x7fff
                                        ; implicit-def: $vgpr18
; %bb.25:                               ;   in Loop: Header=BB610_23 Depth=2
	s_and_not1_saveexec_b32 s46, s46
	s_cbranch_execz .LBB610_22
; %bb.26:                               ;   in Loop: Header=BB610_23 Depth=2
	v_and_b32_e32 v19, 0xffff, v18
	v_or_b32_e32 v20, 0x10000, v18
	s_delay_alu instid0(VALU_DEP_2) | instskip(NEXT) | instid1(VALU_DEP_2)
	v_cmp_eq_u32_e32 vcc_lo, 0, v19
	v_cndmask_b32_e32 v19, v20, v18, vcc_lo
	s_branch .LBB610_22
.LBB610_27:                             ;   in Loop: Header=BB610_4 Depth=1
	s_wait_xcnt 0x0
	s_and_saveexec_b32 s45, s1
	s_cbranch_execz .LBB610_33
; %bb.28:                               ;   in Loop: Header=BB610_4 Depth=1
	v_lshl_add_u64 v[10:11], s[34:35], 1, v[10:11]
	v_lshl_add_u64 v[8:9], v[2:3], 1, v[8:9]
	flat_load_u16 v12, v[10:11]
	flat_load_u16 v13, v[8:9]
	s_wait_loadcnt_dscnt 0x0
	s_wait_xcnt 0x0
	v_dual_lshlrev_b32 v8, 16, v12 :: v_dual_lshlrev_b32 v9, 16, v13
	s_delay_alu instid0(VALU_DEP_1) | instskip(NEXT) | instid1(VALU_DEP_1)
	v_mul_f32_e32 v8, v9, v8
	v_and_b32_e32 v9, 0x7f800000, v8
	s_delay_alu instid0(VALU_DEP_1) | instskip(SKIP_1) | instid1(SALU_CYCLE_1)
	v_cmp_ne_u32_e32 vcc_lo, 0x7f800000, v9
                                        ; implicit-def: $vgpr9
	s_and_saveexec_b32 s46, vcc_lo
	s_xor_b32 s46, exec_lo, s46
; %bb.29:                               ;   in Loop: Header=BB610_4 Depth=1
	v_bfe_u32 v9, v8, 16, 1
	s_delay_alu instid0(VALU_DEP_1)
	v_add3_u32 v9, v8, v9, 0x7fff
                                        ; implicit-def: $vgpr8
; %bb.30:                               ;   in Loop: Header=BB610_4 Depth=1
	s_and_not1_saveexec_b32 s46, s46
; %bb.31:                               ;   in Loop: Header=BB610_4 Depth=1
	v_and_b32_e32 v9, 0xffff, v8
	v_or_b32_e32 v10, 0x10000, v8
	s_delay_alu instid0(VALU_DEP_2) | instskip(NEXT) | instid1(VALU_DEP_2)
	v_cmp_eq_u32_e32 vcc_lo, 0, v9
	v_cndmask_b32_e32 v9, v10, v8, vcc_lo
; %bb.32:                               ;   in Loop: Header=BB610_4 Depth=1
	s_or_b32 exec_lo, exec_lo, s46
	s_delay_alu instid0(VALU_DEP_1) | instskip(NEXT) | instid1(VALU_DEP_1)
	v_and_b32_e32 v8, 0xffff0000, v9
	v_add_f32_e32 v17, v17, v8
.LBB610_33:                             ;   in Loop: Header=BB610_4 Depth=1
	s_or_b32 exec_lo, exec_lo, s45
	ds_store_b32 v16, v17
	s_wait_dscnt 0x0
	s_barrier_signal -1
	s_barrier_wait -1
	s_and_saveexec_b32 s45, s2
	s_cbranch_execz .LBB610_35
; %bb.34:                               ;   in Loop: Header=BB610_4 Depth=1
	ds_load_2addr_stride64_b32 v[8:9], v16 offset1:2
	s_wait_dscnt 0x0
	v_add_f32_e32 v8, v9, v8
	ds_store_b32 v16, v8
.LBB610_35:                             ;   in Loop: Header=BB610_4 Depth=1
	s_or_b32 exec_lo, exec_lo, s45
	s_wait_dscnt 0x0
	s_barrier_signal -1
	s_barrier_wait -1
	s_and_saveexec_b32 s45, s3
	s_cbranch_execz .LBB610_37
; %bb.36:                               ;   in Loop: Header=BB610_4 Depth=1
	ds_load_2addr_stride64_b32 v[8:9], v16 offset1:1
	s_wait_dscnt 0x0
	v_add_f32_e32 v8, v9, v8
	ds_store_b32 v16, v8
.LBB610_37:                             ;   in Loop: Header=BB610_4 Depth=1
	s_or_b32 exec_lo, exec_lo, s45
	s_wait_dscnt 0x0
	s_barrier_signal -1
	s_barrier_wait -1
	s_and_saveexec_b32 s45, s4
	s_cbranch_execz .LBB610_39
; %bb.38:                               ;   in Loop: Header=BB610_4 Depth=1
	ds_load_2addr_b32 v[8:9], v16 offset1:32
	s_wait_dscnt 0x0
	v_add_f32_e32 v8, v9, v8
	ds_store_b32 v16, v8
.LBB610_39:                             ;   in Loop: Header=BB610_4 Depth=1
	s_or_b32 exec_lo, exec_lo, s45
	s_wait_dscnt 0x0
	s_barrier_signal -1
	s_barrier_wait -1
	s_and_saveexec_b32 s45, s5
	s_cbranch_execz .LBB610_41
; %bb.40:                               ;   in Loop: Header=BB610_4 Depth=1
	ds_load_2addr_b32 v[8:9], v16 offset1:16
	s_wait_dscnt 0x0
	v_add_f32_e32 v8, v9, v8
	ds_store_b32 v16, v8
.LBB610_41:                             ;   in Loop: Header=BB610_4 Depth=1
	;; [unrolled: 12-line block ×5, first 2 shown]
	s_or_b32 exec_lo, exec_lo, s45
	s_wait_dscnt 0x0
	s_barrier_signal -1
	s_barrier_wait -1
	s_and_saveexec_b32 s45, s0
	s_cbranch_execz .LBB610_49
; %bb.48:                               ;   in Loop: Header=BB610_4 Depth=1
	ds_load_b64 v[8:9], v1
	s_wait_dscnt 0x0
	v_add_f32_e32 v8, v9, v8
	ds_store_b32 v1, v8
.LBB610_49:                             ;   in Loop: Header=BB610_4 Depth=1
	s_or_b32 exec_lo, exec_lo, s45
	s_wait_dscnt 0x0
	s_barrier_signal -1
	s_barrier_wait -1
                                        ; implicit-def: $vgpr12
	s_and_saveexec_b32 s45, s0
	s_cbranch_execz .LBB610_67
; %bb.50:                               ;   in Loop: Header=BB610_4 Depth=1
	ds_load_b32 v8, v1
	s_cmp_eq_f32 s9, 0
	s_wait_dscnt 0x0
	v_readfirstlane_b32 s46, v8
	s_mul_f32 s44, s44, s46
	s_cbranch_scc0 .LBB610_56
; %bb.51:                               ;   in Loop: Header=BB610_4 Depth=1
	s_delay_alu instid0(SALU_CYCLE_2)
	s_and_b32 s46, s44, 0x7f800000
	s_mov_b32 s47, -1
	s_cmp_eq_u32 s46, 0x7f800000
                                        ; implicit-def: $sgpr46
	s_cbranch_scc1 .LBB610_53
; %bb.52:                               ;   in Loop: Header=BB610_4 Depth=1
	s_bfe_u32 s46, s44, 0x10010
	s_mov_b32 s47, 0
	s_add_co_i32 s46, s44, s46
	s_delay_alu instid0(SALU_CYCLE_1)
	s_addk_co_i32 s46, 0x7fff
.LBB610_53:                             ;   in Loop: Header=BB610_4 Depth=1
	s_and_not1_b32 vcc_lo, exec_lo, s47
	s_cbranch_vccnz .LBB610_55
; %bb.54:                               ;   in Loop: Header=BB610_4 Depth=1
	s_and_b32 s46, s44, 0xffff
	s_or_b32 s47, s44, 0x10000
	s_cmp_eq_u32 s46, 0
	s_cselect_b32 s46, s44, s47
.LBB610_55:                             ;   in Loop: Header=BB610_4 Depth=1
	s_delay_alu instid0(SALU_CYCLE_1)
	v_mov_b32_e32 v8, s46
	s_cbranch_execz .LBB610_57
	s_branch .LBB610_66
.LBB610_56:                             ;   in Loop: Header=BB610_4 Depth=1
                                        ; implicit-def: $sgpr46
	v_mov_b32_e32 v8, s46
.LBB610_57:                             ;   in Loop: Header=BB610_4 Depth=1
	v_add_nc_u64_e32 v[8:9], s[40:41], v[6:7]
	flat_load_u16 v8, v[8:9]
	s_wait_loadcnt_dscnt 0x0
	s_wait_xcnt 0x0
	v_lshlrev_b32_e32 v8, 16, v8
	s_delay_alu instid0(VALU_DEP_1) | instskip(NEXT) | instid1(VALU_DEP_1)
	v_mul_f32_e32 v8, s9, v8
	v_and_b32_e32 v9, 0x7f800000, v8
	s_delay_alu instid0(VALU_DEP_1) | instskip(SKIP_1) | instid1(SALU_CYCLE_1)
	v_cmp_ne_u32_e32 vcc_lo, 0x7f800000, v9
                                        ; implicit-def: $vgpr9
	s_and_saveexec_b32 s9, vcc_lo
	s_xor_b32 s9, exec_lo, s9
; %bb.58:                               ;   in Loop: Header=BB610_4 Depth=1
	v_bfe_u32 v9, v8, 16, 1
	s_delay_alu instid0(VALU_DEP_1)
	v_add3_u32 v9, v8, v9, 0x7fff
                                        ; implicit-def: $vgpr8
; %bb.59:                               ;   in Loop: Header=BB610_4 Depth=1
	s_and_not1_saveexec_b32 s9, s9
; %bb.60:                               ;   in Loop: Header=BB610_4 Depth=1
	v_and_b32_e32 v9, 0xffff, v8
	v_or_b32_e32 v10, 0x10000, v8
	s_delay_alu instid0(VALU_DEP_2) | instskip(NEXT) | instid1(VALU_DEP_2)
	v_cmp_eq_u32_e32 vcc_lo, 0, v9
	v_cndmask_b32_e32 v9, v10, v8, vcc_lo
; %bb.61:                               ;   in Loop: Header=BB610_4 Depth=1
	s_or_b32 exec_lo, exec_lo, s9
	s_delay_alu instid0(VALU_DEP_1) | instskip(NEXT) | instid1(VALU_DEP_1)
	v_and_b32_e32 v8, 0xffff0000, v9
	v_add_f32_e32 v9, s44, v8
	s_delay_alu instid0(VALU_DEP_1) | instskip(NEXT) | instid1(VALU_DEP_1)
	v_and_b32_e32 v8, 0x7f800000, v9
	v_cmp_ne_u32_e32 vcc_lo, 0x7f800000, v8
                                        ; implicit-def: $vgpr8
	s_and_saveexec_b32 s9, vcc_lo
	s_delay_alu instid0(SALU_CYCLE_1)
	s_xor_b32 s9, exec_lo, s9
; %bb.62:                               ;   in Loop: Header=BB610_4 Depth=1
	v_bfe_u32 v8, v9, 16, 1
	s_delay_alu instid0(VALU_DEP_1)
	v_add3_u32 v8, v9, v8, 0x7fff
                                        ; implicit-def: $vgpr9
; %bb.63:                               ;   in Loop: Header=BB610_4 Depth=1
	s_and_not1_saveexec_b32 s9, s9
; %bb.64:                               ;   in Loop: Header=BB610_4 Depth=1
	v_and_b32_e32 v8, 0xffff, v9
	v_or_b32_e32 v10, 0x10000, v9
	s_delay_alu instid0(VALU_DEP_2) | instskip(NEXT) | instid1(VALU_DEP_2)
	v_cmp_eq_u32_e32 vcc_lo, 0, v8
	v_cndmask_b32_e32 v8, v10, v9, vcc_lo
; %bb.65:                               ;   in Loop: Header=BB610_4 Depth=1
	s_or_b32 exec_lo, exec_lo, s9
.LBB610_66:                             ;   in Loop: Header=BB610_4 Depth=1
	s_delay_alu instid0(VALU_DEP_1)
	v_lshrrev_b32_e32 v12, 16, v8
	s_or_b32 s43, s43, exec_lo
.LBB610_67:                             ;   in Loop: Header=BB610_4 Depth=1
	s_or_b32 exec_lo, exec_lo, s45
.LBB610_68:                             ;   in Loop: Header=BB610_4 Depth=1
	s_wait_xcnt 0x0
	s_and_saveexec_b32 s9, s43
	s_cbranch_execz .LBB610_2
; %bb.69:                               ;   in Loop: Header=BB610_4 Depth=1
	v_add_nc_u64_e32 v[6:7], s[40:41], v[6:7]
	flat_store_b16 v[6:7], v12
	s_branch .LBB610_2
.LBB610_70:
	s_endpgm
	.section	.rodata,"a",@progbits
	.p2align	6, 0x0
	.amdhsa_kernel _ZL20rocblas_gemvt_kernelILb0ELi256EPK16rocblas_bfloat16PKfKPS0_EviiT2_lPKT1_lilSA_lilS7_lPT3_lili
		.amdhsa_group_segment_fixed_size 1024
		.amdhsa_private_segment_fixed_size 0
		.amdhsa_kernarg_size 140
		.amdhsa_user_sgpr_count 2
		.amdhsa_user_sgpr_dispatch_ptr 0
		.amdhsa_user_sgpr_queue_ptr 0
		.amdhsa_user_sgpr_kernarg_segment_ptr 1
		.amdhsa_user_sgpr_dispatch_id 0
		.amdhsa_user_sgpr_kernarg_preload_length 0
		.amdhsa_user_sgpr_kernarg_preload_offset 0
		.amdhsa_user_sgpr_private_segment_size 0
		.amdhsa_wavefront_size32 1
		.amdhsa_uses_dynamic_stack 0
		.amdhsa_enable_private_segment 0
		.amdhsa_system_sgpr_workgroup_id_x 1
		.amdhsa_system_sgpr_workgroup_id_y 0
		.amdhsa_system_sgpr_workgroup_id_z 1
		.amdhsa_system_sgpr_workgroup_info 0
		.amdhsa_system_vgpr_workitem_id 0
		.amdhsa_next_free_vgpr 21
		.amdhsa_next_free_sgpr 48
		.amdhsa_named_barrier_count 0
		.amdhsa_reserve_vcc 1
		.amdhsa_float_round_mode_32 0
		.amdhsa_float_round_mode_16_64 0
		.amdhsa_float_denorm_mode_32 3
		.amdhsa_float_denorm_mode_16_64 3
		.amdhsa_fp16_overflow 0
		.amdhsa_memory_ordered 1
		.amdhsa_forward_progress 1
		.amdhsa_inst_pref_size 17
		.amdhsa_round_robin_scheduling 0
		.amdhsa_exception_fp_ieee_invalid_op 0
		.amdhsa_exception_fp_denorm_src 0
		.amdhsa_exception_fp_ieee_div_zero 0
		.amdhsa_exception_fp_ieee_overflow 0
		.amdhsa_exception_fp_ieee_underflow 0
		.amdhsa_exception_fp_ieee_inexact 0
		.amdhsa_exception_int_div_zero 0
	.end_amdhsa_kernel
	.section	.text._ZL20rocblas_gemvt_kernelILb0ELi256EPK16rocblas_bfloat16PKfKPS0_EviiT2_lPKT1_lilSA_lilS7_lPT3_lili,"axG",@progbits,_ZL20rocblas_gemvt_kernelILb0ELi256EPK16rocblas_bfloat16PKfKPS0_EviiT2_lPKT1_lilSA_lilS7_lPT3_lili,comdat
.Lfunc_end610:
	.size	_ZL20rocblas_gemvt_kernelILb0ELi256EPK16rocblas_bfloat16PKfKPS0_EviiT2_lPKT1_lilSA_lilS7_lPT3_lili, .Lfunc_end610-_ZL20rocblas_gemvt_kernelILb0ELi256EPK16rocblas_bfloat16PKfKPS0_EviiT2_lPKT1_lilSA_lilS7_lPT3_lili
                                        ; -- End function
	.set _ZL20rocblas_gemvt_kernelILb0ELi256EPK16rocblas_bfloat16PKfKPS0_EviiT2_lPKT1_lilSA_lilS7_lPT3_lili.num_vgpr, 21
	.set _ZL20rocblas_gemvt_kernelILb0ELi256EPK16rocblas_bfloat16PKfKPS0_EviiT2_lPKT1_lilSA_lilS7_lPT3_lili.num_agpr, 0
	.set _ZL20rocblas_gemvt_kernelILb0ELi256EPK16rocblas_bfloat16PKfKPS0_EviiT2_lPKT1_lilSA_lilS7_lPT3_lili.numbered_sgpr, 48
	.set _ZL20rocblas_gemvt_kernelILb0ELi256EPK16rocblas_bfloat16PKfKPS0_EviiT2_lPKT1_lilSA_lilS7_lPT3_lili.num_named_barrier, 0
	.set _ZL20rocblas_gemvt_kernelILb0ELi256EPK16rocblas_bfloat16PKfKPS0_EviiT2_lPKT1_lilSA_lilS7_lPT3_lili.private_seg_size, 0
	.set _ZL20rocblas_gemvt_kernelILb0ELi256EPK16rocblas_bfloat16PKfKPS0_EviiT2_lPKT1_lilSA_lilS7_lPT3_lili.uses_vcc, 1
	.set _ZL20rocblas_gemvt_kernelILb0ELi256EPK16rocblas_bfloat16PKfKPS0_EviiT2_lPKT1_lilSA_lilS7_lPT3_lili.uses_flat_scratch, 0
	.set _ZL20rocblas_gemvt_kernelILb0ELi256EPK16rocblas_bfloat16PKfKPS0_EviiT2_lPKT1_lilSA_lilS7_lPT3_lili.has_dyn_sized_stack, 0
	.set _ZL20rocblas_gemvt_kernelILb0ELi256EPK16rocblas_bfloat16PKfKPS0_EviiT2_lPKT1_lilSA_lilS7_lPT3_lili.has_recursion, 0
	.set _ZL20rocblas_gemvt_kernelILb0ELi256EPK16rocblas_bfloat16PKfKPS0_EviiT2_lPKT1_lilSA_lilS7_lPT3_lili.has_indirect_call, 0
	.section	.AMDGPU.csdata,"",@progbits
; Kernel info:
; codeLenInByte = 2160
; TotalNumSgprs: 50
; NumVgprs: 21
; ScratchSize: 0
; MemoryBound: 0
; FloatMode: 240
; IeeeMode: 1
; LDSByteSize: 1024 bytes/workgroup (compile time only)
; SGPRBlocks: 0
; VGPRBlocks: 1
; NumSGPRsForWavesPerEU: 50
; NumVGPRsForWavesPerEU: 21
; NamedBarCnt: 0
; Occupancy: 16
; WaveLimiterHint : 1
; COMPUTE_PGM_RSRC2:SCRATCH_EN: 0
; COMPUTE_PGM_RSRC2:USER_SGPR: 2
; COMPUTE_PGM_RSRC2:TRAP_HANDLER: 0
; COMPUTE_PGM_RSRC2:TGID_X_EN: 1
; COMPUTE_PGM_RSRC2:TGID_Y_EN: 0
; COMPUTE_PGM_RSRC2:TGID_Z_EN: 1
; COMPUTE_PGM_RSRC2:TIDIG_COMP_CNT: 0
	.section	.text._ZL20rocblas_gemvt_kernelILb0ELi256EPK16rocblas_bfloat16fKPS0_EviiT2_lPKT1_lilS8_lilS5_lPT3_lili,"axG",@progbits,_ZL20rocblas_gemvt_kernelILb0ELi256EPK16rocblas_bfloat16fKPS0_EviiT2_lPKT1_lilS8_lilS5_lPT3_lili,comdat
	.globl	_ZL20rocblas_gemvt_kernelILb0ELi256EPK16rocblas_bfloat16fKPS0_EviiT2_lPKT1_lilS8_lilS5_lPT3_lili ; -- Begin function _ZL20rocblas_gemvt_kernelILb0ELi256EPK16rocblas_bfloat16fKPS0_EviiT2_lPKT1_lilS8_lilS5_lPT3_lili
	.p2align	8
	.type	_ZL20rocblas_gemvt_kernelILb0ELi256EPK16rocblas_bfloat16fKPS0_EviiT2_lPKT1_lilS8_lilS5_lPT3_lili,@function
_ZL20rocblas_gemvt_kernelILb0ELi256EPK16rocblas_bfloat16fKPS0_EviiT2_lPKT1_lilS8_lilS5_lPT3_lili: ; @_ZL20rocblas_gemvt_kernelILb0ELi256EPK16rocblas_bfloat16fKPS0_EviiT2_lPKT1_lilS8_lilS5_lPT3_lili
; %bb.0:
	s_load_b32 s9, s[0:1], 0x88
	s_bfe_u32 s2, ttmp6, 0x40014
	s_lshr_b32 s3, ttmp7, 16
	s_add_co_i32 s2, s2, 1
	s_bfe_u32 s5, ttmp6, 0x40008
	s_mul_i32 s2, s3, s2
	s_getreg_b32 s4, hwreg(HW_REG_IB_STS2, 6, 4)
	s_add_co_i32 s5, s5, s2
	s_cmp_eq_u32 s4, 0
	s_mov_b32 s11, 0
	s_cselect_b32 s10, s3, s5
	s_wait_kmcnt 0x0
	s_cmp_ge_u32 s10, s9
	s_cbranch_scc1 .LBB611_72
; %bb.1:
	s_clause 0x7
	s_load_b32 s2, s[0:1], 0x28
	s_load_b32 s28, s[0:1], 0x48
	;; [unrolled: 1-line block ×5, first 2 shown]
	s_load_b128 s[12:15], s[0:1], 0x18
	s_load_b32 s8, s[0:1], 0x0
	s_load_b128 s[20:23], s[0:1], 0x68
	v_lshlrev_b32_e32 v17, 2, v0
	s_wait_kmcnt 0x0
	s_ashr_i32 s3, s2, 31
	s_ashr_i32 s29, s28, 31
	;; [unrolled: 1-line block ×3, first 2 shown]
	s_cmp_eq_f32 s33, 0
	s_cselect_b32 s35, -1, 0
	s_cmp_neq_f32 s34, 1.0
	s_cselect_b32 s5, -1, 0
	s_cmp_neq_f32 s33, 0
	s_cselect_b32 s16, -1, 0
	s_delay_alu instid0(SALU_CYCLE_1)
	s_or_b32 s36, s16, s5
	s_cmp_neq_f32 s34, 0
	v_cndmask_b32_e64 v16, 0, 1, s16
	s_cselect_b32 s37, -1, 0
	s_cmp_eq_f32 s34, 0
	s_cselect_b32 s38, -1, 0
	s_bfe_u32 s5, ttmp6, 0x4000c
	s_and_b32 s16, ttmp6, 15
	s_add_co_i32 s5, s5, 1
	s_delay_alu instid0(SALU_CYCLE_1) | instskip(NEXT) | instid1(SALU_CYCLE_1)
	s_mul_i32 s5, ttmp9, s5
	s_add_co_i32 s16, s16, s5
	s_cmp_eq_u32 s4, 0
	s_cselect_b32 s4, ttmp9, s16
	s_load_b128 s[16:19], s[0:1], 0x38
	s_ashr_i32 s5, s8, 31
	v_cmp_gt_i32_e32 vcc_lo, s8, v0
	s_lshr_b32 s5, s5, 24
	s_wait_xcnt 0x0
	v_cmp_eq_u32_e64 s0, 0, v0
	s_add_co_i32 s5, s8, s5
	s_delay_alu instid0(SALU_CYCLE_1) | instskip(NEXT) | instid1(SALU_CYCLE_1)
	s_and_b32 s24, s5, 0xffffff00
	v_dual_mov_b32 v1, 0 :: v_dual_bitop2_b32 v6, s24, v0 bitop3:0x54
	v_cndmask_b32_e32 v8, 0, v0, vcc_lo
	s_ashr_i32 s5, s4, 31
	s_cmp_gt_i32 s8, 0xff
	s_delay_alu instid0(VALU_DEP_2)
	v_mul_u64_e32 v[4:5], s[28:29], v[0:1]
	v_ashrrev_i32_e32 v7, 31, v6
	s_mul_u64 s[30:31], s[6:7], s[4:5]
	s_mul_u64 s[26:27], s[2:3], s[4:5]
	v_cmp_gt_i32_e64 s1, s8, v6
	v_cmp_gt_u32_e64 s2, 0x80, v0
	v_mul_u64_e32 v[2:3], s[28:29], v[6:7]
	v_cmp_gt_u32_e64 s3, 64, v0
	v_cmp_gt_u32_e64 s4, 32, v0
	;; [unrolled: 1-line block ×6, first 2 shown]
	v_lshlrev_b32_e32 v0, 1, v8
	s_cselect_b32 s39, -1, 0
	s_ashr_i32 s25, s24, 31
	s_lshl_b64 s[28:29], s[28:29], 9
	s_lshl_b64 s[14:15], s[14:15], 1
	s_wait_kmcnt 0x0
	s_lshl_b64 s[18:19], s[18:19], 1
	s_lshl_b64 s[22:23], s[22:23], 1
	;; [unrolled: 1-line block ×3, first 2 shown]
	v_lshlrev_b64_e32 v[4:5], 1, v[4:5]
	s_branch .LBB611_4
.LBB611_2:                              ;   in Loop: Header=BB611_4 Depth=1
	s_wait_xcnt 0x0
	s_or_b32 exec_lo, exec_lo, s41
.LBB611_3:                              ;   in Loop: Header=BB611_4 Depth=1
	s_add_co_i32 s10, s10, 0x10000
	s_delay_alu instid0(SALU_CYCLE_1)
	s_cmp_lt_u32 s10, s9
	s_cbranch_scc0 .LBB611_72
.LBB611_4:                              ; =>This Loop Header: Depth=1
                                        ;     Child Loop BB611_25 Depth 2
	s_and_not1_b32 vcc_lo, exec_lo, s36
	s_cbranch_vccnz .LBB611_3
; %bb.5:                                ;   in Loop: Header=BB611_4 Depth=1
	s_and_not1_b32 vcc_lo, exec_lo, s35
	s_cbranch_vccnz .LBB611_7
; %bb.6:                                ;   in Loop: Header=BB611_4 Depth=1
	v_mov_b64_e32 v[8:9], 0
	v_mov_b64_e32 v[10:11], 0
	s_cbranch_execz .LBB611_8
	s_branch .LBB611_9
.LBB611_7:                              ;   in Loop: Header=BB611_4 Depth=1
	v_mov_b64_e32 v[8:9], 0
	v_mov_b64_e32 v[10:11], 0
.LBB611_8:                              ;   in Loop: Header=BB611_4 Depth=1
	s_lshl_b64 s[40:41], s[10:11], 3
	s_delay_alu instid0(SALU_CYCLE_1)
	s_add_nc_u64 s[40:41], s[12:13], s[40:41]
	global_load_b64 v[6:7], v1, s[40:41]
	s_wait_loadcnt 0x0
	v_add_nc_u64_e32 v[10:11], s[14:15], v[6:7]
.LBB611_9:                              ;   in Loop: Header=BB611_4 Depth=1
	v_cmp_ne_u32_e32 vcc_lo, 1, v16
	s_cbranch_vccnz .LBB611_11
; %bb.10:                               ;   in Loop: Header=BB611_4 Depth=1
	s_wait_xcnt 0x0
	s_lshl_b64 s[40:41], s[10:11], 3
	s_delay_alu instid0(SALU_CYCLE_1)
	s_add_nc_u64 s[40:41], s[16:17], s[40:41]
	global_load_b64 v[6:7], v1, s[40:41]
	s_wait_loadcnt 0x0
	v_add_nc_u64_e32 v[8:9], s[18:19], v[6:7]
.LBB611_11:                             ;   in Loop: Header=BB611_4 Depth=1
	s_wait_xcnt 0x0
	s_lshl_b64 s[40:41], s[10:11], 3
	s_and_not1_b32 vcc_lo, exec_lo, s35
	s_add_nc_u64 s[40:41], s[20:21], s[40:41]
	global_load_b64 v[6:7], v1, s[40:41]
	s_wait_loadcnt 0x0
	v_add_nc_u64_e32 v[6:7], s[22:23], v[6:7]
	s_cbranch_vccnz .LBB611_19
; %bb.12:                               ;   in Loop: Header=BB611_4 Depth=1
	s_wait_xcnt 0x0
	s_mov_b32 s41, 0
	s_mov_b32 s40, 0
                                        ; implicit-def: $vgpr12
	s_and_saveexec_b32 s42, s0
	s_cbranch_execz .LBB611_20
; %bb.13:                               ;   in Loop: Header=BB611_4 Depth=1
	s_and_not1_b32 vcc_lo, exec_lo, s37
	s_cbranch_vccnz .LBB611_21
; %bb.14:                               ;   in Loop: Header=BB611_4 Depth=1
	v_add_nc_u64_e32 v[12:13], s[30:31], v[6:7]
	flat_load_u16 v12, v[12:13]
	s_wait_loadcnt_dscnt 0x0
	s_wait_xcnt 0x0
	v_lshlrev_b32_e32 v12, 16, v12
	s_delay_alu instid0(VALU_DEP_1) | instskip(NEXT) | instid1(VALU_DEP_1)
	v_mul_f32_e32 v12, s34, v12
	v_and_b32_e32 v13, 0x7f800000, v12
	s_delay_alu instid0(VALU_DEP_1) | instskip(SKIP_1) | instid1(SALU_CYCLE_1)
	v_cmp_ne_u32_e32 vcc_lo, 0x7f800000, v13
                                        ; implicit-def: $vgpr13
	s_and_saveexec_b32 s40, vcc_lo
	s_xor_b32 s40, exec_lo, s40
; %bb.15:                               ;   in Loop: Header=BB611_4 Depth=1
	v_bfe_u32 v13, v12, 16, 1
	s_delay_alu instid0(VALU_DEP_1)
	v_add3_u32 v13, v12, v13, 0x7fff
                                        ; implicit-def: $vgpr12
; %bb.16:                               ;   in Loop: Header=BB611_4 Depth=1
	s_and_not1_saveexec_b32 s40, s40
; %bb.17:                               ;   in Loop: Header=BB611_4 Depth=1
	v_and_b32_e32 v13, 0xffff, v12
	v_or_b32_e32 v14, 0x10000, v12
	s_delay_alu instid0(VALU_DEP_2) | instskip(NEXT) | instid1(VALU_DEP_2)
	v_cmp_eq_u32_e32 vcc_lo, 0, v13
	v_cndmask_b32_e32 v13, v14, v12, vcc_lo
; %bb.18:                               ;   in Loop: Header=BB611_4 Depth=1
	s_or_b32 exec_lo, exec_lo, s40
	s_delay_alu instid0(VALU_DEP_1) | instskip(SKIP_2) | instid1(SALU_CYCLE_1)
	v_lshrrev_b32_e32 v12, 16, v13
	s_mov_b32 s40, exec_lo
	s_or_b32 exec_lo, exec_lo, s42
	s_and_b32 vcc_lo, exec_lo, s41
	s_cbranch_vccnz .LBB611_22
	s_branch .LBB611_70
.LBB611_19:                             ;   in Loop: Header=BB611_4 Depth=1
	s_wait_xcnt 0x0
	s_mov_b32 s40, 0
                                        ; implicit-def: $vgpr12
	s_cbranch_execnz .LBB611_22
	s_branch .LBB611_70
.LBB611_20:                             ;   in Loop: Header=BB611_4 Depth=1
	s_or_b32 exec_lo, exec_lo, s42
	s_delay_alu instid0(SALU_CYCLE_1)
	s_and_b32 vcc_lo, exec_lo, s41
	s_cbranch_vccnz .LBB611_22
	s_branch .LBB611_70
.LBB611_21:                             ;   in Loop: Header=BB611_4 Depth=1
	v_mov_b32_e32 v12, 0
	s_mov_b32 s40, exec_lo
	s_or_b32 exec_lo, exec_lo, s42
	s_delay_alu instid0(SALU_CYCLE_1)
	s_and_b32 vcc_lo, exec_lo, s41
	s_cbranch_vccz .LBB611_70
.LBB611_22:                             ;   in Loop: Header=BB611_4 Depth=1
	v_add_nc_u64_e32 v[10:11], v[10:11], v[0:1]
	v_mov_b32_e32 v18, 0
	s_and_not1_b32 vcc_lo, exec_lo, s39
	s_delay_alu instid0(VALU_DEP_2)
	v_lshl_add_u64 v[10:11], s[26:27], 1, v[10:11]
	s_cbranch_vccnz .LBB611_29
; %bb.23:                               ;   in Loop: Header=BB611_4 Depth=1
	v_add_nc_u64_e32 v[12:13], v[8:9], v[4:5]
	s_delay_alu instid0(VALU_DEP_2)
	v_mov_b64_e32 v[14:15], v[10:11]
	v_mov_b32_e32 v18, 0
	s_mov_b32 s41, 0
	s_branch .LBB611_25
.LBB611_24:                             ;   in Loop: Header=BB611_25 Depth=2
	s_or_b32 exec_lo, exec_lo, s42
	s_delay_alu instid0(VALU_DEP_1) | instskip(SKIP_3) | instid1(SALU_CYCLE_1)
	v_and_b32_e32 v19, 0xffff0000, v20
	v_add_nc_u64_e32 v[12:13], s[28:29], v[12:13]
	v_add_nc_u64_e32 v[14:15], 0x200, v[14:15]
	s_addk_co_i32 s41, 0x100
	s_cmp_ge_i32 s41, s24
	v_add_f32_e32 v18, v18, v19
	s_cbranch_scc1 .LBB611_29
.LBB611_25:                             ;   Parent Loop BB611_4 Depth=1
                                        ; =>  This Inner Loop Header: Depth=2
	flat_load_u16 v19, v[14:15]
	flat_load_u16 v20, v[12:13]
	s_wait_loadcnt_dscnt 0x0
	v_dual_lshlrev_b32 v19, 16, v19 :: v_dual_lshlrev_b32 v20, 16, v20
	s_delay_alu instid0(VALU_DEP_1) | instskip(NEXT) | instid1(VALU_DEP_1)
	v_mul_f32_e32 v19, v20, v19
	v_and_b32_e32 v20, 0x7f800000, v19
	s_delay_alu instid0(VALU_DEP_1) | instskip(SKIP_2) | instid1(SALU_CYCLE_1)
	v_cmp_ne_u32_e32 vcc_lo, 0x7f800000, v20
                                        ; implicit-def: $vgpr20
	s_wait_xcnt 0x0
	s_and_saveexec_b32 s42, vcc_lo
	s_xor_b32 s42, exec_lo, s42
; %bb.26:                               ;   in Loop: Header=BB611_25 Depth=2
	v_bfe_u32 v20, v19, 16, 1
	s_delay_alu instid0(VALU_DEP_1)
	v_add3_u32 v20, v19, v20, 0x7fff
                                        ; implicit-def: $vgpr19
; %bb.27:                               ;   in Loop: Header=BB611_25 Depth=2
	s_and_not1_saveexec_b32 s42, s42
	s_cbranch_execz .LBB611_24
; %bb.28:                               ;   in Loop: Header=BB611_25 Depth=2
	v_and_b32_e32 v20, 0xffff, v19
	v_or_b32_e32 v21, 0x10000, v19
	s_delay_alu instid0(VALU_DEP_2) | instskip(NEXT) | instid1(VALU_DEP_2)
	v_cmp_eq_u32_e32 vcc_lo, 0, v20
	v_cndmask_b32_e32 v20, v21, v19, vcc_lo
	s_branch .LBB611_24
.LBB611_29:                             ;   in Loop: Header=BB611_4 Depth=1
	s_and_saveexec_b32 s41, s1
	s_cbranch_execz .LBB611_35
; %bb.30:                               ;   in Loop: Header=BB611_4 Depth=1
	s_delay_alu instid0(VALU_DEP_1)
	v_lshl_add_u64 v[10:11], s[24:25], 1, v[10:11]
	v_lshl_add_u64 v[8:9], v[2:3], 1, v[8:9]
	flat_load_u16 v12, v[10:11]
	flat_load_u16 v13, v[8:9]
	s_wait_loadcnt_dscnt 0x0
	s_wait_xcnt 0x0
	v_dual_lshlrev_b32 v8, 16, v12 :: v_dual_lshlrev_b32 v9, 16, v13
	s_delay_alu instid0(VALU_DEP_1) | instskip(NEXT) | instid1(VALU_DEP_1)
	v_mul_f32_e32 v8, v9, v8
	v_and_b32_e32 v9, 0x7f800000, v8
	s_delay_alu instid0(VALU_DEP_1) | instskip(SKIP_1) | instid1(SALU_CYCLE_1)
	v_cmp_ne_u32_e32 vcc_lo, 0x7f800000, v9
                                        ; implicit-def: $vgpr9
	s_and_saveexec_b32 s42, vcc_lo
	s_xor_b32 s42, exec_lo, s42
; %bb.31:                               ;   in Loop: Header=BB611_4 Depth=1
	v_bfe_u32 v9, v8, 16, 1
	s_delay_alu instid0(VALU_DEP_1)
	v_add3_u32 v9, v8, v9, 0x7fff
                                        ; implicit-def: $vgpr8
; %bb.32:                               ;   in Loop: Header=BB611_4 Depth=1
	s_and_not1_saveexec_b32 s42, s42
; %bb.33:                               ;   in Loop: Header=BB611_4 Depth=1
	v_and_b32_e32 v9, 0xffff, v8
	v_or_b32_e32 v10, 0x10000, v8
	s_delay_alu instid0(VALU_DEP_2) | instskip(NEXT) | instid1(VALU_DEP_2)
	v_cmp_eq_u32_e32 vcc_lo, 0, v9
	v_cndmask_b32_e32 v9, v10, v8, vcc_lo
; %bb.34:                               ;   in Loop: Header=BB611_4 Depth=1
	s_or_b32 exec_lo, exec_lo, s42
	s_delay_alu instid0(VALU_DEP_1) | instskip(NEXT) | instid1(VALU_DEP_1)
	v_and_b32_e32 v8, 0xffff0000, v9
	v_add_f32_e32 v18, v18, v8
.LBB611_35:                             ;   in Loop: Header=BB611_4 Depth=1
	s_or_b32 exec_lo, exec_lo, s41
	ds_store_b32 v17, v18
	s_wait_dscnt 0x0
	s_barrier_signal -1
	s_barrier_wait -1
	s_and_saveexec_b32 s41, s2
	s_cbranch_execz .LBB611_37
; %bb.36:                               ;   in Loop: Header=BB611_4 Depth=1
	ds_load_2addr_stride64_b32 v[8:9], v17 offset1:2
	s_wait_dscnt 0x0
	v_add_f32_e32 v8, v9, v8
	ds_store_b32 v17, v8
.LBB611_37:                             ;   in Loop: Header=BB611_4 Depth=1
	s_or_b32 exec_lo, exec_lo, s41
	s_wait_dscnt 0x0
	s_barrier_signal -1
	s_barrier_wait -1
	s_and_saveexec_b32 s41, s3
	s_cbranch_execz .LBB611_39
; %bb.38:                               ;   in Loop: Header=BB611_4 Depth=1
	ds_load_2addr_stride64_b32 v[8:9], v17 offset1:1
	s_wait_dscnt 0x0
	v_add_f32_e32 v8, v9, v8
	ds_store_b32 v17, v8
.LBB611_39:                             ;   in Loop: Header=BB611_4 Depth=1
	s_or_b32 exec_lo, exec_lo, s41
	s_wait_dscnt 0x0
	s_barrier_signal -1
	s_barrier_wait -1
	s_and_saveexec_b32 s41, s4
	s_cbranch_execz .LBB611_41
; %bb.40:                               ;   in Loop: Header=BB611_4 Depth=1
	ds_load_2addr_b32 v[8:9], v17 offset1:32
	s_wait_dscnt 0x0
	v_add_f32_e32 v8, v9, v8
	ds_store_b32 v17, v8
.LBB611_41:                             ;   in Loop: Header=BB611_4 Depth=1
	s_or_b32 exec_lo, exec_lo, s41
	s_wait_dscnt 0x0
	s_barrier_signal -1
	s_barrier_wait -1
	s_and_saveexec_b32 s41, s5
	s_cbranch_execz .LBB611_43
; %bb.42:                               ;   in Loop: Header=BB611_4 Depth=1
	ds_load_2addr_b32 v[8:9], v17 offset1:16
	s_wait_dscnt 0x0
	v_add_f32_e32 v8, v9, v8
	ds_store_b32 v17, v8
.LBB611_43:                             ;   in Loop: Header=BB611_4 Depth=1
	;; [unrolled: 12-line block ×5, first 2 shown]
	s_or_b32 exec_lo, exec_lo, s41
	s_wait_dscnt 0x0
	s_barrier_signal -1
	s_barrier_wait -1
	s_and_saveexec_b32 s41, s0
	s_cbranch_execz .LBB611_51
; %bb.50:                               ;   in Loop: Header=BB611_4 Depth=1
	ds_load_b64 v[8:9], v1
	s_wait_dscnt 0x0
	v_add_f32_e32 v8, v9, v8
	ds_store_b32 v1, v8
.LBB611_51:                             ;   in Loop: Header=BB611_4 Depth=1
	s_or_b32 exec_lo, exec_lo, s41
	s_wait_dscnt 0x0
	s_barrier_signal -1
	s_barrier_wait -1
                                        ; implicit-def: $vgpr12
	s_and_saveexec_b32 s41, s0
	s_cbranch_execz .LBB611_69
; %bb.52:                               ;   in Loop: Header=BB611_4 Depth=1
	ds_load_b32 v8, v1
	s_and_b32 vcc_lo, exec_lo, s38
	s_mov_b32 s44, -1
                                        ; implicit-def: $sgpr43
	s_wait_dscnt 0x0
	v_readfirstlane_b32 s42, v8
	s_mul_f32 s42, s33, s42
	s_cbranch_vccz .LBB611_58
; %bb.53:                               ;   in Loop: Header=BB611_4 Depth=1
	s_delay_alu instid0(SALU_CYCLE_2) | instskip(NEXT) | instid1(SALU_CYCLE_1)
	s_and_b32 s43, s42, 0x7f800000
	s_cmp_eq_u32 s43, 0x7f800000
                                        ; implicit-def: $sgpr43
	s_cbranch_scc1 .LBB611_55
; %bb.54:                               ;   in Loop: Header=BB611_4 Depth=1
	s_bfe_u32 s43, s42, 0x10010
	s_mov_b32 s44, 0
	s_add_co_i32 s43, s42, s43
	s_delay_alu instid0(SALU_CYCLE_1)
	s_addk_co_i32 s43, 0x7fff
.LBB611_55:                             ;   in Loop: Header=BB611_4 Depth=1
	s_and_not1_b32 vcc_lo, exec_lo, s44
	s_cbranch_vccnz .LBB611_57
; %bb.56:                               ;   in Loop: Header=BB611_4 Depth=1
	s_and_b32 s43, s42, 0xffff
	s_or_b32 s44, s42, 0x10000
	s_cmp_eq_u32 s43, 0
	s_cselect_b32 s43, s42, s44
.LBB611_57:                             ;   in Loop: Header=BB611_4 Depth=1
	s_mov_b32 s44, 0
.LBB611_58:                             ;   in Loop: Header=BB611_4 Depth=1
	v_mov_b32_e32 v8, s43
	s_and_not1_b32 vcc_lo, exec_lo, s44
	s_cbranch_vccnz .LBB611_68
; %bb.59:                               ;   in Loop: Header=BB611_4 Depth=1
	v_add_nc_u64_e32 v[8:9], s[30:31], v[6:7]
	flat_load_u16 v8, v[8:9]
	s_wait_loadcnt_dscnt 0x0
	s_wait_xcnt 0x0
	v_lshlrev_b32_e32 v8, 16, v8
	s_delay_alu instid0(VALU_DEP_1) | instskip(NEXT) | instid1(VALU_DEP_1)
	v_mul_f32_e32 v8, s34, v8
	v_and_b32_e32 v9, 0x7f800000, v8
	s_delay_alu instid0(VALU_DEP_1) | instskip(SKIP_1) | instid1(SALU_CYCLE_1)
	v_cmp_ne_u32_e32 vcc_lo, 0x7f800000, v9
                                        ; implicit-def: $vgpr9
	s_and_saveexec_b32 s43, vcc_lo
	s_xor_b32 s43, exec_lo, s43
; %bb.60:                               ;   in Loop: Header=BB611_4 Depth=1
	v_bfe_u32 v9, v8, 16, 1
	s_delay_alu instid0(VALU_DEP_1)
	v_add3_u32 v9, v8, v9, 0x7fff
                                        ; implicit-def: $vgpr8
; %bb.61:                               ;   in Loop: Header=BB611_4 Depth=1
	s_and_not1_saveexec_b32 s43, s43
; %bb.62:                               ;   in Loop: Header=BB611_4 Depth=1
	v_and_b32_e32 v9, 0xffff, v8
	v_or_b32_e32 v10, 0x10000, v8
	s_delay_alu instid0(VALU_DEP_2) | instskip(NEXT) | instid1(VALU_DEP_2)
	v_cmp_eq_u32_e32 vcc_lo, 0, v9
	v_cndmask_b32_e32 v9, v10, v8, vcc_lo
; %bb.63:                               ;   in Loop: Header=BB611_4 Depth=1
	s_or_b32 exec_lo, exec_lo, s43
	s_delay_alu instid0(VALU_DEP_1) | instskip(NEXT) | instid1(VALU_DEP_1)
	v_and_b32_e32 v8, 0xffff0000, v9
	v_add_f32_e32 v9, s42, v8
	s_delay_alu instid0(VALU_DEP_1) | instskip(NEXT) | instid1(VALU_DEP_1)
	v_and_b32_e32 v8, 0x7f800000, v9
	v_cmp_ne_u32_e32 vcc_lo, 0x7f800000, v8
                                        ; implicit-def: $vgpr8
	s_and_saveexec_b32 s42, vcc_lo
	s_delay_alu instid0(SALU_CYCLE_1)
	s_xor_b32 s42, exec_lo, s42
; %bb.64:                               ;   in Loop: Header=BB611_4 Depth=1
	v_bfe_u32 v8, v9, 16, 1
	s_delay_alu instid0(VALU_DEP_1)
	v_add3_u32 v8, v9, v8, 0x7fff
                                        ; implicit-def: $vgpr9
; %bb.65:                               ;   in Loop: Header=BB611_4 Depth=1
	s_and_not1_saveexec_b32 s42, s42
; %bb.66:                               ;   in Loop: Header=BB611_4 Depth=1
	v_and_b32_e32 v8, 0xffff, v9
	v_or_b32_e32 v10, 0x10000, v9
	s_delay_alu instid0(VALU_DEP_2) | instskip(NEXT) | instid1(VALU_DEP_2)
	v_cmp_eq_u32_e32 vcc_lo, 0, v8
	v_cndmask_b32_e32 v8, v10, v9, vcc_lo
; %bb.67:                               ;   in Loop: Header=BB611_4 Depth=1
	s_or_b32 exec_lo, exec_lo, s42
.LBB611_68:                             ;   in Loop: Header=BB611_4 Depth=1
	s_delay_alu instid0(VALU_DEP_1)
	v_lshrrev_b32_e32 v12, 16, v8
	s_or_b32 s40, s40, exec_lo
.LBB611_69:                             ;   in Loop: Header=BB611_4 Depth=1
	s_or_b32 exec_lo, exec_lo, s41
.LBB611_70:                             ;   in Loop: Header=BB611_4 Depth=1
	s_and_saveexec_b32 s41, s40
	s_cbranch_execz .LBB611_2
; %bb.71:                               ;   in Loop: Header=BB611_4 Depth=1
	v_add_nc_u64_e32 v[6:7], s[30:31], v[6:7]
	flat_store_b16 v[6:7], v12
	s_branch .LBB611_2
.LBB611_72:
	s_endpgm
	.section	.rodata,"a",@progbits
	.p2align	6, 0x0
	.amdhsa_kernel _ZL20rocblas_gemvt_kernelILb0ELi256EPK16rocblas_bfloat16fKPS0_EviiT2_lPKT1_lilS8_lilS5_lPT3_lili
		.amdhsa_group_segment_fixed_size 1024
		.amdhsa_private_segment_fixed_size 0
		.amdhsa_kernarg_size 140
		.amdhsa_user_sgpr_count 2
		.amdhsa_user_sgpr_dispatch_ptr 0
		.amdhsa_user_sgpr_queue_ptr 0
		.amdhsa_user_sgpr_kernarg_segment_ptr 1
		.amdhsa_user_sgpr_dispatch_id 0
		.amdhsa_user_sgpr_kernarg_preload_length 0
		.amdhsa_user_sgpr_kernarg_preload_offset 0
		.amdhsa_user_sgpr_private_segment_size 0
		.amdhsa_wavefront_size32 1
		.amdhsa_uses_dynamic_stack 0
		.amdhsa_enable_private_segment 0
		.amdhsa_system_sgpr_workgroup_id_x 1
		.amdhsa_system_sgpr_workgroup_id_y 0
		.amdhsa_system_sgpr_workgroup_id_z 1
		.amdhsa_system_sgpr_workgroup_info 0
		.amdhsa_system_vgpr_workitem_id 0
		.amdhsa_next_free_vgpr 22
		.amdhsa_next_free_sgpr 45
		.amdhsa_named_barrier_count 0
		.amdhsa_reserve_vcc 1
		.amdhsa_float_round_mode_32 0
		.amdhsa_float_round_mode_16_64 0
		.amdhsa_float_denorm_mode_32 3
		.amdhsa_float_denorm_mode_16_64 3
		.amdhsa_fp16_overflow 0
		.amdhsa_memory_ordered 1
		.amdhsa_forward_progress 1
		.amdhsa_inst_pref_size 17
		.amdhsa_round_robin_scheduling 0
		.amdhsa_exception_fp_ieee_invalid_op 0
		.amdhsa_exception_fp_denorm_src 0
		.amdhsa_exception_fp_ieee_div_zero 0
		.amdhsa_exception_fp_ieee_overflow 0
		.amdhsa_exception_fp_ieee_underflow 0
		.amdhsa_exception_fp_ieee_inexact 0
		.amdhsa_exception_int_div_zero 0
	.end_amdhsa_kernel
	.section	.text._ZL20rocblas_gemvt_kernelILb0ELi256EPK16rocblas_bfloat16fKPS0_EviiT2_lPKT1_lilS8_lilS5_lPT3_lili,"axG",@progbits,_ZL20rocblas_gemvt_kernelILb0ELi256EPK16rocblas_bfloat16fKPS0_EviiT2_lPKT1_lilS8_lilS5_lPT3_lili,comdat
.Lfunc_end611:
	.size	_ZL20rocblas_gemvt_kernelILb0ELi256EPK16rocblas_bfloat16fKPS0_EviiT2_lPKT1_lilS8_lilS5_lPT3_lili, .Lfunc_end611-_ZL20rocblas_gemvt_kernelILb0ELi256EPK16rocblas_bfloat16fKPS0_EviiT2_lPKT1_lilS8_lilS5_lPT3_lili
                                        ; -- End function
	.set _ZL20rocblas_gemvt_kernelILb0ELi256EPK16rocblas_bfloat16fKPS0_EviiT2_lPKT1_lilS8_lilS5_lPT3_lili.num_vgpr, 22
	.set _ZL20rocblas_gemvt_kernelILb0ELi256EPK16rocblas_bfloat16fKPS0_EviiT2_lPKT1_lilS8_lilS5_lPT3_lili.num_agpr, 0
	.set _ZL20rocblas_gemvt_kernelILb0ELi256EPK16rocblas_bfloat16fKPS0_EviiT2_lPKT1_lilS8_lilS5_lPT3_lili.numbered_sgpr, 45
	.set _ZL20rocblas_gemvt_kernelILb0ELi256EPK16rocblas_bfloat16fKPS0_EviiT2_lPKT1_lilS8_lilS5_lPT3_lili.num_named_barrier, 0
	.set _ZL20rocblas_gemvt_kernelILb0ELi256EPK16rocblas_bfloat16fKPS0_EviiT2_lPKT1_lilS8_lilS5_lPT3_lili.private_seg_size, 0
	.set _ZL20rocblas_gemvt_kernelILb0ELi256EPK16rocblas_bfloat16fKPS0_EviiT2_lPKT1_lilS8_lilS5_lPT3_lili.uses_vcc, 1
	.set _ZL20rocblas_gemvt_kernelILb0ELi256EPK16rocblas_bfloat16fKPS0_EviiT2_lPKT1_lilS8_lilS5_lPT3_lili.uses_flat_scratch, 0
	.set _ZL20rocblas_gemvt_kernelILb0ELi256EPK16rocblas_bfloat16fKPS0_EviiT2_lPKT1_lilS8_lilS5_lPT3_lili.has_dyn_sized_stack, 0
	.set _ZL20rocblas_gemvt_kernelILb0ELi256EPK16rocblas_bfloat16fKPS0_EviiT2_lPKT1_lilS8_lilS5_lPT3_lili.has_recursion, 0
	.set _ZL20rocblas_gemvt_kernelILb0ELi256EPK16rocblas_bfloat16fKPS0_EviiT2_lPKT1_lilS8_lilS5_lPT3_lili.has_indirect_call, 0
	.section	.AMDGPU.csdata,"",@progbits
; Kernel info:
; codeLenInByte = 2132
; TotalNumSgprs: 47
; NumVgprs: 22
; ScratchSize: 0
; MemoryBound: 0
; FloatMode: 240
; IeeeMode: 1
; LDSByteSize: 1024 bytes/workgroup (compile time only)
; SGPRBlocks: 0
; VGPRBlocks: 1
; NumSGPRsForWavesPerEU: 47
; NumVGPRsForWavesPerEU: 22
; NamedBarCnt: 0
; Occupancy: 16
; WaveLimiterHint : 1
; COMPUTE_PGM_RSRC2:SCRATCH_EN: 0
; COMPUTE_PGM_RSRC2:USER_SGPR: 2
; COMPUTE_PGM_RSRC2:TRAP_HANDLER: 0
; COMPUTE_PGM_RSRC2:TGID_X_EN: 1
; COMPUTE_PGM_RSRC2:TGID_Y_EN: 0
; COMPUTE_PGM_RSRC2:TGID_Z_EN: 1
; COMPUTE_PGM_RSRC2:TIDIG_COMP_CNT: 0
	.section	.text._ZL32rocblas_gemvt_warp_reduce_kernelILb0ELi1024EiPK16rocblas_bfloat16PKfKPS0_EviiT3_lPKT2_lT1_lSA_lSB_lS7_lPT4_lSB_li,"axG",@progbits,_ZL32rocblas_gemvt_warp_reduce_kernelILb0ELi1024EiPK16rocblas_bfloat16PKfKPS0_EviiT3_lPKT2_lT1_lSA_lSB_lS7_lPT4_lSB_li,comdat
	.globl	_ZL32rocblas_gemvt_warp_reduce_kernelILb0ELi1024EiPK16rocblas_bfloat16PKfKPS0_EviiT3_lPKT2_lT1_lSA_lSB_lS7_lPT4_lSB_li ; -- Begin function _ZL32rocblas_gemvt_warp_reduce_kernelILb0ELi1024EiPK16rocblas_bfloat16PKfKPS0_EviiT3_lPKT2_lT1_lSA_lSB_lS7_lPT4_lSB_li
	.p2align	8
	.type	_ZL32rocblas_gemvt_warp_reduce_kernelILb0ELi1024EiPK16rocblas_bfloat16PKfKPS0_EviiT3_lPKT2_lT1_lSA_lSB_lS7_lPT4_lSB_li,@function
_ZL32rocblas_gemvt_warp_reduce_kernelILb0ELi1024EiPK16rocblas_bfloat16PKfKPS0_EviiT3_lPKT2_lT1_lSA_lSB_lS7_lPT4_lSB_li: ; @_ZL32rocblas_gemvt_warp_reduce_kernelILb0ELi1024EiPK16rocblas_bfloat16PKfKPS0_EviiT3_lPKT2_lT1_lSA_lSB_lS7_lPT4_lSB_li
; %bb.0:
	s_load_b32 s7, s[0:1], 0x88
	s_bfe_u32 s2, ttmp6, 0x40014
	s_lshr_b32 s3, ttmp7, 16
	s_add_co_i32 s2, s2, 1
	s_bfe_u32 s5, ttmp6, 0x40008
	s_mul_i32 s4, s3, s2
	s_getreg_b32 s2, hwreg(HW_REG_IB_STS2, 6, 4)
	s_add_co_i32 s5, s5, s4
	s_cmp_eq_u32 s2, 0
	s_mov_b32 s29, 0
	s_cselect_b32 s28, s3, s5
	s_wait_kmcnt 0x0
	s_cmp_ge_u32 s28, s7
	s_cbranch_scc1 .LBB612_63
; %bb.1:
	s_clause 0x6
	s_load_b32 s4, s[0:1], 0x0
	s_load_b256 s[8:15], s[0:1], 0x8
	s_load_b32 s3, s[0:1], 0x28
	s_load_b128 s[24:27], s[0:1], 0x38
	s_load_b32 s5, s[0:1], 0x48
	s_load_b256 s[16:23], s[0:1], 0x58
	s_load_b32 s6, s[0:1], 0x78
	s_wait_xcnt 0x0
	s_bfe_u32 s1, ttmp6, 0x4000c
	s_and_b32 s30, ttmp6, 15
	s_add_co_i32 s1, s1, 1
	v_dual_mov_b32 v3, 0 :: v_dual_bitop2_b32 v2, 31, v0 bitop3:0x40
	s_mul_i32 s1, ttmp9, s1
	v_lshrrev_b32_e32 v4, 3, v0
	s_add_co_i32 s30, s30, s1
	s_cmp_eq_u32 s2, 0
	v_lshlrev_b32_e32 v14, 2, v2
	s_cselect_b32 s31, ttmp9, s30
	v_and_b32_e32 v15, 0x7c, v4
	v_mbcnt_lo_u32_b32 v1, -1, 0
	s_wait_kmcnt 0x0
	s_ashr_i32 s2, s4, 31
	v_cmp_gt_i32_e32 vcc_lo, s4, v0
	s_lshr_b32 s2, s2, 22
	v_cmp_eq_u32_e64 s0, 0, v0
	s_add_co_i32 s2, s4, s2
	v_mul_lo_u32 v16, v0, s5
	s_and_b32 s30, s2, 0xfffffc00
	v_cmp_eq_u32_e64 s2, 0, v2
	v_dual_cndmask_b32 v2, 0, v0, vcc_lo :: v_dual_bitop2_b32 v5, s30, v0 bitop3:0x54
	s_mul_i32 s36, s6, s31
	v_cmp_gt_u32_e64 s1, 32, v0
	s_mul_i32 s34, s3, s31
	v_mul_lo_u32 v4, s5, v5
	v_lshlrev_b32_e32 v2, 1, v2
	v_cmp_gt_i32_e64 s3, s30, v0
	v_cmp_gt_i32_e64 s4, s4, v5
	v_lshl_or_b32 v17, v1, 2, 64
	s_ashr_i32 s37, s36, 31
	s_lshl_b32 s33, s5, 10
	s_lshl_b64 s[14:15], s[14:15], 1
	s_ashr_i32 s35, s34, 31
	s_ashr_i32 s31, s30, 31
	s_lshl_b64 s[26:27], s[26:27], 1
	v_ashrrev_i32_e32 v5, 31, v4
	s_lshl_b64 s[22:23], s[22:23], 1
	s_lshl_b64 s[36:37], s[36:37], 1
	s_branch .LBB612_4
.LBB612_2:                              ;   in Loop: Header=BB612_4 Depth=1
	s_wait_xcnt 0x0
	s_or_b32 exec_lo, exec_lo, s6
.LBB612_3:                              ;   in Loop: Header=BB612_4 Depth=1
	s_add_co_i32 s28, s28, 0x10000
	s_delay_alu instid0(SALU_CYCLE_1)
	s_cmp_lt_u32 s28, s7
	s_cbranch_scc0 .LBB612_63
.LBB612_4:                              ; =>This Loop Header: Depth=1
                                        ;     Child Loop BB612_31 Depth 2
	s_mul_u64 s[38:39], s[10:11], s[28:29]
	s_wait_xcnt 0x0
	s_mul_u64 s[40:41], s[18:19], s[28:29]
	s_lshl_b64 s[38:39], s[38:39], 2
	s_lshl_b64 s[40:41], s[40:41], 2
	s_add_nc_u64 s[38:39], s[8:9], s[38:39]
	s_add_nc_u64 s[40:41], s[16:17], s[40:41]
	s_clause 0x1
	global_load_b32 v18, v3, s[38:39]
	global_load_b32 v6, v3, s[40:41]
	s_wait_loadcnt 0x1
	v_cmp_eq_f32_e64 s5, 0, v18
	s_wait_loadcnt 0x0
	v_cmp_eq_f32_e32 vcc_lo, 1.0, v6
	s_wait_xcnt 0x1
	v_readfirstlane_b32 s38, v6
	s_and_b32 s6, s5, vcc_lo
	s_delay_alu instid0(SALU_CYCLE_1)
	s_and_b32 vcc_lo, exec_lo, s6
	s_cbranch_vccnz .LBB612_3
; %bb.5:                                ;   in Loop: Header=BB612_4 Depth=1
	v_mov_b64_e32 v[8:9], 0
	v_mov_b64_e32 v[10:11], 0
	v_cmp_neq_f32_e64 s6, 0, v18
	s_and_b32 vcc_lo, exec_lo, s5
	s_cbranch_vccnz .LBB612_7
; %bb.6:                                ;   in Loop: Header=BB612_4 Depth=1
	s_wait_xcnt 0x0
	s_lshl_b64 s[40:41], s[28:29], 3
	s_delay_alu instid0(SALU_CYCLE_1)
	s_add_nc_u64 s[40:41], s[12:13], s[40:41]
	global_load_b64 v[6:7], v3, s[40:41]
	s_wait_loadcnt 0x0
	v_add_nc_u64_e32 v[10:11], s[14:15], v[6:7]
.LBB612_7:                              ;   in Loop: Header=BB612_4 Depth=1
	s_and_not1_b32 vcc_lo, exec_lo, s6
	s_cbranch_vccnz .LBB612_9
; %bb.8:                                ;   in Loop: Header=BB612_4 Depth=1
	s_wait_xcnt 0x0
	s_lshl_b64 s[40:41], s[28:29], 3
	s_delay_alu instid0(SALU_CYCLE_1)
	s_add_nc_u64 s[40:41], s[24:25], s[40:41]
	global_load_b64 v[6:7], v3, s[40:41]
	s_wait_loadcnt 0x0
	v_add_nc_u64_e32 v[8:9], s[26:27], v[6:7]
.LBB612_9:                              ;   in Loop: Header=BB612_4 Depth=1
	s_wait_xcnt 0x0
	s_lshl_b64 s[40:41], s[28:29], 3
	s_and_not1_b32 vcc_lo, exec_lo, s5
	s_add_nc_u64 s[40:41], s[20:21], s[40:41]
	global_load_b64 v[6:7], v3, s[40:41]
	s_wait_loadcnt 0x0
	v_add_nc_u64_e32 v[6:7], s[22:23], v[6:7]
	s_cbranch_vccnz .LBB612_17
; %bb.10:                               ;   in Loop: Header=BB612_4 Depth=1
	s_mov_b32 s6, 0
	s_mov_b32 s5, 0
                                        ; implicit-def: $vgpr12
	s_wait_xcnt 0x0
	s_and_saveexec_b32 s39, s0
	s_cbranch_execz .LBB612_18
; %bb.11:                               ;   in Loop: Header=BB612_4 Depth=1
	s_cmp_eq_f32 s38, 0
	s_cbranch_scc1 .LBB612_19
; %bb.12:                               ;   in Loop: Header=BB612_4 Depth=1
	s_wait_dscnt 0x0
	v_add_nc_u64_e32 v[12:13], s[36:37], v[6:7]
	flat_load_u16 v12, v[12:13]
	s_wait_loadcnt_dscnt 0x0
	s_wait_xcnt 0x0
	v_lshlrev_b32_e32 v12, 16, v12
	s_delay_alu instid0(VALU_DEP_1) | instskip(NEXT) | instid1(VALU_DEP_1)
	v_mul_f32_e32 v12, s38, v12
	v_and_b32_e32 v13, 0x7f800000, v12
	s_delay_alu instid0(VALU_DEP_1) | instskip(SKIP_1) | instid1(SALU_CYCLE_1)
	v_cmp_ne_u32_e32 vcc_lo, 0x7f800000, v13
                                        ; implicit-def: $vgpr13
	s_and_saveexec_b32 s5, vcc_lo
	s_xor_b32 s5, exec_lo, s5
; %bb.13:                               ;   in Loop: Header=BB612_4 Depth=1
	v_bfe_u32 v13, v12, 16, 1
	s_delay_alu instid0(VALU_DEP_1)
	v_add3_u32 v13, v12, v13, 0x7fff
                                        ; implicit-def: $vgpr12
; %bb.14:                               ;   in Loop: Header=BB612_4 Depth=1
	s_and_not1_saveexec_b32 s5, s5
; %bb.15:                               ;   in Loop: Header=BB612_4 Depth=1
	v_and_b32_e32 v13, 0xffff, v12
	v_or_b32_e32 v19, 0x10000, v12
	s_delay_alu instid0(VALU_DEP_2) | instskip(NEXT) | instid1(VALU_DEP_2)
	v_cmp_eq_u32_e32 vcc_lo, 0, v13
	v_cndmask_b32_e32 v13, v19, v12, vcc_lo
; %bb.16:                               ;   in Loop: Header=BB612_4 Depth=1
	s_or_b32 exec_lo, exec_lo, s5
	s_delay_alu instid0(VALU_DEP_1) | instskip(SKIP_2) | instid1(SALU_CYCLE_1)
	v_lshrrev_b32_e32 v12, 16, v13
	s_mov_b32 s5, exec_lo
	s_or_b32 exec_lo, exec_lo, s39
	s_and_b32 vcc_lo, exec_lo, s6
	s_cbranch_vccnz .LBB612_20
	s_branch .LBB612_61
.LBB612_17:                             ;   in Loop: Header=BB612_4 Depth=1
	s_mov_b32 s5, 0
                                        ; implicit-def: $vgpr12
	s_cbranch_execnz .LBB612_20
	s_branch .LBB612_61
.LBB612_18:                             ;   in Loop: Header=BB612_4 Depth=1
	s_or_b32 exec_lo, exec_lo, s39
	s_delay_alu instid0(SALU_CYCLE_1)
	s_and_b32 vcc_lo, exec_lo, s6
	s_cbranch_vccnz .LBB612_20
	s_branch .LBB612_61
.LBB612_19:                             ;   in Loop: Header=BB612_4 Depth=1
	v_mov_b32_e32 v12, 0
	s_mov_b32 s5, exec_lo
	s_or_b32 exec_lo, exec_lo, s39
	s_delay_alu instid0(SALU_CYCLE_1)
	s_and_b32 vcc_lo, exec_lo, s6
	s_cbranch_vccz .LBB612_61
.LBB612_20:                             ;   in Loop: Header=BB612_4 Depth=1
	v_add_nc_u64_e32 v[10:11], v[10:11], v[2:3]
	v_mov_b32_e32 v19, 0
	s_delay_alu instid0(VALU_DEP_2)
	v_lshl_add_u64 v[10:11], s[34:35], 1, v[10:11]
	s_wait_xcnt 0x0
	s_and_saveexec_b32 s6, s3
	s_cbranch_execnz .LBB612_29
; %bb.21:                               ;   in Loop: Header=BB612_4 Depth=1
	s_or_b32 exec_lo, exec_lo, s6
	s_and_saveexec_b32 s6, s4
	s_cbranch_execnz .LBB612_44
.LBB612_22:                             ;   in Loop: Header=BB612_4 Depth=1
	s_or_b32 exec_lo, exec_lo, s6
	s_and_saveexec_b32 s6, s1
.LBB612_23:                             ;   in Loop: Header=BB612_4 Depth=1
	ds_store_b32 v14, v3
.LBB612_24:                             ;   in Loop: Header=BB612_4 Depth=1
	s_or_b32 exec_lo, exec_lo, s6
	ds_bpermute_b32 v9, v17, v19
	v_cmp_gt_u32_e32 vcc_lo, 24, v1
	s_wait_dscnt 0x0
	s_barrier_signal -1
	s_barrier_wait -1
	v_cndmask_b32_e64 v8, 0, 8, vcc_lo
	v_cmp_gt_u32_e32 vcc_lo, 28, v1
	s_delay_alu instid0(VALU_DEP_2)
	v_add_lshl_u32 v8, v8, v1, 2
	v_add_f32_e32 v10, v19, v9
	v_cndmask_b32_e64 v9, 0, 4, vcc_lo
	v_cmp_gt_u32_e32 vcc_lo, 30, v1
	ds_bpermute_b32 v11, v8, v10
	v_add_lshl_u32 v9, v9, v1, 2
	s_wait_dscnt 0x0
	v_add_f32_e32 v11, v10, v11
	v_cndmask_b32_e64 v10, 0, 2, vcc_lo
	v_cmp_ne_u32_e32 vcc_lo, 31, v1
	ds_bpermute_b32 v12, v9, v11
	v_add_lshl_u32 v10, v10, v1, 2
	v_add_co_ci_u32_e64 v13, null, 0, v1, vcc_lo
	s_wait_dscnt 0x0
	v_add_f32_e32 v11, v11, v12
	ds_bpermute_b32 v12, v10, v11
	s_wait_dscnt 0x0
	v_dual_add_f32 v12, v11, v12 :: v_dual_lshlrev_b32 v11, 2, v13
	ds_bpermute_b32 v13, v11, v12
	s_and_saveexec_b32 s6, s2
	s_cbranch_execz .LBB612_26
; %bb.25:                               ;   in Loop: Header=BB612_4 Depth=1
	s_wait_dscnt 0x0
	v_add_f32_e32 v12, v12, v13
	ds_store_b32 v15, v12
.LBB612_26:                             ;   in Loop: Header=BB612_4 Depth=1
	s_or_b32 exec_lo, exec_lo, s6
	s_wait_dscnt 0x0
	v_mov_b32_e32 v13, 0
	s_barrier_signal -1
	s_barrier_wait -1
	s_and_saveexec_b32 s6, s1
	s_cbranch_execnz .LBB612_35
; %bb.27:                               ;   in Loop: Header=BB612_4 Depth=1
	s_or_b32 exec_lo, exec_lo, s6
	s_and_saveexec_b32 s6, s1
	s_cbranch_execnz .LBB612_36
.LBB612_28:                             ;   in Loop: Header=BB612_4 Depth=1
	s_or_b32 exec_lo, exec_lo, s6
                                        ; implicit-def: $vgpr12
	s_and_saveexec_b32 s6, s0
	s_cbranch_execnz .LBB612_37
	s_branch .LBB612_60
.LBB612_29:                             ;   in Loop: Header=BB612_4 Depth=1
	s_wait_dscnt 0x0
	v_mov_b64_e32 v[12:13], v[10:11]
	v_dual_mov_b32 v19, 0 :: v_dual_mov_b32 v20, v0
	v_mov_b32_e32 v21, v16
	s_mov_b32 s39, 0
	s_branch .LBB612_31
.LBB612_30:                             ;   in Loop: Header=BB612_31 Depth=2
	s_or_b32 exec_lo, exec_lo, s40
	s_delay_alu instid0(VALU_DEP_1) | instskip(SKIP_2) | instid1(VALU_DEP_3)
	v_and_b32_e32 v22, 0xffff0000, v22
	v_add_nc_u32_e32 v20, 0x400, v20
	v_add_nc_u64_e32 v[12:13], 0x800, v[12:13]
	v_dual_add_nc_u32 v21, s33, v21 :: v_dual_add_f32 v19, v19, v22
	s_delay_alu instid0(VALU_DEP_3) | instskip(SKIP_1) | instid1(SALU_CYCLE_1)
	v_cmp_le_i32_e32 vcc_lo, s30, v20
	s_or_b32 s39, vcc_lo, s39
	s_and_not1_b32 exec_lo, exec_lo, s39
	s_cbranch_execz .LBB612_43
.LBB612_31:                             ;   Parent Loop BB612_4 Depth=1
                                        ; =>  This Inner Loop Header: Depth=2
	v_readfirstlane_b32 s40, v8
	v_readfirstlane_b32 s41, v9
	flat_load_u16 v22, v[12:13]
	flat_load_u16 v23, v21, s[40:41] scale_offset
	s_wait_loadcnt_dscnt 0x0
	v_dual_lshlrev_b32 v22, 16, v22 :: v_dual_lshlrev_b32 v23, 16, v23
	s_delay_alu instid0(VALU_DEP_1) | instskip(NEXT) | instid1(VALU_DEP_1)
	v_mul_f32_e32 v23, v23, v22
	v_and_b32_e32 v22, 0x7f800000, v23
	s_delay_alu instid0(VALU_DEP_1) | instskip(SKIP_2) | instid1(SALU_CYCLE_1)
	v_cmp_ne_u32_e32 vcc_lo, 0x7f800000, v22
                                        ; implicit-def: $vgpr22
	s_wait_xcnt 0x0
	s_and_saveexec_b32 s40, vcc_lo
	s_xor_b32 s40, exec_lo, s40
; %bb.32:                               ;   in Loop: Header=BB612_31 Depth=2
	v_bfe_u32 v22, v23, 16, 1
	s_delay_alu instid0(VALU_DEP_1)
	v_add3_u32 v22, v23, v22, 0x7fff
                                        ; implicit-def: $vgpr23
; %bb.33:                               ;   in Loop: Header=BB612_31 Depth=2
	s_and_not1_saveexec_b32 s40, s40
	s_cbranch_execz .LBB612_30
; %bb.34:                               ;   in Loop: Header=BB612_31 Depth=2
	v_and_b32_e32 v22, 0xffff, v23
	v_or_b32_e32 v24, 0x10000, v23
	s_delay_alu instid0(VALU_DEP_2) | instskip(NEXT) | instid1(VALU_DEP_2)
	v_cmp_eq_u32_e32 vcc_lo, 0, v22
	v_cndmask_b32_e32 v22, v24, v23, vcc_lo
	s_branch .LBB612_30
.LBB612_35:                             ;   in Loop: Header=BB612_4 Depth=1
	ds_load_b32 v13, v14
	s_or_b32 exec_lo, exec_lo, s6
	s_and_saveexec_b32 s6, s1
	s_cbranch_execz .LBB612_28
.LBB612_36:                             ;   in Loop: Header=BB612_4 Depth=1
	s_wait_dscnt 0x0
	ds_bpermute_b32 v12, v17, v13
	s_wait_dscnt 0x0
	v_add_f32_e32 v12, v13, v12
	ds_bpermute_b32 v8, v8, v12
	s_wait_dscnt 0x0
	v_add_f32_e32 v8, v12, v8
	;; [unrolled: 3-line block ×5, first 2 shown]
	s_or_b32 exec_lo, exec_lo, s6
                                        ; implicit-def: $vgpr12
	s_and_saveexec_b32 s6, s0
	s_cbranch_execz .LBB612_60
.LBB612_37:                             ;   in Loop: Header=BB612_4 Depth=1
	s_wait_dscnt 0x0
	v_mul_f32_e32 v8, v18, v13
	s_cmp_eq_f32 s38, 0
	s_cbranch_scc0 .LBB612_49
; %bb.38:                               ;   in Loop: Header=BB612_4 Depth=1
	s_delay_alu instid0(VALU_DEP_1) | instskip(NEXT) | instid1(VALU_DEP_1)
	v_and_b32_e32 v9, 0x7f800000, v8
	v_cmp_ne_u32_e32 vcc_lo, 0x7f800000, v9
                                        ; implicit-def: $vgpr9
	s_and_saveexec_b32 s39, vcc_lo
	s_delay_alu instid0(SALU_CYCLE_1)
	s_xor_b32 s39, exec_lo, s39
; %bb.39:                               ;   in Loop: Header=BB612_4 Depth=1
	v_bfe_u32 v9, v8, 16, 1
	s_delay_alu instid0(VALU_DEP_1)
	v_add3_u32 v9, v8, v9, 0x7fff
; %bb.40:                               ;   in Loop: Header=BB612_4 Depth=1
	s_and_not1_saveexec_b32 s39, s39
; %bb.41:                               ;   in Loop: Header=BB612_4 Depth=1
	v_and_b32_e32 v9, 0xffff, v8
	v_or_b32_e32 v10, 0x10000, v8
	s_delay_alu instid0(VALU_DEP_2) | instskip(NEXT) | instid1(VALU_DEP_2)
	v_cmp_eq_u32_e32 vcc_lo, 0, v9
	v_cndmask_b32_e32 v9, v10, v8, vcc_lo
; %bb.42:                               ;   in Loop: Header=BB612_4 Depth=1
	s_or_b32 exec_lo, exec_lo, s39
	s_cbranch_execz .LBB612_50
	s_branch .LBB612_59
.LBB612_43:                             ;   in Loop: Header=BB612_4 Depth=1
	s_or_b32 exec_lo, exec_lo, s39
	s_delay_alu instid0(SALU_CYCLE_1)
	s_or_b32 exec_lo, exec_lo, s6
	s_and_saveexec_b32 s6, s4
	s_cbranch_execz .LBB612_22
.LBB612_44:                             ;   in Loop: Header=BB612_4 Depth=1
	v_lshl_add_u64 v[10:11], s[30:31], 1, v[10:11]
	v_lshl_add_u64 v[8:9], v[4:5], 1, v[8:9]
	flat_load_u16 v12, v[10:11]
	s_wait_dscnt 0x1
	flat_load_u16 v13, v[8:9]
	s_wait_loadcnt_dscnt 0x0
	s_wait_xcnt 0x0
	v_dual_lshlrev_b32 v8, 16, v12 :: v_dual_lshlrev_b32 v9, 16, v13
	s_delay_alu instid0(VALU_DEP_1) | instskip(NEXT) | instid1(VALU_DEP_1)
	v_mul_f32_e32 v8, v9, v8
	v_and_b32_e32 v9, 0x7f800000, v8
	s_delay_alu instid0(VALU_DEP_1) | instskip(SKIP_1) | instid1(SALU_CYCLE_1)
	v_cmp_ne_u32_e32 vcc_lo, 0x7f800000, v9
                                        ; implicit-def: $vgpr9
	s_and_saveexec_b32 s39, vcc_lo
	s_xor_b32 s39, exec_lo, s39
; %bb.45:                               ;   in Loop: Header=BB612_4 Depth=1
	v_bfe_u32 v9, v8, 16, 1
	s_delay_alu instid0(VALU_DEP_1)
	v_add3_u32 v9, v8, v9, 0x7fff
                                        ; implicit-def: $vgpr8
; %bb.46:                               ;   in Loop: Header=BB612_4 Depth=1
	s_and_not1_saveexec_b32 s39, s39
; %bb.47:                               ;   in Loop: Header=BB612_4 Depth=1
	v_and_b32_e32 v9, 0xffff, v8
	v_or_b32_e32 v10, 0x10000, v8
	s_delay_alu instid0(VALU_DEP_2) | instskip(NEXT) | instid1(VALU_DEP_2)
	v_cmp_eq_u32_e32 vcc_lo, 0, v9
	v_cndmask_b32_e32 v9, v10, v8, vcc_lo
; %bb.48:                               ;   in Loop: Header=BB612_4 Depth=1
	s_or_b32 exec_lo, exec_lo, s39
	s_delay_alu instid0(VALU_DEP_1) | instskip(NEXT) | instid1(VALU_DEP_1)
	v_and_b32_e32 v8, 0xffff0000, v9
	v_add_f32_e32 v19, v19, v8
	s_or_b32 exec_lo, exec_lo, s6
	s_and_saveexec_b32 s6, s1
	s_cbranch_execnz .LBB612_23
	s_branch .LBB612_24
.LBB612_49:                             ;   in Loop: Header=BB612_4 Depth=1
                                        ; implicit-def: $vgpr9
.LBB612_50:                             ;   in Loop: Header=BB612_4 Depth=1
	v_add_nc_u64_e32 v[10:11], s[36:37], v[6:7]
	flat_load_u16 v9, v[10:11]
	s_wait_loadcnt_dscnt 0x0
	v_lshlrev_b32_e32 v9, 16, v9
	s_delay_alu instid0(VALU_DEP_1) | instskip(SKIP_1) | instid1(VALU_DEP_1)
	v_mul_f32_e32 v9, s38, v9
	s_wait_xcnt 0x0
	v_and_b32_e32 v10, 0x7f800000, v9
	s_delay_alu instid0(VALU_DEP_1) | instskip(SKIP_1) | instid1(SALU_CYCLE_1)
	v_cmp_ne_u32_e32 vcc_lo, 0x7f800000, v10
                                        ; implicit-def: $vgpr10
	s_and_saveexec_b32 s38, vcc_lo
	s_xor_b32 s38, exec_lo, s38
; %bb.51:                               ;   in Loop: Header=BB612_4 Depth=1
	v_bfe_u32 v10, v9, 16, 1
	s_delay_alu instid0(VALU_DEP_1)
	v_add3_u32 v10, v9, v10, 0x7fff
                                        ; implicit-def: $vgpr9
; %bb.52:                               ;   in Loop: Header=BB612_4 Depth=1
	s_and_not1_saveexec_b32 s38, s38
; %bb.53:                               ;   in Loop: Header=BB612_4 Depth=1
	v_and_b32_e32 v10, 0xffff, v9
	v_or_b32_e32 v11, 0x10000, v9
	s_delay_alu instid0(VALU_DEP_2) | instskip(NEXT) | instid1(VALU_DEP_2)
	v_cmp_eq_u32_e32 vcc_lo, 0, v10
	v_cndmask_b32_e32 v10, v11, v9, vcc_lo
; %bb.54:                               ;   in Loop: Header=BB612_4 Depth=1
	s_or_b32 exec_lo, exec_lo, s38
	s_delay_alu instid0(VALU_DEP_1) | instskip(NEXT) | instid1(VALU_DEP_1)
	v_and_b32_e32 v9, 0xffff0000, v10
	v_add_f32_e32 v8, v8, v9
	s_delay_alu instid0(VALU_DEP_1) | instskip(NEXT) | instid1(VALU_DEP_1)
	v_and_b32_e32 v9, 0x7f800000, v8
	v_cmp_ne_u32_e32 vcc_lo, 0x7f800000, v9
                                        ; implicit-def: $vgpr9
	s_and_saveexec_b32 s38, vcc_lo
	s_delay_alu instid0(SALU_CYCLE_1)
	s_xor_b32 s38, exec_lo, s38
; %bb.55:                               ;   in Loop: Header=BB612_4 Depth=1
	v_bfe_u32 v9, v8, 16, 1
	s_delay_alu instid0(VALU_DEP_1)
	v_add3_u32 v9, v8, v9, 0x7fff
                                        ; implicit-def: $vgpr8
; %bb.56:                               ;   in Loop: Header=BB612_4 Depth=1
	s_and_not1_saveexec_b32 s38, s38
; %bb.57:                               ;   in Loop: Header=BB612_4 Depth=1
	v_and_b32_e32 v9, 0xffff, v8
	v_or_b32_e32 v10, 0x10000, v8
	s_delay_alu instid0(VALU_DEP_2) | instskip(NEXT) | instid1(VALU_DEP_2)
	v_cmp_eq_u32_e32 vcc_lo, 0, v9
	v_cndmask_b32_e32 v9, v10, v8, vcc_lo
; %bb.58:                               ;   in Loop: Header=BB612_4 Depth=1
	s_or_b32 exec_lo, exec_lo, s38
.LBB612_59:                             ;   in Loop: Header=BB612_4 Depth=1
	s_delay_alu instid0(VALU_DEP_1)
	v_lshrrev_b32_e32 v12, 16, v9
	s_or_b32 s5, s5, exec_lo
.LBB612_60:                             ;   in Loop: Header=BB612_4 Depth=1
	s_or_b32 exec_lo, exec_lo, s6
.LBB612_61:                             ;   in Loop: Header=BB612_4 Depth=1
	s_wait_xcnt 0x0
	s_and_saveexec_b32 s6, s5
	s_cbranch_execz .LBB612_2
; %bb.62:                               ;   in Loop: Header=BB612_4 Depth=1
	v_add_nc_u64_e32 v[6:7], s[36:37], v[6:7]
	flat_store_b16 v[6:7], v12
	s_branch .LBB612_2
.LBB612_63:
	s_endpgm
	.section	.rodata,"a",@progbits
	.p2align	6, 0x0
	.amdhsa_kernel _ZL32rocblas_gemvt_warp_reduce_kernelILb0ELi1024EiPK16rocblas_bfloat16PKfKPS0_EviiT3_lPKT2_lT1_lSA_lSB_lS7_lPT4_lSB_li
		.amdhsa_group_segment_fixed_size 128
		.amdhsa_private_segment_fixed_size 0
		.amdhsa_kernarg_size 140
		.amdhsa_user_sgpr_count 2
		.amdhsa_user_sgpr_dispatch_ptr 0
		.amdhsa_user_sgpr_queue_ptr 0
		.amdhsa_user_sgpr_kernarg_segment_ptr 1
		.amdhsa_user_sgpr_dispatch_id 0
		.amdhsa_user_sgpr_kernarg_preload_length 0
		.amdhsa_user_sgpr_kernarg_preload_offset 0
		.amdhsa_user_sgpr_private_segment_size 0
		.amdhsa_wavefront_size32 1
		.amdhsa_uses_dynamic_stack 0
		.amdhsa_enable_private_segment 0
		.amdhsa_system_sgpr_workgroup_id_x 1
		.amdhsa_system_sgpr_workgroup_id_y 0
		.amdhsa_system_sgpr_workgroup_id_z 1
		.amdhsa_system_sgpr_workgroup_info 0
		.amdhsa_system_vgpr_workitem_id 0
		.amdhsa_next_free_vgpr 25
		.amdhsa_next_free_sgpr 42
		.amdhsa_named_barrier_count 0
		.amdhsa_reserve_vcc 1
		.amdhsa_float_round_mode_32 0
		.amdhsa_float_round_mode_16_64 0
		.amdhsa_float_denorm_mode_32 3
		.amdhsa_float_denorm_mode_16_64 3
		.amdhsa_fp16_overflow 0
		.amdhsa_memory_ordered 1
		.amdhsa_forward_progress 1
		.amdhsa_inst_pref_size 17
		.amdhsa_round_robin_scheduling 0
		.amdhsa_exception_fp_ieee_invalid_op 0
		.amdhsa_exception_fp_denorm_src 0
		.amdhsa_exception_fp_ieee_div_zero 0
		.amdhsa_exception_fp_ieee_overflow 0
		.amdhsa_exception_fp_ieee_underflow 0
		.amdhsa_exception_fp_ieee_inexact 0
		.amdhsa_exception_int_div_zero 0
	.end_amdhsa_kernel
	.section	.text._ZL32rocblas_gemvt_warp_reduce_kernelILb0ELi1024EiPK16rocblas_bfloat16PKfKPS0_EviiT3_lPKT2_lT1_lSA_lSB_lS7_lPT4_lSB_li,"axG",@progbits,_ZL32rocblas_gemvt_warp_reduce_kernelILb0ELi1024EiPK16rocblas_bfloat16PKfKPS0_EviiT3_lPKT2_lT1_lSA_lSB_lS7_lPT4_lSB_li,comdat
.Lfunc_end612:
	.size	_ZL32rocblas_gemvt_warp_reduce_kernelILb0ELi1024EiPK16rocblas_bfloat16PKfKPS0_EviiT3_lPKT2_lT1_lSA_lSB_lS7_lPT4_lSB_li, .Lfunc_end612-_ZL32rocblas_gemvt_warp_reduce_kernelILb0ELi1024EiPK16rocblas_bfloat16PKfKPS0_EviiT3_lPKT2_lT1_lSA_lSB_lS7_lPT4_lSB_li
                                        ; -- End function
	.set _ZL32rocblas_gemvt_warp_reduce_kernelILb0ELi1024EiPK16rocblas_bfloat16PKfKPS0_EviiT3_lPKT2_lT1_lSA_lSB_lS7_lPT4_lSB_li.num_vgpr, 25
	.set _ZL32rocblas_gemvt_warp_reduce_kernelILb0ELi1024EiPK16rocblas_bfloat16PKfKPS0_EviiT3_lPKT2_lT1_lSA_lSB_lS7_lPT4_lSB_li.num_agpr, 0
	.set _ZL32rocblas_gemvt_warp_reduce_kernelILb0ELi1024EiPK16rocblas_bfloat16PKfKPS0_EviiT3_lPKT2_lT1_lSA_lSB_lS7_lPT4_lSB_li.numbered_sgpr, 42
	.set _ZL32rocblas_gemvt_warp_reduce_kernelILb0ELi1024EiPK16rocblas_bfloat16PKfKPS0_EviiT3_lPKT2_lT1_lSA_lSB_lS7_lPT4_lSB_li.num_named_barrier, 0
	.set _ZL32rocblas_gemvt_warp_reduce_kernelILb0ELi1024EiPK16rocblas_bfloat16PKfKPS0_EviiT3_lPKT2_lT1_lSA_lSB_lS7_lPT4_lSB_li.private_seg_size, 0
	.set _ZL32rocblas_gemvt_warp_reduce_kernelILb0ELi1024EiPK16rocblas_bfloat16PKfKPS0_EviiT3_lPKT2_lT1_lSA_lSB_lS7_lPT4_lSB_li.uses_vcc, 1
	.set _ZL32rocblas_gemvt_warp_reduce_kernelILb0ELi1024EiPK16rocblas_bfloat16PKfKPS0_EviiT3_lPKT2_lT1_lSA_lSB_lS7_lPT4_lSB_li.uses_flat_scratch, 0
	.set _ZL32rocblas_gemvt_warp_reduce_kernelILb0ELi1024EiPK16rocblas_bfloat16PKfKPS0_EviiT3_lPKT2_lT1_lSA_lSB_lS7_lPT4_lSB_li.has_dyn_sized_stack, 0
	.set _ZL32rocblas_gemvt_warp_reduce_kernelILb0ELi1024EiPK16rocblas_bfloat16PKfKPS0_EviiT3_lPKT2_lT1_lSA_lSB_lS7_lPT4_lSB_li.has_recursion, 0
	.set _ZL32rocblas_gemvt_warp_reduce_kernelILb0ELi1024EiPK16rocblas_bfloat16PKfKPS0_EviiT3_lPKT2_lT1_lSA_lSB_lS7_lPT4_lSB_li.has_indirect_call, 0
	.section	.AMDGPU.csdata,"",@progbits
; Kernel info:
; codeLenInByte = 2144
; TotalNumSgprs: 44
; NumVgprs: 25
; ScratchSize: 0
; MemoryBound: 0
; FloatMode: 240
; IeeeMode: 1
; LDSByteSize: 128 bytes/workgroup (compile time only)
; SGPRBlocks: 0
; VGPRBlocks: 1
; NumSGPRsForWavesPerEU: 44
; NumVGPRsForWavesPerEU: 25
; NamedBarCnt: 0
; Occupancy: 16
; WaveLimiterHint : 1
; COMPUTE_PGM_RSRC2:SCRATCH_EN: 0
; COMPUTE_PGM_RSRC2:USER_SGPR: 2
; COMPUTE_PGM_RSRC2:TRAP_HANDLER: 0
; COMPUTE_PGM_RSRC2:TGID_X_EN: 1
; COMPUTE_PGM_RSRC2:TGID_Y_EN: 0
; COMPUTE_PGM_RSRC2:TGID_Z_EN: 1
; COMPUTE_PGM_RSRC2:TIDIG_COMP_CNT: 0
	.section	.text._ZL32rocblas_gemvt_warp_reduce_kernelILb0ELi1024ElPK16rocblas_bfloat16PKfKPS0_EviiT3_lPKT2_lT1_lSA_lSB_lS7_lPT4_lSB_li,"axG",@progbits,_ZL32rocblas_gemvt_warp_reduce_kernelILb0ELi1024ElPK16rocblas_bfloat16PKfKPS0_EviiT3_lPKT2_lT1_lSA_lSB_lS7_lPT4_lSB_li,comdat
	.globl	_ZL32rocblas_gemvt_warp_reduce_kernelILb0ELi1024ElPK16rocblas_bfloat16PKfKPS0_EviiT3_lPKT2_lT1_lSA_lSB_lS7_lPT4_lSB_li ; -- Begin function _ZL32rocblas_gemvt_warp_reduce_kernelILb0ELi1024ElPK16rocblas_bfloat16PKfKPS0_EviiT3_lPKT2_lT1_lSA_lSB_lS7_lPT4_lSB_li
	.p2align	8
	.type	_ZL32rocblas_gemvt_warp_reduce_kernelILb0ELi1024ElPK16rocblas_bfloat16PKfKPS0_EviiT3_lPKT2_lT1_lSA_lSB_lS7_lPT4_lSB_li,@function
_ZL32rocblas_gemvt_warp_reduce_kernelILb0ELi1024ElPK16rocblas_bfloat16PKfKPS0_EviiT3_lPKT2_lT1_lSA_lSB_lS7_lPT4_lSB_li: ; @_ZL32rocblas_gemvt_warp_reduce_kernelILb0ELi1024ElPK16rocblas_bfloat16PKfKPS0_EviiT3_lPKT2_lT1_lSA_lSB_lS7_lPT4_lSB_li
; %bb.0:
	s_load_b32 s7, s[0:1], 0x88
	s_bfe_u32 s2, ttmp6, 0x40014
	s_lshr_b32 s3, ttmp7, 16
	s_add_co_i32 s2, s2, 1
	s_bfe_u32 s5, ttmp6, 0x40008
	s_mul_i32 s4, s3, s2
	s_getreg_b32 s2, hwreg(HW_REG_IB_STS2, 6, 4)
	s_add_co_i32 s5, s5, s4
	s_cmp_eq_u32 s2, 0
	s_mov_b32 s29, 0
	s_cselect_b32 s28, s3, s5
	s_wait_kmcnt 0x0
	s_cmp_ge_u32 s28, s7
	s_cbranch_scc1 .LBB613_63
; %bb.1:
	s_clause 0x1
	s_load_b32 s6, s[0:1], 0x0
	s_load_b64 s[36:37], s[0:1], 0x48
	s_bfe_u32 s3, ttmp6, 0x4000c
	s_and_b32 s4, ttmp6, 15
	s_add_co_i32 s3, s3, 1
	s_clause 0x2
	s_load_b256 s[8:15], s[0:1], 0x8
	s_load_b128 s[24:27], s[0:1], 0x38
	s_load_b256 s[16:23], s[0:1], 0x58
	s_mul_i32 s3, ttmp9, s3
	v_mbcnt_lo_u32_b32 v19, -1, 0
	s_add_co_i32 s4, s4, s3
	s_cmp_eq_u32 s2, 0
	s_load_b64 s[34:35], s[0:1], 0x28
	s_cselect_b32 s2, ttmp9, s4
	s_load_b64 s[4:5], s[0:1], 0x78
	s_wait_xcnt 0x0
	v_cmp_eq_u32_e64 s0, 0, v0
	v_lshl_or_b32 v20, v19, 2, 64
	s_wait_kmcnt 0x0
	s_ashr_i32 s3, s6, 31
	v_cmp_gt_i32_e32 vcc_lo, s6, v0
	s_lshr_b32 s3, s3, 22
	s_lshl_b64 s[14:15], s[14:15], 1
	s_add_co_i32 s3, s6, s3
	s_lshl_b64 s[26:27], s[26:27], 1
	s_and_b32 s30, s3, 0xfffffc00
	s_delay_alu instid0(SALU_CYCLE_1) | instskip(SKIP_3) | instid1(VALU_DEP_2)
	v_dual_mov_b32 v3, 0 :: v_dual_bitop2_b32 v6, s30, v0 bitop3:0x54
	s_ashr_i32 s3, s2, 31
	v_cndmask_b32_e32 v2, 0, v0, vcc_lo
	s_mul_u64 s[34:35], s[34:35], s[2:3]
	v_dual_mov_b32 v1, v3 :: v_dual_ashrrev_i32 v7, 31, v6
	s_mul_u64 s[38:39], s[4:5], s[2:3]
	v_cmp_gt_i32_e64 s2, s6, v6
	v_cmp_gt_i32_e64 s1, s30, v0
	s_delay_alu instid0(VALU_DEP_3)
	v_mul_u64_e32 v[8:9], s[36:37], v[0:1]
	v_mul_u64_e32 v[4:5], s[36:37], v[6:7]
	v_dual_lshrrev_b32 v6, 3, v0 :: v_dual_bitop2_b32 v7, 31, v0 bitop3:0x40
	v_cmp_gt_u32_e64 s3, 32, v0
	v_lshlrev_b32_e32 v2, 1, v2
	s_ashr_i32 s31, s30, 31
	v_lshlrev_b32_e32 v1, 2, v7
	v_cmp_eq_u32_e64 s4, 0, v7
	v_and_b32_e32 v18, 0x7c, v6
	s_lshl_b64 s[36:37], s[36:37], 11
	s_lshl_b64 s[22:23], s[22:23], 1
	;; [unrolled: 1-line block ×3, first 2 shown]
	v_lshlrev_b64_e32 v[6:7], 1, v[8:9]
	s_branch .LBB613_4
.LBB613_2:                              ;   in Loop: Header=BB613_4 Depth=1
	s_wait_xcnt 0x0
	s_or_b32 exec_lo, exec_lo, s6
.LBB613_3:                              ;   in Loop: Header=BB613_4 Depth=1
	s_add_co_i32 s28, s28, 0x10000
	s_delay_alu instid0(SALU_CYCLE_1)
	s_cmp_lt_u32 s28, s7
	s_cbranch_scc0 .LBB613_63
.LBB613_4:                              ; =>This Loop Header: Depth=1
                                        ;     Child Loop BB613_31 Depth 2
	s_wait_xcnt 0x1
	s_mul_u64 s[40:41], s[10:11], s[28:29]
	s_wait_xcnt 0x0
	s_mul_u64 s[42:43], s[18:19], s[28:29]
	s_lshl_b64 s[40:41], s[40:41], 2
	s_lshl_b64 s[42:43], s[42:43], 2
	s_add_nc_u64 s[40:41], s[8:9], s[40:41]
	s_add_nc_u64 s[42:43], s[16:17], s[42:43]
	s_clause 0x1
	global_load_b32 v21, v3, s[40:41]
	global_load_b32 v8, v3, s[42:43]
	s_wait_loadcnt 0x1
	v_cmp_eq_f32_e64 s5, 0, v21
	s_wait_loadcnt 0x0
	v_cmp_eq_f32_e32 vcc_lo, 1.0, v8
	v_readfirstlane_b32 s33, v8
	s_and_b32 s6, s5, vcc_lo
	s_delay_alu instid0(SALU_CYCLE_1)
	s_and_b32 vcc_lo, exec_lo, s6
	s_cbranch_vccnz .LBB613_3
; %bb.5:                                ;   in Loop: Header=BB613_4 Depth=1
	v_mov_b64_e32 v[10:11], 0
	v_mov_b64_e32 v[12:13], 0
	v_cmp_neq_f32_e64 s6, 0, v21
	s_and_b32 vcc_lo, exec_lo, s5
	s_cbranch_vccnz .LBB613_7
; %bb.6:                                ;   in Loop: Header=BB613_4 Depth=1
	s_wait_xcnt 0x1
	s_lshl_b64 s[40:41], s[28:29], 3
	s_delay_alu instid0(SALU_CYCLE_1)
	s_add_nc_u64 s[40:41], s[12:13], s[40:41]
	global_load_b64 v[8:9], v3, s[40:41]
	s_wait_loadcnt 0x0
	v_add_nc_u64_e32 v[12:13], s[14:15], v[8:9]
.LBB613_7:                              ;   in Loop: Header=BB613_4 Depth=1
	s_and_not1_b32 vcc_lo, exec_lo, s6
	s_cbranch_vccnz .LBB613_9
; %bb.8:                                ;   in Loop: Header=BB613_4 Depth=1
	s_wait_xcnt 0x0
	s_lshl_b64 s[40:41], s[28:29], 3
	s_delay_alu instid0(SALU_CYCLE_1)
	s_add_nc_u64 s[40:41], s[24:25], s[40:41]
	global_load_b64 v[8:9], v3, s[40:41]
	s_wait_loadcnt 0x0
	v_add_nc_u64_e32 v[10:11], s[26:27], v[8:9]
.LBB613_9:                              ;   in Loop: Header=BB613_4 Depth=1
	s_wait_xcnt 0x0
	s_lshl_b64 s[40:41], s[28:29], 3
	s_and_not1_b32 vcc_lo, exec_lo, s5
	s_add_nc_u64 s[40:41], s[20:21], s[40:41]
	global_load_b64 v[8:9], v3, s[40:41]
	s_wait_loadcnt 0x0
	v_add_nc_u64_e32 v[8:9], s[22:23], v[8:9]
	s_cbranch_vccnz .LBB613_17
; %bb.10:                               ;   in Loop: Header=BB613_4 Depth=1
	s_mov_b32 s6, 0
	s_mov_b32 s5, 0
                                        ; implicit-def: $vgpr14
	s_wait_xcnt 0x0
	s_and_saveexec_b32 s40, s0
	s_cbranch_execz .LBB613_18
; %bb.11:                               ;   in Loop: Header=BB613_4 Depth=1
	s_cmp_eq_f32 s33, 0
	s_cbranch_scc1 .LBB613_19
; %bb.12:                               ;   in Loop: Header=BB613_4 Depth=1
	s_wait_dscnt 0x0
	v_add_nc_u64_e32 v[14:15], s[38:39], v[8:9]
	flat_load_u16 v14, v[14:15]
	s_wait_loadcnt_dscnt 0x0
	s_wait_xcnt 0x0
	v_lshlrev_b32_e32 v14, 16, v14
	s_delay_alu instid0(VALU_DEP_1) | instskip(NEXT) | instid1(VALU_DEP_1)
	v_mul_f32_e32 v14, s33, v14
	v_and_b32_e32 v15, 0x7f800000, v14
	s_delay_alu instid0(VALU_DEP_1) | instskip(SKIP_1) | instid1(SALU_CYCLE_1)
	v_cmp_ne_u32_e32 vcc_lo, 0x7f800000, v15
                                        ; implicit-def: $vgpr15
	s_and_saveexec_b32 s5, vcc_lo
	s_xor_b32 s5, exec_lo, s5
; %bb.13:                               ;   in Loop: Header=BB613_4 Depth=1
	v_bfe_u32 v15, v14, 16, 1
	s_delay_alu instid0(VALU_DEP_1)
	v_add3_u32 v15, v14, v15, 0x7fff
                                        ; implicit-def: $vgpr14
; %bb.14:                               ;   in Loop: Header=BB613_4 Depth=1
	s_and_not1_saveexec_b32 s5, s5
; %bb.15:                               ;   in Loop: Header=BB613_4 Depth=1
	v_and_b32_e32 v15, 0xffff, v14
	v_or_b32_e32 v16, 0x10000, v14
	s_delay_alu instid0(VALU_DEP_2) | instskip(NEXT) | instid1(VALU_DEP_2)
	v_cmp_eq_u32_e32 vcc_lo, 0, v15
	v_cndmask_b32_e32 v15, v16, v14, vcc_lo
; %bb.16:                               ;   in Loop: Header=BB613_4 Depth=1
	s_or_b32 exec_lo, exec_lo, s5
	s_delay_alu instid0(VALU_DEP_1) | instskip(SKIP_2) | instid1(SALU_CYCLE_1)
	v_lshrrev_b32_e32 v14, 16, v15
	s_mov_b32 s5, exec_lo
	s_or_b32 exec_lo, exec_lo, s40
	s_and_b32 vcc_lo, exec_lo, s6
	s_cbranch_vccnz .LBB613_20
	s_branch .LBB613_61
.LBB613_17:                             ;   in Loop: Header=BB613_4 Depth=1
	s_mov_b32 s5, 0
                                        ; implicit-def: $vgpr14
	s_cbranch_execnz .LBB613_20
	s_branch .LBB613_61
.LBB613_18:                             ;   in Loop: Header=BB613_4 Depth=1
	s_or_b32 exec_lo, exec_lo, s40
	s_delay_alu instid0(SALU_CYCLE_1)
	s_and_b32 vcc_lo, exec_lo, s6
	s_cbranch_vccnz .LBB613_20
	s_branch .LBB613_61
.LBB613_19:                             ;   in Loop: Header=BB613_4 Depth=1
	v_mov_b32_e32 v14, 0
	s_mov_b32 s5, exec_lo
	s_or_b32 exec_lo, exec_lo, s40
	s_delay_alu instid0(SALU_CYCLE_1)
	s_and_b32 vcc_lo, exec_lo, s6
	s_cbranch_vccz .LBB613_61
.LBB613_20:                             ;   in Loop: Header=BB613_4 Depth=1
	v_add_nc_u64_e32 v[12:13], v[12:13], v[2:3]
	v_mov_b32_e32 v22, 0
	s_delay_alu instid0(VALU_DEP_2)
	v_lshl_add_u64 v[12:13], s[34:35], 1, v[12:13]
	s_wait_xcnt 0x0
	s_and_saveexec_b32 s6, s1
	s_cbranch_execnz .LBB613_29
; %bb.21:                               ;   in Loop: Header=BB613_4 Depth=1
	s_or_b32 exec_lo, exec_lo, s6
	s_and_saveexec_b32 s6, s2
	s_cbranch_execnz .LBB613_44
.LBB613_22:                             ;   in Loop: Header=BB613_4 Depth=1
	s_or_b32 exec_lo, exec_lo, s6
	s_and_saveexec_b32 s6, s3
.LBB613_23:                             ;   in Loop: Header=BB613_4 Depth=1
	ds_store_b32 v1, v3
.LBB613_24:                             ;   in Loop: Header=BB613_4 Depth=1
	s_or_b32 exec_lo, exec_lo, s6
	ds_bpermute_b32 v11, v20, v22
	v_cmp_gt_u32_e32 vcc_lo, 24, v19
	s_wait_dscnt 0x0
	s_barrier_signal -1
	s_barrier_wait -1
	v_cndmask_b32_e64 v10, 0, 8, vcc_lo
	v_cmp_gt_u32_e32 vcc_lo, 28, v19
	s_delay_alu instid0(VALU_DEP_2)
	v_add_lshl_u32 v10, v10, v19, 2
	v_add_f32_e32 v12, v22, v11
	v_cndmask_b32_e64 v11, 0, 4, vcc_lo
	v_cmp_gt_u32_e32 vcc_lo, 30, v19
	ds_bpermute_b32 v13, v10, v12
	v_add_lshl_u32 v11, v11, v19, 2
	s_wait_dscnt 0x0
	v_add_f32_e32 v13, v12, v13
	v_cndmask_b32_e64 v12, 0, 2, vcc_lo
	v_cmp_ne_u32_e32 vcc_lo, 31, v19
	ds_bpermute_b32 v14, v11, v13
	v_add_lshl_u32 v12, v12, v19, 2
	v_add_co_ci_u32_e64 v15, null, 0, v19, vcc_lo
	s_wait_dscnt 0x0
	v_add_f32_e32 v13, v13, v14
	ds_bpermute_b32 v14, v12, v13
	s_wait_dscnt 0x0
	v_dual_add_f32 v14, v13, v14 :: v_dual_lshlrev_b32 v13, 2, v15
	ds_bpermute_b32 v15, v13, v14
	s_and_saveexec_b32 s6, s4
	s_cbranch_execz .LBB613_26
; %bb.25:                               ;   in Loop: Header=BB613_4 Depth=1
	s_wait_dscnt 0x0
	v_add_f32_e32 v14, v14, v15
	ds_store_b32 v18, v14
.LBB613_26:                             ;   in Loop: Header=BB613_4 Depth=1
	s_or_b32 exec_lo, exec_lo, s6
	s_wait_dscnt 0x0
	v_mov_b32_e32 v15, 0
	s_barrier_signal -1
	s_barrier_wait -1
	s_and_saveexec_b32 s6, s3
	s_cbranch_execnz .LBB613_35
; %bb.27:                               ;   in Loop: Header=BB613_4 Depth=1
	s_or_b32 exec_lo, exec_lo, s6
	s_and_saveexec_b32 s6, s3
	s_cbranch_execnz .LBB613_36
.LBB613_28:                             ;   in Loop: Header=BB613_4 Depth=1
	s_or_b32 exec_lo, exec_lo, s6
                                        ; implicit-def: $vgpr14
	s_and_saveexec_b32 s6, s0
	s_cbranch_execnz .LBB613_37
	s_branch .LBB613_60
.LBB613_29:                             ;   in Loop: Header=BB613_4 Depth=1
	s_wait_dscnt 0x0
	v_add_nc_u64_e32 v[14:15], v[10:11], v[6:7]
	v_mov_b64_e32 v[16:17], v[12:13]
	v_dual_mov_b32 v22, 0 :: v_dual_mov_b32 v23, v0
	s_mov_b32 s40, 0
	s_branch .LBB613_31
.LBB613_30:                             ;   in Loop: Header=BB613_31 Depth=2
	s_or_b32 exec_lo, exec_lo, s41
	s_delay_alu instid0(VALU_DEP_1) | instskip(SKIP_3) | instid1(VALU_DEP_4)
	v_and_b32_e32 v24, 0xffff0000, v25
	v_add_nc_u32_e32 v23, 0x400, v23
	v_add_nc_u64_e32 v[16:17], 0x800, v[16:17]
	v_add_nc_u64_e32 v[14:15], s[36:37], v[14:15]
	v_add_f32_e32 v22, v22, v24
	s_delay_alu instid0(VALU_DEP_4) | instskip(SKIP_1) | instid1(SALU_CYCLE_1)
	v_cmp_le_i32_e32 vcc_lo, s30, v23
	s_or_b32 s40, vcc_lo, s40
	s_and_not1_b32 exec_lo, exec_lo, s40
	s_cbranch_execz .LBB613_43
.LBB613_31:                             ;   Parent Loop BB613_4 Depth=1
                                        ; =>  This Inner Loop Header: Depth=2
	flat_load_u16 v24, v[16:17]
	flat_load_u16 v25, v[14:15]
	s_wait_loadcnt_dscnt 0x0
	v_dual_lshlrev_b32 v24, 16, v24 :: v_dual_lshlrev_b32 v25, 16, v25
	s_delay_alu instid0(VALU_DEP_1) | instskip(NEXT) | instid1(VALU_DEP_1)
	v_mul_f32_e32 v24, v25, v24
	v_and_b32_e32 v25, 0x7f800000, v24
	s_delay_alu instid0(VALU_DEP_1) | instskip(SKIP_2) | instid1(SALU_CYCLE_1)
	v_cmp_ne_u32_e32 vcc_lo, 0x7f800000, v25
                                        ; implicit-def: $vgpr25
	s_wait_xcnt 0x0
	s_and_saveexec_b32 s41, vcc_lo
	s_xor_b32 s41, exec_lo, s41
; %bb.32:                               ;   in Loop: Header=BB613_31 Depth=2
	v_bfe_u32 v25, v24, 16, 1
	s_delay_alu instid0(VALU_DEP_1)
	v_add3_u32 v25, v24, v25, 0x7fff
                                        ; implicit-def: $vgpr24
; %bb.33:                               ;   in Loop: Header=BB613_31 Depth=2
	s_and_not1_saveexec_b32 s41, s41
	s_cbranch_execz .LBB613_30
; %bb.34:                               ;   in Loop: Header=BB613_31 Depth=2
	v_and_b32_e32 v25, 0xffff, v24
	v_or_b32_e32 v26, 0x10000, v24
	s_delay_alu instid0(VALU_DEP_2) | instskip(NEXT) | instid1(VALU_DEP_2)
	v_cmp_eq_u32_e32 vcc_lo, 0, v25
	v_cndmask_b32_e32 v25, v26, v24, vcc_lo
	s_branch .LBB613_30
.LBB613_35:                             ;   in Loop: Header=BB613_4 Depth=1
	ds_load_b32 v15, v1
	s_or_b32 exec_lo, exec_lo, s6
	s_and_saveexec_b32 s6, s3
	s_cbranch_execz .LBB613_28
.LBB613_36:                             ;   in Loop: Header=BB613_4 Depth=1
	s_wait_dscnt 0x0
	ds_bpermute_b32 v14, v20, v15
	s_wait_dscnt 0x0
	v_add_f32_e32 v14, v15, v14
	ds_bpermute_b32 v10, v10, v14
	s_wait_dscnt 0x0
	v_add_f32_e32 v10, v14, v10
	;; [unrolled: 3-line block ×5, first 2 shown]
	s_or_b32 exec_lo, exec_lo, s6
                                        ; implicit-def: $vgpr14
	s_and_saveexec_b32 s6, s0
	s_cbranch_execz .LBB613_60
.LBB613_37:                             ;   in Loop: Header=BB613_4 Depth=1
	s_wait_dscnt 0x0
	v_mul_f32_e32 v10, v21, v15
	s_cmp_eq_f32 s33, 0
	s_cbranch_scc0 .LBB613_49
; %bb.38:                               ;   in Loop: Header=BB613_4 Depth=1
	s_delay_alu instid0(VALU_DEP_1) | instskip(NEXT) | instid1(VALU_DEP_1)
	v_and_b32_e32 v11, 0x7f800000, v10
	v_cmp_ne_u32_e32 vcc_lo, 0x7f800000, v11
                                        ; implicit-def: $vgpr11
	s_and_saveexec_b32 s40, vcc_lo
	s_delay_alu instid0(SALU_CYCLE_1)
	s_xor_b32 s40, exec_lo, s40
; %bb.39:                               ;   in Loop: Header=BB613_4 Depth=1
	v_bfe_u32 v11, v10, 16, 1
	s_delay_alu instid0(VALU_DEP_1)
	v_add3_u32 v11, v10, v11, 0x7fff
; %bb.40:                               ;   in Loop: Header=BB613_4 Depth=1
	s_and_not1_saveexec_b32 s40, s40
; %bb.41:                               ;   in Loop: Header=BB613_4 Depth=1
	v_and_b32_e32 v11, 0xffff, v10
	v_or_b32_e32 v12, 0x10000, v10
	s_delay_alu instid0(VALU_DEP_2) | instskip(NEXT) | instid1(VALU_DEP_2)
	v_cmp_eq_u32_e32 vcc_lo, 0, v11
	v_cndmask_b32_e32 v11, v12, v10, vcc_lo
; %bb.42:                               ;   in Loop: Header=BB613_4 Depth=1
	s_or_b32 exec_lo, exec_lo, s40
	s_cbranch_execz .LBB613_50
	s_branch .LBB613_59
.LBB613_43:                             ;   in Loop: Header=BB613_4 Depth=1
	s_or_b32 exec_lo, exec_lo, s40
	s_delay_alu instid0(SALU_CYCLE_1)
	s_or_b32 exec_lo, exec_lo, s6
	s_and_saveexec_b32 s6, s2
	s_cbranch_execz .LBB613_22
.LBB613_44:                             ;   in Loop: Header=BB613_4 Depth=1
	v_lshl_add_u64 v[12:13], s[30:31], 1, v[12:13]
	v_lshl_add_u64 v[10:11], v[4:5], 1, v[10:11]
	flat_load_u16 v14, v[12:13]
	s_wait_dscnt 0x1
	flat_load_u16 v15, v[10:11]
	s_wait_loadcnt_dscnt 0x0
	s_wait_xcnt 0x0
	v_dual_lshlrev_b32 v10, 16, v14 :: v_dual_lshlrev_b32 v11, 16, v15
	s_delay_alu instid0(VALU_DEP_1) | instskip(NEXT) | instid1(VALU_DEP_1)
	v_mul_f32_e32 v10, v11, v10
	v_and_b32_e32 v11, 0x7f800000, v10
	s_delay_alu instid0(VALU_DEP_1) | instskip(SKIP_1) | instid1(SALU_CYCLE_1)
	v_cmp_ne_u32_e32 vcc_lo, 0x7f800000, v11
                                        ; implicit-def: $vgpr11
	s_and_saveexec_b32 s40, vcc_lo
	s_xor_b32 s40, exec_lo, s40
; %bb.45:                               ;   in Loop: Header=BB613_4 Depth=1
	v_bfe_u32 v11, v10, 16, 1
	s_delay_alu instid0(VALU_DEP_1)
	v_add3_u32 v11, v10, v11, 0x7fff
                                        ; implicit-def: $vgpr10
; %bb.46:                               ;   in Loop: Header=BB613_4 Depth=1
	s_and_not1_saveexec_b32 s40, s40
; %bb.47:                               ;   in Loop: Header=BB613_4 Depth=1
	v_and_b32_e32 v11, 0xffff, v10
	v_or_b32_e32 v12, 0x10000, v10
	s_delay_alu instid0(VALU_DEP_2) | instskip(NEXT) | instid1(VALU_DEP_2)
	v_cmp_eq_u32_e32 vcc_lo, 0, v11
	v_cndmask_b32_e32 v11, v12, v10, vcc_lo
; %bb.48:                               ;   in Loop: Header=BB613_4 Depth=1
	s_or_b32 exec_lo, exec_lo, s40
	s_delay_alu instid0(VALU_DEP_1) | instskip(NEXT) | instid1(VALU_DEP_1)
	v_and_b32_e32 v10, 0xffff0000, v11
	v_add_f32_e32 v22, v22, v10
	s_or_b32 exec_lo, exec_lo, s6
	s_and_saveexec_b32 s6, s3
	s_cbranch_execnz .LBB613_23
	s_branch .LBB613_24
.LBB613_49:                             ;   in Loop: Header=BB613_4 Depth=1
                                        ; implicit-def: $vgpr11
.LBB613_50:                             ;   in Loop: Header=BB613_4 Depth=1
	v_add_nc_u64_e32 v[12:13], s[38:39], v[8:9]
	flat_load_u16 v11, v[12:13]
	s_wait_loadcnt_dscnt 0x0
	v_lshlrev_b32_e32 v11, 16, v11
	s_delay_alu instid0(VALU_DEP_1) | instskip(SKIP_1) | instid1(VALU_DEP_1)
	v_mul_f32_e32 v11, s33, v11
	s_wait_xcnt 0x0
	v_and_b32_e32 v12, 0x7f800000, v11
	s_delay_alu instid0(VALU_DEP_1) | instskip(SKIP_1) | instid1(SALU_CYCLE_1)
	v_cmp_ne_u32_e32 vcc_lo, 0x7f800000, v12
                                        ; implicit-def: $vgpr12
	s_and_saveexec_b32 s33, vcc_lo
	s_xor_b32 s33, exec_lo, s33
; %bb.51:                               ;   in Loop: Header=BB613_4 Depth=1
	v_bfe_u32 v12, v11, 16, 1
	s_delay_alu instid0(VALU_DEP_1)
	v_add3_u32 v12, v11, v12, 0x7fff
                                        ; implicit-def: $vgpr11
; %bb.52:                               ;   in Loop: Header=BB613_4 Depth=1
	s_and_not1_saveexec_b32 s33, s33
; %bb.53:                               ;   in Loop: Header=BB613_4 Depth=1
	v_and_b32_e32 v12, 0xffff, v11
	v_or_b32_e32 v13, 0x10000, v11
	s_delay_alu instid0(VALU_DEP_2) | instskip(NEXT) | instid1(VALU_DEP_2)
	v_cmp_eq_u32_e32 vcc_lo, 0, v12
	v_cndmask_b32_e32 v12, v13, v11, vcc_lo
; %bb.54:                               ;   in Loop: Header=BB613_4 Depth=1
	s_or_b32 exec_lo, exec_lo, s33
	s_delay_alu instid0(VALU_DEP_1) | instskip(NEXT) | instid1(VALU_DEP_1)
	v_and_b32_e32 v11, 0xffff0000, v12
	v_add_f32_e32 v10, v10, v11
	s_delay_alu instid0(VALU_DEP_1) | instskip(NEXT) | instid1(VALU_DEP_1)
	v_and_b32_e32 v11, 0x7f800000, v10
	v_cmp_ne_u32_e32 vcc_lo, 0x7f800000, v11
                                        ; implicit-def: $vgpr11
	s_and_saveexec_b32 s33, vcc_lo
	s_delay_alu instid0(SALU_CYCLE_1)
	s_xor_b32 s33, exec_lo, s33
; %bb.55:                               ;   in Loop: Header=BB613_4 Depth=1
	v_bfe_u32 v11, v10, 16, 1
	s_delay_alu instid0(VALU_DEP_1)
	v_add3_u32 v11, v10, v11, 0x7fff
                                        ; implicit-def: $vgpr10
; %bb.56:                               ;   in Loop: Header=BB613_4 Depth=1
	s_and_not1_saveexec_b32 s33, s33
; %bb.57:                               ;   in Loop: Header=BB613_4 Depth=1
	v_and_b32_e32 v11, 0xffff, v10
	v_or_b32_e32 v12, 0x10000, v10
	s_delay_alu instid0(VALU_DEP_2) | instskip(NEXT) | instid1(VALU_DEP_2)
	v_cmp_eq_u32_e32 vcc_lo, 0, v11
	v_cndmask_b32_e32 v11, v12, v10, vcc_lo
; %bb.58:                               ;   in Loop: Header=BB613_4 Depth=1
	s_or_b32 exec_lo, exec_lo, s33
.LBB613_59:                             ;   in Loop: Header=BB613_4 Depth=1
	s_delay_alu instid0(VALU_DEP_1)
	v_lshrrev_b32_e32 v14, 16, v11
	s_or_b32 s5, s5, exec_lo
.LBB613_60:                             ;   in Loop: Header=BB613_4 Depth=1
	s_or_b32 exec_lo, exec_lo, s6
.LBB613_61:                             ;   in Loop: Header=BB613_4 Depth=1
	s_wait_xcnt 0x0
	s_and_saveexec_b32 s6, s5
	s_cbranch_execz .LBB613_2
; %bb.62:                               ;   in Loop: Header=BB613_4 Depth=1
	v_add_nc_u64_e32 v[8:9], s[38:39], v[8:9]
	flat_store_b16 v[8:9], v14
	s_branch .LBB613_2
.LBB613_63:
	s_endpgm
	.section	.rodata,"a",@progbits
	.p2align	6, 0x0
	.amdhsa_kernel _ZL32rocblas_gemvt_warp_reduce_kernelILb0ELi1024ElPK16rocblas_bfloat16PKfKPS0_EviiT3_lPKT2_lT1_lSA_lSB_lS7_lPT4_lSB_li
		.amdhsa_group_segment_fixed_size 128
		.amdhsa_private_segment_fixed_size 0
		.amdhsa_kernarg_size 140
		.amdhsa_user_sgpr_count 2
		.amdhsa_user_sgpr_dispatch_ptr 0
		.amdhsa_user_sgpr_queue_ptr 0
		.amdhsa_user_sgpr_kernarg_segment_ptr 1
		.amdhsa_user_sgpr_dispatch_id 0
		.amdhsa_user_sgpr_kernarg_preload_length 0
		.amdhsa_user_sgpr_kernarg_preload_offset 0
		.amdhsa_user_sgpr_private_segment_size 0
		.amdhsa_wavefront_size32 1
		.amdhsa_uses_dynamic_stack 0
		.amdhsa_enable_private_segment 0
		.amdhsa_system_sgpr_workgroup_id_x 1
		.amdhsa_system_sgpr_workgroup_id_y 0
		.amdhsa_system_sgpr_workgroup_id_z 1
		.amdhsa_system_sgpr_workgroup_info 0
		.amdhsa_system_vgpr_workitem_id 0
		.amdhsa_next_free_vgpr 27
		.amdhsa_next_free_sgpr 44
		.amdhsa_named_barrier_count 0
		.amdhsa_reserve_vcc 1
		.amdhsa_float_round_mode_32 0
		.amdhsa_float_round_mode_16_64 0
		.amdhsa_float_denorm_mode_32 3
		.amdhsa_float_denorm_mode_16_64 3
		.amdhsa_fp16_overflow 0
		.amdhsa_memory_ordered 1
		.amdhsa_forward_progress 1
		.amdhsa_inst_pref_size 17
		.amdhsa_round_robin_scheduling 0
		.amdhsa_exception_fp_ieee_invalid_op 0
		.amdhsa_exception_fp_denorm_src 0
		.amdhsa_exception_fp_ieee_div_zero 0
		.amdhsa_exception_fp_ieee_overflow 0
		.amdhsa_exception_fp_ieee_underflow 0
		.amdhsa_exception_fp_ieee_inexact 0
		.amdhsa_exception_int_div_zero 0
	.end_amdhsa_kernel
	.section	.text._ZL32rocblas_gemvt_warp_reduce_kernelILb0ELi1024ElPK16rocblas_bfloat16PKfKPS0_EviiT3_lPKT2_lT1_lSA_lSB_lS7_lPT4_lSB_li,"axG",@progbits,_ZL32rocblas_gemvt_warp_reduce_kernelILb0ELi1024ElPK16rocblas_bfloat16PKfKPS0_EviiT3_lPKT2_lT1_lSA_lSB_lS7_lPT4_lSB_li,comdat
.Lfunc_end613:
	.size	_ZL32rocblas_gemvt_warp_reduce_kernelILb0ELi1024ElPK16rocblas_bfloat16PKfKPS0_EviiT3_lPKT2_lT1_lSA_lSB_lS7_lPT4_lSB_li, .Lfunc_end613-_ZL32rocblas_gemvt_warp_reduce_kernelILb0ELi1024ElPK16rocblas_bfloat16PKfKPS0_EviiT3_lPKT2_lT1_lSA_lSB_lS7_lPT4_lSB_li
                                        ; -- End function
	.set _ZL32rocblas_gemvt_warp_reduce_kernelILb0ELi1024ElPK16rocblas_bfloat16PKfKPS0_EviiT3_lPKT2_lT1_lSA_lSB_lS7_lPT4_lSB_li.num_vgpr, 27
	.set _ZL32rocblas_gemvt_warp_reduce_kernelILb0ELi1024ElPK16rocblas_bfloat16PKfKPS0_EviiT3_lPKT2_lT1_lSA_lSB_lS7_lPT4_lSB_li.num_agpr, 0
	.set _ZL32rocblas_gemvt_warp_reduce_kernelILb0ELi1024ElPK16rocblas_bfloat16PKfKPS0_EviiT3_lPKT2_lT1_lSA_lSB_lS7_lPT4_lSB_li.numbered_sgpr, 44
	.set _ZL32rocblas_gemvt_warp_reduce_kernelILb0ELi1024ElPK16rocblas_bfloat16PKfKPS0_EviiT3_lPKT2_lT1_lSA_lSB_lS7_lPT4_lSB_li.num_named_barrier, 0
	.set _ZL32rocblas_gemvt_warp_reduce_kernelILb0ELi1024ElPK16rocblas_bfloat16PKfKPS0_EviiT3_lPKT2_lT1_lSA_lSB_lS7_lPT4_lSB_li.private_seg_size, 0
	.set _ZL32rocblas_gemvt_warp_reduce_kernelILb0ELi1024ElPK16rocblas_bfloat16PKfKPS0_EviiT3_lPKT2_lT1_lSA_lSB_lS7_lPT4_lSB_li.uses_vcc, 1
	.set _ZL32rocblas_gemvt_warp_reduce_kernelILb0ELi1024ElPK16rocblas_bfloat16PKfKPS0_EviiT3_lPKT2_lT1_lSA_lSB_lS7_lPT4_lSB_li.uses_flat_scratch, 0
	.set _ZL32rocblas_gemvt_warp_reduce_kernelILb0ELi1024ElPK16rocblas_bfloat16PKfKPS0_EviiT3_lPKT2_lT1_lSA_lSB_lS7_lPT4_lSB_li.has_dyn_sized_stack, 0
	.set _ZL32rocblas_gemvt_warp_reduce_kernelILb0ELi1024ElPK16rocblas_bfloat16PKfKPS0_EviiT3_lPKT2_lT1_lSA_lSB_lS7_lPT4_lSB_li.has_recursion, 0
	.set _ZL32rocblas_gemvt_warp_reduce_kernelILb0ELi1024ElPK16rocblas_bfloat16PKfKPS0_EviiT3_lPKT2_lT1_lSA_lSB_lS7_lPT4_lSB_li.has_indirect_call, 0
	.section	.AMDGPU.csdata,"",@progbits
; Kernel info:
; codeLenInByte = 2144
; TotalNumSgprs: 46
; NumVgprs: 27
; ScratchSize: 0
; MemoryBound: 0
; FloatMode: 240
; IeeeMode: 1
; LDSByteSize: 128 bytes/workgroup (compile time only)
; SGPRBlocks: 0
; VGPRBlocks: 1
; NumSGPRsForWavesPerEU: 46
; NumVGPRsForWavesPerEU: 27
; NamedBarCnt: 0
; Occupancy: 16
; WaveLimiterHint : 1
; COMPUTE_PGM_RSRC2:SCRATCH_EN: 0
; COMPUTE_PGM_RSRC2:USER_SGPR: 2
; COMPUTE_PGM_RSRC2:TRAP_HANDLER: 0
; COMPUTE_PGM_RSRC2:TGID_X_EN: 1
; COMPUTE_PGM_RSRC2:TGID_Y_EN: 0
; COMPUTE_PGM_RSRC2:TGID_Z_EN: 1
; COMPUTE_PGM_RSRC2:TIDIG_COMP_CNT: 0
	.section	.text._ZL32rocblas_gemvt_warp_reduce_kernelILb0ELi1024EiPK16rocblas_bfloat16fKPS0_EviiT3_lPKT2_lT1_lS8_lS9_lS5_lPT4_lS9_li,"axG",@progbits,_ZL32rocblas_gemvt_warp_reduce_kernelILb0ELi1024EiPK16rocblas_bfloat16fKPS0_EviiT3_lPKT2_lT1_lS8_lS9_lS5_lPT4_lS9_li,comdat
	.globl	_ZL32rocblas_gemvt_warp_reduce_kernelILb0ELi1024EiPK16rocblas_bfloat16fKPS0_EviiT3_lPKT2_lT1_lS8_lS9_lS5_lPT4_lS9_li ; -- Begin function _ZL32rocblas_gemvt_warp_reduce_kernelILb0ELi1024EiPK16rocblas_bfloat16fKPS0_EviiT3_lPKT2_lT1_lS8_lS9_lS5_lPT4_lS9_li
	.p2align	8
	.type	_ZL32rocblas_gemvt_warp_reduce_kernelILb0ELi1024EiPK16rocblas_bfloat16fKPS0_EviiT3_lPKT2_lT1_lS8_lS9_lS5_lPT4_lS9_li,@function
_ZL32rocblas_gemvt_warp_reduce_kernelILb0ELi1024EiPK16rocblas_bfloat16fKPS0_EviiT3_lPKT2_lT1_lS8_lS9_lS5_lPT4_lS9_li: ; @_ZL32rocblas_gemvt_warp_reduce_kernelILb0ELi1024EiPK16rocblas_bfloat16fKPS0_EviiT3_lPKT2_lT1_lS8_lS9_lS5_lPT4_lS9_li
; %bb.0:
	s_load_b32 s5, s[0:1], 0x88
	s_bfe_u32 s2, ttmp6, 0x40014
	s_lshr_b32 s3, ttmp7, 16
	s_add_co_i32 s2, s2, 1
	s_bfe_u32 s6, ttmp6, 0x40008
	s_mul_i32 s4, s3, s2
	s_getreg_b32 s2, hwreg(HW_REG_IB_STS2, 6, 4)
	s_add_co_i32 s6, s6, s4
	s_cmp_eq_u32 s2, 0
	s_mov_b32 s7, 0
	s_cselect_b32 s6, s3, s6
	s_wait_kmcnt 0x0
	s_cmp_ge_u32 s6, s5
	s_cbranch_scc1 .LBB614_65
; %bb.1:
	s_clause 0x4
	s_load_b32 s26, s[0:1], 0x8
	s_load_b32 s27, s[0:1], 0x58
	s_load_b128 s[8:11], s[0:1], 0x18
	s_load_b32 s3, s[0:1], 0x28
	s_load_b32 s34, s[0:1], 0x0
	v_dual_mov_b32 v3, 0 :: v_dual_bitop2_b32 v2, 31, v0 bitop3:0x40
	v_lshrrev_b32_e32 v4, 3, v0
	v_mbcnt_lo_u32_b32 v14, -1, 0
	s_delay_alu instid0(VALU_DEP_3) | instskip(NEXT) | instid1(VALU_DEP_3)
	v_lshlrev_b32_e32 v15, 2, v2
	v_and_b32_e32 v16, 0x7c, v4
	s_delay_alu instid0(VALU_DEP_3)
	v_lshl_or_b32 v18, v14, 2, 64
	s_wait_kmcnt 0x0
	s_cmp_eq_f32 s26, 0
	v_cmp_gt_i32_e32 vcc_lo, s34, v0
	s_cselect_b32 s28, -1, 0
	s_cmp_neq_f32 s27, 1.0
	s_cselect_b32 s4, -1, 0
	s_cmp_neq_f32 s26, 0
	s_cselect_b32 s12, -1, 0
	s_delay_alu instid0(SALU_CYCLE_1)
	s_or_b32 s29, s12, s4
	s_cmp_neq_f32 s27, 0
	v_cndmask_b32_e64 v1, 0, 1, s12
	s_clause 0x3
	s_load_b128 s[12:15], s[0:1], 0x38
	s_load_b32 s4, s[0:1], 0x48
	s_load_b128 s[16:19], s[0:1], 0x68
	s_load_b32 s21, s[0:1], 0x78
	s_wait_xcnt 0x0
	v_cmp_eq_u32_e64 s0, 0, v0
	s_cselect_b32 s30, -1, 0
	s_cmp_eq_f32 s27, 0
	v_cmp_gt_u32_e64 s1, 32, v0
	s_cselect_b32 s31, -1, 0
	s_bfe_u32 s20, ttmp6, 0x4000c
	s_and_b32 s22, ttmp6, 15
	s_add_co_i32 s20, s20, 1
	s_delay_alu instid0(SALU_CYCLE_1) | instskip(NEXT) | instid1(SALU_CYCLE_1)
	s_mul_i32 s20, ttmp9, s20
	s_add_co_i32 s22, s22, s20
	s_cmp_eq_u32 s2, 0
	s_cselect_b32 s22, ttmp9, s22
	s_ashr_i32 s2, s34, 31
	s_wait_kmcnt 0x0
	v_mul_lo_u32 v17, v0, s4
	s_lshr_b32 s20, s2, 22
	v_cmp_eq_u32_e64 s2, 0, v2
	s_add_co_i32 s20, s34, s20
	s_mul_i32 s24, s21, s22
	s_and_b32 s20, s20, 0xfffffc00
	s_delay_alu instid0(SALU_CYCLE_1)
	v_dual_cndmask_b32 v2, 0, v0, vcc_lo :: v_dual_bitop2_b32 v5, s20, v0 bitop3:0x54
	s_lshl_b32 s33, s4, 10
	s_mul_i32 s22, s3, s22
	v_cmp_gt_i32_e64 s3, s20, v0
	s_ashr_i32 s25, s24, 31
	v_mul_lo_u32 v4, s4, v5
	v_lshlrev_b32_e32 v2, 1, v2
	v_cmp_gt_i32_e64 s4, s34, v5
	s_lshl_b64 s[10:11], s[10:11], 1
	s_ashr_i32 s23, s22, 31
	s_ashr_i32 s21, s20, 31
	s_lshl_b64 s[14:15], s[14:15], 1
	s_lshl_b64 s[18:19], s[18:19], 1
	;; [unrolled: 1-line block ×3, first 2 shown]
	v_ashrrev_i32_e32 v5, 31, v4
	s_branch .LBB614_4
.LBB614_2:                              ;   in Loop: Header=BB614_4 Depth=1
	s_wait_xcnt 0x0
	s_or_b32 exec_lo, exec_lo, s35
.LBB614_3:                              ;   in Loop: Header=BB614_4 Depth=1
	s_add_co_i32 s6, s6, 0x10000
	s_delay_alu instid0(SALU_CYCLE_1)
	s_cmp_lt_u32 s6, s5
	s_cbranch_scc0 .LBB614_65
.LBB614_4:                              ; =>This Loop Header: Depth=1
                                        ;     Child Loop BB614_33 Depth 2
	s_and_not1_b32 vcc_lo, exec_lo, s29
	s_cbranch_vccnz .LBB614_3
; %bb.5:                                ;   in Loop: Header=BB614_4 Depth=1
	s_and_not1_b32 vcc_lo, exec_lo, s28
	s_cbranch_vccnz .LBB614_7
; %bb.6:                                ;   in Loop: Header=BB614_4 Depth=1
	v_mov_b64_e32 v[8:9], 0
	v_mov_b64_e32 v[10:11], 0
	s_cbranch_execz .LBB614_8
	s_branch .LBB614_9
.LBB614_7:                              ;   in Loop: Header=BB614_4 Depth=1
	v_mov_b64_e32 v[8:9], 0
	v_mov_b64_e32 v[10:11], 0
.LBB614_8:                              ;   in Loop: Header=BB614_4 Depth=1
	s_lshl_b64 s[34:35], s[6:7], 3
	s_delay_alu instid0(SALU_CYCLE_1)
	s_add_nc_u64 s[34:35], s[8:9], s[34:35]
	global_load_b64 v[6:7], v3, s[34:35]
	s_wait_loadcnt 0x0
	v_add_nc_u64_e32 v[10:11], s[10:11], v[6:7]
.LBB614_9:                              ;   in Loop: Header=BB614_4 Depth=1
	v_cmp_ne_u32_e32 vcc_lo, 1, v1
	s_cbranch_vccnz .LBB614_11
; %bb.10:                               ;   in Loop: Header=BB614_4 Depth=1
	s_wait_xcnt 0x0
	s_lshl_b64 s[34:35], s[6:7], 3
	s_delay_alu instid0(SALU_CYCLE_1)
	s_add_nc_u64 s[34:35], s[12:13], s[34:35]
	global_load_b64 v[6:7], v3, s[34:35]
	s_wait_loadcnt 0x0
	v_add_nc_u64_e32 v[8:9], s[14:15], v[6:7]
.LBB614_11:                             ;   in Loop: Header=BB614_4 Depth=1
	s_wait_xcnt 0x0
	s_lshl_b64 s[34:35], s[6:7], 3
	s_and_not1_b32 vcc_lo, exec_lo, s28
	s_add_nc_u64 s[34:35], s[16:17], s[34:35]
	global_load_b64 v[6:7], v3, s[34:35]
	s_wait_loadcnt 0x0
	v_add_nc_u64_e32 v[6:7], s[18:19], v[6:7]
	s_cbranch_vccnz .LBB614_19
; %bb.12:                               ;   in Loop: Header=BB614_4 Depth=1
	s_wait_xcnt 0x0
	s_mov_b32 s35, 0
	s_mov_b32 s34, 0
                                        ; implicit-def: $vgpr12
	s_and_saveexec_b32 s36, s0
	s_cbranch_execz .LBB614_20
; %bb.13:                               ;   in Loop: Header=BB614_4 Depth=1
	s_and_not1_b32 vcc_lo, exec_lo, s30
	s_cbranch_vccnz .LBB614_21
; %bb.14:                               ;   in Loop: Header=BB614_4 Depth=1
	s_wait_dscnt 0x0
	v_add_nc_u64_e32 v[12:13], s[24:25], v[6:7]
	flat_load_u16 v12, v[12:13]
	s_wait_loadcnt_dscnt 0x0
	s_wait_xcnt 0x0
	v_lshlrev_b32_e32 v12, 16, v12
	s_delay_alu instid0(VALU_DEP_1) | instskip(NEXT) | instid1(VALU_DEP_1)
	v_mul_f32_e32 v12, s27, v12
	v_and_b32_e32 v13, 0x7f800000, v12
	s_delay_alu instid0(VALU_DEP_1) | instskip(SKIP_1) | instid1(SALU_CYCLE_1)
	v_cmp_ne_u32_e32 vcc_lo, 0x7f800000, v13
                                        ; implicit-def: $vgpr13
	s_and_saveexec_b32 s34, vcc_lo
	s_xor_b32 s34, exec_lo, s34
; %bb.15:                               ;   in Loop: Header=BB614_4 Depth=1
	v_bfe_u32 v13, v12, 16, 1
	s_delay_alu instid0(VALU_DEP_1)
	v_add3_u32 v13, v12, v13, 0x7fff
                                        ; implicit-def: $vgpr12
; %bb.16:                               ;   in Loop: Header=BB614_4 Depth=1
	s_and_not1_saveexec_b32 s34, s34
; %bb.17:                               ;   in Loop: Header=BB614_4 Depth=1
	v_and_b32_e32 v13, 0xffff, v12
	v_or_b32_e32 v19, 0x10000, v12
	s_delay_alu instid0(VALU_DEP_2) | instskip(NEXT) | instid1(VALU_DEP_2)
	v_cmp_eq_u32_e32 vcc_lo, 0, v13
	v_cndmask_b32_e32 v13, v19, v12, vcc_lo
; %bb.18:                               ;   in Loop: Header=BB614_4 Depth=1
	s_or_b32 exec_lo, exec_lo, s34
	s_delay_alu instid0(VALU_DEP_1) | instskip(SKIP_2) | instid1(SALU_CYCLE_1)
	v_lshrrev_b32_e32 v12, 16, v13
	s_mov_b32 s34, exec_lo
	s_or_b32 exec_lo, exec_lo, s36
	s_and_b32 vcc_lo, exec_lo, s35
	s_cbranch_vccnz .LBB614_22
	s_branch .LBB614_57
.LBB614_19:                             ;   in Loop: Header=BB614_4 Depth=1
	s_wait_xcnt 0x0
	s_mov_b32 s34, 0
                                        ; implicit-def: $vgpr12
	s_cbranch_execnz .LBB614_22
	s_branch .LBB614_57
.LBB614_20:                             ;   in Loop: Header=BB614_4 Depth=1
	s_or_b32 exec_lo, exec_lo, s36
	s_delay_alu instid0(SALU_CYCLE_1)
	s_and_b32 vcc_lo, exec_lo, s35
	s_cbranch_vccnz .LBB614_22
	s_branch .LBB614_57
.LBB614_21:                             ;   in Loop: Header=BB614_4 Depth=1
	v_mov_b32_e32 v12, 0
	s_mov_b32 s34, exec_lo
	s_or_b32 exec_lo, exec_lo, s36
	s_delay_alu instid0(SALU_CYCLE_1)
	s_and_b32 vcc_lo, exec_lo, s35
	s_cbranch_vccz .LBB614_57
.LBB614_22:                             ;   in Loop: Header=BB614_4 Depth=1
	v_add_nc_u64_e32 v[10:11], v[10:11], v[2:3]
	v_mov_b32_e32 v19, 0
	s_delay_alu instid0(VALU_DEP_2)
	v_lshl_add_u64 v[10:11], s[22:23], 1, v[10:11]
	s_and_saveexec_b32 s35, s3
	s_cbranch_execnz .LBB614_31
; %bb.23:                               ;   in Loop: Header=BB614_4 Depth=1
	s_or_b32 exec_lo, exec_lo, s35
	s_and_saveexec_b32 s35, s4
	s_cbranch_execnz .LBB614_60
.LBB614_24:                             ;   in Loop: Header=BB614_4 Depth=1
	s_or_b32 exec_lo, exec_lo, s35
	s_and_saveexec_b32 s35, s1
.LBB614_25:                             ;   in Loop: Header=BB614_4 Depth=1
	ds_store_b32 v15, v3
.LBB614_26:                             ;   in Loop: Header=BB614_4 Depth=1
	s_or_b32 exec_lo, exec_lo, s35
	ds_bpermute_b32 v9, v18, v19
	v_cmp_gt_u32_e32 vcc_lo, 24, v14
	s_wait_dscnt 0x0
	s_barrier_signal -1
	s_barrier_wait -1
	v_cndmask_b32_e64 v8, 0, 8, vcc_lo
	v_cmp_gt_u32_e32 vcc_lo, 28, v14
	s_delay_alu instid0(VALU_DEP_2)
	v_add_lshl_u32 v8, v8, v14, 2
	v_add_f32_e32 v10, v19, v9
	v_cndmask_b32_e64 v9, 0, 4, vcc_lo
	v_cmp_gt_u32_e32 vcc_lo, 30, v14
	ds_bpermute_b32 v11, v8, v10
	v_add_lshl_u32 v9, v9, v14, 2
	s_wait_dscnt 0x0
	v_add_f32_e32 v11, v10, v11
	v_cndmask_b32_e64 v10, 0, 2, vcc_lo
	v_cmp_ne_u32_e32 vcc_lo, 31, v14
	ds_bpermute_b32 v12, v9, v11
	v_add_lshl_u32 v10, v10, v14, 2
	v_add_co_ci_u32_e64 v13, null, 0, v14, vcc_lo
	s_wait_dscnt 0x0
	v_add_f32_e32 v11, v11, v12
	ds_bpermute_b32 v12, v10, v11
	s_wait_dscnt 0x0
	v_dual_add_f32 v12, v11, v12 :: v_dual_lshlrev_b32 v11, 2, v13
	ds_bpermute_b32 v13, v11, v12
	s_and_saveexec_b32 s35, s2
	s_cbranch_execz .LBB614_28
; %bb.27:                               ;   in Loop: Header=BB614_4 Depth=1
	s_wait_dscnt 0x0
	v_add_f32_e32 v12, v12, v13
	ds_store_b32 v16, v12
.LBB614_28:                             ;   in Loop: Header=BB614_4 Depth=1
	s_or_b32 exec_lo, exec_lo, s35
	s_wait_dscnt 0x0
	v_mov_b32_e32 v13, 0
	s_barrier_signal -1
	s_barrier_wait -1
	s_and_saveexec_b32 s35, s1
	s_cbranch_execnz .LBB614_37
; %bb.29:                               ;   in Loop: Header=BB614_4 Depth=1
	s_or_b32 exec_lo, exec_lo, s35
	s_and_saveexec_b32 s35, s1
	s_cbranch_execnz .LBB614_38
.LBB614_30:                             ;   in Loop: Header=BB614_4 Depth=1
	s_or_b32 exec_lo, exec_lo, s35
                                        ; implicit-def: $vgpr12
	s_and_saveexec_b32 s35, s0
	s_cbranch_execnz .LBB614_39
	s_branch .LBB614_56
.LBB614_31:                             ;   in Loop: Header=BB614_4 Depth=1
	s_wait_dscnt 0x0
	s_delay_alu instid0(VALU_DEP_1)
	v_mov_b64_e32 v[12:13], v[10:11]
	v_dual_mov_b32 v19, 0 :: v_dual_mov_b32 v20, v0
	v_mov_b32_e32 v21, v17
	s_mov_b32 s36, 0
	s_branch .LBB614_33
.LBB614_32:                             ;   in Loop: Header=BB614_33 Depth=2
	s_or_b32 exec_lo, exec_lo, s37
	s_delay_alu instid0(VALU_DEP_1) | instskip(SKIP_2) | instid1(VALU_DEP_3)
	v_and_b32_e32 v22, 0xffff0000, v22
	v_add_nc_u32_e32 v20, 0x400, v20
	v_add_nc_u64_e32 v[12:13], 0x800, v[12:13]
	v_dual_add_nc_u32 v21, s33, v21 :: v_dual_add_f32 v19, v19, v22
	s_delay_alu instid0(VALU_DEP_3) | instskip(SKIP_1) | instid1(SALU_CYCLE_1)
	v_cmp_le_i32_e32 vcc_lo, s20, v20
	s_or_b32 s36, vcc_lo, s36
	s_and_not1_b32 exec_lo, exec_lo, s36
	s_cbranch_execz .LBB614_59
.LBB614_33:                             ;   Parent Loop BB614_4 Depth=1
                                        ; =>  This Inner Loop Header: Depth=2
	v_readfirstlane_b32 s38, v8
	v_readfirstlane_b32 s39, v9
	flat_load_u16 v22, v[12:13]
	flat_load_u16 v23, v21, s[38:39] scale_offset
	s_wait_loadcnt_dscnt 0x0
	v_dual_lshlrev_b32 v22, 16, v22 :: v_dual_lshlrev_b32 v23, 16, v23
	s_delay_alu instid0(VALU_DEP_1) | instskip(NEXT) | instid1(VALU_DEP_1)
	v_mul_f32_e32 v23, v23, v22
	v_and_b32_e32 v22, 0x7f800000, v23
	s_delay_alu instid0(VALU_DEP_1) | instskip(SKIP_2) | instid1(SALU_CYCLE_1)
	v_cmp_ne_u32_e32 vcc_lo, 0x7f800000, v22
                                        ; implicit-def: $vgpr22
	s_wait_xcnt 0x0
	s_and_saveexec_b32 s37, vcc_lo
	s_xor_b32 s37, exec_lo, s37
; %bb.34:                               ;   in Loop: Header=BB614_33 Depth=2
	v_bfe_u32 v22, v23, 16, 1
	s_delay_alu instid0(VALU_DEP_1)
	v_add3_u32 v22, v23, v22, 0x7fff
                                        ; implicit-def: $vgpr23
; %bb.35:                               ;   in Loop: Header=BB614_33 Depth=2
	s_and_not1_saveexec_b32 s37, s37
	s_cbranch_execz .LBB614_32
; %bb.36:                               ;   in Loop: Header=BB614_33 Depth=2
	v_and_b32_e32 v22, 0xffff, v23
	v_or_b32_e32 v24, 0x10000, v23
	s_delay_alu instid0(VALU_DEP_2) | instskip(NEXT) | instid1(VALU_DEP_2)
	v_cmp_eq_u32_e32 vcc_lo, 0, v22
	v_cndmask_b32_e32 v22, v24, v23, vcc_lo
	s_branch .LBB614_32
.LBB614_37:                             ;   in Loop: Header=BB614_4 Depth=1
	ds_load_b32 v13, v15
	s_or_b32 exec_lo, exec_lo, s35
	s_and_saveexec_b32 s35, s1
	s_cbranch_execz .LBB614_30
.LBB614_38:                             ;   in Loop: Header=BB614_4 Depth=1
	s_wait_dscnt 0x0
	ds_bpermute_b32 v12, v18, v13
	s_wait_dscnt 0x0
	v_add_f32_e32 v12, v13, v12
	ds_bpermute_b32 v8, v8, v12
	s_wait_dscnt 0x0
	v_add_f32_e32 v8, v12, v8
	;; [unrolled: 3-line block ×5, first 2 shown]
	s_or_b32 exec_lo, exec_lo, s35
                                        ; implicit-def: $vgpr12
	s_and_saveexec_b32 s35, s0
	s_cbranch_execz .LBB614_56
.LBB614_39:                             ;   in Loop: Header=BB614_4 Depth=1
	s_wait_dscnt 0x0
	v_mul_f32_e32 v8, s26, v13
	s_and_b32 vcc_lo, exec_lo, s31
	s_mov_b32 s36, -1
                                        ; implicit-def: $vgpr9
	s_cbranch_vccz .LBB614_45
; %bb.40:                               ;   in Loop: Header=BB614_4 Depth=1
	s_delay_alu instid0(VALU_DEP_1) | instskip(NEXT) | instid1(VALU_DEP_1)
	v_and_b32_e32 v9, 0x7f800000, v8
	v_cmp_ne_u32_e32 vcc_lo, 0x7f800000, v9
                                        ; implicit-def: $vgpr9
	s_and_saveexec_b32 s36, vcc_lo
	s_delay_alu instid0(SALU_CYCLE_1)
	s_xor_b32 s36, exec_lo, s36
; %bb.41:                               ;   in Loop: Header=BB614_4 Depth=1
	v_bfe_u32 v9, v8, 16, 1
	s_delay_alu instid0(VALU_DEP_1)
	v_add3_u32 v9, v8, v9, 0x7fff
; %bb.42:                               ;   in Loop: Header=BB614_4 Depth=1
	s_and_not1_saveexec_b32 s36, s36
; %bb.43:                               ;   in Loop: Header=BB614_4 Depth=1
	v_and_b32_e32 v9, 0xffff, v8
	v_or_b32_e32 v10, 0x10000, v8
	s_delay_alu instid0(VALU_DEP_2) | instskip(NEXT) | instid1(VALU_DEP_2)
	v_cmp_eq_u32_e32 vcc_lo, 0, v9
	v_cndmask_b32_e32 v9, v10, v8, vcc_lo
; %bb.44:                               ;   in Loop: Header=BB614_4 Depth=1
	s_or_b32 exec_lo, exec_lo, s36
	s_mov_b32 s36, 0
.LBB614_45:                             ;   in Loop: Header=BB614_4 Depth=1
	s_delay_alu instid0(SALU_CYCLE_1)
	s_and_not1_b32 vcc_lo, exec_lo, s36
	s_cbranch_vccnz .LBB614_55
; %bb.46:                               ;   in Loop: Header=BB614_4 Depth=1
	v_add_nc_u64_e32 v[10:11], s[24:25], v[6:7]
	flat_load_u16 v9, v[10:11]
	s_wait_loadcnt_dscnt 0x0
	v_lshlrev_b32_e32 v9, 16, v9
	s_delay_alu instid0(VALU_DEP_1) | instskip(SKIP_1) | instid1(VALU_DEP_1)
	v_mul_f32_e32 v9, s27, v9
	s_wait_xcnt 0x0
	v_and_b32_e32 v10, 0x7f800000, v9
	s_delay_alu instid0(VALU_DEP_1) | instskip(SKIP_1) | instid1(SALU_CYCLE_1)
	v_cmp_ne_u32_e32 vcc_lo, 0x7f800000, v10
                                        ; implicit-def: $vgpr10
	s_and_saveexec_b32 s36, vcc_lo
	s_xor_b32 s36, exec_lo, s36
; %bb.47:                               ;   in Loop: Header=BB614_4 Depth=1
	v_bfe_u32 v10, v9, 16, 1
	s_delay_alu instid0(VALU_DEP_1)
	v_add3_u32 v10, v9, v10, 0x7fff
                                        ; implicit-def: $vgpr9
; %bb.48:                               ;   in Loop: Header=BB614_4 Depth=1
	s_and_not1_saveexec_b32 s36, s36
; %bb.49:                               ;   in Loop: Header=BB614_4 Depth=1
	v_and_b32_e32 v10, 0xffff, v9
	v_or_b32_e32 v11, 0x10000, v9
	s_delay_alu instid0(VALU_DEP_2) | instskip(NEXT) | instid1(VALU_DEP_2)
	v_cmp_eq_u32_e32 vcc_lo, 0, v10
	v_cndmask_b32_e32 v10, v11, v9, vcc_lo
; %bb.50:                               ;   in Loop: Header=BB614_4 Depth=1
	s_or_b32 exec_lo, exec_lo, s36
	s_delay_alu instid0(VALU_DEP_1) | instskip(NEXT) | instid1(VALU_DEP_1)
	v_and_b32_e32 v9, 0xffff0000, v10
	v_add_f32_e32 v8, v8, v9
	s_delay_alu instid0(VALU_DEP_1) | instskip(NEXT) | instid1(VALU_DEP_1)
	v_and_b32_e32 v9, 0x7f800000, v8
	v_cmp_ne_u32_e32 vcc_lo, 0x7f800000, v9
                                        ; implicit-def: $vgpr9
	s_and_saveexec_b32 s36, vcc_lo
	s_delay_alu instid0(SALU_CYCLE_1)
	s_xor_b32 s36, exec_lo, s36
; %bb.51:                               ;   in Loop: Header=BB614_4 Depth=1
	v_bfe_u32 v9, v8, 16, 1
	s_delay_alu instid0(VALU_DEP_1)
	v_add3_u32 v9, v8, v9, 0x7fff
                                        ; implicit-def: $vgpr8
; %bb.52:                               ;   in Loop: Header=BB614_4 Depth=1
	s_and_not1_saveexec_b32 s36, s36
; %bb.53:                               ;   in Loop: Header=BB614_4 Depth=1
	v_and_b32_e32 v9, 0xffff, v8
	v_or_b32_e32 v10, 0x10000, v8
	s_delay_alu instid0(VALU_DEP_2) | instskip(NEXT) | instid1(VALU_DEP_2)
	v_cmp_eq_u32_e32 vcc_lo, 0, v9
	v_cndmask_b32_e32 v9, v10, v8, vcc_lo
; %bb.54:                               ;   in Loop: Header=BB614_4 Depth=1
	s_or_b32 exec_lo, exec_lo, s36
.LBB614_55:                             ;   in Loop: Header=BB614_4 Depth=1
	s_delay_alu instid0(VALU_DEP_1)
	v_lshrrev_b32_e32 v12, 16, v9
	s_or_b32 s34, s34, exec_lo
.LBB614_56:                             ;   in Loop: Header=BB614_4 Depth=1
	s_or_b32 exec_lo, exec_lo, s35
.LBB614_57:                             ;   in Loop: Header=BB614_4 Depth=1
	s_and_saveexec_b32 s35, s34
	s_cbranch_execz .LBB614_2
; %bb.58:                               ;   in Loop: Header=BB614_4 Depth=1
	v_add_nc_u64_e32 v[6:7], s[24:25], v[6:7]
	flat_store_b16 v[6:7], v12
	s_branch .LBB614_2
.LBB614_59:                             ;   in Loop: Header=BB614_4 Depth=1
	s_or_b32 exec_lo, exec_lo, s36
	s_delay_alu instid0(SALU_CYCLE_1)
	s_or_b32 exec_lo, exec_lo, s35
	s_and_saveexec_b32 s35, s4
	s_cbranch_execz .LBB614_24
.LBB614_60:                             ;   in Loop: Header=BB614_4 Depth=1
	v_lshl_add_u64 v[10:11], s[20:21], 1, v[10:11]
	v_lshl_add_u64 v[8:9], v[4:5], 1, v[8:9]
	flat_load_u16 v12, v[10:11]
	s_wait_dscnt 0x1
	flat_load_u16 v13, v[8:9]
	s_wait_loadcnt_dscnt 0x0
	s_wait_xcnt 0x0
	v_dual_lshlrev_b32 v8, 16, v12 :: v_dual_lshlrev_b32 v9, 16, v13
	s_delay_alu instid0(VALU_DEP_1) | instskip(NEXT) | instid1(VALU_DEP_1)
	v_mul_f32_e32 v8, v9, v8
	v_and_b32_e32 v9, 0x7f800000, v8
	s_delay_alu instid0(VALU_DEP_1) | instskip(SKIP_1) | instid1(SALU_CYCLE_1)
	v_cmp_ne_u32_e32 vcc_lo, 0x7f800000, v9
                                        ; implicit-def: $vgpr9
	s_and_saveexec_b32 s36, vcc_lo
	s_xor_b32 s36, exec_lo, s36
; %bb.61:                               ;   in Loop: Header=BB614_4 Depth=1
	v_bfe_u32 v9, v8, 16, 1
	s_delay_alu instid0(VALU_DEP_1)
	v_add3_u32 v9, v8, v9, 0x7fff
                                        ; implicit-def: $vgpr8
; %bb.62:                               ;   in Loop: Header=BB614_4 Depth=1
	s_and_not1_saveexec_b32 s36, s36
; %bb.63:                               ;   in Loop: Header=BB614_4 Depth=1
	v_and_b32_e32 v9, 0xffff, v8
	v_or_b32_e32 v10, 0x10000, v8
	s_delay_alu instid0(VALU_DEP_2) | instskip(NEXT) | instid1(VALU_DEP_2)
	v_cmp_eq_u32_e32 vcc_lo, 0, v9
	v_cndmask_b32_e32 v9, v10, v8, vcc_lo
; %bb.64:                               ;   in Loop: Header=BB614_4 Depth=1
	s_or_b32 exec_lo, exec_lo, s36
	s_delay_alu instid0(VALU_DEP_1) | instskip(NEXT) | instid1(VALU_DEP_1)
	v_and_b32_e32 v8, 0xffff0000, v9
	v_add_f32_e32 v19, v19, v8
	s_or_b32 exec_lo, exec_lo, s35
	s_and_saveexec_b32 s35, s1
	s_cbranch_execnz .LBB614_25
	s_branch .LBB614_26
.LBB614_65:
	s_endpgm
	.section	.rodata,"a",@progbits
	.p2align	6, 0x0
	.amdhsa_kernel _ZL32rocblas_gemvt_warp_reduce_kernelILb0ELi1024EiPK16rocblas_bfloat16fKPS0_EviiT3_lPKT2_lT1_lS8_lS9_lS5_lPT4_lS9_li
		.amdhsa_group_segment_fixed_size 128
		.amdhsa_private_segment_fixed_size 0
		.amdhsa_kernarg_size 140
		.amdhsa_user_sgpr_count 2
		.amdhsa_user_sgpr_dispatch_ptr 0
		.amdhsa_user_sgpr_queue_ptr 0
		.amdhsa_user_sgpr_kernarg_segment_ptr 1
		.amdhsa_user_sgpr_dispatch_id 0
		.amdhsa_user_sgpr_kernarg_preload_length 0
		.amdhsa_user_sgpr_kernarg_preload_offset 0
		.amdhsa_user_sgpr_private_segment_size 0
		.amdhsa_wavefront_size32 1
		.amdhsa_uses_dynamic_stack 0
		.amdhsa_enable_private_segment 0
		.amdhsa_system_sgpr_workgroup_id_x 1
		.amdhsa_system_sgpr_workgroup_id_y 0
		.amdhsa_system_sgpr_workgroup_id_z 1
		.amdhsa_system_sgpr_workgroup_info 0
		.amdhsa_system_vgpr_workitem_id 0
		.amdhsa_next_free_vgpr 25
		.amdhsa_next_free_sgpr 40
		.amdhsa_named_barrier_count 0
		.amdhsa_reserve_vcc 1
		.amdhsa_float_round_mode_32 0
		.amdhsa_float_round_mode_16_64 0
		.amdhsa_float_denorm_mode_32 3
		.amdhsa_float_denorm_mode_16_64 3
		.amdhsa_fp16_overflow 0
		.amdhsa_memory_ordered 1
		.amdhsa_forward_progress 1
		.amdhsa_inst_pref_size 17
		.amdhsa_round_robin_scheduling 0
		.amdhsa_exception_fp_ieee_invalid_op 0
		.amdhsa_exception_fp_denorm_src 0
		.amdhsa_exception_fp_ieee_div_zero 0
		.amdhsa_exception_fp_ieee_overflow 0
		.amdhsa_exception_fp_ieee_underflow 0
		.amdhsa_exception_fp_ieee_inexact 0
		.amdhsa_exception_int_div_zero 0
	.end_amdhsa_kernel
	.section	.text._ZL32rocblas_gemvt_warp_reduce_kernelILb0ELi1024EiPK16rocblas_bfloat16fKPS0_EviiT3_lPKT2_lT1_lS8_lS9_lS5_lPT4_lS9_li,"axG",@progbits,_ZL32rocblas_gemvt_warp_reduce_kernelILb0ELi1024EiPK16rocblas_bfloat16fKPS0_EviiT3_lPKT2_lT1_lS8_lS9_lS5_lPT4_lS9_li,comdat
.Lfunc_end614:
	.size	_ZL32rocblas_gemvt_warp_reduce_kernelILb0ELi1024EiPK16rocblas_bfloat16fKPS0_EviiT3_lPKT2_lT1_lS8_lS9_lS5_lPT4_lS9_li, .Lfunc_end614-_ZL32rocblas_gemvt_warp_reduce_kernelILb0ELi1024EiPK16rocblas_bfloat16fKPS0_EviiT3_lPKT2_lT1_lS8_lS9_lS5_lPT4_lS9_li
                                        ; -- End function
	.set _ZL32rocblas_gemvt_warp_reduce_kernelILb0ELi1024EiPK16rocblas_bfloat16fKPS0_EviiT3_lPKT2_lT1_lS8_lS9_lS5_lPT4_lS9_li.num_vgpr, 25
	.set _ZL32rocblas_gemvt_warp_reduce_kernelILb0ELi1024EiPK16rocblas_bfloat16fKPS0_EviiT3_lPKT2_lT1_lS8_lS9_lS5_lPT4_lS9_li.num_agpr, 0
	.set _ZL32rocblas_gemvt_warp_reduce_kernelILb0ELi1024EiPK16rocblas_bfloat16fKPS0_EviiT3_lPKT2_lT1_lS8_lS9_lS5_lPT4_lS9_li.numbered_sgpr, 40
	.set _ZL32rocblas_gemvt_warp_reduce_kernelILb0ELi1024EiPK16rocblas_bfloat16fKPS0_EviiT3_lPKT2_lT1_lS8_lS9_lS5_lPT4_lS9_li.num_named_barrier, 0
	.set _ZL32rocblas_gemvt_warp_reduce_kernelILb0ELi1024EiPK16rocblas_bfloat16fKPS0_EviiT3_lPKT2_lT1_lS8_lS9_lS5_lPT4_lS9_li.private_seg_size, 0
	.set _ZL32rocblas_gemvt_warp_reduce_kernelILb0ELi1024EiPK16rocblas_bfloat16fKPS0_EviiT3_lPKT2_lT1_lS8_lS9_lS5_lPT4_lS9_li.uses_vcc, 1
	.set _ZL32rocblas_gemvt_warp_reduce_kernelILb0ELi1024EiPK16rocblas_bfloat16fKPS0_EviiT3_lPKT2_lT1_lS8_lS9_lS5_lPT4_lS9_li.uses_flat_scratch, 0
	.set _ZL32rocblas_gemvt_warp_reduce_kernelILb0ELi1024EiPK16rocblas_bfloat16fKPS0_EviiT3_lPKT2_lT1_lS8_lS9_lS5_lPT4_lS9_li.has_dyn_sized_stack, 0
	.set _ZL32rocblas_gemvt_warp_reduce_kernelILb0ELi1024EiPK16rocblas_bfloat16fKPS0_EviiT3_lPKT2_lT1_lS8_lS9_lS5_lPT4_lS9_li.has_recursion, 0
	.set _ZL32rocblas_gemvt_warp_reduce_kernelILb0ELi1024EiPK16rocblas_bfloat16fKPS0_EviiT3_lPKT2_lT1_lS8_lS9_lS5_lPT4_lS9_li.has_indirect_call, 0
	.section	.AMDGPU.csdata,"",@progbits
; Kernel info:
; codeLenInByte = 2164
; TotalNumSgprs: 42
; NumVgprs: 25
; ScratchSize: 0
; MemoryBound: 0
; FloatMode: 240
; IeeeMode: 1
; LDSByteSize: 128 bytes/workgroup (compile time only)
; SGPRBlocks: 0
; VGPRBlocks: 1
; NumSGPRsForWavesPerEU: 42
; NumVGPRsForWavesPerEU: 25
; NamedBarCnt: 0
; Occupancy: 16
; WaveLimiterHint : 1
; COMPUTE_PGM_RSRC2:SCRATCH_EN: 0
; COMPUTE_PGM_RSRC2:USER_SGPR: 2
; COMPUTE_PGM_RSRC2:TRAP_HANDLER: 0
; COMPUTE_PGM_RSRC2:TGID_X_EN: 1
; COMPUTE_PGM_RSRC2:TGID_Y_EN: 0
; COMPUTE_PGM_RSRC2:TGID_Z_EN: 1
; COMPUTE_PGM_RSRC2:TIDIG_COMP_CNT: 0
	.section	.text._ZL32rocblas_gemvt_warp_reduce_kernelILb0ELi1024ElPK16rocblas_bfloat16fKPS0_EviiT3_lPKT2_lT1_lS8_lS9_lS5_lPT4_lS9_li,"axG",@progbits,_ZL32rocblas_gemvt_warp_reduce_kernelILb0ELi1024ElPK16rocblas_bfloat16fKPS0_EviiT3_lPKT2_lT1_lS8_lS9_lS5_lPT4_lS9_li,comdat
	.globl	_ZL32rocblas_gemvt_warp_reduce_kernelILb0ELi1024ElPK16rocblas_bfloat16fKPS0_EviiT3_lPKT2_lT1_lS8_lS9_lS5_lPT4_lS9_li ; -- Begin function _ZL32rocblas_gemvt_warp_reduce_kernelILb0ELi1024ElPK16rocblas_bfloat16fKPS0_EviiT3_lPKT2_lT1_lS8_lS9_lS5_lPT4_lS9_li
	.p2align	8
	.type	_ZL32rocblas_gemvt_warp_reduce_kernelILb0ELi1024ElPK16rocblas_bfloat16fKPS0_EviiT3_lPKT2_lT1_lS8_lS9_lS5_lPT4_lS9_li,@function
_ZL32rocblas_gemvt_warp_reduce_kernelILb0ELi1024ElPK16rocblas_bfloat16fKPS0_EviiT3_lPKT2_lT1_lS8_lS9_lS5_lPT4_lS9_li: ; @_ZL32rocblas_gemvt_warp_reduce_kernelILb0ELi1024ElPK16rocblas_bfloat16fKPS0_EviiT3_lPKT2_lT1_lS8_lS9_lS5_lPT4_lS9_li
; %bb.0:
	s_load_b32 s5, s[0:1], 0x88
	s_bfe_u32 s2, ttmp6, 0x40014
	s_lshr_b32 s3, ttmp7, 16
	s_add_co_i32 s2, s2, 1
	s_bfe_u32 s6, ttmp6, 0x40008
	s_mul_i32 s4, s3, s2
	s_getreg_b32 s2, hwreg(HW_REG_IB_STS2, 6, 4)
	s_add_co_i32 s6, s6, s4
	s_cmp_eq_u32 s2, 0
	s_mov_b32 s7, 0
	s_cselect_b32 s6, s3, s6
	s_wait_kmcnt 0x0
	s_cmp_ge_u32 s6, s5
	s_cbranch_scc1 .LBB615_65
; %bb.1:
	s_clause 0x7
	s_load_b32 s28, s[0:1], 0x8
	s_load_b32 s29, s[0:1], 0x58
	s_load_b128 s[8:11], s[0:1], 0x18
	s_load_b64 s[22:23], s[0:1], 0x28
	s_load_b32 s4, s[0:1], 0x0
	s_load_b128 s[12:15], s[0:1], 0x68
	s_load_b64 s[24:25], s[0:1], 0x48
	s_load_b64 s[26:27], s[0:1], 0x78
	v_mbcnt_lo_u32_b32 v20, -1, 0
	s_delay_alu instid0(VALU_DEP_1)
	v_lshl_or_b32 v21, v20, 2, 64
	s_wait_kmcnt 0x0
	s_cmp_eq_f32 s28, 0
	s_cselect_b32 s30, -1, 0
	s_cmp_neq_f32 s29, 1.0
	s_cselect_b32 s3, -1, 0
	s_cmp_neq_f32 s28, 0
	s_cselect_b32 s16, -1, 0
	s_delay_alu instid0(SALU_CYCLE_1)
	s_or_b32 s31, s16, s3
	s_cmp_neq_f32 s29, 0
	v_cndmask_b32_e64 v18, 0, 1, s16
	s_cselect_b32 s33, -1, 0
	s_cmp_eq_f32 s29, 0
	s_cselect_b32 s34, -1, 0
	s_bfe_u32 s3, ttmp6, 0x4000c
	s_and_b32 s16, ttmp6, 15
	s_add_co_i32 s3, s3, 1
	s_delay_alu instid0(SALU_CYCLE_1) | instskip(NEXT) | instid1(SALU_CYCLE_1)
	s_mul_i32 s3, ttmp9, s3
	s_add_co_i32 s16, s16, s3
	s_cmp_eq_u32 s2, 0
	s_cselect_b32 s2, ttmp9, s16
	s_load_b128 s[16:19], s[0:1], 0x38
	s_ashr_i32 s3, s4, 31
	v_cmp_gt_i32_e32 vcc_lo, s4, v0
	s_lshr_b32 s3, s3, 22
	s_wait_xcnt 0x0
	v_cmp_eq_u32_e64 s0, 0, v0
	s_add_co_i32 s3, s4, s3
	s_lshl_b64 s[10:11], s[10:11], 1
	s_and_b32 s20, s3, 0xfffffc00
	s_delay_alu instid0(SALU_CYCLE_1) | instskip(SKIP_3) | instid1(VALU_DEP_2)
	v_dual_mov_b32 v3, 0 :: v_dual_bitop2_b32 v8, s20, v0 bitop3:0x54
	s_ashr_i32 s3, s2, 31
	v_cndmask_b32_e32 v2, 0, v0, vcc_lo
	s_mul_u64 s[26:27], s[26:27], s[2:3]
	v_dual_mov_b32 v1, v3 :: v_dual_ashrrev_i32 v9, 31, v8
	s_mul_u64 s[22:23], s[22:23], s[2:3]
	v_cmp_gt_i32_e64 s2, s4, v8
	v_cmp_gt_i32_e64 s1, s20, v0
	s_delay_alu instid0(VALU_DEP_3)
	v_mul_u64_e32 v[6:7], s[24:25], v[0:1]
	v_mul_u64_e32 v[4:5], s[24:25], v[8:9]
	v_dual_lshrrev_b32 v8, 3, v0 :: v_dual_bitop2_b32 v9, 31, v0 bitop3:0x40
	v_cmp_gt_u32_e64 s3, 32, v0
	v_lshlrev_b32_e32 v2, 1, v2
	s_ashr_i32 s21, s20, 31
	v_lshlrev_b32_e32 v1, 2, v9
	v_cmp_eq_u32_e64 s4, 0, v9
	v_and_b32_e32 v19, 0x7c, v8
	s_lshl_b64 s[24:25], s[24:25], 11
	s_wait_kmcnt 0x0
	s_lshl_b64 s[18:19], s[18:19], 1
	s_lshl_b64 s[14:15], s[14:15], 1
	;; [unrolled: 1-line block ×3, first 2 shown]
	v_lshlrev_b64_e32 v[6:7], 1, v[6:7]
	s_branch .LBB615_4
.LBB615_2:                              ;   in Loop: Header=BB615_4 Depth=1
	s_wait_xcnt 0x0
	s_or_b32 exec_lo, exec_lo, s36
.LBB615_3:                              ;   in Loop: Header=BB615_4 Depth=1
	s_add_co_i32 s6, s6, 0x10000
	s_delay_alu instid0(SALU_CYCLE_1)
	s_cmp_lt_u32 s6, s5
	s_cbranch_scc0 .LBB615_65
.LBB615_4:                              ; =>This Loop Header: Depth=1
                                        ;     Child Loop BB615_33 Depth 2
	s_and_not1_b32 vcc_lo, exec_lo, s31
	s_cbranch_vccnz .LBB615_3
; %bb.5:                                ;   in Loop: Header=BB615_4 Depth=1
	s_and_not1_b32 vcc_lo, exec_lo, s30
	s_cbranch_vccnz .LBB615_7
; %bb.6:                                ;   in Loop: Header=BB615_4 Depth=1
	v_mov_b64_e32 v[10:11], 0
	v_mov_b64_e32 v[12:13], 0
	s_cbranch_execz .LBB615_8
	s_branch .LBB615_9
.LBB615_7:                              ;   in Loop: Header=BB615_4 Depth=1
	v_mov_b64_e32 v[10:11], 0
	v_mov_b64_e32 v[12:13], 0
.LBB615_8:                              ;   in Loop: Header=BB615_4 Depth=1
	s_lshl_b64 s[36:37], s[6:7], 3
	s_delay_alu instid0(SALU_CYCLE_1)
	s_add_nc_u64 s[36:37], s[8:9], s[36:37]
	global_load_b64 v[8:9], v3, s[36:37]
	s_wait_loadcnt 0x0
	v_add_nc_u64_e32 v[12:13], s[10:11], v[8:9]
.LBB615_9:                              ;   in Loop: Header=BB615_4 Depth=1
	v_cmp_ne_u32_e32 vcc_lo, 1, v18
	s_cbranch_vccnz .LBB615_11
; %bb.10:                               ;   in Loop: Header=BB615_4 Depth=1
	s_wait_xcnt 0x0
	s_lshl_b64 s[36:37], s[6:7], 3
	s_delay_alu instid0(SALU_CYCLE_1)
	s_add_nc_u64 s[36:37], s[16:17], s[36:37]
	global_load_b64 v[8:9], v3, s[36:37]
	s_wait_loadcnt 0x0
	v_add_nc_u64_e32 v[10:11], s[18:19], v[8:9]
.LBB615_11:                             ;   in Loop: Header=BB615_4 Depth=1
	s_wait_xcnt 0x0
	s_lshl_b64 s[36:37], s[6:7], 3
	s_and_not1_b32 vcc_lo, exec_lo, s30
	s_add_nc_u64 s[36:37], s[12:13], s[36:37]
	global_load_b64 v[8:9], v3, s[36:37]
	s_wait_loadcnt 0x0
	v_add_nc_u64_e32 v[8:9], s[14:15], v[8:9]
	s_cbranch_vccnz .LBB615_19
; %bb.12:                               ;   in Loop: Header=BB615_4 Depth=1
	s_wait_xcnt 0x0
	s_mov_b32 s36, 0
	s_mov_b32 s35, 0
                                        ; implicit-def: $vgpr14
	s_and_saveexec_b32 s37, s0
	s_cbranch_execz .LBB615_20
; %bb.13:                               ;   in Loop: Header=BB615_4 Depth=1
	s_and_not1_b32 vcc_lo, exec_lo, s33
	s_cbranch_vccnz .LBB615_21
; %bb.14:                               ;   in Loop: Header=BB615_4 Depth=1
	s_wait_dscnt 0x0
	v_add_nc_u64_e32 v[14:15], s[26:27], v[8:9]
	flat_load_u16 v14, v[14:15]
	s_wait_loadcnt_dscnt 0x0
	s_wait_xcnt 0x0
	v_lshlrev_b32_e32 v14, 16, v14
	s_delay_alu instid0(VALU_DEP_1) | instskip(NEXT) | instid1(VALU_DEP_1)
	v_mul_f32_e32 v14, s29, v14
	v_and_b32_e32 v15, 0x7f800000, v14
	s_delay_alu instid0(VALU_DEP_1) | instskip(SKIP_1) | instid1(SALU_CYCLE_1)
	v_cmp_ne_u32_e32 vcc_lo, 0x7f800000, v15
                                        ; implicit-def: $vgpr15
	s_and_saveexec_b32 s35, vcc_lo
	s_xor_b32 s35, exec_lo, s35
; %bb.15:                               ;   in Loop: Header=BB615_4 Depth=1
	v_bfe_u32 v15, v14, 16, 1
	s_delay_alu instid0(VALU_DEP_1)
	v_add3_u32 v15, v14, v15, 0x7fff
                                        ; implicit-def: $vgpr14
; %bb.16:                               ;   in Loop: Header=BB615_4 Depth=1
	s_and_not1_saveexec_b32 s35, s35
; %bb.17:                               ;   in Loop: Header=BB615_4 Depth=1
	v_and_b32_e32 v15, 0xffff, v14
	v_or_b32_e32 v16, 0x10000, v14
	s_delay_alu instid0(VALU_DEP_2) | instskip(NEXT) | instid1(VALU_DEP_2)
	v_cmp_eq_u32_e32 vcc_lo, 0, v15
	v_cndmask_b32_e32 v15, v16, v14, vcc_lo
; %bb.18:                               ;   in Loop: Header=BB615_4 Depth=1
	s_or_b32 exec_lo, exec_lo, s35
	s_delay_alu instid0(VALU_DEP_1) | instskip(SKIP_2) | instid1(SALU_CYCLE_1)
	v_lshrrev_b32_e32 v14, 16, v15
	s_mov_b32 s35, exec_lo
	s_or_b32 exec_lo, exec_lo, s37
	s_and_b32 vcc_lo, exec_lo, s36
	s_cbranch_vccnz .LBB615_22
	s_branch .LBB615_57
.LBB615_19:                             ;   in Loop: Header=BB615_4 Depth=1
	s_wait_xcnt 0x0
	s_mov_b32 s35, 0
                                        ; implicit-def: $vgpr14
	s_cbranch_execnz .LBB615_22
	s_branch .LBB615_57
.LBB615_20:                             ;   in Loop: Header=BB615_4 Depth=1
	s_or_b32 exec_lo, exec_lo, s37
	s_delay_alu instid0(SALU_CYCLE_1)
	s_and_b32 vcc_lo, exec_lo, s36
	s_cbranch_vccnz .LBB615_22
	s_branch .LBB615_57
.LBB615_21:                             ;   in Loop: Header=BB615_4 Depth=1
	v_mov_b32_e32 v14, 0
	s_mov_b32 s35, exec_lo
	s_or_b32 exec_lo, exec_lo, s37
	s_delay_alu instid0(SALU_CYCLE_1)
	s_and_b32 vcc_lo, exec_lo, s36
	s_cbranch_vccz .LBB615_57
.LBB615_22:                             ;   in Loop: Header=BB615_4 Depth=1
	v_add_nc_u64_e32 v[12:13], v[12:13], v[2:3]
	v_mov_b32_e32 v22, 0
	s_delay_alu instid0(VALU_DEP_2)
	v_lshl_add_u64 v[12:13], s[22:23], 1, v[12:13]
	s_and_saveexec_b32 s36, s1
	s_cbranch_execnz .LBB615_31
; %bb.23:                               ;   in Loop: Header=BB615_4 Depth=1
	s_or_b32 exec_lo, exec_lo, s36
	s_and_saveexec_b32 s36, s2
	s_cbranch_execnz .LBB615_60
.LBB615_24:                             ;   in Loop: Header=BB615_4 Depth=1
	s_or_b32 exec_lo, exec_lo, s36
	s_and_saveexec_b32 s36, s3
.LBB615_25:                             ;   in Loop: Header=BB615_4 Depth=1
	ds_store_b32 v1, v3
.LBB615_26:                             ;   in Loop: Header=BB615_4 Depth=1
	s_or_b32 exec_lo, exec_lo, s36
	ds_bpermute_b32 v11, v21, v22
	v_cmp_gt_u32_e32 vcc_lo, 24, v20
	s_wait_dscnt 0x0
	s_barrier_signal -1
	s_barrier_wait -1
	v_cndmask_b32_e64 v10, 0, 8, vcc_lo
	v_cmp_gt_u32_e32 vcc_lo, 28, v20
	s_delay_alu instid0(VALU_DEP_2)
	v_add_lshl_u32 v10, v10, v20, 2
	v_add_f32_e32 v12, v22, v11
	v_cndmask_b32_e64 v11, 0, 4, vcc_lo
	v_cmp_gt_u32_e32 vcc_lo, 30, v20
	ds_bpermute_b32 v13, v10, v12
	v_add_lshl_u32 v11, v11, v20, 2
	s_wait_dscnt 0x0
	v_add_f32_e32 v13, v12, v13
	v_cndmask_b32_e64 v12, 0, 2, vcc_lo
	v_cmp_ne_u32_e32 vcc_lo, 31, v20
	ds_bpermute_b32 v14, v11, v13
	v_add_lshl_u32 v12, v12, v20, 2
	v_add_co_ci_u32_e64 v15, null, 0, v20, vcc_lo
	s_wait_dscnt 0x0
	v_add_f32_e32 v13, v13, v14
	ds_bpermute_b32 v14, v12, v13
	s_wait_dscnt 0x0
	v_dual_add_f32 v14, v13, v14 :: v_dual_lshlrev_b32 v13, 2, v15
	ds_bpermute_b32 v15, v13, v14
	s_and_saveexec_b32 s36, s4
	s_cbranch_execz .LBB615_28
; %bb.27:                               ;   in Loop: Header=BB615_4 Depth=1
	s_wait_dscnt 0x0
	v_add_f32_e32 v14, v14, v15
	ds_store_b32 v19, v14
.LBB615_28:                             ;   in Loop: Header=BB615_4 Depth=1
	s_or_b32 exec_lo, exec_lo, s36
	s_wait_dscnt 0x0
	v_mov_b32_e32 v15, 0
	s_barrier_signal -1
	s_barrier_wait -1
	s_and_saveexec_b32 s36, s3
	s_cbranch_execnz .LBB615_37
; %bb.29:                               ;   in Loop: Header=BB615_4 Depth=1
	s_or_b32 exec_lo, exec_lo, s36
	s_and_saveexec_b32 s36, s3
	s_cbranch_execnz .LBB615_38
.LBB615_30:                             ;   in Loop: Header=BB615_4 Depth=1
	s_or_b32 exec_lo, exec_lo, s36
                                        ; implicit-def: $vgpr14
	s_and_saveexec_b32 s36, s0
	s_cbranch_execnz .LBB615_39
	s_branch .LBB615_56
.LBB615_31:                             ;   in Loop: Header=BB615_4 Depth=1
	s_wait_dscnt 0x0
	v_add_nc_u64_e32 v[14:15], v[10:11], v[6:7]
	v_mov_b64_e32 v[16:17], v[12:13]
	v_dual_mov_b32 v22, 0 :: v_dual_mov_b32 v23, v0
	s_mov_b32 s37, 0
	s_branch .LBB615_33
.LBB615_32:                             ;   in Loop: Header=BB615_33 Depth=2
	s_or_b32 exec_lo, exec_lo, s38
	s_delay_alu instid0(VALU_DEP_1) | instskip(SKIP_3) | instid1(VALU_DEP_4)
	v_and_b32_e32 v24, 0xffff0000, v25
	v_add_nc_u32_e32 v23, 0x400, v23
	v_add_nc_u64_e32 v[16:17], 0x800, v[16:17]
	v_add_nc_u64_e32 v[14:15], s[24:25], v[14:15]
	v_add_f32_e32 v22, v22, v24
	s_delay_alu instid0(VALU_DEP_4) | instskip(SKIP_1) | instid1(SALU_CYCLE_1)
	v_cmp_le_i32_e32 vcc_lo, s20, v23
	s_or_b32 s37, vcc_lo, s37
	s_and_not1_b32 exec_lo, exec_lo, s37
	s_cbranch_execz .LBB615_59
.LBB615_33:                             ;   Parent Loop BB615_4 Depth=1
                                        ; =>  This Inner Loop Header: Depth=2
	flat_load_u16 v24, v[16:17]
	flat_load_u16 v25, v[14:15]
	s_wait_loadcnt_dscnt 0x0
	v_dual_lshlrev_b32 v24, 16, v24 :: v_dual_lshlrev_b32 v25, 16, v25
	s_delay_alu instid0(VALU_DEP_1) | instskip(NEXT) | instid1(VALU_DEP_1)
	v_mul_f32_e32 v24, v25, v24
	v_and_b32_e32 v25, 0x7f800000, v24
	s_delay_alu instid0(VALU_DEP_1) | instskip(SKIP_2) | instid1(SALU_CYCLE_1)
	v_cmp_ne_u32_e32 vcc_lo, 0x7f800000, v25
                                        ; implicit-def: $vgpr25
	s_wait_xcnt 0x0
	s_and_saveexec_b32 s38, vcc_lo
	s_xor_b32 s38, exec_lo, s38
; %bb.34:                               ;   in Loop: Header=BB615_33 Depth=2
	v_bfe_u32 v25, v24, 16, 1
	s_delay_alu instid0(VALU_DEP_1)
	v_add3_u32 v25, v24, v25, 0x7fff
                                        ; implicit-def: $vgpr24
; %bb.35:                               ;   in Loop: Header=BB615_33 Depth=2
	s_and_not1_saveexec_b32 s38, s38
	s_cbranch_execz .LBB615_32
; %bb.36:                               ;   in Loop: Header=BB615_33 Depth=2
	v_and_b32_e32 v25, 0xffff, v24
	v_or_b32_e32 v26, 0x10000, v24
	s_delay_alu instid0(VALU_DEP_2) | instskip(NEXT) | instid1(VALU_DEP_2)
	v_cmp_eq_u32_e32 vcc_lo, 0, v25
	v_cndmask_b32_e32 v25, v26, v24, vcc_lo
	s_branch .LBB615_32
.LBB615_37:                             ;   in Loop: Header=BB615_4 Depth=1
	ds_load_b32 v15, v1
	s_or_b32 exec_lo, exec_lo, s36
	s_and_saveexec_b32 s36, s3
	s_cbranch_execz .LBB615_30
.LBB615_38:                             ;   in Loop: Header=BB615_4 Depth=1
	s_wait_dscnt 0x0
	ds_bpermute_b32 v14, v21, v15
	s_wait_dscnt 0x0
	v_add_f32_e32 v14, v15, v14
	ds_bpermute_b32 v10, v10, v14
	s_wait_dscnt 0x0
	v_add_f32_e32 v10, v14, v10
	;; [unrolled: 3-line block ×5, first 2 shown]
	s_or_b32 exec_lo, exec_lo, s36
                                        ; implicit-def: $vgpr14
	s_and_saveexec_b32 s36, s0
	s_cbranch_execz .LBB615_56
.LBB615_39:                             ;   in Loop: Header=BB615_4 Depth=1
	s_wait_dscnt 0x0
	v_mul_f32_e32 v10, s28, v15
	s_and_b32 vcc_lo, exec_lo, s34
	s_mov_b32 s37, -1
                                        ; implicit-def: $vgpr11
	s_cbranch_vccz .LBB615_45
; %bb.40:                               ;   in Loop: Header=BB615_4 Depth=1
	s_delay_alu instid0(VALU_DEP_1) | instskip(NEXT) | instid1(VALU_DEP_1)
	v_and_b32_e32 v11, 0x7f800000, v10
	v_cmp_ne_u32_e32 vcc_lo, 0x7f800000, v11
                                        ; implicit-def: $vgpr11
	s_and_saveexec_b32 s37, vcc_lo
	s_delay_alu instid0(SALU_CYCLE_1)
	s_xor_b32 s37, exec_lo, s37
; %bb.41:                               ;   in Loop: Header=BB615_4 Depth=1
	v_bfe_u32 v11, v10, 16, 1
	s_delay_alu instid0(VALU_DEP_1)
	v_add3_u32 v11, v10, v11, 0x7fff
; %bb.42:                               ;   in Loop: Header=BB615_4 Depth=1
	s_and_not1_saveexec_b32 s37, s37
; %bb.43:                               ;   in Loop: Header=BB615_4 Depth=1
	v_and_b32_e32 v11, 0xffff, v10
	v_or_b32_e32 v12, 0x10000, v10
	s_delay_alu instid0(VALU_DEP_2) | instskip(NEXT) | instid1(VALU_DEP_2)
	v_cmp_eq_u32_e32 vcc_lo, 0, v11
	v_cndmask_b32_e32 v11, v12, v10, vcc_lo
; %bb.44:                               ;   in Loop: Header=BB615_4 Depth=1
	s_or_b32 exec_lo, exec_lo, s37
	s_mov_b32 s37, 0
.LBB615_45:                             ;   in Loop: Header=BB615_4 Depth=1
	s_delay_alu instid0(SALU_CYCLE_1)
	s_and_not1_b32 vcc_lo, exec_lo, s37
	s_cbranch_vccnz .LBB615_55
; %bb.46:                               ;   in Loop: Header=BB615_4 Depth=1
	v_add_nc_u64_e32 v[12:13], s[26:27], v[8:9]
	flat_load_u16 v11, v[12:13]
	s_wait_loadcnt_dscnt 0x0
	v_lshlrev_b32_e32 v11, 16, v11
	s_delay_alu instid0(VALU_DEP_1) | instskip(SKIP_1) | instid1(VALU_DEP_1)
	v_mul_f32_e32 v11, s29, v11
	s_wait_xcnt 0x0
	v_and_b32_e32 v12, 0x7f800000, v11
	s_delay_alu instid0(VALU_DEP_1) | instskip(SKIP_1) | instid1(SALU_CYCLE_1)
	v_cmp_ne_u32_e32 vcc_lo, 0x7f800000, v12
                                        ; implicit-def: $vgpr12
	s_and_saveexec_b32 s37, vcc_lo
	s_xor_b32 s37, exec_lo, s37
; %bb.47:                               ;   in Loop: Header=BB615_4 Depth=1
	v_bfe_u32 v12, v11, 16, 1
	s_delay_alu instid0(VALU_DEP_1)
	v_add3_u32 v12, v11, v12, 0x7fff
                                        ; implicit-def: $vgpr11
; %bb.48:                               ;   in Loop: Header=BB615_4 Depth=1
	s_and_not1_saveexec_b32 s37, s37
; %bb.49:                               ;   in Loop: Header=BB615_4 Depth=1
	v_and_b32_e32 v12, 0xffff, v11
	v_or_b32_e32 v13, 0x10000, v11
	s_delay_alu instid0(VALU_DEP_2) | instskip(NEXT) | instid1(VALU_DEP_2)
	v_cmp_eq_u32_e32 vcc_lo, 0, v12
	v_cndmask_b32_e32 v12, v13, v11, vcc_lo
; %bb.50:                               ;   in Loop: Header=BB615_4 Depth=1
	s_or_b32 exec_lo, exec_lo, s37
	s_delay_alu instid0(VALU_DEP_1) | instskip(NEXT) | instid1(VALU_DEP_1)
	v_and_b32_e32 v11, 0xffff0000, v12
	v_add_f32_e32 v10, v10, v11
	s_delay_alu instid0(VALU_DEP_1) | instskip(NEXT) | instid1(VALU_DEP_1)
	v_and_b32_e32 v11, 0x7f800000, v10
	v_cmp_ne_u32_e32 vcc_lo, 0x7f800000, v11
                                        ; implicit-def: $vgpr11
	s_and_saveexec_b32 s37, vcc_lo
	s_delay_alu instid0(SALU_CYCLE_1)
	s_xor_b32 s37, exec_lo, s37
; %bb.51:                               ;   in Loop: Header=BB615_4 Depth=1
	v_bfe_u32 v11, v10, 16, 1
	s_delay_alu instid0(VALU_DEP_1)
	v_add3_u32 v11, v10, v11, 0x7fff
                                        ; implicit-def: $vgpr10
; %bb.52:                               ;   in Loop: Header=BB615_4 Depth=1
	s_and_not1_saveexec_b32 s37, s37
; %bb.53:                               ;   in Loop: Header=BB615_4 Depth=1
	v_and_b32_e32 v11, 0xffff, v10
	v_or_b32_e32 v12, 0x10000, v10
	s_delay_alu instid0(VALU_DEP_2) | instskip(NEXT) | instid1(VALU_DEP_2)
	v_cmp_eq_u32_e32 vcc_lo, 0, v11
	v_cndmask_b32_e32 v11, v12, v10, vcc_lo
; %bb.54:                               ;   in Loop: Header=BB615_4 Depth=1
	s_or_b32 exec_lo, exec_lo, s37
.LBB615_55:                             ;   in Loop: Header=BB615_4 Depth=1
	s_delay_alu instid0(VALU_DEP_1)
	v_lshrrev_b32_e32 v14, 16, v11
	s_or_b32 s35, s35, exec_lo
.LBB615_56:                             ;   in Loop: Header=BB615_4 Depth=1
	s_or_b32 exec_lo, exec_lo, s36
.LBB615_57:                             ;   in Loop: Header=BB615_4 Depth=1
	s_and_saveexec_b32 s36, s35
	s_cbranch_execz .LBB615_2
; %bb.58:                               ;   in Loop: Header=BB615_4 Depth=1
	v_add_nc_u64_e32 v[8:9], s[26:27], v[8:9]
	flat_store_b16 v[8:9], v14
	s_branch .LBB615_2
.LBB615_59:                             ;   in Loop: Header=BB615_4 Depth=1
	s_or_b32 exec_lo, exec_lo, s37
	s_delay_alu instid0(SALU_CYCLE_1)
	s_or_b32 exec_lo, exec_lo, s36
	s_and_saveexec_b32 s36, s2
	s_cbranch_execz .LBB615_24
.LBB615_60:                             ;   in Loop: Header=BB615_4 Depth=1
	v_lshl_add_u64 v[12:13], s[20:21], 1, v[12:13]
	v_lshl_add_u64 v[10:11], v[4:5], 1, v[10:11]
	flat_load_u16 v14, v[12:13]
	s_wait_dscnt 0x1
	flat_load_u16 v15, v[10:11]
	s_wait_loadcnt_dscnt 0x0
	s_wait_xcnt 0x0
	v_dual_lshlrev_b32 v10, 16, v14 :: v_dual_lshlrev_b32 v11, 16, v15
	s_delay_alu instid0(VALU_DEP_1) | instskip(NEXT) | instid1(VALU_DEP_1)
	v_mul_f32_e32 v10, v11, v10
	v_and_b32_e32 v11, 0x7f800000, v10
	s_delay_alu instid0(VALU_DEP_1) | instskip(SKIP_1) | instid1(SALU_CYCLE_1)
	v_cmp_ne_u32_e32 vcc_lo, 0x7f800000, v11
                                        ; implicit-def: $vgpr11
	s_and_saveexec_b32 s37, vcc_lo
	s_xor_b32 s37, exec_lo, s37
; %bb.61:                               ;   in Loop: Header=BB615_4 Depth=1
	v_bfe_u32 v11, v10, 16, 1
	s_delay_alu instid0(VALU_DEP_1)
	v_add3_u32 v11, v10, v11, 0x7fff
                                        ; implicit-def: $vgpr10
; %bb.62:                               ;   in Loop: Header=BB615_4 Depth=1
	s_and_not1_saveexec_b32 s37, s37
; %bb.63:                               ;   in Loop: Header=BB615_4 Depth=1
	v_and_b32_e32 v11, 0xffff, v10
	v_or_b32_e32 v12, 0x10000, v10
	s_delay_alu instid0(VALU_DEP_2) | instskip(NEXT) | instid1(VALU_DEP_2)
	v_cmp_eq_u32_e32 vcc_lo, 0, v11
	v_cndmask_b32_e32 v11, v12, v10, vcc_lo
; %bb.64:                               ;   in Loop: Header=BB615_4 Depth=1
	s_or_b32 exec_lo, exec_lo, s37
	s_delay_alu instid0(VALU_DEP_1) | instskip(NEXT) | instid1(VALU_DEP_1)
	v_and_b32_e32 v10, 0xffff0000, v11
	v_add_f32_e32 v22, v22, v10
	s_or_b32 exec_lo, exec_lo, s36
	s_and_saveexec_b32 s36, s3
	s_cbranch_execnz .LBB615_25
	s_branch .LBB615_26
.LBB615_65:
	s_endpgm
	.section	.rodata,"a",@progbits
	.p2align	6, 0x0
	.amdhsa_kernel _ZL32rocblas_gemvt_warp_reduce_kernelILb0ELi1024ElPK16rocblas_bfloat16fKPS0_EviiT3_lPKT2_lT1_lS8_lS9_lS5_lPT4_lS9_li
		.amdhsa_group_segment_fixed_size 128
		.amdhsa_private_segment_fixed_size 0
		.amdhsa_kernarg_size 140
		.amdhsa_user_sgpr_count 2
		.amdhsa_user_sgpr_dispatch_ptr 0
		.amdhsa_user_sgpr_queue_ptr 0
		.amdhsa_user_sgpr_kernarg_segment_ptr 1
		.amdhsa_user_sgpr_dispatch_id 0
		.amdhsa_user_sgpr_kernarg_preload_length 0
		.amdhsa_user_sgpr_kernarg_preload_offset 0
		.amdhsa_user_sgpr_private_segment_size 0
		.amdhsa_wavefront_size32 1
		.amdhsa_uses_dynamic_stack 0
		.amdhsa_enable_private_segment 0
		.amdhsa_system_sgpr_workgroup_id_x 1
		.amdhsa_system_sgpr_workgroup_id_y 0
		.amdhsa_system_sgpr_workgroup_id_z 1
		.amdhsa_system_sgpr_workgroup_info 0
		.amdhsa_system_vgpr_workitem_id 0
		.amdhsa_next_free_vgpr 27
		.amdhsa_next_free_sgpr 39
		.amdhsa_named_barrier_count 0
		.amdhsa_reserve_vcc 1
		.amdhsa_float_round_mode_32 0
		.amdhsa_float_round_mode_16_64 0
		.amdhsa_float_denorm_mode_32 3
		.amdhsa_float_denorm_mode_16_64 3
		.amdhsa_fp16_overflow 0
		.amdhsa_memory_ordered 1
		.amdhsa_forward_progress 1
		.amdhsa_inst_pref_size 17
		.amdhsa_round_robin_scheduling 0
		.amdhsa_exception_fp_ieee_invalid_op 0
		.amdhsa_exception_fp_denorm_src 0
		.amdhsa_exception_fp_ieee_div_zero 0
		.amdhsa_exception_fp_ieee_overflow 0
		.amdhsa_exception_fp_ieee_underflow 0
		.amdhsa_exception_fp_ieee_inexact 0
		.amdhsa_exception_int_div_zero 0
	.end_amdhsa_kernel
	.section	.text._ZL32rocblas_gemvt_warp_reduce_kernelILb0ELi1024ElPK16rocblas_bfloat16fKPS0_EviiT3_lPKT2_lT1_lS8_lS9_lS5_lPT4_lS9_li,"axG",@progbits,_ZL32rocblas_gemvt_warp_reduce_kernelILb0ELi1024ElPK16rocblas_bfloat16fKPS0_EviiT3_lPKT2_lT1_lS8_lS9_lS5_lPT4_lS9_li,comdat
.Lfunc_end615:
	.size	_ZL32rocblas_gemvt_warp_reduce_kernelILb0ELi1024ElPK16rocblas_bfloat16fKPS0_EviiT3_lPKT2_lT1_lS8_lS9_lS5_lPT4_lS9_li, .Lfunc_end615-_ZL32rocblas_gemvt_warp_reduce_kernelILb0ELi1024ElPK16rocblas_bfloat16fKPS0_EviiT3_lPKT2_lT1_lS8_lS9_lS5_lPT4_lS9_li
                                        ; -- End function
	.set _ZL32rocblas_gemvt_warp_reduce_kernelILb0ELi1024ElPK16rocblas_bfloat16fKPS0_EviiT3_lPKT2_lT1_lS8_lS9_lS5_lPT4_lS9_li.num_vgpr, 27
	.set _ZL32rocblas_gemvt_warp_reduce_kernelILb0ELi1024ElPK16rocblas_bfloat16fKPS0_EviiT3_lPKT2_lT1_lS8_lS9_lS5_lPT4_lS9_li.num_agpr, 0
	.set _ZL32rocblas_gemvt_warp_reduce_kernelILb0ELi1024ElPK16rocblas_bfloat16fKPS0_EviiT3_lPKT2_lT1_lS8_lS9_lS5_lPT4_lS9_li.numbered_sgpr, 39
	.set _ZL32rocblas_gemvt_warp_reduce_kernelILb0ELi1024ElPK16rocblas_bfloat16fKPS0_EviiT3_lPKT2_lT1_lS8_lS9_lS5_lPT4_lS9_li.num_named_barrier, 0
	.set _ZL32rocblas_gemvt_warp_reduce_kernelILb0ELi1024ElPK16rocblas_bfloat16fKPS0_EviiT3_lPKT2_lT1_lS8_lS9_lS5_lPT4_lS9_li.private_seg_size, 0
	.set _ZL32rocblas_gemvt_warp_reduce_kernelILb0ELi1024ElPK16rocblas_bfloat16fKPS0_EviiT3_lPKT2_lT1_lS8_lS9_lS5_lPT4_lS9_li.uses_vcc, 1
	.set _ZL32rocblas_gemvt_warp_reduce_kernelILb0ELi1024ElPK16rocblas_bfloat16fKPS0_EviiT3_lPKT2_lT1_lS8_lS9_lS5_lPT4_lS9_li.uses_flat_scratch, 0
	.set _ZL32rocblas_gemvt_warp_reduce_kernelILb0ELi1024ElPK16rocblas_bfloat16fKPS0_EviiT3_lPKT2_lT1_lS8_lS9_lS5_lPT4_lS9_li.has_dyn_sized_stack, 0
	.set _ZL32rocblas_gemvt_warp_reduce_kernelILb0ELi1024ElPK16rocblas_bfloat16fKPS0_EviiT3_lPKT2_lT1_lS8_lS9_lS5_lPT4_lS9_li.has_recursion, 0
	.set _ZL32rocblas_gemvt_warp_reduce_kernelILb0ELi1024ElPK16rocblas_bfloat16fKPS0_EviiT3_lPKT2_lT1_lS8_lS9_lS5_lPT4_lS9_li.has_indirect_call, 0
	.section	.AMDGPU.csdata,"",@progbits
; Kernel info:
; codeLenInByte = 2144
; TotalNumSgprs: 41
; NumVgprs: 27
; ScratchSize: 0
; MemoryBound: 0
; FloatMode: 240
; IeeeMode: 1
; LDSByteSize: 128 bytes/workgroup (compile time only)
; SGPRBlocks: 0
; VGPRBlocks: 1
; NumSGPRsForWavesPerEU: 41
; NumVGPRsForWavesPerEU: 27
; NamedBarCnt: 0
; Occupancy: 16
; WaveLimiterHint : 1
; COMPUTE_PGM_RSRC2:SCRATCH_EN: 0
; COMPUTE_PGM_RSRC2:USER_SGPR: 2
; COMPUTE_PGM_RSRC2:TRAP_HANDLER: 0
; COMPUTE_PGM_RSRC2:TGID_X_EN: 1
; COMPUTE_PGM_RSRC2:TGID_Y_EN: 0
; COMPUTE_PGM_RSRC2:TGID_Z_EN: 1
; COMPUTE_PGM_RSRC2:TIDIG_COMP_CNT: 0
	.section	.text._ZL22rocblas_gemvtsm_kernelILb1ELi256EPK16rocblas_bfloat16PKfKPS0_EviiT2_lPKT1_lilSA_lilS7_lPT3_lil,"axG",@progbits,_ZL22rocblas_gemvtsm_kernelILb1ELi256EPK16rocblas_bfloat16PKfKPS0_EviiT2_lPKT1_lilSA_lilS7_lPT3_lil,comdat
	.globl	_ZL22rocblas_gemvtsm_kernelILb1ELi256EPK16rocblas_bfloat16PKfKPS0_EviiT2_lPKT1_lilSA_lilS7_lPT3_lil ; -- Begin function _ZL22rocblas_gemvtsm_kernelILb1ELi256EPK16rocblas_bfloat16PKfKPS0_EviiT2_lPKT1_lilSA_lilS7_lPT3_lil
	.p2align	8
	.type	_ZL22rocblas_gemvtsm_kernelILb1ELi256EPK16rocblas_bfloat16PKfKPS0_EviiT2_lPKT1_lilSA_lilS7_lPT3_lil,@function
_ZL22rocblas_gemvtsm_kernelILb1ELi256EPK16rocblas_bfloat16PKfKPS0_EviiT2_lPKT1_lilSA_lilS7_lPT3_lil: ; @_ZL22rocblas_gemvtsm_kernelILb1ELi256EPK16rocblas_bfloat16PKfKPS0_EviiT2_lPKT1_lilSA_lilS7_lPT3_lil
; %bb.0:
	s_clause 0x1
	s_load_b256 s[12:19], s[0:1], 0x8
	s_load_b256 s[4:11], s[0:1], 0x58
	s_bfe_u32 s2, ttmp6, 0x4000c
	s_and_b32 s3, ttmp6, 15
	s_add_co_i32 s2, s2, 1
	s_getreg_b32 s20, hwreg(HW_REG_IB_STS2, 6, 4)
	s_mul_i32 s2, ttmp9, s2
	s_delay_alu instid0(SALU_CYCLE_1)
	s_add_co_i32 s2, s3, s2
	s_cmp_eq_u32 s20, 0
	s_mov_b32 s3, 0
	s_cselect_b32 s2, ttmp9, s2
	s_wait_kmcnt 0x0
	s_mul_u64 s[14:15], s[14:15], s[2:3]
	s_mul_u64 s[6:7], s[6:7], s[2:3]
	s_lshl_b64 s[14:15], s[14:15], 2
	s_lshl_b64 s[6:7], s[6:7], 2
	s_add_nc_u64 s[12:13], s[12:13], s[14:15]
	s_add_nc_u64 s[4:5], s[4:5], s[6:7]
	s_load_b32 s21, s[12:13], 0x0
	s_load_b32 s20, s[4:5], 0x0
	s_wait_kmcnt 0x0
	s_cmp_eq_f32 s21, 0
	s_cselect_b32 s4, -1, 0
	s_cmp_eq_f32 s20, 1.0
	s_cselect_b32 s5, -1, 0
	s_delay_alu instid0(SALU_CYCLE_1) | instskip(NEXT) | instid1(SALU_CYCLE_1)
	s_and_b32 s4, s4, s5
	s_and_b32 vcc_lo, exec_lo, s4
	s_cbranch_vccnz .LBB616_74
; %bb.1:
	s_cmp_neq_f32 s21, 0
	s_mov_b64 s[12:13], 0
	s_mov_b64 s[6:7], 0
	s_cselect_b32 s4, -1, 0
	s_cmp_eq_f32 s21, 0
	s_cselect_b32 s5, -1, 0
	s_delay_alu instid0(SALU_CYCLE_1)
	s_and_b32 vcc_lo, exec_lo, s5
	s_cbranch_vccnz .LBB616_3
; %bb.2:
	s_lshl_b64 s[6:7], s[2:3], 3
	s_lshl_b64 s[14:15], s[18:19], 1
	s_add_nc_u64 s[6:7], s[16:17], s[6:7]
	s_load_b64 s[6:7], s[6:7], 0x0
	s_wait_kmcnt 0x0
	s_add_nc_u64 s[6:7], s[6:7], s[14:15]
.LBB616_3:
	s_and_not1_b32 vcc_lo, exec_lo, s4
	s_cbranch_vccnz .LBB616_5
; %bb.4:
	s_load_b128 s[12:15], s[0:1], 0x38
	s_lshl_b64 s[16:17], s[2:3], 3
	s_wait_kmcnt 0x0
	s_add_nc_u64 s[12:13], s[12:13], s[16:17]
	s_lshl_b64 s[14:15], s[14:15], 1
	s_load_b64 s[12:13], s[12:13], 0x0
	s_wait_kmcnt 0x0
	s_add_nc_u64 s[12:13], s[12:13], s[14:15]
.LBB616_5:
	s_lshl_b64 s[2:3], s[2:3], 3
	s_and_not1_b32 vcc_lo, exec_lo, s5
	s_add_nc_u64 s[14:15], s[8:9], s[2:3]
	s_clause 0x1
	s_load_b64 s[2:3], s[0:1], 0x0
	s_load_b32 s4, s[0:1], 0x78
	s_load_b64 s[8:9], s[14:15], 0x0
	s_mov_b32 s5, -1
	s_cbranch_vccnz .LBB616_24
; %bb.6:
	s_wait_kmcnt 0x0
	s_cmp_gt_i32 s3, 0
	s_cselect_b32 s16, -1, 0
	s_cmp_neq_f32 s20, 0
	v_cndmask_b32_e64 v1, 0, 1, s16
	s_delay_alu instid0(VALU_DEP_1)
	v_cmp_ne_u32_e32 vcc_lo, 1, v1
	s_cbranch_scc1 .LBB616_13
; %bb.7:
	s_and_b32 vcc_lo, exec_lo, vcc_lo
	s_cbranch_vccnz .LBB616_12
; %bb.8:
	v_mov_b32_e32 v1, 0
	s_ashr_i32 s5, s4, 31
	s_lshl_b64 s[14:15], s[10:11], 1
	s_delay_alu instid0(SALU_CYCLE_1) | instskip(NEXT) | instid1(VALU_DEP_1)
	s_add_nc_u64 s[14:15], s[8:9], s[14:15]
	v_mul_u64_e32 v[2:3], s[4:5], v[0:1]
	s_delay_alu instid0(VALU_DEP_1)
	v_lshl_add_u64 v[2:3], v[2:3], 1, s[14:15]
	s_lshl_b64 s[14:15], s[4:5], 9
	s_mov_b32 s5, 0
	s_branch .LBB616_10
.LBB616_9:                              ;   in Loop: Header=BB616_10 Depth=1
	s_wait_xcnt 0x0
	s_or_b32 exec_lo, exec_lo, s17
	v_add_nc_u64_e32 v[2:3], s[14:15], v[2:3]
	s_addk_co_i32 s5, 0x100
	s_delay_alu instid0(SALU_CYCLE_1)
	s_cmp_ge_i32 s5, s3
	s_cbranch_scc1 .LBB616_12
.LBB616_10:                             ; =>This Inner Loop Header: Depth=1
	v_add_nc_u32_e32 v4, s5, v0
	s_mov_b32 s17, exec_lo
	s_delay_alu instid0(VALU_DEP_1)
	v_cmpx_gt_i32_e64 s3, v4
	s_cbranch_execz .LBB616_9
; %bb.11:                               ;   in Loop: Header=BB616_10 Depth=1
	flat_store_b16 v[2:3], v1
	s_branch .LBB616_9
.LBB616_12:
	s_mov_b32 s5, 0
.LBB616_13:
	s_delay_alu instid0(SALU_CYCLE_1)
	s_and_not1_b32 vcc_lo, exec_lo, s5
	s_cbranch_vccnz .LBB616_23
; %bb.14:
	s_and_not1_b32 vcc_lo, exec_lo, s16
	s_cbranch_vccnz .LBB616_23
; %bb.15:
	v_mov_b32_e32 v1, 0
	s_ashr_i32 s5, s4, 31
	s_lshl_b64 s[14:15], s[10:11], 1
	s_delay_alu instid0(SALU_CYCLE_1) | instskip(NEXT) | instid1(VALU_DEP_1)
	s_add_nc_u64 s[14:15], s[8:9], s[14:15]
	v_mul_u64_e32 v[2:3], s[4:5], v[0:1]
	s_delay_alu instid0(VALU_DEP_1)
	v_lshl_add_u64 v[2:3], v[2:3], 1, s[14:15]
	s_lshl_b64 s[14:15], s[4:5], 9
	s_mov_b32 s5, 0
	s_branch .LBB616_18
.LBB616_16:                             ;   in Loop: Header=BB616_18 Depth=1
	s_or_b32 exec_lo, exec_lo, s17
	flat_store_d16_hi_b16 v[2:3], v4
.LBB616_17:                             ;   in Loop: Header=BB616_18 Depth=1
	s_wait_xcnt 0x0
	s_or_b32 exec_lo, exec_lo, s16
	v_add_nc_u64_e32 v[2:3], s[14:15], v[2:3]
	s_addk_co_i32 s5, 0x100
	s_delay_alu instid0(SALU_CYCLE_1)
	s_cmp_ge_i32 s5, s3
	s_cbranch_scc1 .LBB616_23
.LBB616_18:                             ; =>This Inner Loop Header: Depth=1
	v_add_nc_u32_e32 v1, s5, v0
	s_mov_b32 s16, exec_lo
	s_delay_alu instid0(VALU_DEP_1)
	v_cmpx_gt_i32_e64 s3, v1
	s_cbranch_execz .LBB616_17
; %bb.19:                               ;   in Loop: Header=BB616_18 Depth=1
	flat_load_u16 v1, v[2:3]
	s_wait_loadcnt_dscnt 0x0
	v_lshlrev_b32_e32 v1, 16, v1
	s_delay_alu instid0(VALU_DEP_1) | instskip(NEXT) | instid1(VALU_DEP_1)
	v_mul_f32_e32 v1, s20, v1
	v_and_b32_e32 v4, 0x7f800000, v1
	s_delay_alu instid0(VALU_DEP_1) | instskip(SKIP_2) | instid1(SALU_CYCLE_1)
	v_cmp_ne_u32_e32 vcc_lo, 0x7f800000, v4
                                        ; implicit-def: $vgpr4
	s_wait_xcnt 0x0
	s_and_saveexec_b32 s17, vcc_lo
	s_xor_b32 s17, exec_lo, s17
; %bb.20:                               ;   in Loop: Header=BB616_18 Depth=1
	v_bfe_u32 v4, v1, 16, 1
	s_delay_alu instid0(VALU_DEP_1)
	v_add3_u32 v4, v1, v4, 0x7fff
                                        ; implicit-def: $vgpr1
; %bb.21:                               ;   in Loop: Header=BB616_18 Depth=1
	s_and_not1_saveexec_b32 s17, s17
	s_cbranch_execz .LBB616_16
; %bb.22:                               ;   in Loop: Header=BB616_18 Depth=1
	v_and_b32_e32 v4, 0xffff, v1
	v_or_b32_e32 v5, 0x10000, v1
	s_delay_alu instid0(VALU_DEP_2) | instskip(NEXT) | instid1(VALU_DEP_2)
	v_cmp_eq_u32_e32 vcc_lo, 0, v4
	v_cndmask_b32_e32 v4, v5, v1, vcc_lo
	s_branch .LBB616_16
.LBB616_23:
	s_mov_b32 s5, 0
.LBB616_24:
	s_delay_alu instid0(SALU_CYCLE_1)
	s_and_not1_b32 vcc_lo, exec_lo, s5
	s_cbranch_vccnz .LBB616_74
; %bb.25:
	s_mov_b32 s5, exec_lo
	s_wait_kmcnt 0x0
	v_cmpx_gt_i32_e64 s2, v0
	s_cbranch_execz .LBB616_31
; %bb.26:
	s_load_b32 s14, s[0:1], 0x48
	v_mov_b32_e32 v1, 0
	s_wait_kmcnt 0x0
	s_ashr_i32 s15, s14, 31
	s_delay_alu instid0(VALU_DEP_1) | instid1(SALU_CYCLE_1)
	v_mul_u64_e32 v[2:3], s[14:15], v[0:1]
	s_delay_alu instid0(VALU_DEP_1) | instskip(SKIP_3) | instid1(VALU_DEP_1)
	v_lshl_add_u64 v[2:3], v[2:3], 1, s[12:13]
	flat_load_u16 v1, v[2:3]
	s_wait_loadcnt_dscnt 0x0
	v_lshlrev_b32_e32 v1, 16, v1
	v_mul_f32_e32 v1, s21, v1
	s_wait_xcnt 0x0
	s_delay_alu instid0(VALU_DEP_1) | instskip(NEXT) | instid1(VALU_DEP_1)
	v_and_b32_e32 v2, 0x7f800000, v1
	v_cmp_ne_u32_e32 vcc_lo, 0x7f800000, v2
                                        ; implicit-def: $vgpr2
	s_and_saveexec_b32 s12, vcc_lo
	s_delay_alu instid0(SALU_CYCLE_1)
	s_xor_b32 s12, exec_lo, s12
; %bb.27:
	v_bfe_u32 v2, v1, 16, 1
	s_delay_alu instid0(VALU_DEP_1)
	v_add3_u32 v2, v1, v2, 0x7fff
                                        ; implicit-def: $vgpr1
; %bb.28:
	s_and_not1_saveexec_b32 s12, s12
; %bb.29:
	v_and_b32_e32 v2, 0xffff, v1
	v_or_b32_e32 v3, 0x10000, v1
	s_delay_alu instid0(VALU_DEP_2) | instskip(NEXT) | instid1(VALU_DEP_2)
	v_cmp_eq_u32_e32 vcc_lo, 0, v2
	v_cndmask_b32_e32 v2, v3, v1, vcc_lo
; %bb.30:
	s_or_b32 exec_lo, exec_lo, s12
	s_delay_alu instid0(VALU_DEP_1)
	v_and_b32_e32 v1, 0xffff0000, v2
	v_lshlrev_b32_e32 v2, 2, v0
	ds_store_b32 v2, v1
.LBB616_31:
	s_or_b32 exec_lo, exec_lo, s5
	s_cmp_lt_i32 s3, 1
	s_wait_storecnt_dscnt 0x0
	s_barrier_signal -1
	s_barrier_wait -1
	s_cbranch_scc1 .LBB616_74
; %bb.32:
	s_load_b32 s16, s[0:1], 0x28
	v_mov_b32_e32 v3, 0
	s_wait_xcnt 0x0
	s_lshl_b64 s[0:1], s[10:11], 1
	s_ashr_i32 s5, s4, 31
	s_add_nc_u64 s[0:1], s[8:9], s[0:1]
	s_mov_b32 s15, 0
	v_mov_b32_e32 v1, v3
	s_wait_kmcnt 0x0
	s_ashr_i32 s17, s16, 31
	s_cmp_neq_f32 s20, 0
	s_delay_alu instid0(VALU_DEP_1)
	v_mul_u64_e32 v[4:5], s[16:17], v[0:1]
	s_cselect_b32 s10, -1, 0
	s_cmp_gt_i32 s2, 0
	s_cselect_b32 s11, -1, 0
	s_and_b32 s12, s2, 3
	s_cmp_gt_u32 s2, 3
	s_cselect_b32 s13, -1, 0
	s_and_b32 s2, s2, 0x7ffffffc
	s_cmp_lg_u32 s12, 0
	s_cselect_b32 s14, -1, 0
	s_lshl_b64 s[8:9], s[16:17], 9
	s_delay_alu instid0(VALU_DEP_1) | instskip(SKIP_1) | instid1(VALU_DEP_1)
	v_lshl_add_u64 v[4:5], v[4:5], 1, s[6:7]
	s_mov_b32 s7, 0
	v_add_nc_u64_e32 v[6:7], 4, v[4:5]
	s_branch .LBB616_35
.LBB616_33:                             ;   in Loop: Header=BB616_35 Depth=1
	s_or_b32 exec_lo, exec_lo, s6
	flat_store_d16_hi_b16 v[8:9], v2
.LBB616_34:                             ;   in Loop: Header=BB616_35 Depth=1
	s_wait_xcnt 0x0
	s_or_b32 exec_lo, exec_lo, s16
	v_add_nc_u64_e32 v[6:7], s[8:9], v[6:7]
	v_add_nc_u64_e32 v[4:5], s[8:9], v[4:5]
	s_addk_co_i32 s15, 0x100
	s_delay_alu instid0(SALU_CYCLE_1)
	s_cmp_ge_i32 s15, s3
	s_cbranch_scc1 .LBB616_74
.LBB616_35:                             ; =>This Loop Header: Depth=1
                                        ;     Child Loop BB616_46 Depth 2
                                        ;     Child Loop BB616_66 Depth 2
	v_add_nc_u32_e32 v2, s15, v0
	s_mov_b32 s16, exec_lo
	s_delay_alu instid0(VALU_DEP_1)
	v_cmpx_gt_i32_e64 s3, v2
	s_cbranch_execz .LBB616_34
; %bb.36:                               ;   in Loop: Header=BB616_35 Depth=1
	v_mul_u64_e32 v[8:9], s[4:5], v[2:3]
	s_and_not1_b32 vcc_lo, exec_lo, s10
	s_delay_alu instid0(VALU_DEP_1)
	v_lshl_add_u64 v[8:9], v[8:9], 1, s[0:1]
	s_cbranch_vccnz .LBB616_42
; %bb.37:                               ;   in Loop: Header=BB616_35 Depth=1
	flat_load_u16 v1, v[8:9]
	s_wait_loadcnt_dscnt 0x0
	v_lshlrev_b32_e32 v1, 16, v1
	s_delay_alu instid0(VALU_DEP_1) | instskip(NEXT) | instid1(VALU_DEP_1)
	v_mul_f32_e32 v1, s20, v1
	v_and_b32_e32 v2, 0x7f800000, v1
	s_delay_alu instid0(VALU_DEP_1) | instskip(SKIP_2) | instid1(SALU_CYCLE_1)
	v_cmp_ne_u32_e32 vcc_lo, 0x7f800000, v2
                                        ; implicit-def: $vgpr2
	s_wait_xcnt 0x0
	s_and_saveexec_b32 s6, vcc_lo
	s_xor_b32 s6, exec_lo, s6
; %bb.38:                               ;   in Loop: Header=BB616_35 Depth=1
	v_bfe_u32 v2, v1, 16, 1
	s_delay_alu instid0(VALU_DEP_1)
	v_add3_u32 v2, v1, v2, 0x7fff
                                        ; implicit-def: $vgpr1
; %bb.39:                               ;   in Loop: Header=BB616_35 Depth=1
	s_and_not1_saveexec_b32 s6, s6
; %bb.40:                               ;   in Loop: Header=BB616_35 Depth=1
	v_and_b32_e32 v2, 0xffff, v1
	v_or_b32_e32 v10, 0x10000, v1
	s_delay_alu instid0(VALU_DEP_2) | instskip(NEXT) | instid1(VALU_DEP_2)
	v_cmp_eq_u32_e32 vcc_lo, 0, v2
	v_cndmask_b32_e32 v2, v10, v1, vcc_lo
; %bb.41:                               ;   in Loop: Header=BB616_35 Depth=1
	s_or_b32 exec_lo, exec_lo, s6
	s_delay_alu instid0(VALU_DEP_1) | instskip(NEXT) | instid1(VALU_DEP_1)
	v_and_b32_e32 v1, 0xffff0000, v2
	v_cvt_i32_f32_e32 v1, v1
	s_delay_alu instid0(VALU_DEP_1)
	v_cvt_f32_i32_e32 v1, v1
	s_and_not1_b32 vcc_lo, exec_lo, s11
	s_cbranch_vccz .LBB616_43
	s_branch .LBB616_70
.LBB616_42:                             ;   in Loop: Header=BB616_35 Depth=1
	v_mov_b32_e32 v1, 0
	s_and_not1_b32 vcc_lo, exec_lo, s11
	s_cbranch_vccnz .LBB616_70
.LBB616_43:                             ;   in Loop: Header=BB616_35 Depth=1
	s_and_not1_b32 vcc_lo, exec_lo, s13
	s_mov_b32 s17, 0
	s_cbranch_vccnz .LBB616_63
; %bb.44:                               ;   in Loop: Header=BB616_35 Depth=1
	v_mov_b64_e32 v[10:11], v[6:7]
	s_mov_b32 s6, 0
	s_branch .LBB616_46
.LBB616_45:                             ;   in Loop: Header=BB616_46 Depth=2
	s_or_b32 exec_lo, exec_lo, s18
	v_and_b32_e32 v2, 0xffff0000, v2
	v_and_b32_e32 v12, 0xffff0000, v12
	v_add_nc_u64_e32 v[10:11], 8, v[10:11]
	s_add_co_i32 s17, s17, 4
	s_add_co_i32 s6, s6, 16
	v_add_f32_e32 v1, v1, v2
	v_and_b32_e32 v2, 0xffff0000, v13
	s_cmp_eq_u32 s2, s17
	s_delay_alu instid0(VALU_DEP_2) | instskip(SKIP_1) | instid1(VALU_DEP_2)
	v_add_f32_e32 v1, v1, v12
	v_and_b32_e32 v12, 0xffff0000, v14
	v_add_f32_e32 v1, v1, v2
	s_delay_alu instid0(VALU_DEP_1)
	v_add_f32_e32 v1, v1, v12
	s_cbranch_scc1 .LBB616_62
.LBB616_46:                             ;   Parent Loop BB616_35 Depth=1
                                        ; =>  This Inner Loop Header: Depth=2
	flat_load_u16 v2, v[10:11] offset:-4
	s_wait_loadcnt_dscnt 0x0
	v_dual_mov_b32 v12, s6 :: v_dual_lshlrev_b32 v2, 16, v2
	ds_load_b32 v12, v12
	s_wait_dscnt 0x0
	v_mul_f32_e32 v12, v12, v2
	s_delay_alu instid0(VALU_DEP_1) | instskip(NEXT) | instid1(VALU_DEP_1)
	v_and_b32_e32 v2, 0x7f800000, v12
	v_cmp_ne_u32_e32 vcc_lo, 0x7f800000, v2
                                        ; implicit-def: $vgpr2
	s_wait_xcnt 0x0
	s_and_saveexec_b32 s18, vcc_lo
	s_delay_alu instid0(SALU_CYCLE_1)
	s_xor_b32 s18, exec_lo, s18
; %bb.47:                               ;   in Loop: Header=BB616_46 Depth=2
	v_bfe_u32 v2, v12, 16, 1
	s_delay_alu instid0(VALU_DEP_1)
	v_add3_u32 v2, v12, v2, 0x7fff
                                        ; implicit-def: $vgpr12
; %bb.48:                               ;   in Loop: Header=BB616_46 Depth=2
	s_and_not1_saveexec_b32 s18, s18
; %bb.49:                               ;   in Loop: Header=BB616_46 Depth=2
	v_and_b32_e32 v2, 0xffff, v12
	v_or_b32_e32 v13, 0x10000, v12
	s_delay_alu instid0(VALU_DEP_2) | instskip(NEXT) | instid1(VALU_DEP_2)
	v_cmp_eq_u32_e32 vcc_lo, 0, v2
	v_cndmask_b32_e32 v2, v13, v12, vcc_lo
; %bb.50:                               ;   in Loop: Header=BB616_46 Depth=2
	s_or_b32 exec_lo, exec_lo, s18
	flat_load_u16 v12, v[10:11] offset:-2
	s_wait_loadcnt_dscnt 0x0
	v_dual_mov_b32 v13, s6 :: v_dual_lshlrev_b32 v12, 16, v12
	ds_load_b32 v13, v13 offset:4
	s_wait_dscnt 0x0
	v_mul_f32_e32 v13, v13, v12
	s_delay_alu instid0(VALU_DEP_1) | instskip(NEXT) | instid1(VALU_DEP_1)
	v_and_b32_e32 v12, 0x7f800000, v13
	v_cmp_ne_u32_e32 vcc_lo, 0x7f800000, v12
                                        ; implicit-def: $vgpr12
	s_wait_xcnt 0x0
	s_and_saveexec_b32 s18, vcc_lo
	s_delay_alu instid0(SALU_CYCLE_1)
	s_xor_b32 s18, exec_lo, s18
; %bb.51:                               ;   in Loop: Header=BB616_46 Depth=2
	v_bfe_u32 v12, v13, 16, 1
	s_delay_alu instid0(VALU_DEP_1)
	v_add3_u32 v12, v13, v12, 0x7fff
                                        ; implicit-def: $vgpr13
; %bb.52:                               ;   in Loop: Header=BB616_46 Depth=2
	s_and_not1_saveexec_b32 s18, s18
; %bb.53:                               ;   in Loop: Header=BB616_46 Depth=2
	v_and_b32_e32 v12, 0xffff, v13
	v_or_b32_e32 v14, 0x10000, v13
	s_delay_alu instid0(VALU_DEP_2) | instskip(NEXT) | instid1(VALU_DEP_2)
	v_cmp_eq_u32_e32 vcc_lo, 0, v12
	v_cndmask_b32_e32 v12, v14, v13, vcc_lo
; %bb.54:                               ;   in Loop: Header=BB616_46 Depth=2
	s_or_b32 exec_lo, exec_lo, s18
	flat_load_u16 v13, v[10:11]
	s_wait_loadcnt_dscnt 0x0
	v_dual_mov_b32 v14, s6 :: v_dual_lshlrev_b32 v13, 16, v13
	ds_load_b32 v14, v14 offset:8
	s_wait_dscnt 0x0
	v_mul_f32_e32 v14, v14, v13
	s_delay_alu instid0(VALU_DEP_1) | instskip(NEXT) | instid1(VALU_DEP_1)
	v_and_b32_e32 v13, 0x7f800000, v14
	v_cmp_ne_u32_e32 vcc_lo, 0x7f800000, v13
                                        ; implicit-def: $vgpr13
	s_wait_xcnt 0x0
	s_and_saveexec_b32 s18, vcc_lo
	s_delay_alu instid0(SALU_CYCLE_1)
	s_xor_b32 s18, exec_lo, s18
; %bb.55:                               ;   in Loop: Header=BB616_46 Depth=2
	v_bfe_u32 v13, v14, 16, 1
	s_delay_alu instid0(VALU_DEP_1)
	v_add3_u32 v13, v14, v13, 0x7fff
                                        ; implicit-def: $vgpr14
; %bb.56:                               ;   in Loop: Header=BB616_46 Depth=2
	s_and_not1_saveexec_b32 s18, s18
; %bb.57:                               ;   in Loop: Header=BB616_46 Depth=2
	v_and_b32_e32 v13, 0xffff, v14
	v_or_b32_e32 v15, 0x10000, v14
	s_delay_alu instid0(VALU_DEP_2) | instskip(NEXT) | instid1(VALU_DEP_2)
	v_cmp_eq_u32_e32 vcc_lo, 0, v13
	v_cndmask_b32_e32 v13, v15, v14, vcc_lo
; %bb.58:                               ;   in Loop: Header=BB616_46 Depth=2
	s_or_b32 exec_lo, exec_lo, s18
	flat_load_u16 v14, v[10:11] offset:2
	s_wait_loadcnt_dscnt 0x0
	v_dual_mov_b32 v15, s6 :: v_dual_lshlrev_b32 v14, 16, v14
	ds_load_b32 v15, v15 offset:12
	s_wait_dscnt 0x0
	v_mul_f32_e32 v15, v15, v14
	s_delay_alu instid0(VALU_DEP_1) | instskip(NEXT) | instid1(VALU_DEP_1)
	v_and_b32_e32 v14, 0x7f800000, v15
	v_cmp_ne_u32_e32 vcc_lo, 0x7f800000, v14
                                        ; implicit-def: $vgpr14
	s_wait_xcnt 0x0
	s_and_saveexec_b32 s18, vcc_lo
	s_delay_alu instid0(SALU_CYCLE_1)
	s_xor_b32 s18, exec_lo, s18
; %bb.59:                               ;   in Loop: Header=BB616_46 Depth=2
	v_bfe_u32 v14, v15, 16, 1
	s_delay_alu instid0(VALU_DEP_1)
	v_add3_u32 v14, v15, v14, 0x7fff
                                        ; implicit-def: $vgpr15
; %bb.60:                               ;   in Loop: Header=BB616_46 Depth=2
	s_and_not1_saveexec_b32 s18, s18
	s_cbranch_execz .LBB616_45
; %bb.61:                               ;   in Loop: Header=BB616_46 Depth=2
	v_and_b32_e32 v14, 0xffff, v15
	v_or_b32_e32 v16, 0x10000, v15
	s_delay_alu instid0(VALU_DEP_2) | instskip(NEXT) | instid1(VALU_DEP_2)
	v_cmp_eq_u32_e32 vcc_lo, 0, v14
	v_cndmask_b32_e32 v14, v16, v15, vcc_lo
	s_branch .LBB616_45
.LBB616_62:                             ;   in Loop: Header=BB616_35 Depth=1
	s_mov_b32 s17, s2
.LBB616_63:                             ;   in Loop: Header=BB616_35 Depth=1
	s_and_not1_b32 vcc_lo, exec_lo, s14
	s_cbranch_vccnz .LBB616_70
; %bb.64:                               ;   in Loop: Header=BB616_35 Depth=1
	s_lshl_b32 s6, s17, 1
	s_delay_alu instid0(SALU_CYCLE_1)
	v_add_nc_u64_e32 v[10:11], s[6:7], v[4:5]
	s_lshl_b32 s6, s17, 2
	s_mov_b32 s17, s12
	s_branch .LBB616_66
.LBB616_65:                             ;   in Loop: Header=BB616_66 Depth=2
	s_or_b32 exec_lo, exec_lo, s18
	s_delay_alu instid0(VALU_DEP_1)
	v_and_b32_e32 v2, 0xffff0000, v12
	v_add_nc_u64_e32 v[10:11], 2, v[10:11]
	s_add_co_i32 s17, s17, -1
	s_add_co_i32 s6, s6, 4
	s_cmp_lg_u32 s17, 0
	v_add_f32_e32 v1, v1, v2
	s_cbranch_scc0 .LBB616_70
.LBB616_66:                             ;   Parent Loop BB616_35 Depth=1
                                        ; =>  This Inner Loop Header: Depth=2
	flat_load_u16 v2, v[10:11]
	s_wait_loadcnt_dscnt 0x0
	v_dual_mov_b32 v12, s6 :: v_dual_lshlrev_b32 v2, 16, v2
	ds_load_b32 v12, v12
	s_wait_dscnt 0x0
	v_mul_f32_e32 v2, v12, v2
	s_delay_alu instid0(VALU_DEP_1) | instskip(NEXT) | instid1(VALU_DEP_1)
	v_and_b32_e32 v12, 0x7f800000, v2
	v_cmp_ne_u32_e32 vcc_lo, 0x7f800000, v12
                                        ; implicit-def: $vgpr12
	s_wait_xcnt 0x0
	s_and_saveexec_b32 s18, vcc_lo
	s_delay_alu instid0(SALU_CYCLE_1)
	s_xor_b32 s18, exec_lo, s18
; %bb.67:                               ;   in Loop: Header=BB616_66 Depth=2
	v_bfe_u32 v12, v2, 16, 1
	s_delay_alu instid0(VALU_DEP_1)
	v_add3_u32 v12, v2, v12, 0x7fff
                                        ; implicit-def: $vgpr2
; %bb.68:                               ;   in Loop: Header=BB616_66 Depth=2
	s_and_not1_saveexec_b32 s18, s18
	s_cbranch_execz .LBB616_65
; %bb.69:                               ;   in Loop: Header=BB616_66 Depth=2
	v_and_b32_e32 v12, 0xffff, v2
	v_or_b32_e32 v13, 0x10000, v2
	s_delay_alu instid0(VALU_DEP_2) | instskip(NEXT) | instid1(VALU_DEP_2)
	v_cmp_eq_u32_e32 vcc_lo, 0, v12
	v_cndmask_b32_e32 v12, v13, v2, vcc_lo
	s_branch .LBB616_65
.LBB616_70:                             ;   in Loop: Header=BB616_35 Depth=1
	s_delay_alu instid0(VALU_DEP_1) | instskip(NEXT) | instid1(VALU_DEP_1)
	v_and_b32_e32 v2, 0x7f800000, v1
	v_cmp_ne_u32_e32 vcc_lo, 0x7f800000, v2
                                        ; implicit-def: $vgpr2
	s_and_saveexec_b32 s6, vcc_lo
	s_delay_alu instid0(SALU_CYCLE_1)
	s_xor_b32 s6, exec_lo, s6
; %bb.71:                               ;   in Loop: Header=BB616_35 Depth=1
	v_bfe_u32 v2, v1, 16, 1
	s_delay_alu instid0(VALU_DEP_1)
	v_add3_u32 v2, v1, v2, 0x7fff
                                        ; implicit-def: $vgpr1
; %bb.72:                               ;   in Loop: Header=BB616_35 Depth=1
	s_and_not1_saveexec_b32 s6, s6
	s_cbranch_execz .LBB616_33
; %bb.73:                               ;   in Loop: Header=BB616_35 Depth=1
	v_and_b32_e32 v2, 0xffff, v1
	v_or_b32_e32 v10, 0x10000, v1
	s_delay_alu instid0(VALU_DEP_2) | instskip(NEXT) | instid1(VALU_DEP_2)
	v_cmp_eq_u32_e32 vcc_lo, 0, v2
	v_cndmask_b32_e32 v2, v10, v1, vcc_lo
	s_branch .LBB616_33
.LBB616_74:
	s_endpgm
	.section	.rodata,"a",@progbits
	.p2align	6, 0x0
	.amdhsa_kernel _ZL22rocblas_gemvtsm_kernelILb1ELi256EPK16rocblas_bfloat16PKfKPS0_EviiT2_lPKT1_lilSA_lilS7_lPT3_lil
		.amdhsa_group_segment_fixed_size 256
		.amdhsa_private_segment_fixed_size 0
		.amdhsa_kernarg_size 136
		.amdhsa_user_sgpr_count 2
		.amdhsa_user_sgpr_dispatch_ptr 0
		.amdhsa_user_sgpr_queue_ptr 0
		.amdhsa_user_sgpr_kernarg_segment_ptr 1
		.amdhsa_user_sgpr_dispatch_id 0
		.amdhsa_user_sgpr_kernarg_preload_length 0
		.amdhsa_user_sgpr_kernarg_preload_offset 0
		.amdhsa_user_sgpr_private_segment_size 0
		.amdhsa_wavefront_size32 1
		.amdhsa_uses_dynamic_stack 0
		.amdhsa_enable_private_segment 0
		.amdhsa_system_sgpr_workgroup_id_x 1
		.amdhsa_system_sgpr_workgroup_id_y 0
		.amdhsa_system_sgpr_workgroup_id_z 0
		.amdhsa_system_sgpr_workgroup_info 0
		.amdhsa_system_vgpr_workitem_id 0
		.amdhsa_next_free_vgpr 17
		.amdhsa_next_free_sgpr 22
		.amdhsa_named_barrier_count 0
		.amdhsa_reserve_vcc 1
		.amdhsa_float_round_mode_32 0
		.amdhsa_float_round_mode_16_64 0
		.amdhsa_float_denorm_mode_32 3
		.amdhsa_float_denorm_mode_16_64 3
		.amdhsa_fp16_overflow 0
		.amdhsa_memory_ordered 1
		.amdhsa_forward_progress 1
		.amdhsa_inst_pref_size 19
		.amdhsa_round_robin_scheduling 0
		.amdhsa_exception_fp_ieee_invalid_op 0
		.amdhsa_exception_fp_denorm_src 0
		.amdhsa_exception_fp_ieee_div_zero 0
		.amdhsa_exception_fp_ieee_overflow 0
		.amdhsa_exception_fp_ieee_underflow 0
		.amdhsa_exception_fp_ieee_inexact 0
		.amdhsa_exception_int_div_zero 0
	.end_amdhsa_kernel
	.section	.text._ZL22rocblas_gemvtsm_kernelILb1ELi256EPK16rocblas_bfloat16PKfKPS0_EviiT2_lPKT1_lilSA_lilS7_lPT3_lil,"axG",@progbits,_ZL22rocblas_gemvtsm_kernelILb1ELi256EPK16rocblas_bfloat16PKfKPS0_EviiT2_lPKT1_lilSA_lilS7_lPT3_lil,comdat
.Lfunc_end616:
	.size	_ZL22rocblas_gemvtsm_kernelILb1ELi256EPK16rocblas_bfloat16PKfKPS0_EviiT2_lPKT1_lilSA_lilS7_lPT3_lil, .Lfunc_end616-_ZL22rocblas_gemvtsm_kernelILb1ELi256EPK16rocblas_bfloat16PKfKPS0_EviiT2_lPKT1_lilSA_lilS7_lPT3_lil
                                        ; -- End function
	.set _ZL22rocblas_gemvtsm_kernelILb1ELi256EPK16rocblas_bfloat16PKfKPS0_EviiT2_lPKT1_lilSA_lilS7_lPT3_lil.num_vgpr, 17
	.set _ZL22rocblas_gemvtsm_kernelILb1ELi256EPK16rocblas_bfloat16PKfKPS0_EviiT2_lPKT1_lilSA_lilS7_lPT3_lil.num_agpr, 0
	.set _ZL22rocblas_gemvtsm_kernelILb1ELi256EPK16rocblas_bfloat16PKfKPS0_EviiT2_lPKT1_lilSA_lilS7_lPT3_lil.numbered_sgpr, 22
	.set _ZL22rocblas_gemvtsm_kernelILb1ELi256EPK16rocblas_bfloat16PKfKPS0_EviiT2_lPKT1_lilSA_lilS7_lPT3_lil.num_named_barrier, 0
	.set _ZL22rocblas_gemvtsm_kernelILb1ELi256EPK16rocblas_bfloat16PKfKPS0_EviiT2_lPKT1_lilSA_lilS7_lPT3_lil.private_seg_size, 0
	.set _ZL22rocblas_gemvtsm_kernelILb1ELi256EPK16rocblas_bfloat16PKfKPS0_EviiT2_lPKT1_lilSA_lilS7_lPT3_lil.uses_vcc, 1
	.set _ZL22rocblas_gemvtsm_kernelILb1ELi256EPK16rocblas_bfloat16PKfKPS0_EviiT2_lPKT1_lilSA_lilS7_lPT3_lil.uses_flat_scratch, 0
	.set _ZL22rocblas_gemvtsm_kernelILb1ELi256EPK16rocblas_bfloat16PKfKPS0_EviiT2_lPKT1_lilSA_lilS7_lPT3_lil.has_dyn_sized_stack, 0
	.set _ZL22rocblas_gemvtsm_kernelILb1ELi256EPK16rocblas_bfloat16PKfKPS0_EviiT2_lPKT1_lilSA_lilS7_lPT3_lil.has_recursion, 0
	.set _ZL22rocblas_gemvtsm_kernelILb1ELi256EPK16rocblas_bfloat16PKfKPS0_EviiT2_lPKT1_lilSA_lilS7_lPT3_lil.has_indirect_call, 0
	.section	.AMDGPU.csdata,"",@progbits
; Kernel info:
; codeLenInByte = 2336
; TotalNumSgprs: 24
; NumVgprs: 17
; ScratchSize: 0
; MemoryBound: 0
; FloatMode: 240
; IeeeMode: 1
; LDSByteSize: 256 bytes/workgroup (compile time only)
; SGPRBlocks: 0
; VGPRBlocks: 1
; NumSGPRsForWavesPerEU: 24
; NumVGPRsForWavesPerEU: 17
; NamedBarCnt: 0
; Occupancy: 16
; WaveLimiterHint : 1
; COMPUTE_PGM_RSRC2:SCRATCH_EN: 0
; COMPUTE_PGM_RSRC2:USER_SGPR: 2
; COMPUTE_PGM_RSRC2:TRAP_HANDLER: 0
; COMPUTE_PGM_RSRC2:TGID_X_EN: 1
; COMPUTE_PGM_RSRC2:TGID_Y_EN: 0
; COMPUTE_PGM_RSRC2:TGID_Z_EN: 0
; COMPUTE_PGM_RSRC2:TIDIG_COMP_CNT: 0
	.section	.text._ZL22rocblas_gemvtsm_kernelILb1ELi256EPK16rocblas_bfloat16fKPS0_EviiT2_lPKT1_lilS8_lilS5_lPT3_lil,"axG",@progbits,_ZL22rocblas_gemvtsm_kernelILb1ELi256EPK16rocblas_bfloat16fKPS0_EviiT2_lPKT1_lilS8_lilS5_lPT3_lil,comdat
	.globl	_ZL22rocblas_gemvtsm_kernelILb1ELi256EPK16rocblas_bfloat16fKPS0_EviiT2_lPKT1_lilS8_lilS5_lPT3_lil ; -- Begin function _ZL22rocblas_gemvtsm_kernelILb1ELi256EPK16rocblas_bfloat16fKPS0_EviiT2_lPKT1_lilS8_lilS5_lPT3_lil
	.p2align	8
	.type	_ZL22rocblas_gemvtsm_kernelILb1ELi256EPK16rocblas_bfloat16fKPS0_EviiT2_lPKT1_lilS8_lilS5_lPT3_lil,@function
_ZL22rocblas_gemvtsm_kernelILb1ELi256EPK16rocblas_bfloat16fKPS0_EviiT2_lPKT1_lilS8_lilS5_lPT3_lil: ; @_ZL22rocblas_gemvtsm_kernelILb1ELi256EPK16rocblas_bfloat16fKPS0_EviiT2_lPKT1_lilS8_lilS5_lPT3_lil
; %bb.0:
	s_clause 0x1
	s_load_b96 s[8:10], s[0:1], 0x0
	s_load_b32 s11, s[0:1], 0x58
	s_mov_b32 s5, 0
	s_wait_kmcnt 0x0
	s_cmp_eq_f32 s10, 0
	s_cselect_b32 s2, -1, 0
	s_cmp_eq_f32 s11, 1.0
	s_cselect_b32 s3, -1, 0
	s_delay_alu instid0(SALU_CYCLE_1) | instskip(NEXT) | instid1(SALU_CYCLE_1)
	s_and_b32 s2, s2, s3
	s_and_b32 vcc_lo, exec_lo, s2
	s_cbranch_vccnz .LBB617_76
; %bb.1:
	s_bfe_u32 s2, ttmp6, 0x4000c
	s_and_b32 s3, ttmp6, 15
	s_add_co_i32 s2, s2, 1
	s_getreg_b32 s4, hwreg(HW_REG_IB_STS2, 6, 4)
	s_mul_i32 s2, ttmp9, s2
	s_delay_alu instid0(SALU_CYCLE_1)
	s_add_co_i32 s3, s3, s2
	s_cmp_eq_u32 s4, 0
	s_cselect_b32 s4, ttmp9, s3
	s_cmp_neq_f32 s10, 0
	s_cselect_b32 s6, -1, 0
	s_cmp_eq_f32 s10, 0
	s_cselect_b32 s16, -1, 0
	s_and_b32 vcc_lo, exec_lo, s6
	s_cbranch_vccnz .LBB617_3
; %bb.2:
	s_mov_b32 s3, 0
	s_mov_b32 s2, s4
	;; [unrolled: 1-line block ×3, first 2 shown]
	s_mov_b64 s[14:15], 0
	s_and_not1_b32 vcc_lo, exec_lo, s7
	s_mov_b64 s[12:13], 0
	s_cbranch_vccz .LBB617_4
	s_branch .LBB617_5
.LBB617_3:
	s_mov_b64 s[2:3], s[4:5]
	s_mov_b64 s[14:15], 0
	;; [unrolled: 1-line block ×3, first 2 shown]
.LBB617_4:
	s_load_b128 s[20:23], s[0:1], 0x18
	s_lshl_b64 s[4:5], s[4:5], 3
	s_wait_kmcnt 0x0
	s_add_nc_u64 s[4:5], s[20:21], s[4:5]
	s_lshl_b64 s[12:13], s[22:23], 1
	s_load_b64 s[4:5], s[4:5], 0x0
	s_wait_kmcnt 0x0
	s_add_nc_u64 s[12:13], s[4:5], s[12:13]
.LBB617_5:
	s_and_not1_b32 vcc_lo, exec_lo, s6
	s_cbranch_vccnz .LBB617_7
; %bb.6:
	s_load_b128 s[4:7], s[0:1], 0x38
	s_lshl_b64 s[14:15], s[2:3], 3
	s_wait_kmcnt 0x0
	s_add_nc_u64 s[4:5], s[4:5], s[14:15]
	s_lshl_b64 s[6:7], s[6:7], 1
	s_load_b64 s[4:5], s[4:5], 0x0
	s_wait_kmcnt 0x0
	s_add_nc_u64 s[14:15], s[4:5], s[6:7]
.LBB617_7:
	s_load_b128 s[4:7], s[0:1], 0x68
	s_lshl_b64 s[18:19], s[2:3], 3
	s_load_b32 s2, s[0:1], 0x78
	s_and_not1_b32 vcc_lo, exec_lo, s16
	s_mov_b32 s3, -1
	s_wait_kmcnt 0x0
	s_add_nc_u64 s[4:5], s[4:5], s[18:19]
	s_load_b64 s[4:5], s[4:5], 0x0
	s_cbranch_vccnz .LBB617_26
; %bb.8:
	s_cmp_gt_i32 s9, 0
	s_cselect_b32 s18, -1, 0
	s_cmp_neq_f32 s11, 0
	v_cndmask_b32_e64 v1, 0, 1, s18
	s_delay_alu instid0(VALU_DEP_1)
	v_cmp_ne_u32_e32 vcc_lo, 1, v1
	s_cbranch_scc1 .LBB617_15
; %bb.9:
	s_and_b32 vcc_lo, exec_lo, vcc_lo
	s_cbranch_vccnz .LBB617_14
; %bb.10:
	v_mov_b32_e32 v1, 0
	s_ashr_i32 s3, s2, 31
	s_lshl_b64 s[16:17], s[6:7], 1
	s_wait_kmcnt 0x0
	s_add_nc_u64 s[16:17], s[4:5], s[16:17]
	v_mul_u64_e32 v[2:3], s[2:3], v[0:1]
	s_delay_alu instid0(VALU_DEP_1)
	v_lshl_add_u64 v[2:3], v[2:3], 1, s[16:17]
	s_lshl_b64 s[16:17], s[2:3], 9
	s_mov_b32 s3, 0
	s_branch .LBB617_12
.LBB617_11:                             ;   in Loop: Header=BB617_12 Depth=1
	s_wait_xcnt 0x0
	s_or_b32 exec_lo, exec_lo, s19
	v_add_nc_u64_e32 v[2:3], s[16:17], v[2:3]
	s_addk_co_i32 s3, 0x100
	s_delay_alu instid0(SALU_CYCLE_1)
	s_cmp_ge_i32 s3, s9
	s_cbranch_scc1 .LBB617_14
.LBB617_12:                             ; =>This Inner Loop Header: Depth=1
	v_add_nc_u32_e32 v4, s3, v0
	s_mov_b32 s19, exec_lo
	s_delay_alu instid0(VALU_DEP_1)
	v_cmpx_gt_i32_e64 s9, v4
	s_cbranch_execz .LBB617_11
; %bb.13:                               ;   in Loop: Header=BB617_12 Depth=1
	flat_store_b16 v[2:3], v1
	s_branch .LBB617_11
.LBB617_14:
	s_mov_b32 s3, 0
.LBB617_15:
	s_delay_alu instid0(SALU_CYCLE_1)
	s_and_not1_b32 vcc_lo, exec_lo, s3
	s_cbranch_vccnz .LBB617_25
; %bb.16:
	s_and_not1_b32 vcc_lo, exec_lo, s18
	s_cbranch_vccnz .LBB617_25
; %bb.17:
	v_mov_b32_e32 v1, 0
	s_ashr_i32 s3, s2, 31
	s_lshl_b64 s[16:17], s[6:7], 1
	s_wait_kmcnt 0x0
	s_add_nc_u64 s[16:17], s[4:5], s[16:17]
	v_mul_u64_e32 v[2:3], s[2:3], v[0:1]
	s_delay_alu instid0(VALU_DEP_1)
	v_lshl_add_u64 v[2:3], v[2:3], 1, s[16:17]
	s_lshl_b64 s[16:17], s[2:3], 9
	s_mov_b32 s3, 0
	s_branch .LBB617_20
.LBB617_18:                             ;   in Loop: Header=BB617_20 Depth=1
	s_or_b32 exec_lo, exec_lo, s19
	flat_store_d16_hi_b16 v[2:3], v4
.LBB617_19:                             ;   in Loop: Header=BB617_20 Depth=1
	s_wait_xcnt 0x0
	s_or_b32 exec_lo, exec_lo, s18
	v_add_nc_u64_e32 v[2:3], s[16:17], v[2:3]
	s_addk_co_i32 s3, 0x100
	s_delay_alu instid0(SALU_CYCLE_1)
	s_cmp_ge_i32 s3, s9
	s_cbranch_scc1 .LBB617_25
.LBB617_20:                             ; =>This Inner Loop Header: Depth=1
	v_add_nc_u32_e32 v1, s3, v0
	s_mov_b32 s18, exec_lo
	s_delay_alu instid0(VALU_DEP_1)
	v_cmpx_gt_i32_e64 s9, v1
	s_cbranch_execz .LBB617_19
; %bb.21:                               ;   in Loop: Header=BB617_20 Depth=1
	flat_load_u16 v1, v[2:3]
	s_wait_loadcnt_dscnt 0x0
	v_lshlrev_b32_e32 v1, 16, v1
	s_delay_alu instid0(VALU_DEP_1) | instskip(NEXT) | instid1(VALU_DEP_1)
	v_mul_f32_e32 v1, s11, v1
	v_and_b32_e32 v4, 0x7f800000, v1
	s_delay_alu instid0(VALU_DEP_1) | instskip(SKIP_2) | instid1(SALU_CYCLE_1)
	v_cmp_ne_u32_e32 vcc_lo, 0x7f800000, v4
                                        ; implicit-def: $vgpr4
	s_wait_xcnt 0x0
	s_and_saveexec_b32 s19, vcc_lo
	s_xor_b32 s19, exec_lo, s19
; %bb.22:                               ;   in Loop: Header=BB617_20 Depth=1
	v_bfe_u32 v4, v1, 16, 1
	s_delay_alu instid0(VALU_DEP_1)
	v_add3_u32 v4, v1, v4, 0x7fff
                                        ; implicit-def: $vgpr1
; %bb.23:                               ;   in Loop: Header=BB617_20 Depth=1
	s_and_not1_saveexec_b32 s19, s19
	s_cbranch_execz .LBB617_18
; %bb.24:                               ;   in Loop: Header=BB617_20 Depth=1
	v_and_b32_e32 v4, 0xffff, v1
	v_or_b32_e32 v5, 0x10000, v1
	s_delay_alu instid0(VALU_DEP_2) | instskip(NEXT) | instid1(VALU_DEP_2)
	v_cmp_eq_u32_e32 vcc_lo, 0, v4
	v_cndmask_b32_e32 v4, v5, v1, vcc_lo
	s_branch .LBB617_18
.LBB617_25:
	s_mov_b32 s3, 0
.LBB617_26:
	s_delay_alu instid0(SALU_CYCLE_1)
	s_and_not1_b32 vcc_lo, exec_lo, s3
	s_cbranch_vccnz .LBB617_76
; %bb.27:
	s_mov_b32 s3, exec_lo
	v_cmpx_gt_i32_e64 s8, v0
	s_cbranch_execz .LBB617_33
; %bb.28:
	s_load_b32 s16, s[0:1], 0x48
	v_mov_b32_e32 v1, 0
	s_wait_kmcnt 0x0
	s_ashr_i32 s17, s16, 31
	s_delay_alu instid0(VALU_DEP_1) | instid1(SALU_CYCLE_1)
	v_mul_u64_e32 v[2:3], s[16:17], v[0:1]
	s_delay_alu instid0(VALU_DEP_1) | instskip(SKIP_3) | instid1(VALU_DEP_1)
	v_lshl_add_u64 v[2:3], v[2:3], 1, s[14:15]
	flat_load_u16 v1, v[2:3]
	s_wait_loadcnt_dscnt 0x0
	v_lshlrev_b32_e32 v1, 16, v1
	v_mul_f32_e32 v1, s10, v1
	s_wait_xcnt 0x0
	s_delay_alu instid0(VALU_DEP_1) | instskip(NEXT) | instid1(VALU_DEP_1)
	v_and_b32_e32 v2, 0x7f800000, v1
	v_cmp_ne_u32_e32 vcc_lo, 0x7f800000, v2
                                        ; implicit-def: $vgpr2
	s_and_saveexec_b32 s10, vcc_lo
	s_delay_alu instid0(SALU_CYCLE_1)
	s_xor_b32 s10, exec_lo, s10
; %bb.29:
	v_bfe_u32 v2, v1, 16, 1
	s_delay_alu instid0(VALU_DEP_1)
	v_add3_u32 v2, v1, v2, 0x7fff
                                        ; implicit-def: $vgpr1
; %bb.30:
	s_and_not1_saveexec_b32 s10, s10
; %bb.31:
	v_and_b32_e32 v2, 0xffff, v1
	v_or_b32_e32 v3, 0x10000, v1
	s_delay_alu instid0(VALU_DEP_2) | instskip(NEXT) | instid1(VALU_DEP_2)
	v_cmp_eq_u32_e32 vcc_lo, 0, v2
	v_cndmask_b32_e32 v2, v3, v1, vcc_lo
; %bb.32:
	s_or_b32 exec_lo, exec_lo, s10
	s_delay_alu instid0(VALU_DEP_1)
	v_and_b32_e32 v1, 0xffff0000, v2
	v_lshlrev_b32_e32 v2, 2, v0
	ds_store_b32 v2, v1
.LBB617_33:
	s_or_b32 exec_lo, exec_lo, s3
	s_cmp_lt_i32 s9, 1
	s_wait_storecnt_dscnt 0x0
	s_barrier_signal -1
	s_barrier_wait -1
	s_cbranch_scc1 .LBB617_76
; %bb.34:
	s_load_b32 s16, s[0:1], 0x28
	v_mov_b32_e32 v3, 0
	s_wait_xcnt 0x0
	s_lshl_b64 s[0:1], s[6:7], 1
	s_ashr_i32 s3, s2, 31
	s_wait_kmcnt 0x0
	s_add_nc_u64 s[0:1], s[4:5], s[0:1]
	s_mov_b32 s5, 0
	v_mov_b32_e32 v1, v3
	s_ashr_i32 s17, s16, 31
	s_cmp_neq_f32 s11, 0
	s_delay_alu instid0(VALU_DEP_1)
	v_mul_u64_e32 v[4:5], s[16:17], v[0:1]
	s_cselect_b32 s10, -1, 0
	s_cmp_gt_i32 s8, 0
	s_cselect_b32 s14, -1, 0
	s_and_b32 s15, s8, 3
	s_cmp_gt_u32 s8, 3
	s_delay_alu instid0(VALU_DEP_1)
	v_lshl_add_u64 v[4:5], v[4:5], 1, s[12:13]
	s_cselect_b32 s12, -1, 0
	s_and_b32 s8, s8, 0x7ffffffc
	s_cmp_lg_u32 s15, 0
	s_cselect_b32 s13, -1, 0
	v_add_nc_u64_e32 v[6:7], 4, v[4:5]
	s_lshl_b64 s[6:7], s[16:17], 9
	s_mov_b32 s16, 0
	s_branch .LBB617_37
.LBB617_35:                             ;   in Loop: Header=BB617_37 Depth=1
	s_or_b32 exec_lo, exec_lo, s4
	flat_store_d16_hi_b16 v[8:9], v2
.LBB617_36:                             ;   in Loop: Header=BB617_37 Depth=1
	s_wait_xcnt 0x0
	s_or_b32 exec_lo, exec_lo, s17
	v_add_nc_u64_e32 v[6:7], s[6:7], v[6:7]
	v_add_nc_u64_e32 v[4:5], s[6:7], v[4:5]
	s_addk_co_i32 s16, 0x100
	s_delay_alu instid0(SALU_CYCLE_1)
	s_cmp_ge_i32 s16, s9
	s_cbranch_scc1 .LBB617_76
.LBB617_37:                             ; =>This Loop Header: Depth=1
                                        ;     Child Loop BB617_48 Depth 2
                                        ;     Child Loop BB617_68 Depth 2
	v_add_nc_u32_e32 v2, s16, v0
	s_mov_b32 s17, exec_lo
	s_delay_alu instid0(VALU_DEP_1)
	v_cmpx_gt_i32_e64 s9, v2
	s_cbranch_execz .LBB617_36
; %bb.38:                               ;   in Loop: Header=BB617_37 Depth=1
	v_mul_u64_e32 v[8:9], s[2:3], v[2:3]
	s_and_not1_b32 vcc_lo, exec_lo, s10
	s_delay_alu instid0(VALU_DEP_1)
	v_lshl_add_u64 v[8:9], v[8:9], 1, s[0:1]
	s_cbranch_vccnz .LBB617_44
; %bb.39:                               ;   in Loop: Header=BB617_37 Depth=1
	flat_load_u16 v1, v[8:9]
	s_wait_loadcnt_dscnt 0x0
	v_lshlrev_b32_e32 v1, 16, v1
	s_delay_alu instid0(VALU_DEP_1) | instskip(NEXT) | instid1(VALU_DEP_1)
	v_mul_f32_e32 v1, s11, v1
	v_and_b32_e32 v2, 0x7f800000, v1
	s_delay_alu instid0(VALU_DEP_1) | instskip(SKIP_2) | instid1(SALU_CYCLE_1)
	v_cmp_ne_u32_e32 vcc_lo, 0x7f800000, v2
                                        ; implicit-def: $vgpr2
	s_wait_xcnt 0x0
	s_and_saveexec_b32 s4, vcc_lo
	s_xor_b32 s4, exec_lo, s4
; %bb.40:                               ;   in Loop: Header=BB617_37 Depth=1
	v_bfe_u32 v2, v1, 16, 1
	s_delay_alu instid0(VALU_DEP_1)
	v_add3_u32 v2, v1, v2, 0x7fff
                                        ; implicit-def: $vgpr1
; %bb.41:                               ;   in Loop: Header=BB617_37 Depth=1
	s_and_not1_saveexec_b32 s4, s4
; %bb.42:                               ;   in Loop: Header=BB617_37 Depth=1
	v_and_b32_e32 v2, 0xffff, v1
	v_or_b32_e32 v10, 0x10000, v1
	s_delay_alu instid0(VALU_DEP_2) | instskip(NEXT) | instid1(VALU_DEP_2)
	v_cmp_eq_u32_e32 vcc_lo, 0, v2
	v_cndmask_b32_e32 v2, v10, v1, vcc_lo
; %bb.43:                               ;   in Loop: Header=BB617_37 Depth=1
	s_or_b32 exec_lo, exec_lo, s4
	s_delay_alu instid0(VALU_DEP_1) | instskip(NEXT) | instid1(VALU_DEP_1)
	v_and_b32_e32 v1, 0xffff0000, v2
	v_cvt_i32_f32_e32 v1, v1
	s_delay_alu instid0(VALU_DEP_1)
	v_cvt_f32_i32_e32 v1, v1
	s_and_not1_b32 vcc_lo, exec_lo, s14
	s_cbranch_vccz .LBB617_45
	s_branch .LBB617_72
.LBB617_44:                             ;   in Loop: Header=BB617_37 Depth=1
	v_mov_b32_e32 v1, 0
	s_and_not1_b32 vcc_lo, exec_lo, s14
	s_cbranch_vccnz .LBB617_72
.LBB617_45:                             ;   in Loop: Header=BB617_37 Depth=1
	s_and_not1_b32 vcc_lo, exec_lo, s12
	s_mov_b32 s18, 0
	s_cbranch_vccnz .LBB617_65
; %bb.46:                               ;   in Loop: Header=BB617_37 Depth=1
	v_mov_b64_e32 v[10:11], v[6:7]
	s_mov_b32 s4, 0
	s_branch .LBB617_48
.LBB617_47:                             ;   in Loop: Header=BB617_48 Depth=2
	s_or_b32 exec_lo, exec_lo, s19
	v_and_b32_e32 v2, 0xffff0000, v2
	v_and_b32_e32 v12, 0xffff0000, v12
	v_add_nc_u64_e32 v[10:11], 8, v[10:11]
	s_add_co_i32 s18, s18, 4
	s_add_co_i32 s4, s4, 16
	v_add_f32_e32 v1, v1, v2
	v_and_b32_e32 v2, 0xffff0000, v13
	s_cmp_eq_u32 s8, s18
	s_delay_alu instid0(VALU_DEP_2) | instskip(SKIP_1) | instid1(VALU_DEP_2)
	v_add_f32_e32 v1, v1, v12
	v_and_b32_e32 v12, 0xffff0000, v14
	v_add_f32_e32 v1, v1, v2
	s_delay_alu instid0(VALU_DEP_1)
	v_add_f32_e32 v1, v1, v12
	s_cbranch_scc1 .LBB617_64
.LBB617_48:                             ;   Parent Loop BB617_37 Depth=1
                                        ; =>  This Inner Loop Header: Depth=2
	flat_load_u16 v2, v[10:11] offset:-4
	s_wait_loadcnt_dscnt 0x0
	v_dual_mov_b32 v12, s4 :: v_dual_lshlrev_b32 v2, 16, v2
	ds_load_b32 v12, v12
	s_wait_dscnt 0x0
	v_mul_f32_e32 v12, v12, v2
	s_delay_alu instid0(VALU_DEP_1) | instskip(NEXT) | instid1(VALU_DEP_1)
	v_and_b32_e32 v2, 0x7f800000, v12
	v_cmp_ne_u32_e32 vcc_lo, 0x7f800000, v2
                                        ; implicit-def: $vgpr2
	s_wait_xcnt 0x0
	s_and_saveexec_b32 s19, vcc_lo
	s_delay_alu instid0(SALU_CYCLE_1)
	s_xor_b32 s19, exec_lo, s19
; %bb.49:                               ;   in Loop: Header=BB617_48 Depth=2
	v_bfe_u32 v2, v12, 16, 1
	s_delay_alu instid0(VALU_DEP_1)
	v_add3_u32 v2, v12, v2, 0x7fff
                                        ; implicit-def: $vgpr12
; %bb.50:                               ;   in Loop: Header=BB617_48 Depth=2
	s_and_not1_saveexec_b32 s19, s19
; %bb.51:                               ;   in Loop: Header=BB617_48 Depth=2
	v_and_b32_e32 v2, 0xffff, v12
	v_or_b32_e32 v13, 0x10000, v12
	s_delay_alu instid0(VALU_DEP_2) | instskip(NEXT) | instid1(VALU_DEP_2)
	v_cmp_eq_u32_e32 vcc_lo, 0, v2
	v_cndmask_b32_e32 v2, v13, v12, vcc_lo
; %bb.52:                               ;   in Loop: Header=BB617_48 Depth=2
	s_or_b32 exec_lo, exec_lo, s19
	flat_load_u16 v12, v[10:11] offset:-2
	s_wait_loadcnt_dscnt 0x0
	v_dual_mov_b32 v13, s4 :: v_dual_lshlrev_b32 v12, 16, v12
	ds_load_b32 v13, v13 offset:4
	s_wait_dscnt 0x0
	v_mul_f32_e32 v13, v13, v12
	s_delay_alu instid0(VALU_DEP_1) | instskip(NEXT) | instid1(VALU_DEP_1)
	v_and_b32_e32 v12, 0x7f800000, v13
	v_cmp_ne_u32_e32 vcc_lo, 0x7f800000, v12
                                        ; implicit-def: $vgpr12
	s_wait_xcnt 0x0
	s_and_saveexec_b32 s19, vcc_lo
	s_delay_alu instid0(SALU_CYCLE_1)
	s_xor_b32 s19, exec_lo, s19
; %bb.53:                               ;   in Loop: Header=BB617_48 Depth=2
	v_bfe_u32 v12, v13, 16, 1
	s_delay_alu instid0(VALU_DEP_1)
	v_add3_u32 v12, v13, v12, 0x7fff
                                        ; implicit-def: $vgpr13
; %bb.54:                               ;   in Loop: Header=BB617_48 Depth=2
	s_and_not1_saveexec_b32 s19, s19
; %bb.55:                               ;   in Loop: Header=BB617_48 Depth=2
	v_and_b32_e32 v12, 0xffff, v13
	v_or_b32_e32 v14, 0x10000, v13
	s_delay_alu instid0(VALU_DEP_2) | instskip(NEXT) | instid1(VALU_DEP_2)
	v_cmp_eq_u32_e32 vcc_lo, 0, v12
	v_cndmask_b32_e32 v12, v14, v13, vcc_lo
; %bb.56:                               ;   in Loop: Header=BB617_48 Depth=2
	s_or_b32 exec_lo, exec_lo, s19
	flat_load_u16 v13, v[10:11]
	s_wait_loadcnt_dscnt 0x0
	v_dual_mov_b32 v14, s4 :: v_dual_lshlrev_b32 v13, 16, v13
	ds_load_b32 v14, v14 offset:8
	s_wait_dscnt 0x0
	v_mul_f32_e32 v14, v14, v13
	s_delay_alu instid0(VALU_DEP_1) | instskip(NEXT) | instid1(VALU_DEP_1)
	v_and_b32_e32 v13, 0x7f800000, v14
	v_cmp_ne_u32_e32 vcc_lo, 0x7f800000, v13
                                        ; implicit-def: $vgpr13
	s_wait_xcnt 0x0
	s_and_saveexec_b32 s19, vcc_lo
	s_delay_alu instid0(SALU_CYCLE_1)
	s_xor_b32 s19, exec_lo, s19
; %bb.57:                               ;   in Loop: Header=BB617_48 Depth=2
	v_bfe_u32 v13, v14, 16, 1
	s_delay_alu instid0(VALU_DEP_1)
	v_add3_u32 v13, v14, v13, 0x7fff
                                        ; implicit-def: $vgpr14
; %bb.58:                               ;   in Loop: Header=BB617_48 Depth=2
	s_and_not1_saveexec_b32 s19, s19
; %bb.59:                               ;   in Loop: Header=BB617_48 Depth=2
	v_and_b32_e32 v13, 0xffff, v14
	v_or_b32_e32 v15, 0x10000, v14
	s_delay_alu instid0(VALU_DEP_2) | instskip(NEXT) | instid1(VALU_DEP_2)
	v_cmp_eq_u32_e32 vcc_lo, 0, v13
	v_cndmask_b32_e32 v13, v15, v14, vcc_lo
; %bb.60:                               ;   in Loop: Header=BB617_48 Depth=2
	s_or_b32 exec_lo, exec_lo, s19
	flat_load_u16 v14, v[10:11] offset:2
	s_wait_loadcnt_dscnt 0x0
	v_dual_mov_b32 v15, s4 :: v_dual_lshlrev_b32 v14, 16, v14
	ds_load_b32 v15, v15 offset:12
	s_wait_dscnt 0x0
	v_mul_f32_e32 v15, v15, v14
	s_delay_alu instid0(VALU_DEP_1) | instskip(NEXT) | instid1(VALU_DEP_1)
	v_and_b32_e32 v14, 0x7f800000, v15
	v_cmp_ne_u32_e32 vcc_lo, 0x7f800000, v14
                                        ; implicit-def: $vgpr14
	s_wait_xcnt 0x0
	s_and_saveexec_b32 s19, vcc_lo
	s_delay_alu instid0(SALU_CYCLE_1)
	s_xor_b32 s19, exec_lo, s19
; %bb.61:                               ;   in Loop: Header=BB617_48 Depth=2
	v_bfe_u32 v14, v15, 16, 1
	s_delay_alu instid0(VALU_DEP_1)
	v_add3_u32 v14, v15, v14, 0x7fff
                                        ; implicit-def: $vgpr15
; %bb.62:                               ;   in Loop: Header=BB617_48 Depth=2
	s_and_not1_saveexec_b32 s19, s19
	s_cbranch_execz .LBB617_47
; %bb.63:                               ;   in Loop: Header=BB617_48 Depth=2
	v_and_b32_e32 v14, 0xffff, v15
	v_or_b32_e32 v16, 0x10000, v15
	s_delay_alu instid0(VALU_DEP_2) | instskip(NEXT) | instid1(VALU_DEP_2)
	v_cmp_eq_u32_e32 vcc_lo, 0, v14
	v_cndmask_b32_e32 v14, v16, v15, vcc_lo
	s_branch .LBB617_47
.LBB617_64:                             ;   in Loop: Header=BB617_37 Depth=1
	s_mov_b32 s18, s8
.LBB617_65:                             ;   in Loop: Header=BB617_37 Depth=1
	s_and_not1_b32 vcc_lo, exec_lo, s13
	s_cbranch_vccnz .LBB617_72
; %bb.66:                               ;   in Loop: Header=BB617_37 Depth=1
	s_lshl_b32 s4, s18, 1
	s_delay_alu instid0(SALU_CYCLE_1)
	v_add_nc_u64_e32 v[10:11], s[4:5], v[4:5]
	s_lshl_b32 s4, s18, 2
	s_mov_b32 s18, s15
	s_branch .LBB617_68
.LBB617_67:                             ;   in Loop: Header=BB617_68 Depth=2
	s_or_b32 exec_lo, exec_lo, s19
	s_delay_alu instid0(VALU_DEP_1)
	v_and_b32_e32 v2, 0xffff0000, v12
	v_add_nc_u64_e32 v[10:11], 2, v[10:11]
	s_add_co_i32 s18, s18, -1
	s_add_co_i32 s4, s4, 4
	s_cmp_lg_u32 s18, 0
	v_add_f32_e32 v1, v1, v2
	s_cbranch_scc0 .LBB617_72
.LBB617_68:                             ;   Parent Loop BB617_37 Depth=1
                                        ; =>  This Inner Loop Header: Depth=2
	flat_load_u16 v2, v[10:11]
	s_wait_loadcnt_dscnt 0x0
	v_dual_mov_b32 v12, s4 :: v_dual_lshlrev_b32 v2, 16, v2
	ds_load_b32 v12, v12
	s_wait_dscnt 0x0
	v_mul_f32_e32 v2, v12, v2
	s_delay_alu instid0(VALU_DEP_1) | instskip(NEXT) | instid1(VALU_DEP_1)
	v_and_b32_e32 v12, 0x7f800000, v2
	v_cmp_ne_u32_e32 vcc_lo, 0x7f800000, v12
                                        ; implicit-def: $vgpr12
	s_wait_xcnt 0x0
	s_and_saveexec_b32 s19, vcc_lo
	s_delay_alu instid0(SALU_CYCLE_1)
	s_xor_b32 s19, exec_lo, s19
; %bb.69:                               ;   in Loop: Header=BB617_68 Depth=2
	v_bfe_u32 v12, v2, 16, 1
	s_delay_alu instid0(VALU_DEP_1)
	v_add3_u32 v12, v2, v12, 0x7fff
                                        ; implicit-def: $vgpr2
; %bb.70:                               ;   in Loop: Header=BB617_68 Depth=2
	s_and_not1_saveexec_b32 s19, s19
	s_cbranch_execz .LBB617_67
; %bb.71:                               ;   in Loop: Header=BB617_68 Depth=2
	v_and_b32_e32 v12, 0xffff, v2
	v_or_b32_e32 v13, 0x10000, v2
	s_delay_alu instid0(VALU_DEP_2) | instskip(NEXT) | instid1(VALU_DEP_2)
	v_cmp_eq_u32_e32 vcc_lo, 0, v12
	v_cndmask_b32_e32 v12, v13, v2, vcc_lo
	s_branch .LBB617_67
.LBB617_72:                             ;   in Loop: Header=BB617_37 Depth=1
	s_delay_alu instid0(VALU_DEP_1) | instskip(NEXT) | instid1(VALU_DEP_1)
	v_and_b32_e32 v2, 0x7f800000, v1
	v_cmp_ne_u32_e32 vcc_lo, 0x7f800000, v2
                                        ; implicit-def: $vgpr2
	s_and_saveexec_b32 s4, vcc_lo
	s_delay_alu instid0(SALU_CYCLE_1)
	s_xor_b32 s4, exec_lo, s4
; %bb.73:                               ;   in Loop: Header=BB617_37 Depth=1
	v_bfe_u32 v2, v1, 16, 1
	s_delay_alu instid0(VALU_DEP_1)
	v_add3_u32 v2, v1, v2, 0x7fff
                                        ; implicit-def: $vgpr1
; %bb.74:                               ;   in Loop: Header=BB617_37 Depth=1
	s_and_not1_saveexec_b32 s4, s4
	s_cbranch_execz .LBB617_35
; %bb.75:                               ;   in Loop: Header=BB617_37 Depth=1
	v_and_b32_e32 v2, 0xffff, v1
	v_or_b32_e32 v10, 0x10000, v1
	s_delay_alu instid0(VALU_DEP_2) | instskip(NEXT) | instid1(VALU_DEP_2)
	v_cmp_eq_u32_e32 vcc_lo, 0, v2
	v_cndmask_b32_e32 v2, v10, v1, vcc_lo
	s_branch .LBB617_35
.LBB617_76:
	s_endpgm
	.section	.rodata,"a",@progbits
	.p2align	6, 0x0
	.amdhsa_kernel _ZL22rocblas_gemvtsm_kernelILb1ELi256EPK16rocblas_bfloat16fKPS0_EviiT2_lPKT1_lilS8_lilS5_lPT3_lil
		.amdhsa_group_segment_fixed_size 256
		.amdhsa_private_segment_fixed_size 0
		.amdhsa_kernarg_size 136
		.amdhsa_user_sgpr_count 2
		.amdhsa_user_sgpr_dispatch_ptr 0
		.amdhsa_user_sgpr_queue_ptr 0
		.amdhsa_user_sgpr_kernarg_segment_ptr 1
		.amdhsa_user_sgpr_dispatch_id 0
		.amdhsa_user_sgpr_kernarg_preload_length 0
		.amdhsa_user_sgpr_kernarg_preload_offset 0
		.amdhsa_user_sgpr_private_segment_size 0
		.amdhsa_wavefront_size32 1
		.amdhsa_uses_dynamic_stack 0
		.amdhsa_enable_private_segment 0
		.amdhsa_system_sgpr_workgroup_id_x 1
		.amdhsa_system_sgpr_workgroup_id_y 0
		.amdhsa_system_sgpr_workgroup_id_z 0
		.amdhsa_system_sgpr_workgroup_info 0
		.amdhsa_system_vgpr_workitem_id 0
		.amdhsa_next_free_vgpr 17
		.amdhsa_next_free_sgpr 24
		.amdhsa_named_barrier_count 0
		.amdhsa_reserve_vcc 1
		.amdhsa_float_round_mode_32 0
		.amdhsa_float_round_mode_16_64 0
		.amdhsa_float_denorm_mode_32 3
		.amdhsa_float_denorm_mode_16_64 3
		.amdhsa_fp16_overflow 0
		.amdhsa_memory_ordered 1
		.amdhsa_forward_progress 1
		.amdhsa_inst_pref_size 19
		.amdhsa_round_robin_scheduling 0
		.amdhsa_exception_fp_ieee_invalid_op 0
		.amdhsa_exception_fp_denorm_src 0
		.amdhsa_exception_fp_ieee_div_zero 0
		.amdhsa_exception_fp_ieee_overflow 0
		.amdhsa_exception_fp_ieee_underflow 0
		.amdhsa_exception_fp_ieee_inexact 0
		.amdhsa_exception_int_div_zero 0
	.end_amdhsa_kernel
	.section	.text._ZL22rocblas_gemvtsm_kernelILb1ELi256EPK16rocblas_bfloat16fKPS0_EviiT2_lPKT1_lilS8_lilS5_lPT3_lil,"axG",@progbits,_ZL22rocblas_gemvtsm_kernelILb1ELi256EPK16rocblas_bfloat16fKPS0_EviiT2_lPKT1_lilS8_lilS5_lPT3_lil,comdat
.Lfunc_end617:
	.size	_ZL22rocblas_gemvtsm_kernelILb1ELi256EPK16rocblas_bfloat16fKPS0_EviiT2_lPKT1_lilS8_lilS5_lPT3_lil, .Lfunc_end617-_ZL22rocblas_gemvtsm_kernelILb1ELi256EPK16rocblas_bfloat16fKPS0_EviiT2_lPKT1_lilS8_lilS5_lPT3_lil
                                        ; -- End function
	.set _ZL22rocblas_gemvtsm_kernelILb1ELi256EPK16rocblas_bfloat16fKPS0_EviiT2_lPKT1_lilS8_lilS5_lPT3_lil.num_vgpr, 17
	.set _ZL22rocblas_gemvtsm_kernelILb1ELi256EPK16rocblas_bfloat16fKPS0_EviiT2_lPKT1_lilS8_lilS5_lPT3_lil.num_agpr, 0
	.set _ZL22rocblas_gemvtsm_kernelILb1ELi256EPK16rocblas_bfloat16fKPS0_EviiT2_lPKT1_lilS8_lilS5_lPT3_lil.numbered_sgpr, 24
	.set _ZL22rocblas_gemvtsm_kernelILb1ELi256EPK16rocblas_bfloat16fKPS0_EviiT2_lPKT1_lilS8_lilS5_lPT3_lil.num_named_barrier, 0
	.set _ZL22rocblas_gemvtsm_kernelILb1ELi256EPK16rocblas_bfloat16fKPS0_EviiT2_lPKT1_lilS8_lilS5_lPT3_lil.private_seg_size, 0
	.set _ZL22rocblas_gemvtsm_kernelILb1ELi256EPK16rocblas_bfloat16fKPS0_EviiT2_lPKT1_lilS8_lilS5_lPT3_lil.uses_vcc, 1
	.set _ZL22rocblas_gemvtsm_kernelILb1ELi256EPK16rocblas_bfloat16fKPS0_EviiT2_lPKT1_lilS8_lilS5_lPT3_lil.uses_flat_scratch, 0
	.set _ZL22rocblas_gemvtsm_kernelILb1ELi256EPK16rocblas_bfloat16fKPS0_EviiT2_lPKT1_lilS8_lilS5_lPT3_lil.has_dyn_sized_stack, 0
	.set _ZL22rocblas_gemvtsm_kernelILb1ELi256EPK16rocblas_bfloat16fKPS0_EviiT2_lPKT1_lilS8_lilS5_lPT3_lil.has_recursion, 0
	.set _ZL22rocblas_gemvtsm_kernelILb1ELi256EPK16rocblas_bfloat16fKPS0_EviiT2_lPKT1_lilS8_lilS5_lPT3_lil.has_indirect_call, 0
	.section	.AMDGPU.csdata,"",@progbits
; Kernel info:
; codeLenInByte = 2328
; TotalNumSgprs: 26
; NumVgprs: 17
; ScratchSize: 0
; MemoryBound: 0
; FloatMode: 240
; IeeeMode: 1
; LDSByteSize: 256 bytes/workgroup (compile time only)
; SGPRBlocks: 0
; VGPRBlocks: 1
; NumSGPRsForWavesPerEU: 26
; NumVGPRsForWavesPerEU: 17
; NamedBarCnt: 0
; Occupancy: 16
; WaveLimiterHint : 1
; COMPUTE_PGM_RSRC2:SCRATCH_EN: 0
; COMPUTE_PGM_RSRC2:USER_SGPR: 2
; COMPUTE_PGM_RSRC2:TRAP_HANDLER: 0
; COMPUTE_PGM_RSRC2:TGID_X_EN: 1
; COMPUTE_PGM_RSRC2:TGID_Y_EN: 0
; COMPUTE_PGM_RSRC2:TGID_Z_EN: 0
; COMPUTE_PGM_RSRC2:TIDIG_COMP_CNT: 0
	.section	.text._ZL23rocblas_gemvt_sn_kernelILb1ELi256ELi4EiPK16rocblas_bfloat16PKffEviiT4_lPKT3_lilS8_lilPT5_i,"axG",@progbits,_ZL23rocblas_gemvt_sn_kernelILb1ELi256ELi4EiPK16rocblas_bfloat16PKffEviiT4_lPKT3_lilS8_lilPT5_i,comdat
	.globl	_ZL23rocblas_gemvt_sn_kernelILb1ELi256ELi4EiPK16rocblas_bfloat16PKffEviiT4_lPKT3_lilS8_lilPT5_i ; -- Begin function _ZL23rocblas_gemvt_sn_kernelILb1ELi256ELi4EiPK16rocblas_bfloat16PKffEviiT4_lPKT3_lilS8_lilPT5_i
	.p2align	8
	.type	_ZL23rocblas_gemvt_sn_kernelILb1ELi256ELi4EiPK16rocblas_bfloat16PKffEviiT4_lPKT3_lilS8_lilPT5_i,@function
_ZL23rocblas_gemvt_sn_kernelILb1ELi256ELi4EiPK16rocblas_bfloat16PKffEviiT4_lPKT3_lilS8_lilPT5_i: ; @_ZL23rocblas_gemvt_sn_kernelILb1ELi256ELi4EiPK16rocblas_bfloat16PKffEviiT4_lPKT3_lilS8_lilPT5_i
; %bb.0:
	s_load_b32 s33, s[0:1], 0x60
	s_bfe_u32 s2, ttmp6, 0x40014
	s_lshr_b32 s3, ttmp7, 16
	s_add_co_i32 s2, s2, 1
	s_bfe_u32 s5, ttmp6, 0x40008
	s_mul_i32 s2, s3, s2
	s_getreg_b32 s4, hwreg(HW_REG_IB_STS2, 6, 4)
	s_add_co_i32 s5, s5, s2
	s_cmp_eq_u32 s4, 0
	s_mov_b32 s25, 0
	s_cselect_b32 s10, s3, s5
	s_wait_kmcnt 0x0
	s_cmp_ge_u32 s10, s33
	s_cbranch_scc1 .LBB618_92
; %bb.1:
	s_clause 0x6
	s_load_b64 s[26:27], s[0:1], 0x0
	s_load_b256 s[12:19], s[0:1], 0x8
	s_load_b32 s28, s[0:1], 0x28
	s_load_b128 s[20:23], s[0:1], 0x38
	s_load_b32 s66, s[0:1], 0x48
	s_load_b64 s[30:31], s[0:1], 0x58
	s_load_b32 s34, s[0:1], 0x68
	s_wait_xcnt 0x0
	v_cmp_eq_u32_e64 s0, 0, v0
	v_dual_lshrrev_b32 v2, 3, v0 :: v_dual_bitop2_b32 v1, 31, v0 bitop3:0x40
	v_cmp_gt_u32_e64 s1, 32, v0
	v_cmp_gt_u32_e64 s2, 8, v0
	v_mbcnt_lo_u32_b32 v42, -1, 0
	s_delay_alu instid0(VALU_DEP_4)
	v_cmp_eq_u32_e64 s3, 0, v1
	v_dual_lshlrev_b32 v40, 2, v1 :: v_dual_bitop2_b32 v41, 28, v2 bitop3:0x40
	v_mov_b64_e32 v[20:21], 0
	s_mov_b32 s35, s25
	s_mov_b32 s37, s25
	v_lshl_or_b32 v43, v42, 2, 64
	s_wait_kmcnt 0x0
	s_ashr_i32 s7, s27, 31
	s_cmp_gt_i32 s27, 0
	s_mov_b32 s6, s27
	s_cselect_b32 s5, -1, 0
	s_bfe_u32 s8, ttmp6, 0x4000c
	s_and_b32 s9, ttmp6, 15
	s_add_co_i32 s8, s8, 1
	s_and_b32 s67, s0, s5
	s_mul_i32 s8, ttmp9, s8
	s_mul_u64 s[38:39], s[6:7], s[34:35]
	s_add_co_i32 s9, s9, s8
	s_cmp_eq_u32 s4, 0
	s_mov_b32 s29, s25
	s_cselect_b32 s36, ttmp9, s9
	s_ashr_i32 s5, s26, 31
	s_lshl_b32 s8, s36, 10
	s_lshr_b32 s5, s5, 30
	v_lshl_or_b32 v8, v0, 2, s8
	s_add_co_i32 s5, s26, s5
	s_lshr_b32 s4, s7, 30
	s_and_b32 s5, s5, -4
	s_add_co_i32 s4, s27, s4
	v_mul_lo_u32 v10, s66, v8
	s_sub_co_i32 s69, s26, s5
	s_and_b32 s68, s4, -4
	v_add_nc_u32_e32 v1, s69, v8
	s_cmp_gt_i32 s68, 0
	v_dual_ashrrev_i32 v9, 31, v8 :: v_dual_add_nc_u32 v0, 4, v8
	s_cselect_b32 s70, -1, 0
	s_cmp_gt_i32 s69, 0
	s_mov_b32 s51, s25
	s_cselect_b32 s71, -1, 0
	s_delay_alu instid0(VALU_DEP_3)
	v_add_nc_u32_e32 v12, s66, v10
	s_cmp_gt_u32 s27, 1
	v_cmp_ge_i32_e64 s4, s26, v0
	s_cselect_b32 s8, -1, 0
	s_cmp_eq_u32 s34, 1
	v_dual_add_nc_u32 v14, s66, v12 :: v_dual_ashrrev_i32 v11, 31, v10
	s_cselect_b32 s9, -1, 0
	v_cmp_ge_i32_e64 s5, s26, v1
	s_and_b32 s26, s27, 0x7ffffffe
	v_dual_add_nc_u32 v16, s66, v14 :: v_dual_ashrrev_i32 v13, 31, v12
	s_and_b32 s72, s8, s9
	s_cmp_lg_u32 s27, s26
	v_lshlrev_b64_e32 v[18:19], 1, v[8:9]
	s_cselect_b32 s73, -1, 0
	s_lshl_b32 s24, s28, 1
	v_dual_ashrrev_i32 v15, 31, v14 :: v_dual_ashrrev_i32 v17, 31, v16
	v_mov_b32_e32 v0, 0
	s_lshl_b64 s[40:41], s[36:37], 2
	s_mov_b64 s[52:53], s[24:25]
	s_mul_i32 s24, s28, 3
	s_lshl_b64 s[42:43], s[38:39], 2
	s_add_nc_u64 s[44:45], s[30:31], s[40:41]
	s_lshl_b64 s[46:47], s[6:7], 2
	s_lshl_b64 s[48:49], s[34:35], 2
	s_lshl_b32 s50, s28, 2
	s_mov_b64 s[54:55], s[24:25]
	s_lshl_b64 s[18:19], s[18:19], 1
	s_lshl_b64 s[22:23], s[22:23], 1
	s_branch .LBB618_3
.LBB618_2:                              ;   in Loop: Header=BB618_3 Depth=1
	s_add_co_i32 s10, s10, 0x10000
	s_delay_alu instid0(SALU_CYCLE_1)
	s_cmp_lt_u32 s10, s33
	s_cbranch_scc0 .LBB618_92
.LBB618_3:                              ; =>This Loop Header: Depth=1
                                        ;     Child Loop BB618_11 Depth 2
                                        ;     Child Loop BB618_15 Depth 2
	;; [unrolled: 1-line block ×3, first 2 shown]
                                        ;       Child Loop BB618_52 Depth 3
                                        ;       Child Loop BB618_55 Depth 3
                                        ;     Child Loop BB618_71 Depth 2
                                        ;       Child Loop BB618_84 Depth 3
                                        ;       Child Loop BB618_87 Depth 3
	s_mov_b32 s11, s25
	v_mov_b64_e32 v[2:3], 0
	s_mul_u64 s[6:7], s[14:15], s[10:11]
	s_delay_alu instid0(SALU_CYCLE_1) | instskip(NEXT) | instid1(SALU_CYCLE_1)
	s_lshl_b64 s[6:7], s[6:7], 2
	s_add_nc_u64 s[6:7], s[12:13], s[6:7]
	global_load_b32 v44, v0, s[6:7]
	s_wait_loadcnt 0x0
	s_wait_xcnt 0x0
	v_cmp_eq_f32_e64 s6, 0, v44
	v_cmp_neq_f32_e64 s7, 0, v44
	s_and_b32 vcc_lo, exec_lo, s6
	s_cbranch_vccnz .LBB618_5
; %bb.4:                                ;   in Loop: Header=BB618_3 Depth=1
	s_lshl_b64 s[8:9], s[10:11], 3
	s_delay_alu instid0(SALU_CYCLE_1)
	s_add_nc_u64 s[8:9], s[16:17], s[8:9]
	global_load_b64 v[2:3], v0, s[8:9]
	s_wait_loadcnt 0x0
	v_add_nc_u64_e32 v[2:3], s[18:19], v[2:3]
.LBB618_5:                              ;   in Loop: Header=BB618_3 Depth=1
	v_mov_b64_e32 v[22:23], 0
	s_and_not1_b32 vcc_lo, exec_lo, s7
	s_cbranch_vccnz .LBB618_7
; %bb.6:                                ;   in Loop: Header=BB618_3 Depth=1
	s_wait_xcnt 0x0
	s_lshl_b64 s[8:9], s[10:11], 3
	s_delay_alu instid0(SALU_CYCLE_1)
	s_add_nc_u64 s[8:9], s[20:21], s[8:9]
	global_load_b64 v[4:5], v0, s[8:9]
	s_wait_loadcnt 0x0
	v_add_nc_u64_e32 v[22:23], s[22:23], v[4:5]
.LBB618_7:                              ;   in Loop: Header=BB618_3 Depth=1
	s_and_not1_b32 vcc_lo, exec_lo, s6
	s_mov_b32 s6, -1
	s_cbranch_vccnz .LBB618_17
; %bb.8:                                ;   in Loop: Header=BB618_3 Depth=1
	s_wait_xcnt 0x0
	s_and_saveexec_b32 s8, s67
	s_cbranch_execz .LBB618_16
; %bb.9:                                ;   in Loop: Header=BB618_3 Depth=1
	s_and_not1_b32 vcc_lo, exec_lo, s72
	s_cbranch_vccnz .LBB618_13
; %bb.10:                               ;   in Loop: Header=BB618_3 Depth=1
	s_mul_u64 s[6:7], s[42:43], s[10:11]
	s_mov_b32 s9, s26
	s_add_nc_u64 s[6:7], s[44:45], s[6:7]
.LBB618_11:                             ;   Parent Loop BB618_3 Depth=1
                                        ; =>  This Inner Loop Header: Depth=2
	s_add_co_i32 s9, s9, -2
	global_store_b64 v0, v[20:21], s[6:7]
	s_wait_xcnt 0x0
	s_add_nc_u64 s[6:7], s[6:7], 8
	s_mov_b32 s24, s26
	s_cmp_lg_u32 s9, 0
	s_mov_b32 s37, s73
	s_cbranch_scc1 .LBB618_11
; %bb.12:                               ;   in Loop: Header=BB618_3 Depth=1
	s_and_b32 vcc_lo, exec_lo, s37
	s_cbranch_vccnz .LBB618_14
	s_branch .LBB618_16
.LBB618_13:                             ;   in Loop: Header=BB618_3 Depth=1
	s_mov_b32 s24, 0
	s_cbranch_execz .LBB618_16
.LBB618_14:                             ;   in Loop: Header=BB618_3 Depth=1
	s_mul_u64 s[6:7], s[46:47], s[10:11]
	s_lshl_b64 s[56:57], s[24:25], 2
	s_sub_co_i32 s9, s27, s24
	s_add_nc_u64 s[6:7], s[6:7], s[56:57]
	s_delay_alu instid0(SALU_CYCLE_1) | instskip(NEXT) | instid1(SALU_CYCLE_1)
	s_mul_u64 s[6:7], s[34:35], s[6:7]
	s_add_nc_u64 s[6:7], s[44:45], s[6:7]
.LBB618_15:                             ;   Parent Loop BB618_3 Depth=1
                                        ; =>  This Inner Loop Header: Depth=2
	s_add_co_i32 s9, s9, -1
	global_store_b32 v0, v0, s[6:7]
	s_cmp_eq_u32 s9, 0
	s_wait_xcnt 0x0
	s_add_nc_u64 s[6:7], s[6:7], s[48:49]
	s_cbranch_scc0 .LBB618_15
.LBB618_16:                             ;   in Loop: Header=BB618_3 Depth=1
	s_or_b32 exec_lo, exec_lo, s8
	s_mov_b32 s6, 0
.LBB618_17:                             ;   in Loop: Header=BB618_3 Depth=1
	s_delay_alu instid0(SALU_CYCLE_1)
	s_and_not1_b32 vcc_lo, exec_lo, s6
	s_cbranch_vccnz .LBB618_2
; %bb.18:                               ;   in Loop: Header=BB618_3 Depth=1
	v_add_nc_u64_e32 v[34:35], v[2:3], v[18:19]
	s_mul_u64 s[56:57], s[38:39], s[10:11]
	v_lshl_add_u64 v[24:25], v[8:9], 1, v[2:3]
	v_lshl_add_u64 v[26:27], v[10:11], 1, v[22:23]
	;; [unrolled: 1-line block ×5, first 2 shown]
	s_wait_xcnt 0x0
	v_cmp_gt_u32_e64 s9, 24, v42
	v_cmp_gt_u32_e64 s8, 28, v42
	;; [unrolled: 1-line block ×3, first 2 shown]
	v_cmp_ne_u32_e64 s6, 31, v42
	s_lshl_b64 s[56:57], s[56:57], 2
	s_and_not1_b32 vcc_lo, exec_lo, s70
	s_add_nc_u64 s[56:57], s[30:31], s[56:57]
	s_cbranch_vccnz .LBB618_67
; %bb.19:                               ;   in Loop: Header=BB618_3 Depth=1
	v_cndmask_b32_e64 v1, 0, 8, s9
	v_cndmask_b32_e64 v4, 0, 4, s8
	v_cndmask_b32_e64 v5, 0, 2, s7
	s_wait_dscnt 0x0
	v_add_co_ci_u32_e64 v6, null, 0, v42, s6
	v_add_lshl_u32 v45, v1, v42, 2
	v_dual_mov_b32 v1, v0 :: v_dual_mov_b32 v2, v0
	s_delay_alu instid0(VALU_DEP_3) | instskip(SKIP_3) | instid1(VALU_DEP_3)
	v_dual_mov_b32 v3, v0 :: v_dual_lshlrev_b32 v48, 2, v6
	v_add_lshl_u32 v46, v4, v42, 2
	v_add_lshl_u32 v47, v5, v42, 2
	s_mov_b32 s58, 0
	v_mov_b64_e32 v[4:5], v[2:3]
	v_mov_b64_e32 v[2:3], v[0:1]
	s_mov_b64 s[8:9], s[54:55]
	s_mov_b64 s[60:61], s[52:53]
	;; [unrolled: 1-line block ×3, first 2 shown]
	s_mov_b32 s24, s58
	s_branch .LBB618_21
.LBB618_20:                             ;   in Loop: Header=BB618_21 Depth=2
	s_wait_xcnt 0x0
	s_or_b32 exec_lo, exec_lo, s6
	s_add_co_i32 s24, s24, 4
	s_add_co_i32 s58, s58, s50
	s_add_nc_u64 s[62:63], s[62:63], s[50:51]
	s_add_nc_u64 s[60:61], s[60:61], s[50:51]
	s_cmp_ge_i32 s24, s68
	s_add_nc_u64 s[8:9], s[8:9], s[50:51]
	s_cbranch_scc1 .LBB618_68
.LBB618_21:                             ;   Parent Loop BB618_3 Depth=1
                                        ; =>  This Loop Header: Depth=2
                                        ;       Child Loop BB618_52 Depth 3
                                        ;       Child Loop BB618_55 Depth 3
                                        ; implicit-def: $vgpr7
                                        ; implicit-def: $vgpr37
	s_and_saveexec_b32 s6, s4
	s_delay_alu instid0(SALU_CYCLE_1)
	s_xor_b32 s6, exec_lo, s6
	s_cbranch_execnz .LBB618_48
; %bb.22:                               ;   in Loop: Header=BB618_21 Depth=2
	s_and_not1_saveexec_b32 s11, s6
	s_cbranch_execnz .LBB618_49
.LBB618_23:                             ;   in Loop: Header=BB618_21 Depth=2
	s_or_b32 exec_lo, exec_lo, s11
	s_and_saveexec_b32 s6, s1
.LBB618_24:                             ;   in Loop: Header=BB618_21 Depth=2
	ds_store_b32 v40, v0
.LBB618_25:                             ;   in Loop: Header=BB618_21 Depth=2
	s_or_b32 exec_lo, exec_lo, s6
	ds_bpermute_b32 v1, v43, v36
	s_wait_storecnt_dscnt 0x0
	s_barrier_signal -1
	s_barrier_wait -1
	v_add_f32_e32 v1, v36, v1
	ds_bpermute_b32 v36, v45, v1
	s_wait_dscnt 0x0
	v_add_f32_e32 v1, v1, v36
	ds_bpermute_b32 v36, v46, v1
	s_wait_dscnt 0x0
	;; [unrolled: 3-line block ×3, first 2 shown]
	v_add_f32_e32 v1, v1, v36
	ds_bpermute_b32 v36, v48, v1
	s_and_saveexec_b32 s6, s3
	s_cbranch_execz .LBB618_27
; %bb.26:                               ;   in Loop: Header=BB618_21 Depth=2
	s_wait_dscnt 0x0
	v_add_f32_e32 v1, v1, v36
	ds_store_b32 v41, v1
.LBB618_27:                             ;   in Loop: Header=BB618_21 Depth=2
	s_or_b32 exec_lo, exec_lo, s6
	v_mov_b32_e32 v1, 0
	s_wait_dscnt 0x0
	s_barrier_signal -1
	s_barrier_wait -1
	s_and_saveexec_b32 s6, s2
	s_cbranch_execnz .LBB618_56
; %bb.28:                               ;   in Loop: Header=BB618_21 Depth=2
	s_or_b32 exec_lo, exec_lo, s6
	s_and_saveexec_b32 s6, s1
	s_cbranch_execnz .LBB618_57
.LBB618_29:                             ;   in Loop: Header=BB618_21 Depth=2
	s_or_b32 exec_lo, exec_lo, s6
	s_and_saveexec_b32 s6, s1
.LBB618_30:                             ;   in Loop: Header=BB618_21 Depth=2
	ds_store_b32 v40, v0
.LBB618_31:                             ;   in Loop: Header=BB618_21 Depth=2
	s_or_b32 exec_lo, exec_lo, s6
	ds_bpermute_b32 v36, v43, v37
	s_wait_dscnt 0x0
	s_barrier_signal -1
	s_barrier_wait -1
	v_add_f32_e32 v36, v37, v36
	ds_bpermute_b32 v37, v45, v36
	s_wait_dscnt 0x0
	v_add_f32_e32 v36, v36, v37
	ds_bpermute_b32 v37, v46, v36
	s_wait_dscnt 0x0
	;; [unrolled: 3-line block ×3, first 2 shown]
	v_add_f32_e32 v36, v36, v37
	ds_bpermute_b32 v37, v48, v36
	s_and_saveexec_b32 s6, s3
	s_cbranch_execz .LBB618_33
; %bb.32:                               ;   in Loop: Header=BB618_21 Depth=2
	s_wait_dscnt 0x0
	v_add_f32_e32 v36, v36, v37
	ds_store_b32 v41, v36
.LBB618_33:                             ;   in Loop: Header=BB618_21 Depth=2
	s_or_b32 exec_lo, exec_lo, s6
	v_mov_b32_e32 v36, 0
	s_wait_dscnt 0x0
	s_barrier_signal -1
	s_barrier_wait -1
	s_and_saveexec_b32 s6, s2
	s_cbranch_execnz .LBB618_58
; %bb.34:                               ;   in Loop: Header=BB618_21 Depth=2
	s_or_b32 exec_lo, exec_lo, s6
	s_and_saveexec_b32 s6, s1
	s_cbranch_execnz .LBB618_59
.LBB618_35:                             ;   in Loop: Header=BB618_21 Depth=2
	s_or_b32 exec_lo, exec_lo, s6
	s_and_saveexec_b32 s6, s1
.LBB618_36:                             ;   in Loop: Header=BB618_21 Depth=2
	ds_store_b32 v40, v0
.LBB618_37:                             ;   in Loop: Header=BB618_21 Depth=2
	s_or_b32 exec_lo, exec_lo, s6
	ds_bpermute_b32 v37, v43, v6
	s_wait_dscnt 0x0
	s_barrier_signal -1
	s_barrier_wait -1
	v_add_f32_e32 v6, v6, v37
	ds_bpermute_b32 v37, v45, v6
	s_wait_dscnt 0x0
	v_add_f32_e32 v6, v6, v37
	ds_bpermute_b32 v37, v46, v6
	s_wait_dscnt 0x0
	;; [unrolled: 3-line block ×3, first 2 shown]
	v_add_f32_e32 v6, v6, v37
	ds_bpermute_b32 v37, v48, v6
	s_and_saveexec_b32 s6, s3
	s_cbranch_execz .LBB618_39
; %bb.38:                               ;   in Loop: Header=BB618_21 Depth=2
	s_wait_dscnt 0x0
	v_add_f32_e32 v6, v6, v37
	ds_store_b32 v41, v6
.LBB618_39:                             ;   in Loop: Header=BB618_21 Depth=2
	s_or_b32 exec_lo, exec_lo, s6
	v_mov_b32_e32 v6, 0
	s_wait_dscnt 0x0
	s_barrier_signal -1
	s_barrier_wait -1
	s_and_saveexec_b32 s6, s2
	s_cbranch_execnz .LBB618_60
; %bb.40:                               ;   in Loop: Header=BB618_21 Depth=2
	s_or_b32 exec_lo, exec_lo, s6
	s_and_saveexec_b32 s6, s1
	s_cbranch_execnz .LBB618_61
.LBB618_41:                             ;   in Loop: Header=BB618_21 Depth=2
	s_or_b32 exec_lo, exec_lo, s6
	s_and_saveexec_b32 s6, s1
.LBB618_42:                             ;   in Loop: Header=BB618_21 Depth=2
	ds_store_b32 v40, v0
.LBB618_43:                             ;   in Loop: Header=BB618_21 Depth=2
	s_or_b32 exec_lo, exec_lo, s6
	ds_bpermute_b32 v37, v43, v7
	s_wait_dscnt 0x0
	s_barrier_signal -1
	s_barrier_wait -1
	v_add_f32_e32 v7, v7, v37
	ds_bpermute_b32 v37, v45, v7
	s_wait_dscnt 0x0
	v_add_f32_e32 v7, v7, v37
	ds_bpermute_b32 v37, v46, v7
	s_wait_dscnt 0x0
	;; [unrolled: 3-line block ×3, first 2 shown]
	v_add_f32_e32 v7, v7, v37
	ds_bpermute_b32 v37, v48, v7
	s_and_saveexec_b32 s6, s3
	s_cbranch_execz .LBB618_45
; %bb.44:                               ;   in Loop: Header=BB618_21 Depth=2
	s_wait_dscnt 0x0
	v_add_f32_e32 v7, v7, v37
	ds_store_b32 v41, v7
.LBB618_45:                             ;   in Loop: Header=BB618_21 Depth=2
	s_or_b32 exec_lo, exec_lo, s6
	v_mov_b32_e32 v7, 0
	s_wait_dscnt 0x0
	s_barrier_signal -1
	s_barrier_wait -1
	s_and_saveexec_b32 s6, s2
	s_cbranch_execnz .LBB618_62
; %bb.46:                               ;   in Loop: Header=BB618_21 Depth=2
	s_or_b32 exec_lo, exec_lo, s6
	s_and_saveexec_b32 s6, s1
	s_cbranch_execnz .LBB618_63
.LBB618_47:                             ;   in Loop: Header=BB618_21 Depth=2
	s_or_b32 exec_lo, exec_lo, s6
	s_and_saveexec_b32 s6, s0
	s_cbranch_execz .LBB618_20
	s_branch .LBB618_64
.LBB618_48:                             ;   in Loop: Header=BB618_21 Depth=2
	s_mul_i32 s64, s24, s28
	s_clause 0x3
	flat_load_u16 v1, v[26:27]
	flat_load_u16 v49, v[28:29]
	flat_load_u16 v50, v[30:31]
	flat_load_u16 v52, v[32:33]
	s_ashr_i32 s65, s64, 31
	s_add_co_i32 s74, s64, s28
	v_lshl_add_u64 v[2:3], s[64:65], 1, v[24:25]
	s_add_co_i32 s64, s74, s28
	s_ashr_i32 s75, s74, 31
	s_add_co_i32 s76, s64, s28
	s_ashr_i32 s65, s64, 31
	s_ashr_i32 s77, s76, 31
	v_lshl_add_u64 v[4:5], s[64:65], 1, v[24:25]
	s_wait_dscnt 0x4
	v_lshl_add_u64 v[6:7], s[76:77], 1, v[24:25]
	s_clause 0x2
	flat_load_b64 v[36:37], v[2:3]
	flat_load_b64 v[4:5], v[4:5]
	;; [unrolled: 1-line block ×3, first 2 shown]
	s_wait_xcnt 0x2
	v_lshl_add_u64 v[2:3], s[74:75], 1, v[24:25]
	flat_load_b64 v[38:39], v[2:3]
	s_wait_loadcnt_dscnt 0x707
	s_wait_xcnt 0x0
	v_lshlrev_b32_e32 v2, 16, v1
	s_wait_loadcnt_dscnt 0x505
	v_dual_lshlrev_b32 v51, 16, v49 :: v_dual_lshlrev_b32 v54, 16, v50
	s_wait_loadcnt_dscnt 0x404
	s_delay_alu instid0(VALU_DEP_1) | instskip(SKIP_1) | instid1(VALU_DEP_1)
	v_dual_mov_b32 v56, v51 :: v_dual_lshlrev_b32 v53, 16, v52
	s_wait_loadcnt_dscnt 0x303
	v_dual_mov_b32 v58, v53 :: v_dual_lshlrev_b32 v60, 16, v36
	s_wait_loadcnt_dscnt 0x202
	v_dual_lshlrev_b32 v62, 16, v37 :: v_dual_lshlrev_b32 v1, 16, v4
	s_wait_loadcnt_dscnt 0x101
	v_lshlrev_b32_e32 v50, 16, v6
	v_and_b32_e32 v3, 0xffff0000, v6
	v_and_b32_e32 v49, 0xffff0000, v4
	v_dual_lshlrev_b32 v57, 16, v5 :: v_dual_lshlrev_b32 v52, 16, v7
	v_and_b32_e32 v59, 0xffff0000, v5
	s_delay_alu instid0(VALU_DEP_4) | instskip(SKIP_3) | instid1(VALU_DEP_3)
	v_pk_mul_f32 v[4:5], v[50:51], v[2:3]
	v_and_b32_e32 v55, 0xffff0000, v7
	s_wait_loadcnt_dscnt 0x0
	v_dual_mul_f32 v6, v2, v1 :: v_dual_lshlrev_b32 v61, 16, v38
	v_dual_mov_b32 v3, v51 :: v_dual_mov_b32 v7, v4
	v_and_b32_e32 v36, 0xffff0000, v36
	v_and_b32_e32 v64, 0xffff0000, v37
	;; [unrolled: 1-line block ×3, first 2 shown]
	v_dual_mul_f32 v4, v51, v49 :: v_dual_lshlrev_b32 v63, 16, v39
	v_pk_mul_f32 v[50:51], v[52:53], v[54:55]
	v_pk_add_f32 v[6:7], v[6:7], 0 op_sel_hi:[1,0]
	v_pk_fma_f32 v[60:61], v[2:3], v[60:61], 0 op_sel_hi:[0,1,0]
	v_mul_f32_e32 v66, v54, v57
	v_and_b32_e32 v65, 0xffff0000, v39
	v_mov_b32_e32 v67, v50
	v_pk_add_f32 v[4:5], v[6:7], v[4:5]
	v_pk_fma_f32 v[6:7], v[56:57], v[36:37], v[60:61] op_sel_hi:[0,1,1]
	v_mul_f32_e32 v50, v53, v59
	s_delay_alu instid0(VALU_DEP_3) | instskip(NEXT) | instid1(VALU_DEP_3)
	v_pk_add_f32 v[36:37], v[4:5], v[66:67]
	v_pk_fma_f32 v[38:39], v[54:55], v[62:63], v[6:7] op_sel_hi:[0,1,1]
	v_dual_mov_b32 v4, v54 :: v_dual_mov_b32 v5, v53
	s_delay_alu instid0(VALU_DEP_3) | instskip(NEXT) | instid1(VALU_DEP_3)
	v_pk_add_f32 v[6:7], v[36:37], v[50:51]
	v_pk_fma_f32 v[36:37], v[58:59], v[64:65], v[38:39] op_sel_hi:[0,1,1]
	s_and_not1_saveexec_b32 s11, s6
	s_cbranch_execz .LBB618_23
.LBB618_49:                             ;   in Loop: Header=BB618_21 Depth=2
	s_wait_dscnt 0x0
	v_dual_mov_b32 v7, 0 :: v_dual_mov_b32 v6, 0
	v_dual_mov_b32 v37, 0 :: v_dual_mov_b32 v36, 0
	s_and_saveexec_b32 s37, s5
	s_cbranch_execz .LBB618_66
; %bb.50:                               ;   in Loop: Header=BB618_21 Depth=2
	s_and_not1_b32 vcc_lo, exec_lo, s71
	s_cbranch_vccnz .LBB618_53
; %bb.51:                               ;   in Loop: Header=BB618_21 Depth=2
	v_mov_b32_e32 v1, v10
	s_mov_b64 s[64:65], 0
.LBB618_52:                             ;   Parent Loop BB618_3 Depth=1
                                        ;     Parent Loop BB618_21 Depth=2
                                        ; =>    This Inner Loop Header: Depth=3
	v_readfirstlane_b32 s6, v22
	v_readfirstlane_b32 s7, v23
	s_cmp_eq_u32 s64, 3
	s_cselect_b32 vcc_lo, -1, 0
	s_cmp_eq_u32 s64, 2
	flat_load_u16 v6, v1, s[6:7] scale_offset
	s_wait_xcnt 0x0
	v_add_nc_u32_e32 v1, s66, v1
	s_cselect_b32 s6, -1, 0
	s_cmp_eq_u32 s64, 1
	s_cselect_b32 s7, -1, 0
	s_cmp_eq_u32 s64, 0
	s_add_nc_u64 s[64:65], s[64:65], 1
	s_wait_loadcnt_dscnt 0x0
	v_lshlrev_b32_e32 v6, 16, v6
	s_delay_alu instid0(VALU_DEP_1) | instskip(SKIP_1) | instid1(SALU_CYCLE_1)
	v_dual_cndmask_b32 v5, v5, v6, vcc_lo :: v_dual_cndmask_b32 v4, v4, v6, s6
	s_cselect_b32 vcc_lo, -1, 0
	v_dual_cndmask_b32 v3, v3, v6, s7 :: v_dual_cndmask_b32 v2, v2, v6, vcc_lo
	s_cmp_eq_u32 s69, s64
	s_cbranch_scc0 .LBB618_52
.LBB618_53:                             ;   in Loop: Header=BB618_21 Depth=2
	s_and_not1_b32 vcc_lo, exec_lo, s71
	s_cbranch_vccnz .LBB618_65
; %bb.54:                               ;   in Loop: Header=BB618_21 Depth=2
	v_mov_b32_e32 v36, 0
	s_ashr_i32 s59, s58, 31
	s_mov_b64 s[6:7], 0
	v_lshl_add_u64 v[38:39], s[58:59], 1, v[34:35]
	s_delay_alu instid0(VALU_DEP_2)
	v_dual_mov_b32 v37, v36 :: v_dual_mov_b32 v6, v36
	v_mov_b32_e32 v7, v36
.LBB618_55:                             ;   Parent Loop BB618_3 Depth=1
                                        ;     Parent Loop BB618_21 Depth=2
                                        ; =>    This Inner Loop Header: Depth=3
	s_cmp_eq_u32 s6, 1
	s_cselect_b32 vcc_lo, -1, 0
	s_cmp_eq_u32 s6, 2
	v_cndmask_b32_e32 v1, v2, v3, vcc_lo
	s_cselect_b32 vcc_lo, -1, 0
	s_cmp_eq_u32 s6, 3
	s_delay_alu instid0(VALU_DEP_1)
	v_cndmask_b32_e32 v1, v1, v4, vcc_lo
	s_cselect_b32 vcc_lo, -1, 0
	s_add_co_i32 s64, s62, s6
	s_add_co_i32 s76, s8, s6
	;; [unrolled: 1-line block ×3, first 2 shown]
	s_ashr_i32 s65, s64, 31
	s_ashr_i32 s77, s76, 31
	;; [unrolled: 1-line block ×3, first 2 shown]
	v_lshl_add_u64 v[50:51], s[64:65], 1, v[24:25]
	v_lshl_add_u64 v[52:53], s[76:77], 1, v[24:25]
	;; [unrolled: 1-line block ×3, first 2 shown]
	flat_load_u16 v49, v[38:39]
	s_clause 0x2
	flat_load_u16 v51, v[50:51]
	flat_load_u16 v56, v[52:53]
	;; [unrolled: 1-line block ×3, first 2 shown]
	s_wait_xcnt 0x3
	v_add_nc_u64_e32 v[38:39], 2, v[38:39]
	s_add_nc_u64 s[6:7], s[6:7], 1
	s_delay_alu instid0(SALU_CYCLE_1)
	s_cmp_lg_u32 s69, s6
	s_wait_loadcnt_dscnt 0x202
	s_wait_xcnt 0x1
	v_dual_lshlrev_b32 v52, 16, v49 :: v_dual_lshlrev_b32 v53, 16, v51
	s_wait_loadcnt_dscnt 0x101
	s_wait_xcnt 0x0
	v_dual_cndmask_b32 v50, v1, v5 :: v_dual_lshlrev_b32 v55, 16, v56
	s_wait_loadcnt_dscnt 0x0
	v_lshlrev_b32_e32 v54, 16, v54
	s_delay_alu instid0(VALU_DEP_2) | instskip(NEXT) | instid1(VALU_DEP_2)
	v_pk_fma_f32 v[36:37], v[50:51], v[52:53], v[36:37] op_sel_hi:[0,1,1]
	v_pk_fma_f32 v[6:7], v[50:51], v[54:55], v[6:7] op_sel_hi:[0,1,1]
	s_cbranch_scc1 .LBB618_55
	s_branch .LBB618_66
.LBB618_56:                             ;   in Loop: Header=BB618_21 Depth=2
	ds_load_b32 v1, v40
	s_or_b32 exec_lo, exec_lo, s6
	s_and_saveexec_b32 s6, s1
	s_cbranch_execz .LBB618_29
.LBB618_57:                             ;   in Loop: Header=BB618_21 Depth=2
	s_wait_dscnt 0x0
	ds_bpermute_b32 v36, v46, v1
	s_wait_dscnt 0x0
	v_add_f32_e32 v1, v1, v36
	ds_bpermute_b32 v36, v47, v1
	s_wait_dscnt 0x0
	v_add_f32_e32 v1, v1, v36
	;; [unrolled: 3-line block ×3, first 2 shown]
	s_or_b32 exec_lo, exec_lo, s6
	s_and_saveexec_b32 s6, s1
	s_cbranch_execnz .LBB618_30
	s_branch .LBB618_31
.LBB618_58:                             ;   in Loop: Header=BB618_21 Depth=2
	ds_load_b32 v36, v40
	s_or_b32 exec_lo, exec_lo, s6
	s_and_saveexec_b32 s6, s1
	s_cbranch_execz .LBB618_35
.LBB618_59:                             ;   in Loop: Header=BB618_21 Depth=2
	s_wait_dscnt 0x0
	ds_bpermute_b32 v37, v46, v36
	s_wait_dscnt 0x0
	v_add_f32_e32 v36, v36, v37
	ds_bpermute_b32 v37, v47, v36
	s_wait_dscnt 0x0
	v_add_f32_e32 v36, v36, v37
	;; [unrolled: 3-line block ×3, first 2 shown]
	s_or_b32 exec_lo, exec_lo, s6
	s_and_saveexec_b32 s6, s1
	s_cbranch_execnz .LBB618_36
	s_branch .LBB618_37
.LBB618_60:                             ;   in Loop: Header=BB618_21 Depth=2
	ds_load_b32 v6, v40
	s_or_b32 exec_lo, exec_lo, s6
	s_and_saveexec_b32 s6, s1
	s_cbranch_execz .LBB618_41
.LBB618_61:                             ;   in Loop: Header=BB618_21 Depth=2
	s_wait_dscnt 0x0
	ds_bpermute_b32 v37, v46, v6
	s_wait_dscnt 0x0
	v_add_f32_e32 v6, v6, v37
	ds_bpermute_b32 v37, v47, v6
	s_wait_dscnt 0x0
	v_add_f32_e32 v6, v6, v37
	;; [unrolled: 3-line block ×3, first 2 shown]
	s_or_b32 exec_lo, exec_lo, s6
	s_and_saveexec_b32 s6, s1
	s_cbranch_execnz .LBB618_42
	s_branch .LBB618_43
.LBB618_62:                             ;   in Loop: Header=BB618_21 Depth=2
	ds_load_b32 v7, v40
	s_or_b32 exec_lo, exec_lo, s6
	s_and_saveexec_b32 s6, s1
	s_cbranch_execz .LBB618_47
.LBB618_63:                             ;   in Loop: Header=BB618_21 Depth=2
	s_wait_dscnt 0x0
	ds_bpermute_b32 v37, v46, v7
	s_wait_dscnt 0x0
	v_add_f32_e32 v7, v7, v37
	ds_bpermute_b32 v37, v47, v7
	s_wait_dscnt 0x0
	v_add_f32_e32 v7, v7, v37
	;; [unrolled: 3-line block ×3, first 2 shown]
	s_or_b32 exec_lo, exec_lo, s6
	s_and_saveexec_b32 s6, s0
	s_cbranch_execz .LBB618_20
.LBB618_64:                             ;   in Loop: Header=BB618_21 Depth=2
	s_mul_i32 s7, s24, s34
	v_dual_mul_f32 v1, v44, v1 :: v_dual_mul_f32 v36, v44, v36
	s_add_co_i32 s7, s7, s36
	s_delay_alu instid0(SALU_CYCLE_1) | instskip(NEXT) | instid1(SALU_CYCLE_1)
	s_add_co_i32 s11, s7, s34
	v_dual_mov_b32 v37, s7 :: v_dual_mov_b32 v38, s11
	s_add_co_i32 s7, s11, s34
	s_delay_alu instid0(SALU_CYCLE_1)
	v_dual_mul_f32 v6, v44, v6 :: v_dual_mov_b32 v39, s7
	s_add_co_i32 s7, s7, s34
	s_wait_dscnt 0x0
	v_dual_mul_f32 v7, v44, v7 :: v_dual_mov_b32 v49, s7
	s_clause 0x3
	global_store_b32 v37, v1, s[56:57] scale_offset
	global_store_b32 v38, v36, s[56:57] scale_offset
	global_store_b32 v39, v6, s[56:57] scale_offset
	global_store_b32 v49, v7, s[56:57] scale_offset
	s_branch .LBB618_20
.LBB618_65:                             ;   in Loop: Header=BB618_21 Depth=2
	v_mov_b32_e32 v7, 0
	s_delay_alu instid0(VALU_DEP_1)
	v_dual_mov_b32 v6, v7 :: v_dual_mov_b32 v37, v7
	v_mov_b32_e32 v36, v7
.LBB618_66:                             ;   in Loop: Header=BB618_21 Depth=2
	s_or_b32 exec_lo, exec_lo, s37
	s_delay_alu instid0(SALU_CYCLE_1)
	s_or_b32 exec_lo, exec_lo, s11
	s_and_saveexec_b32 s6, s1
	s_cbranch_execnz .LBB618_24
	s_branch .LBB618_25
.LBB618_67:                             ;   in Loop: Header=BB618_3 Depth=1
	v_dual_mov_b32 v1, v0 :: v_dual_mov_b32 v2, v0
	v_mov_b32_e32 v3, v0
	s_mov_b32 s24, 0
	s_delay_alu instid0(VALU_DEP_1) | instskip(NEXT) | instid1(VALU_DEP_3)
	v_mov_b64_e32 v[4:5], v[2:3]
	v_mov_b64_e32 v[2:3], v[0:1]
.LBB618_68:                             ;   in Loop: Header=BB618_3 Depth=1
	s_cmp_ge_i32 s24, s27
	s_cbranch_scc1 .LBB618_2
; %bb.69:                               ;   in Loop: Header=BB618_3 Depth=1
	v_cmp_gt_u32_e32 vcc_lo, 24, v42
	s_add_nc_u64 s[8:9], s[56:57], s[40:41]
	s_mul_i32 s56, s28, s24
	v_cndmask_b32_e64 v1, 0, 8, vcc_lo
	v_cmp_gt_u32_e32 vcc_lo, 28, v42
	s_delay_alu instid0(VALU_DEP_2) | instskip(SKIP_4) | instid1(VALU_DEP_2)
	v_add_lshl_u32 v1, v1, v42, 2
	s_wait_dscnt 0x0
	v_cndmask_b32_e64 v6, 0, 4, vcc_lo
	v_cmp_gt_u32_e32 vcc_lo, 30, v42
	s_wait_dscnt 0x0
	v_add_lshl_u32 v7, v6, v42, 2
	v_cndmask_b32_e64 v36, 0, 2, vcc_lo
	v_cmp_ne_u32_e32 vcc_lo, 31, v42
	s_delay_alu instid0(VALU_DEP_2) | instskip(SKIP_1) | instid1(VALU_DEP_1)
	v_add_lshl_u32 v38, v36, v42, 2
	v_add_co_ci_u32_e64 v37, null, 0, v42, vcc_lo
	v_lshlrev_b32_e32 v39, 2, v37
	s_branch .LBB618_71
.LBB618_70:                             ;   in Loop: Header=BB618_71 Depth=2
	s_wait_xcnt 0x0
	s_or_b32 exec_lo, exec_lo, s6
	s_add_co_i32 s24, s24, 1
	s_add_co_i32 s56, s56, s28
	s_cmp_ge_i32 s24, s27
	s_cbranch_scc1 .LBB618_2
.LBB618_71:                             ;   Parent Loop BB618_3 Depth=1
                                        ; =>  This Loop Header: Depth=2
                                        ;       Child Loop BB618_84 Depth 3
                                        ;       Child Loop BB618_87 Depth 3
	s_wait_dscnt 0x0
	v_mov_b32_e32 v6, s25
	s_and_saveexec_b32 s6, s4
	s_delay_alu instid0(SALU_CYCLE_1)
	s_xor_b32 s6, exec_lo, s6
	s_cbranch_execnz .LBB618_80
; %bb.72:                               ;   in Loop: Header=BB618_71 Depth=2
	s_and_not1_saveexec_b32 s11, s6
	s_cbranch_execnz .LBB618_81
.LBB618_73:                             ;   in Loop: Header=BB618_71 Depth=2
	s_or_b32 exec_lo, exec_lo, s11
	s_and_saveexec_b32 s6, s1
.LBB618_74:                             ;   in Loop: Header=BB618_71 Depth=2
	ds_store_b32 v40, v0
.LBB618_75:                             ;   in Loop: Header=BB618_71 Depth=2
	s_or_b32 exec_lo, exec_lo, s6
	ds_bpermute_b32 v36, v43, v6
	s_wait_storecnt_dscnt 0x0
	s_barrier_signal -1
	s_barrier_wait -1
	v_add_f32_e32 v6, v6, v36
	ds_bpermute_b32 v36, v1, v6
	s_wait_dscnt 0x0
	v_add_f32_e32 v6, v6, v36
	ds_bpermute_b32 v36, v7, v6
	s_wait_dscnt 0x0
	;; [unrolled: 3-line block ×3, first 2 shown]
	v_add_f32_e32 v6, v6, v36
	ds_bpermute_b32 v36, v39, v6
	s_and_saveexec_b32 s6, s3
	s_cbranch_execz .LBB618_77
; %bb.76:                               ;   in Loop: Header=BB618_71 Depth=2
	s_wait_dscnt 0x0
	v_add_f32_e32 v6, v6, v36
	ds_store_b32 v41, v6
.LBB618_77:                             ;   in Loop: Header=BB618_71 Depth=2
	s_or_b32 exec_lo, exec_lo, s6
	v_mov_b32_e32 v6, 0
	s_wait_dscnt 0x0
	s_barrier_signal -1
	s_barrier_wait -1
	s_and_saveexec_b32 s6, s2
	s_cbranch_execnz .LBB618_89
; %bb.78:                               ;   in Loop: Header=BB618_71 Depth=2
	s_or_b32 exec_lo, exec_lo, s6
	s_and_saveexec_b32 s6, s1
	s_cbranch_execnz .LBB618_90
.LBB618_79:                             ;   in Loop: Header=BB618_71 Depth=2
	s_or_b32 exec_lo, exec_lo, s6
	s_and_saveexec_b32 s6, s0
	s_cbranch_execz .LBB618_70
	s_branch .LBB618_91
.LBB618_80:                             ;   in Loop: Header=BB618_71 Depth=2
	s_mul_i32 s58, s24, s28
	s_delay_alu instid0(SALU_CYCLE_1) | instskip(NEXT) | instid1(SALU_CYCLE_1)
	s_ashr_i32 s59, s58, 31
	v_lshl_add_u64 v[2:3], s[58:59], 1, v[24:25]
	s_clause 0x1
	flat_load_u16 v4, v[28:29]
	flat_load_u16 v5, v[26:27]
	flat_load_b64 v[36:37], v[2:3]
	s_clause 0x1
	flat_load_u16 v6, v[32:33]
	flat_load_u16 v45, v[30:31]
	s_wait_loadcnt_dscnt 0x303
	s_wait_xcnt 0x2
	v_dual_lshlrev_b32 v3, 16, v4 :: v_dual_lshlrev_b32 v2, 16, v5
	s_wait_loadcnt_dscnt 0x202
	v_and_b32_e32 v5, 0xffff0000, v36
	v_lshlrev_b32_e32 v4, 16, v36
	v_and_b32_e32 v49, 0xffff0000, v37
	s_delay_alu instid0(VALU_DEP_2) | instskip(SKIP_2) | instid1(VALU_DEP_2)
	v_pk_mul_f32 v[46:47], v[2:3], v[4:5]
	s_wait_loadcnt_dscnt 0x0
	v_dual_lshlrev_b32 v5, 16, v6 :: v_dual_lshlrev_b32 v4, 16, v45
	v_dual_add_f32 v6, 0, v46 :: v_dual_lshlrev_b32 v48, 16, v37
	s_delay_alu instid0(VALU_DEP_1) | instskip(NEXT) | instid1(VALU_DEP_2)
	v_add_f32_e32 v6, v6, v47
	v_pk_mul_f32 v[36:37], v[4:5], v[48:49]
	s_delay_alu instid0(VALU_DEP_1) | instskip(NEXT) | instid1(VALU_DEP_1)
	v_add_f32_e32 v6, v6, v36
	v_add_f32_e32 v6, v6, v37
	s_wait_xcnt 0x0
	s_and_not1_saveexec_b32 s11, s6
	s_cbranch_execz .LBB618_73
.LBB618_81:                             ;   in Loop: Header=BB618_71 Depth=2
	s_and_saveexec_b32 s37, s5
	s_cbranch_execz .LBB618_88
; %bb.82:                               ;   in Loop: Header=BB618_71 Depth=2
	s_and_not1_b32 vcc_lo, exec_lo, s71
	s_cbranch_vccnz .LBB618_85
; %bb.83:                               ;   in Loop: Header=BB618_71 Depth=2
	v_mov_b32_e32 v36, v10
	s_mov_b64 s[58:59], 0
.LBB618_84:                             ;   Parent Loop BB618_3 Depth=1
                                        ;     Parent Loop BB618_71 Depth=2
                                        ; =>    This Inner Loop Header: Depth=3
	v_readfirstlane_b32 s6, v22
	v_readfirstlane_b32 s7, v23
	s_cmp_eq_u32 s58, 3
	s_cselect_b32 vcc_lo, -1, 0
	s_cmp_eq_u32 s58, 2
	flat_load_u16 v37, v36, s[6:7] scale_offset
	s_wait_xcnt 0x0
	v_add_nc_u32_e32 v36, s66, v36
	s_cselect_b32 s6, -1, 0
	s_cmp_eq_u32 s58, 1
	s_cselect_b32 s7, -1, 0
	s_cmp_eq_u32 s58, 0
	s_add_nc_u64 s[58:59], s[58:59], 1
	s_wait_loadcnt_dscnt 0x0
	v_lshlrev_b32_e32 v37, 16, v37
	s_delay_alu instid0(VALU_DEP_1) | instskip(SKIP_1) | instid1(SALU_CYCLE_1)
	v_dual_cndmask_b32 v5, v5, v37, vcc_lo :: v_dual_cndmask_b32 v4, v4, v37, s6
	s_cselect_b32 vcc_lo, -1, 0
	v_dual_cndmask_b32 v3, v3, v37, s7 :: v_dual_cndmask_b32 v2, v2, v37, vcc_lo
	s_cmp_eq_u32 s69, s58
	s_cbranch_scc0 .LBB618_84
.LBB618_85:                             ;   in Loop: Header=BB618_71 Depth=2
	s_and_not1_b32 vcc_lo, exec_lo, s71
	s_cbranch_vccnz .LBB618_88
; %bb.86:                               ;   in Loop: Header=BB618_71 Depth=2
	s_ashr_i32 s57, s56, 31
	s_mov_b64 s[6:7], 0
	v_lshl_add_u64 v[36:37], s[56:57], 1, v[34:35]
.LBB618_87:                             ;   Parent Loop BB618_3 Depth=1
                                        ;     Parent Loop BB618_71 Depth=2
                                        ; =>    This Inner Loop Header: Depth=3
	flat_load_u16 v45, v[36:37]
	s_cmp_eq_u32 s6, 1
	s_wait_xcnt 0x0
	v_add_nc_u64_e32 v[36:37], 2, v[36:37]
	s_cselect_b32 vcc_lo, -1, 0
	s_cmp_eq_u32 s6, 2
	v_cndmask_b32_e32 v46, v2, v3, vcc_lo
	s_cselect_b32 vcc_lo, -1, 0
	s_cmp_eq_u32 s6, 3
	s_add_nc_u64 s[6:7], s[6:7], 1
	s_delay_alu instid0(VALU_DEP_1) | instskip(SKIP_2) | instid1(VALU_DEP_1)
	v_cndmask_b32_e32 v46, v46, v4, vcc_lo
	s_cselect_b32 vcc_lo, -1, 0
	s_cmp_lg_u32 s69, s6
	v_cndmask_b32_e32 v46, v46, v5, vcc_lo
	s_wait_loadcnt_dscnt 0x0
	s_delay_alu instid0(VALU_DEP_1)
	v_fma_mix_f32_bf16 v6, v46, v45, v6 op_sel_hi:[0,1,0]
	s_cbranch_scc1 .LBB618_87
.LBB618_88:                             ;   in Loop: Header=BB618_71 Depth=2
	s_or_b32 exec_lo, exec_lo, s37
	s_delay_alu instid0(SALU_CYCLE_1)
	s_or_b32 exec_lo, exec_lo, s11
	s_and_saveexec_b32 s6, s1
	s_cbranch_execnz .LBB618_74
	s_branch .LBB618_75
.LBB618_89:                             ;   in Loop: Header=BB618_71 Depth=2
	ds_load_b32 v6, v40
	s_or_b32 exec_lo, exec_lo, s6
	s_and_saveexec_b32 s6, s1
	s_cbranch_execz .LBB618_79
.LBB618_90:                             ;   in Loop: Header=BB618_71 Depth=2
	s_wait_dscnt 0x0
	ds_bpermute_b32 v36, v7, v6
	s_wait_dscnt 0x0
	v_add_f32_e32 v6, v6, v36
	ds_bpermute_b32 v36, v38, v6
	s_wait_dscnt 0x0
	v_add_f32_e32 v6, v6, v36
	;; [unrolled: 3-line block ×3, first 2 shown]
	s_or_b32 exec_lo, exec_lo, s6
	s_and_saveexec_b32 s6, s0
	s_cbranch_execz .LBB618_70
.LBB618_91:                             ;   in Loop: Header=BB618_71 Depth=2
	s_mul_u64 s[58:59], s[24:25], s[34:35]
	s_wait_dscnt 0x0
	v_mul_f32_e32 v6, v44, v6
	s_lshl_b64 s[58:59], s[58:59], 2
	s_delay_alu instid0(SALU_CYCLE_1)
	s_add_nc_u64 s[58:59], s[8:9], s[58:59]
	global_store_b32 v0, v6, s[58:59]
	s_branch .LBB618_70
.LBB618_92:
	s_sendmsg sendmsg(MSG_DEALLOC_VGPRS)
	s_endpgm
	.section	.rodata,"a",@progbits
	.p2align	6, 0x0
	.amdhsa_kernel _ZL23rocblas_gemvt_sn_kernelILb1ELi256ELi4EiPK16rocblas_bfloat16PKffEviiT4_lPKT3_lilS8_lilPT5_i
		.amdhsa_group_segment_fixed_size 128
		.amdhsa_private_segment_fixed_size 0
		.amdhsa_kernarg_size 360
		.amdhsa_user_sgpr_count 2
		.amdhsa_user_sgpr_dispatch_ptr 0
		.amdhsa_user_sgpr_queue_ptr 0
		.amdhsa_user_sgpr_kernarg_segment_ptr 1
		.amdhsa_user_sgpr_dispatch_id 0
		.amdhsa_user_sgpr_kernarg_preload_length 0
		.amdhsa_user_sgpr_kernarg_preload_offset 0
		.amdhsa_user_sgpr_private_segment_size 0
		.amdhsa_wavefront_size32 1
		.amdhsa_uses_dynamic_stack 0
		.amdhsa_enable_private_segment 0
		.amdhsa_system_sgpr_workgroup_id_x 1
		.amdhsa_system_sgpr_workgroup_id_y 0
		.amdhsa_system_sgpr_workgroup_id_z 1
		.amdhsa_system_sgpr_workgroup_info 0
		.amdhsa_system_vgpr_workitem_id 0
		.amdhsa_next_free_vgpr 68
		.amdhsa_next_free_sgpr 78
		.amdhsa_named_barrier_count 0
		.amdhsa_reserve_vcc 1
		.amdhsa_float_round_mode_32 0
		.amdhsa_float_round_mode_16_64 0
		.amdhsa_float_denorm_mode_32 3
		.amdhsa_float_denorm_mode_16_64 3
		.amdhsa_fp16_overflow 0
		.amdhsa_memory_ordered 1
		.amdhsa_forward_progress 1
		.amdhsa_inst_pref_size 34
		.amdhsa_round_robin_scheduling 0
		.amdhsa_exception_fp_ieee_invalid_op 0
		.amdhsa_exception_fp_denorm_src 0
		.amdhsa_exception_fp_ieee_div_zero 0
		.amdhsa_exception_fp_ieee_overflow 0
		.amdhsa_exception_fp_ieee_underflow 0
		.amdhsa_exception_fp_ieee_inexact 0
		.amdhsa_exception_int_div_zero 0
	.end_amdhsa_kernel
	.section	.text._ZL23rocblas_gemvt_sn_kernelILb1ELi256ELi4EiPK16rocblas_bfloat16PKffEviiT4_lPKT3_lilS8_lilPT5_i,"axG",@progbits,_ZL23rocblas_gemvt_sn_kernelILb1ELi256ELi4EiPK16rocblas_bfloat16PKffEviiT4_lPKT3_lilS8_lilPT5_i,comdat
.Lfunc_end618:
	.size	_ZL23rocblas_gemvt_sn_kernelILb1ELi256ELi4EiPK16rocblas_bfloat16PKffEviiT4_lPKT3_lilS8_lilPT5_i, .Lfunc_end618-_ZL23rocblas_gemvt_sn_kernelILb1ELi256ELi4EiPK16rocblas_bfloat16PKffEviiT4_lPKT3_lilS8_lilPT5_i
                                        ; -- End function
	.set _ZL23rocblas_gemvt_sn_kernelILb1ELi256ELi4EiPK16rocblas_bfloat16PKffEviiT4_lPKT3_lilS8_lilPT5_i.num_vgpr, 68
	.set _ZL23rocblas_gemvt_sn_kernelILb1ELi256ELi4EiPK16rocblas_bfloat16PKffEviiT4_lPKT3_lilS8_lilPT5_i.num_agpr, 0
	.set _ZL23rocblas_gemvt_sn_kernelILb1ELi256ELi4EiPK16rocblas_bfloat16PKffEviiT4_lPKT3_lilS8_lilPT5_i.numbered_sgpr, 78
	.set _ZL23rocblas_gemvt_sn_kernelILb1ELi256ELi4EiPK16rocblas_bfloat16PKffEviiT4_lPKT3_lilS8_lilPT5_i.num_named_barrier, 0
	.set _ZL23rocblas_gemvt_sn_kernelILb1ELi256ELi4EiPK16rocblas_bfloat16PKffEviiT4_lPKT3_lilS8_lilPT5_i.private_seg_size, 0
	.set _ZL23rocblas_gemvt_sn_kernelILb1ELi256ELi4EiPK16rocblas_bfloat16PKffEviiT4_lPKT3_lilS8_lilPT5_i.uses_vcc, 1
	.set _ZL23rocblas_gemvt_sn_kernelILb1ELi256ELi4EiPK16rocblas_bfloat16PKffEviiT4_lPKT3_lilS8_lilPT5_i.uses_flat_scratch, 1
	.set _ZL23rocblas_gemvt_sn_kernelILb1ELi256ELi4EiPK16rocblas_bfloat16PKffEviiT4_lPKT3_lilS8_lilPT5_i.has_dyn_sized_stack, 0
	.set _ZL23rocblas_gemvt_sn_kernelILb1ELi256ELi4EiPK16rocblas_bfloat16PKffEviiT4_lPKT3_lilS8_lilPT5_i.has_recursion, 0
	.set _ZL23rocblas_gemvt_sn_kernelILb1ELi256ELi4EiPK16rocblas_bfloat16PKffEviiT4_lPKT3_lilS8_lilPT5_i.has_indirect_call, 0
	.section	.AMDGPU.csdata,"",@progbits
; Kernel info:
; codeLenInByte = 4240
; TotalNumSgprs: 80
; NumVgprs: 68
; ScratchSize: 0
; MemoryBound: 0
; FloatMode: 240
; IeeeMode: 1
; LDSByteSize: 128 bytes/workgroup (compile time only)
; SGPRBlocks: 0
; VGPRBlocks: 4
; NumSGPRsForWavesPerEU: 80
; NumVGPRsForWavesPerEU: 68
; NamedBarCnt: 0
; Occupancy: 12
; WaveLimiterHint : 0
; COMPUTE_PGM_RSRC2:SCRATCH_EN: 0
; COMPUTE_PGM_RSRC2:USER_SGPR: 2
; COMPUTE_PGM_RSRC2:TRAP_HANDLER: 0
; COMPUTE_PGM_RSRC2:TGID_X_EN: 1
; COMPUTE_PGM_RSRC2:TGID_Y_EN: 0
; COMPUTE_PGM_RSRC2:TGID_Z_EN: 1
; COMPUTE_PGM_RSRC2:TIDIG_COMP_CNT: 0
	.section	.text._ZL23rocblas_gemvt_sn_kernelILb1ELi256ELi4ElPK16rocblas_bfloat16PKffEviiT4_lPKT3_lilS8_lilPT5_i,"axG",@progbits,_ZL23rocblas_gemvt_sn_kernelILb1ELi256ELi4ElPK16rocblas_bfloat16PKffEviiT4_lPKT3_lilS8_lilPT5_i,comdat
	.globl	_ZL23rocblas_gemvt_sn_kernelILb1ELi256ELi4ElPK16rocblas_bfloat16PKffEviiT4_lPKT3_lilS8_lilPT5_i ; -- Begin function _ZL23rocblas_gemvt_sn_kernelILb1ELi256ELi4ElPK16rocblas_bfloat16PKffEviiT4_lPKT3_lilS8_lilPT5_i
	.p2align	8
	.type	_ZL23rocblas_gemvt_sn_kernelILb1ELi256ELi4ElPK16rocblas_bfloat16PKffEviiT4_lPKT3_lilS8_lilPT5_i,@function
_ZL23rocblas_gemvt_sn_kernelILb1ELi256ELi4ElPK16rocblas_bfloat16PKffEviiT4_lPKT3_lilS8_lilPT5_i: ; @_ZL23rocblas_gemvt_sn_kernelILb1ELi256ELi4ElPK16rocblas_bfloat16PKffEviiT4_lPKT3_lilS8_lilPT5_i
; %bb.0:
	s_load_b32 s33, s[0:1], 0x60
	s_bfe_u32 s2, ttmp6, 0x40014
	s_lshr_b32 s3, ttmp7, 16
	s_add_co_i32 s2, s2, 1
	s_bfe_u32 s5, ttmp6, 0x40008
	s_mul_i32 s2, s3, s2
	s_getreg_b32 s4, hwreg(HW_REG_IB_STS2, 6, 4)
	s_add_co_i32 s5, s5, s2
	s_cmp_eq_u32 s4, 0
	s_mov_b32 s25, 0
	s_cselect_b32 s10, s3, s5
	s_wait_kmcnt 0x0
	s_cmp_ge_u32 s10, s33
	s_cbranch_scc1 .LBB619_92
; %bb.1:
	s_clause 0x6
	s_load_b32 s26, s[0:1], 0x28
	s_load_b32 s6, s[0:1], 0x48
	s_load_b64 s[28:29], s[0:1], 0x0
	s_load_b32 s30, s[0:1], 0x68
	s_load_b256 s[12:19], s[0:1], 0x8
	s_load_b128 s[20:23], s[0:1], 0x38
	s_load_b64 s[34:35], s[0:1], 0x58
	s_wait_xcnt 0x0
	v_cmp_eq_u32_e64 s0, 0, v0
	v_dual_lshrrev_b32 v2, 3, v0 :: v_dual_bitop2_b32 v1, 31, v0 bitop3:0x40
	v_cmp_gt_u32_e64 s1, 32, v0
	v_cmp_gt_u32_e64 s2, 8, v0
	v_mbcnt_lo_u32_b32 v48, -1, 0
	s_delay_alu instid0(VALU_DEP_4)
	v_dual_lshlrev_b32 v46, 2, v1 :: v_dual_bitop2_b32 v47, 28, v2 bitop3:0x40
	v_cmp_eq_u32_e64 s3, 0, v1
	v_mov_b64_e32 v[22:23], 0
	s_mov_b32 s31, s25
	v_lshl_or_b32 v49, v48, 2, 64
	s_wait_kmcnt 0x0
	s_ashr_i32 s27, s26, 31
	s_ashr_i32 s7, s6, 31
	;; [unrolled: 1-line block ×3, first 2 shown]
	s_cmp_gt_i32 s29, 0
	s_mov_b32 s8, s29
	s_cselect_b32 s5, -1, 0
	s_bfe_u32 s11, ttmp6, 0x4000c
	s_and_b32 s24, ttmp6, 15
	s_add_co_i32 s11, s11, 1
	s_and_b32 s60, s0, s5
	s_mul_i32 s11, ttmp9, s11
	s_mul_u64 s[36:37], s[8:9], s[30:31]
	s_add_co_i32 s24, s24, s11
	s_cmp_eq_u32 s4, 0
	s_mul_u64 s[38:39], s[26:27], 6
	s_cselect_b32 s24, ttmp9, s24
	s_ashr_i32 s5, s28, 31
	s_lshl_b32 s11, s24, 10
	s_lshr_b32 s4, s9, 30
	v_lshl_or_b32 v8, v0, 2, s11
	s_lshr_b32 s5, s5, 30
	s_add_co_i32 s4, s29, s4
	s_add_co_i32 s5, s28, s5
	s_and_b32 s61, s4, -4
	s_and_b32 s4, s5, -4
	v_dual_ashrrev_i32 v9, 31, v8 :: v_dual_bitop2_b32 v0, 1, v8 bitop3:0x54
	s_sub_co_i32 s62, s28, s4
	v_dual_add_nc_u32 v6, 4, v8 :: v_dual_bitop2_b32 v2, 2, v8 bitop3:0x54
	v_dual_add_nc_u32 v7, s62, v8 :: v_dual_bitop2_b32 v4, 3, v8 bitop3:0x54
	s_delay_alu instid0(VALU_DEP_3) | instskip(NEXT) | instid1(VALU_DEP_3)
	v_mul_u64_e32 v[10:11], s[6:7], v[8:9]
	v_dual_ashrrev_i32 v1, 31, v0 :: v_dual_ashrrev_i32 v3, 31, v2
	s_delay_alu instid0(VALU_DEP_3) | instskip(SKIP_2) | instid1(VALU_DEP_3)
	v_ashrrev_i32_e32 v5, 31, v4
	s_cmp_gt_i32 s61, 0
	v_lshlrev_b64_e32 v[18:19], 1, v[8:9]
	v_mul_u64_e32 v[12:13], s[6:7], v[0:1]
	v_mul_u64_e32 v[14:15], s[6:7], v[2:3]
	v_mov_b32_e32 v0, 0
	v_mul_u64_e32 v[16:17], s[6:7], v[4:5]
	s_cselect_b32 s63, -1, 0
	s_cmp_gt_i32 s62, 0
	v_cmp_ge_i32_e64 s4, s28, v6
	s_cselect_b32 s64, -1, 0
	s_cmp_gt_u32 s29, 1
	s_cselect_b32 s5, -1, 0
	s_cmp_eq_u32 s30, 1
	s_cselect_b32 s11, -1, 0
	s_and_b32 s65, s29, 0x7ffffffe
	s_and_b32 s66, s5, s11
	s_cmp_lg_u32 s29, s65
	v_cmp_ge_i32_e64 s5, s28, v7
	s_cselect_b32 s28, -1, 0
	s_lshl_b64 s[40:41], s[24:25], 2
	s_lshl_b64 s[42:43], s[36:37], 2
	;; [unrolled: 1-line block ×7, first 2 shown]
	v_lshlrev_b64_e32 v[20:21], 1, v[10:11]
	s_add_nc_u64 s[54:55], s[34:35], s[40:41]
	s_lshl_b64 s[56:57], s[26:27], 1
	s_lshl_b64 s[18:19], s[18:19], 1
	;; [unrolled: 1-line block ×3, first 2 shown]
	s_branch .LBB619_3
.LBB619_2:                              ;   in Loop: Header=BB619_3 Depth=1
	s_add_co_i32 s10, s10, 0x10000
	s_delay_alu instid0(SALU_CYCLE_1)
	s_cmp_lt_u32 s10, s33
	s_cbranch_scc0 .LBB619_92
.LBB619_3:                              ; =>This Loop Header: Depth=1
                                        ;     Child Loop BB619_11 Depth 2
                                        ;     Child Loop BB619_15 Depth 2
	;; [unrolled: 1-line block ×3, first 2 shown]
                                        ;       Child Loop BB619_52 Depth 3
                                        ;       Child Loop BB619_55 Depth 3
                                        ;     Child Loop BB619_71 Depth 2
                                        ;       Child Loop BB619_84 Depth 3
                                        ;       Child Loop BB619_87 Depth 3
	s_mov_b32 s11, s25
	s_wait_dscnt 0x0
	v_mov_b64_e32 v[6:7], 0
	s_mul_u64 s[6:7], s[14:15], s[10:11]
	s_delay_alu instid0(SALU_CYCLE_1) | instskip(NEXT) | instid1(SALU_CYCLE_1)
	s_lshl_b64 s[6:7], s[6:7], 2
	s_add_nc_u64 s[6:7], s[12:13], s[6:7]
	global_load_b32 v50, v0, s[6:7]
	s_wait_loadcnt 0x0
	s_wait_xcnt 0x0
	v_cmp_eq_f32_e64 s6, 0, v50
	v_cmp_neq_f32_e64 s7, 0, v50
	s_and_b32 vcc_lo, exec_lo, s6
	s_cbranch_vccnz .LBB619_5
; %bb.4:                                ;   in Loop: Header=BB619_3 Depth=1
	s_lshl_b64 s[8:9], s[10:11], 3
	s_delay_alu instid0(SALU_CYCLE_1)
	s_add_nc_u64 s[8:9], s[16:17], s[8:9]
	global_load_b64 v[2:3], v0, s[8:9]
	s_wait_loadcnt 0x0
	v_add_nc_u64_e32 v[6:7], s[18:19], v[2:3]
.LBB619_5:                              ;   in Loop: Header=BB619_3 Depth=1
	v_mov_b64_e32 v[4:5], 0
	s_and_not1_b32 vcc_lo, exec_lo, s7
	s_cbranch_vccnz .LBB619_7
; %bb.6:                                ;   in Loop: Header=BB619_3 Depth=1
	s_wait_xcnt 0x0
	s_lshl_b64 s[8:9], s[10:11], 3
	s_delay_alu instid0(SALU_CYCLE_1)
	s_add_nc_u64 s[8:9], s[20:21], s[8:9]
	global_load_b64 v[2:3], v0, s[8:9]
	s_wait_loadcnt 0x0
	v_add_nc_u64_e32 v[4:5], s[22:23], v[2:3]
.LBB619_7:                              ;   in Loop: Header=BB619_3 Depth=1
	s_and_not1_b32 vcc_lo, exec_lo, s6
	s_mov_b32 s6, -1
	s_cbranch_vccnz .LBB619_17
; %bb.8:                                ;   in Loop: Header=BB619_3 Depth=1
	s_wait_xcnt 0x0
	s_and_saveexec_b32 s8, s60
	s_cbranch_execz .LBB619_16
; %bb.9:                                ;   in Loop: Header=BB619_3 Depth=1
	s_and_not1_b32 vcc_lo, exec_lo, s66
	s_cbranch_vccnz .LBB619_13
; %bb.10:                               ;   in Loop: Header=BB619_3 Depth=1
	s_mul_u64 s[6:7], s[42:43], s[10:11]
	s_mov_b32 s9, s65
	s_add_nc_u64 s[6:7], s[54:55], s[6:7]
.LBB619_11:                             ;   Parent Loop BB619_3 Depth=1
                                        ; =>  This Inner Loop Header: Depth=2
	s_add_co_i32 s9, s9, -2
	global_store_b64 v0, v[22:23], s[6:7]
	s_wait_xcnt 0x0
	s_add_nc_u64 s[6:7], s[6:7], 8
	s_mov_b32 s24, s65
	s_cmp_lg_u32 s9, 0
	s_mov_b32 s58, s28
	s_cbranch_scc1 .LBB619_11
; %bb.12:                               ;   in Loop: Header=BB619_3 Depth=1
	s_and_b32 vcc_lo, exec_lo, s58
	s_cbranch_vccnz .LBB619_14
	s_branch .LBB619_16
.LBB619_13:                             ;   in Loop: Header=BB619_3 Depth=1
	s_mov_b32 s24, 0
	s_cbranch_execz .LBB619_16
.LBB619_14:                             ;   in Loop: Header=BB619_3 Depth=1
	s_mul_u64 s[6:7], s[44:45], s[10:11]
	s_lshl_b64 s[58:59], s[24:25], 2
	s_sub_co_i32 s9, s29, s24
	s_add_nc_u64 s[6:7], s[6:7], s[58:59]
	s_delay_alu instid0(SALU_CYCLE_1) | instskip(NEXT) | instid1(SALU_CYCLE_1)
	s_mul_u64 s[6:7], s[30:31], s[6:7]
	s_add_nc_u64 s[6:7], s[54:55], s[6:7]
.LBB619_15:                             ;   Parent Loop BB619_3 Depth=1
                                        ; =>  This Inner Loop Header: Depth=2
	s_add_co_i32 s9, s9, -1
	global_store_b32 v0, v0, s[6:7]
	s_cmp_eq_u32 s9, 0
	s_wait_xcnt 0x0
	s_add_nc_u64 s[6:7], s[6:7], s[46:47]
	s_cbranch_scc0 .LBB619_15
.LBB619_16:                             ;   in Loop: Header=BB619_3 Depth=1
	s_or_b32 exec_lo, exec_lo, s8
	s_mov_b32 s6, 0
.LBB619_17:                             ;   in Loop: Header=BB619_3 Depth=1
	s_delay_alu instid0(SALU_CYCLE_1)
	s_and_not1_b32 vcc_lo, exec_lo, s6
	s_cbranch_vccnz .LBB619_2
; %bb.18:                               ;   in Loop: Header=BB619_3 Depth=1
	s_mul_u64 s[6:7], s[36:37], s[10:11]
	v_add_nc_u64_e32 v[34:35], v[4:5], v[20:21]
	s_lshl_b64 s[58:59], s[6:7], 2
	v_lshl_add_u64 v[24:25], v[8:9], 1, v[6:7]
	v_lshl_add_u64 v[26:27], v[10:11], 1, v[4:5]
	;; [unrolled: 1-line block ×5, first 2 shown]
	s_wait_xcnt 0x0
	v_cmp_gt_u32_e64 s8, 24, v48
	v_cmp_gt_u32_e64 s6, 28, v48
	;; [unrolled: 1-line block ×3, first 2 shown]
	v_cmp_ne_u32_e64 s7, 31, v48
	s_add_nc_u64 s[58:59], s[34:35], s[58:59]
	s_and_not1_b32 vcc_lo, exec_lo, s63
	s_add_nc_u64 s[58:59], s[58:59], s[40:41]
	s_cbranch_vccnz .LBB619_67
; %bb.19:                               ;   in Loop: Header=BB619_3 Depth=1
	v_cndmask_b32_e64 v1, 0, 8, s8
	v_cndmask_b32_e64 v2, 0, 4, s6
	;; [unrolled: 1-line block ×3, first 2 shown]
	v_add_co_ci_u32_e64 v37, null, 0, v48, s7
	s_delay_alu instid0(VALU_DEP_4) | instskip(NEXT) | instid1(VALU_DEP_4)
	v_add_lshl_u32 v51, v1, v48, 2
	v_add_lshl_u32 v52, v2, v48, 2
	v_dual_mov_b32 v1, v0 :: v_dual_mov_b32 v2, v0
	s_delay_alu instid0(VALU_DEP_4) | instskip(SKIP_3) | instid1(VALU_DEP_4)
	v_dual_mov_b32 v3, v0 :: v_dual_lshlrev_b32 v54, 2, v37
	v_add_lshl_u32 v53, v36, v48, 2
	v_add_nc_u64_e32 v[36:37], v[4:5], v[20:21]
	v_mov_b64_e32 v[38:39], v[24:25]
	v_mov_b64_e32 v[4:5], v[2:3]
	;; [unrolled: 1-line block ×3, first 2 shown]
	s_mov_b32 s24, 0
	s_branch .LBB619_21
.LBB619_20:                             ;   in Loop: Header=BB619_21 Depth=2
	s_wait_xcnt 0x0
	s_or_b32 exec_lo, exec_lo, s6
	v_add_nc_u64_e32 v[38:39], s[50:51], v[38:39]
	s_add_co_i32 s24, s24, 4
	s_delay_alu instid0(SALU_CYCLE_1)
	s_cmp_ge_i32 s24, s61
	s_cbranch_scc1 .LBB619_68
.LBB619_21:                             ;   Parent Loop BB619_3 Depth=1
                                        ; =>  This Loop Header: Depth=2
                                        ;       Child Loop BB619_52 Depth 3
                                        ;       Child Loop BB619_55 Depth 3
                                        ; implicit-def: $vgpr41
                                        ; implicit-def: $vgpr43
	s_and_saveexec_b32 s6, s4
	s_delay_alu instid0(SALU_CYCLE_1)
	s_xor_b32 s6, exec_lo, s6
	s_cbranch_execnz .LBB619_48
; %bb.22:                               ;   in Loop: Header=BB619_21 Depth=2
	s_and_not1_saveexec_b32 s11, s6
	s_cbranch_execnz .LBB619_49
.LBB619_23:                             ;   in Loop: Header=BB619_21 Depth=2
	s_or_b32 exec_lo, exec_lo, s11
	s_and_saveexec_b32 s6, s1
.LBB619_24:                             ;   in Loop: Header=BB619_21 Depth=2
	ds_store_b32 v46, v0
.LBB619_25:                             ;   in Loop: Header=BB619_21 Depth=2
	s_or_b32 exec_lo, exec_lo, s6
	ds_bpermute_b32 v1, v49, v42
	s_wait_storecnt_dscnt 0x0
	s_barrier_signal -1
	s_barrier_wait -1
	v_add_f32_e32 v1, v42, v1
	ds_bpermute_b32 v42, v51, v1
	s_wait_dscnt 0x0
	v_add_f32_e32 v1, v1, v42
	ds_bpermute_b32 v42, v52, v1
	s_wait_dscnt 0x0
	;; [unrolled: 3-line block ×3, first 2 shown]
	v_add_f32_e32 v1, v1, v42
	ds_bpermute_b32 v42, v54, v1
	s_and_saveexec_b32 s6, s3
	s_cbranch_execz .LBB619_27
; %bb.26:                               ;   in Loop: Header=BB619_21 Depth=2
	s_wait_dscnt 0x0
	v_add_f32_e32 v1, v1, v42
	ds_store_b32 v47, v1
.LBB619_27:                             ;   in Loop: Header=BB619_21 Depth=2
	s_or_b32 exec_lo, exec_lo, s6
	v_mov_b32_e32 v1, 0
	s_wait_dscnt 0x0
	s_barrier_signal -1
	s_barrier_wait -1
	s_and_saveexec_b32 s6, s2
	s_cbranch_execnz .LBB619_56
; %bb.28:                               ;   in Loop: Header=BB619_21 Depth=2
	s_or_b32 exec_lo, exec_lo, s6
	s_and_saveexec_b32 s6, s1
	s_cbranch_execnz .LBB619_57
.LBB619_29:                             ;   in Loop: Header=BB619_21 Depth=2
	s_or_b32 exec_lo, exec_lo, s6
	s_and_saveexec_b32 s6, s1
.LBB619_30:                             ;   in Loop: Header=BB619_21 Depth=2
	ds_store_b32 v46, v0
.LBB619_31:                             ;   in Loop: Header=BB619_21 Depth=2
	s_or_b32 exec_lo, exec_lo, s6
	ds_bpermute_b32 v42, v49, v43
	s_wait_dscnt 0x0
	s_barrier_signal -1
	s_barrier_wait -1
	v_add_f32_e32 v42, v43, v42
	ds_bpermute_b32 v43, v51, v42
	s_wait_dscnt 0x0
	v_add_f32_e32 v42, v42, v43
	ds_bpermute_b32 v43, v52, v42
	s_wait_dscnt 0x0
	;; [unrolled: 3-line block ×3, first 2 shown]
	v_add_f32_e32 v42, v42, v43
	ds_bpermute_b32 v43, v54, v42
	s_and_saveexec_b32 s6, s3
	s_cbranch_execz .LBB619_33
; %bb.32:                               ;   in Loop: Header=BB619_21 Depth=2
	s_wait_dscnt 0x0
	v_add_f32_e32 v42, v42, v43
	ds_store_b32 v47, v42
.LBB619_33:                             ;   in Loop: Header=BB619_21 Depth=2
	s_or_b32 exec_lo, exec_lo, s6
	v_mov_b32_e32 v42, 0
	s_wait_dscnt 0x0
	s_barrier_signal -1
	s_barrier_wait -1
	s_and_saveexec_b32 s6, s2
	s_cbranch_execnz .LBB619_58
; %bb.34:                               ;   in Loop: Header=BB619_21 Depth=2
	s_or_b32 exec_lo, exec_lo, s6
	s_and_saveexec_b32 s6, s1
	s_cbranch_execnz .LBB619_59
.LBB619_35:                             ;   in Loop: Header=BB619_21 Depth=2
	s_or_b32 exec_lo, exec_lo, s6
	s_and_saveexec_b32 s6, s1
.LBB619_36:                             ;   in Loop: Header=BB619_21 Depth=2
	ds_store_b32 v46, v0
.LBB619_37:                             ;   in Loop: Header=BB619_21 Depth=2
	s_or_b32 exec_lo, exec_lo, s6
	ds_bpermute_b32 v43, v49, v40
	s_wait_dscnt 0x0
	s_barrier_signal -1
	s_barrier_wait -1
	v_add_f32_e32 v40, v40, v43
	ds_bpermute_b32 v43, v51, v40
	s_wait_dscnt 0x0
	v_add_f32_e32 v40, v40, v43
	ds_bpermute_b32 v43, v52, v40
	s_wait_dscnt 0x0
	;; [unrolled: 3-line block ×3, first 2 shown]
	v_add_f32_e32 v40, v40, v43
	ds_bpermute_b32 v43, v54, v40
	s_and_saveexec_b32 s6, s3
	s_cbranch_execz .LBB619_39
; %bb.38:                               ;   in Loop: Header=BB619_21 Depth=2
	s_wait_dscnt 0x0
	v_add_f32_e32 v40, v40, v43
	ds_store_b32 v47, v40
.LBB619_39:                             ;   in Loop: Header=BB619_21 Depth=2
	s_or_b32 exec_lo, exec_lo, s6
	v_mov_b32_e32 v40, 0
	s_wait_dscnt 0x0
	s_barrier_signal -1
	s_barrier_wait -1
	s_and_saveexec_b32 s6, s2
	s_cbranch_execnz .LBB619_60
; %bb.40:                               ;   in Loop: Header=BB619_21 Depth=2
	s_or_b32 exec_lo, exec_lo, s6
	s_and_saveexec_b32 s6, s1
	s_cbranch_execnz .LBB619_61
.LBB619_41:                             ;   in Loop: Header=BB619_21 Depth=2
	s_or_b32 exec_lo, exec_lo, s6
	s_and_saveexec_b32 s6, s1
.LBB619_42:                             ;   in Loop: Header=BB619_21 Depth=2
	ds_store_b32 v46, v0
.LBB619_43:                             ;   in Loop: Header=BB619_21 Depth=2
	s_or_b32 exec_lo, exec_lo, s6
	ds_bpermute_b32 v43, v49, v41
	s_wait_dscnt 0x0
	s_barrier_signal -1
	s_barrier_wait -1
	v_add_f32_e32 v41, v41, v43
	ds_bpermute_b32 v43, v51, v41
	s_wait_dscnt 0x0
	v_add_f32_e32 v41, v41, v43
	ds_bpermute_b32 v43, v52, v41
	s_wait_dscnt 0x0
	;; [unrolled: 3-line block ×3, first 2 shown]
	v_add_f32_e32 v41, v41, v43
	ds_bpermute_b32 v43, v54, v41
	s_and_saveexec_b32 s6, s3
	s_cbranch_execz .LBB619_45
; %bb.44:                               ;   in Loop: Header=BB619_21 Depth=2
	s_wait_dscnt 0x0
	v_add_f32_e32 v41, v41, v43
	ds_store_b32 v47, v41
.LBB619_45:                             ;   in Loop: Header=BB619_21 Depth=2
	s_or_b32 exec_lo, exec_lo, s6
	v_mov_b32_e32 v41, 0
	s_wait_dscnt 0x0
	s_barrier_signal -1
	s_barrier_wait -1
	s_and_saveexec_b32 s6, s2
	s_cbranch_execnz .LBB619_62
; %bb.46:                               ;   in Loop: Header=BB619_21 Depth=2
	s_or_b32 exec_lo, exec_lo, s6
	s_and_saveexec_b32 s6, s1
	s_cbranch_execnz .LBB619_63
.LBB619_47:                             ;   in Loop: Header=BB619_21 Depth=2
	s_or_b32 exec_lo, exec_lo, s6
	s_and_saveexec_b32 s6, s0
	s_cbranch_execz .LBB619_20
	s_branch .LBB619_64
.LBB619_48:                             ;   in Loop: Header=BB619_21 Depth=2
	s_mul_u64 s[8:9], s[24:25], s[26:27]
	s_or_b32 s68, s24, 2
	s_mov_b32 s69, s25
	v_lshl_add_u64 v[2:3], s[8:9], 1, v[24:25]
	s_or_b32 s8, s24, 3
	s_mov_b32 s9, s25
	s_mul_u64 s[68:69], s[68:69], s[26:27]
	s_mul_u64 s[8:9], s[8:9], s[26:27]
	v_lshl_add_u64 v[4:5], s[68:69], 1, v[24:25]
	s_wait_dscnt 0x0
	v_lshl_add_u64 v[40:41], s[8:9], 1, v[24:25]
	s_clause 0x3
	flat_load_u16 v1, v[26:27]
	flat_load_u16 v55, v[28:29]
	;; [unrolled: 1-line block ×4, first 2 shown]
	s_clause 0x2
	flat_load_b64 v[42:43], v[2:3]
	flat_load_b64 v[4:5], v[4:5]
	;; [unrolled: 1-line block ×3, first 2 shown]
	s_or_b32 s8, s24, 1
	s_mov_b32 s9, s25
	s_delay_alu instid0(SALU_CYCLE_1)
	s_mul_u64 s[8:9], s[8:9], s[26:27]
	s_wait_xcnt 0x2
	v_lshl_add_u64 v[2:3], s[8:9], 1, v[24:25]
	flat_load_b64 v[44:45], v[2:3]
	s_wait_loadcnt_dscnt 0x606
	s_wait_xcnt 0x0
	v_dual_lshlrev_b32 v2, 16, v1 :: v_dual_lshlrev_b32 v57, 16, v55
	s_wait_loadcnt_dscnt 0x404
	v_dual_lshlrev_b32 v60, 16, v56 :: v_dual_lshlrev_b32 v59, 16, v58
	s_wait_loadcnt_dscnt 0x303
	;; [unrolled: 2-line block ×3, first 2 shown]
	v_and_b32_e32 v3, 0xffff0000, v40
	v_dual_lshlrev_b32 v56, 16, v40 :: v_dual_lshlrev_b32 v58, 16, v41
	v_dual_lshlrev_b32 v1, 16, v4 :: v_dual_lshlrev_b32 v63, 16, v5
	v_and_b32_e32 v55, 0xffff0000, v4
	v_and_b32_e32 v65, 0xffff0000, v5
	s_delay_alu instid0(VALU_DEP_4) | instskip(SKIP_3) | instid1(VALU_DEP_3)
	v_pk_mul_f32 v[4:5], v[56:57], v[2:3]
	v_and_b32_e32 v61, 0xffff0000, v41
	v_dual_mul_f32 v40, v2, v1 :: v_dual_mov_b32 v3, v57
	s_wait_loadcnt_dscnt 0x0
	v_dual_lshlrev_b32 v67, 16, v44 :: v_dual_mov_b32 v41, v4
	v_dual_mov_b32 v62, v57 :: v_dual_mov_b32 v64, v59
	v_and_b32_e32 v42, 0xffff0000, v42
	v_and_b32_e32 v70, 0xffff0000, v43
	;; [unrolled: 1-line block ×3, first 2 shown]
	v_dual_mul_f32 v4, v57, v55 :: v_dual_lshlrev_b32 v69, 16, v45
	v_pk_mul_f32 v[56:57], v[58:59], v[60:61]
	v_pk_add_f32 v[40:41], v[40:41], 0 op_sel_hi:[1,0]
	v_pk_fma_f32 v[66:67], v[2:3], v[66:67], 0 op_sel_hi:[0,1,0]
	v_mul_f32_e32 v72, v60, v63
	v_and_b32_e32 v71, 0xffff0000, v45
	v_mov_b32_e32 v73, v56
	v_pk_add_f32 v[4:5], v[40:41], v[4:5]
	v_pk_fma_f32 v[40:41], v[62:63], v[42:43], v[66:67] op_sel_hi:[0,1,1]
	v_mul_f32_e32 v56, v59, v65
	s_delay_alu instid0(VALU_DEP_3) | instskip(NEXT) | instid1(VALU_DEP_3)
	v_pk_add_f32 v[42:43], v[4:5], v[72:73]
	v_pk_fma_f32 v[44:45], v[60:61], v[68:69], v[40:41] op_sel_hi:[0,1,1]
	v_dual_mov_b32 v4, v60 :: v_dual_mov_b32 v5, v59
	s_delay_alu instid0(VALU_DEP_3) | instskip(NEXT) | instid1(VALU_DEP_3)
	v_pk_add_f32 v[40:41], v[42:43], v[56:57]
	v_pk_fma_f32 v[42:43], v[64:65], v[70:71], v[44:45] op_sel_hi:[0,1,1]
	s_and_not1_saveexec_b32 s11, s6
	s_cbranch_execz .LBB619_23
.LBB619_49:                             ;   in Loop: Header=BB619_21 Depth=2
	s_wait_dscnt 0x0
	v_dual_mov_b32 v41, 0 :: v_dual_mov_b32 v40, 0
	v_dual_mov_b32 v43, 0 :: v_dual_mov_b32 v42, 0
	s_and_saveexec_b32 s67, s5
	s_cbranch_execz .LBB619_66
; %bb.50:                               ;   in Loop: Header=BB619_21 Depth=2
	s_and_not1_b32 vcc_lo, exec_lo, s64
	s_cbranch_vccnz .LBB619_53
; %bb.51:                               ;   in Loop: Header=BB619_21 Depth=2
	v_mov_b64_e32 v[40:41], v[36:37]
	s_mov_b64 s[8:9], 0
.LBB619_52:                             ;   Parent Loop BB619_3 Depth=1
                                        ;     Parent Loop BB619_21 Depth=2
                                        ; =>    This Inner Loop Header: Depth=3
	flat_load_u16 v1, v[40:41]
	s_cmp_eq_u32 s8, 3
	s_wait_xcnt 0x0
	v_add_nc_u64_e32 v[40:41], s[48:49], v[40:41]
	s_cselect_b32 vcc_lo, -1, 0
	s_cmp_eq_u32 s8, 2
	s_cselect_b32 s6, -1, 0
	s_cmp_eq_u32 s8, 1
	s_cselect_b32 s7, -1, 0
	s_cmp_eq_u32 s8, 0
	s_add_nc_u64 s[8:9], s[8:9], 1
	s_wait_loadcnt_dscnt 0x0
	v_lshlrev_b32_e32 v1, 16, v1
	s_delay_alu instid0(VALU_DEP_1) | instskip(SKIP_1) | instid1(SALU_CYCLE_1)
	v_dual_cndmask_b32 v5, v5, v1, vcc_lo :: v_dual_cndmask_b32 v4, v4, v1, s6
	s_cselect_b32 vcc_lo, -1, 0
	v_dual_cndmask_b32 v3, v3, v1, s7 :: v_dual_cndmask_b32 v2, v2, v1, vcc_lo
	s_cmp_eq_u32 s62, s8
	s_cbranch_scc0 .LBB619_52
.LBB619_53:                             ;   in Loop: Header=BB619_21 Depth=2
	s_and_not1_b32 vcc_lo, exec_lo, s64
	s_cbranch_vccnz .LBB619_65
; %bb.54:                               ;   in Loop: Header=BB619_21 Depth=2
	v_mov_b32_e32 v42, 0
	v_mov_b64_e32 v[44:45], v[38:39]
	s_mov_b64 s[6:7], 0
	s_delay_alu instid0(VALU_DEP_2)
	v_dual_mov_b32 v43, v42 :: v_dual_mov_b32 v40, v42
	v_mov_b32_e32 v41, v42
.LBB619_55:                             ;   Parent Loop BB619_3 Depth=1
                                        ;     Parent Loop BB619_21 Depth=2
                                        ; =>    This Inner Loop Header: Depth=3
	s_delay_alu instid0(VALU_DEP_3)
	v_add_nc_u64_e32 v[56:57], s[56:57], v[44:45]
	v_add_nc_u64_e32 v[58:59], s[38:39], v[44:45]
	v_add_nc_u64_e32 v[60:61], s[52:53], v[44:45]
	s_cmp_eq_u32 s6, 1
	s_clause 0x3
	flat_load_u16 v1, v[44:45]
	flat_load_u16 v55, v[56:57]
	;; [unrolled: 1-line block ×4, first 2 shown]
	s_cselect_b32 vcc_lo, -1, 0
	s_cmp_eq_u32 s6, 2
	v_cndmask_b32_e32 v56, v2, v3, vcc_lo
	s_cselect_b32 vcc_lo, -1, 0
	s_cmp_eq_u32 s6, 3
	v_add_nc_u64_e32 v[44:45], 2, v[44:45]
	s_add_nc_u64 s[6:7], s[6:7], 1
	s_wait_loadcnt_dscnt 0x303
	s_wait_xcnt 0x1
	v_dual_lshlrev_b32 v58, 16, v1 :: v_dual_cndmask_b32 v56, v56, v4, vcc_lo
	s_wait_loadcnt_dscnt 0x202
	v_lshlrev_b32_e32 v59, 16, v55
	s_cselect_b32 vcc_lo, -1, 0
	s_wait_loadcnt_dscnt 0x0
	v_dual_lshlrev_b32 v61, 16, v57 :: v_dual_lshlrev_b32 v60, 16, v60
	v_cndmask_b32_e32 v56, v56, v5, vcc_lo
	s_cmp_lg_u32 s62, s6
	s_delay_alu instid0(VALU_DEP_1) | instskip(NEXT) | instid1(VALU_DEP_3)
	v_pk_fma_f32 v[42:43], v[56:57], v[58:59], v[42:43] op_sel_hi:[0,1,1]
	v_pk_fma_f32 v[40:41], v[56:57], v[60:61], v[40:41] op_sel_hi:[0,1,1]
	s_cbranch_scc1 .LBB619_55
	s_branch .LBB619_66
.LBB619_56:                             ;   in Loop: Header=BB619_21 Depth=2
	ds_load_b32 v1, v46
	s_or_b32 exec_lo, exec_lo, s6
	s_and_saveexec_b32 s6, s1
	s_cbranch_execz .LBB619_29
.LBB619_57:                             ;   in Loop: Header=BB619_21 Depth=2
	s_wait_dscnt 0x0
	ds_bpermute_b32 v42, v52, v1
	s_wait_dscnt 0x0
	v_add_f32_e32 v1, v1, v42
	ds_bpermute_b32 v42, v53, v1
	s_wait_dscnt 0x0
	v_add_f32_e32 v1, v1, v42
	;; [unrolled: 3-line block ×3, first 2 shown]
	s_or_b32 exec_lo, exec_lo, s6
	s_and_saveexec_b32 s6, s1
	s_cbranch_execnz .LBB619_30
	s_branch .LBB619_31
.LBB619_58:                             ;   in Loop: Header=BB619_21 Depth=2
	ds_load_b32 v42, v46
	s_or_b32 exec_lo, exec_lo, s6
	s_and_saveexec_b32 s6, s1
	s_cbranch_execz .LBB619_35
.LBB619_59:                             ;   in Loop: Header=BB619_21 Depth=2
	s_wait_dscnt 0x0
	ds_bpermute_b32 v43, v52, v42
	s_wait_dscnt 0x0
	v_add_f32_e32 v42, v42, v43
	ds_bpermute_b32 v43, v53, v42
	s_wait_dscnt 0x0
	v_add_f32_e32 v42, v42, v43
	;; [unrolled: 3-line block ×3, first 2 shown]
	s_or_b32 exec_lo, exec_lo, s6
	s_and_saveexec_b32 s6, s1
	s_cbranch_execnz .LBB619_36
	s_branch .LBB619_37
.LBB619_60:                             ;   in Loop: Header=BB619_21 Depth=2
	ds_load_b32 v40, v46
	s_or_b32 exec_lo, exec_lo, s6
	s_and_saveexec_b32 s6, s1
	s_cbranch_execz .LBB619_41
.LBB619_61:                             ;   in Loop: Header=BB619_21 Depth=2
	s_wait_dscnt 0x0
	ds_bpermute_b32 v43, v52, v40
	s_wait_dscnt 0x0
	v_add_f32_e32 v40, v40, v43
	ds_bpermute_b32 v43, v53, v40
	s_wait_dscnt 0x0
	v_add_f32_e32 v40, v40, v43
	ds_bpermute_b32 v43, v54, v40
	s_wait_dscnt 0x0
	v_add_f32_e32 v40, v40, v43
	s_or_b32 exec_lo, exec_lo, s6
	s_and_saveexec_b32 s6, s1
	s_cbranch_execnz .LBB619_42
	s_branch .LBB619_43
.LBB619_62:                             ;   in Loop: Header=BB619_21 Depth=2
	ds_load_b32 v41, v46
	s_or_b32 exec_lo, exec_lo, s6
	s_and_saveexec_b32 s6, s1
	s_cbranch_execz .LBB619_47
.LBB619_63:                             ;   in Loop: Header=BB619_21 Depth=2
	s_wait_dscnt 0x0
	ds_bpermute_b32 v43, v52, v41
	s_wait_dscnt 0x0
	v_add_f32_e32 v41, v41, v43
	ds_bpermute_b32 v43, v53, v41
	s_wait_dscnt 0x0
	v_add_f32_e32 v41, v41, v43
	;; [unrolled: 3-line block ×3, first 2 shown]
	s_or_b32 exec_lo, exec_lo, s6
	s_and_saveexec_b32 s6, s0
	s_cbranch_execz .LBB619_20
.LBB619_64:                             ;   in Loop: Header=BB619_21 Depth=2
	s_or_b32 s68, s24, 1
	s_mov_b32 s69, s25
	s_mul_u64 s[8:9], s[24:25], s[30:31]
	v_dual_mul_f32 v1, v50, v1 :: v_dual_mul_f32 v42, v50, v42
	s_mul_u64 s[68:69], s[68:69], s[30:31]
	s_lshl_b64 s[8:9], s[8:9], 2
	s_lshl_b64 s[68:69], s[68:69], 2
	s_add_nc_u64 s[8:9], s[58:59], s[8:9]
	s_add_nc_u64 s[68:69], s[58:59], s[68:69]
	s_clause 0x1
	global_store_b32 v0, v1, s[8:9]
	global_store_b32 v0, v42, s[68:69]
	s_wait_xcnt 0x1
	s_or_b32 s8, s24, 2
	s_mov_b32 s9, s25
	s_wait_xcnt 0x0
	s_or_b32 s68, s24, 3
	s_mov_b32 s69, s25
	s_mul_u64 s[8:9], s[8:9], s[30:31]
	s_wait_dscnt 0x0
	v_dual_mul_f32 v1, v50, v40 :: v_dual_mul_f32 v40, v50, v41
	s_mul_u64 s[68:69], s[68:69], s[30:31]
	s_lshl_b64 s[8:9], s[8:9], 2
	s_lshl_b64 s[68:69], s[68:69], 2
	s_add_nc_u64 s[8:9], s[58:59], s[8:9]
	s_add_nc_u64 s[68:69], s[58:59], s[68:69]
	s_clause 0x1
	global_store_b32 v0, v1, s[8:9]
	global_store_b32 v0, v40, s[68:69]
	s_branch .LBB619_20
.LBB619_65:                             ;   in Loop: Header=BB619_21 Depth=2
	v_mov_b32_e32 v41, 0
	s_delay_alu instid0(VALU_DEP_1)
	v_dual_mov_b32 v40, v41 :: v_dual_mov_b32 v43, v41
	v_mov_b32_e32 v42, v41
.LBB619_66:                             ;   in Loop: Header=BB619_21 Depth=2
	s_or_b32 exec_lo, exec_lo, s67
	s_delay_alu instid0(SALU_CYCLE_1)
	s_or_b32 exec_lo, exec_lo, s11
	s_and_saveexec_b32 s6, s1
	s_cbranch_execnz .LBB619_24
	s_branch .LBB619_25
.LBB619_67:                             ;   in Loop: Header=BB619_3 Depth=1
	v_dual_mov_b32 v1, v0 :: v_dual_mov_b32 v2, v0
	v_mov_b32_e32 v3, v0
	s_mov_b32 s24, 0
	s_delay_alu instid0(VALU_DEP_1) | instskip(NEXT) | instid1(VALU_DEP_3)
	v_mov_b64_e32 v[4:5], v[2:3]
	v_mov_b64_e32 v[2:3], v[0:1]
.LBB619_68:                             ;   in Loop: Header=BB619_3 Depth=1
	s_cmp_ge_i32 s24, s29
	s_cbranch_scc1 .LBB619_2
; %bb.69:                               ;   in Loop: Header=BB619_3 Depth=1
	v_cmp_gt_u32_e32 vcc_lo, 24, v48
	v_add_nc_u64_e32 v[6:7], v[6:7], v[18:19]
	v_cndmask_b32_e64 v1, 0, 8, vcc_lo
	v_cmp_gt_u32_e32 vcc_lo, 28, v48
	s_delay_alu instid0(VALU_DEP_3) | instskip(NEXT) | instid1(VALU_DEP_3)
	v_mad_nc_u64_u32 v[36:37], s56, s24, v[6:7]
	v_add_lshl_u32 v1, v1, v48, 2
	v_cndmask_b32_e64 v6, 0, 4, vcc_lo
	v_cmp_gt_u32_e32 vcc_lo, 30, v48
	s_delay_alu instid0(VALU_DEP_2) | instskip(SKIP_3) | instid1(VALU_DEP_3)
	v_add_lshl_u32 v7, v6, v48, 2
	v_cndmask_b32_e64 v38, 0, 2, vcc_lo
	v_cmp_ne_u32_e32 vcc_lo, 31, v48
	v_mad_u32 v37, s57, s24, v37
	v_add_lshl_u32 v40, v38, v48, 2
	v_add_co_ci_u32_e64 v39, null, 0, v48, vcc_lo
	s_wait_dscnt 0x0
	s_delay_alu instid0(VALU_DEP_1)
	v_lshlrev_b32_e32 v41, 2, v39
	s_branch .LBB619_71
.LBB619_70:                             ;   in Loop: Header=BB619_71 Depth=2
	s_wait_xcnt 0x0
	s_or_b32 exec_lo, exec_lo, s6
	v_add_nc_u64_e32 v[36:37], s[56:57], v[36:37]
	s_add_co_i32 s24, s24, 1
	s_delay_alu instid0(SALU_CYCLE_1)
	s_cmp_ge_i32 s24, s29
	s_cbranch_scc1 .LBB619_2
.LBB619_71:                             ;   Parent Loop BB619_3 Depth=1
                                        ; =>  This Loop Header: Depth=2
                                        ;       Child Loop BB619_84 Depth 3
                                        ;       Child Loop BB619_87 Depth 3
	s_wait_dscnt 0x0
	v_mov_b32_e32 v6, s25
	s_and_saveexec_b32 s6, s4
	s_delay_alu instid0(SALU_CYCLE_1)
	s_xor_b32 s6, exec_lo, s6
	s_cbranch_execnz .LBB619_80
; %bb.72:                               ;   in Loop: Header=BB619_71 Depth=2
	s_and_not1_saveexec_b32 s11, s6
	s_cbranch_execnz .LBB619_81
.LBB619_73:                             ;   in Loop: Header=BB619_71 Depth=2
	s_or_b32 exec_lo, exec_lo, s11
	s_and_saveexec_b32 s6, s1
.LBB619_74:                             ;   in Loop: Header=BB619_71 Depth=2
	ds_store_b32 v46, v0
.LBB619_75:                             ;   in Loop: Header=BB619_71 Depth=2
	s_or_b32 exec_lo, exec_lo, s6
	ds_bpermute_b32 v38, v49, v6
	s_wait_storecnt_dscnt 0x0
	s_barrier_signal -1
	s_barrier_wait -1
	v_add_f32_e32 v6, v6, v38
	ds_bpermute_b32 v38, v1, v6
	s_wait_dscnt 0x0
	v_add_f32_e32 v6, v6, v38
	ds_bpermute_b32 v38, v7, v6
	s_wait_dscnt 0x0
	;; [unrolled: 3-line block ×3, first 2 shown]
	v_add_f32_e32 v6, v6, v38
	ds_bpermute_b32 v38, v41, v6
	s_and_saveexec_b32 s6, s3
	s_cbranch_execz .LBB619_77
; %bb.76:                               ;   in Loop: Header=BB619_71 Depth=2
	s_wait_dscnt 0x0
	v_add_f32_e32 v6, v6, v38
	ds_store_b32 v47, v6
.LBB619_77:                             ;   in Loop: Header=BB619_71 Depth=2
	s_or_b32 exec_lo, exec_lo, s6
	v_mov_b32_e32 v6, 0
	s_wait_dscnt 0x0
	s_barrier_signal -1
	s_barrier_wait -1
	s_and_saveexec_b32 s6, s2
	s_cbranch_execnz .LBB619_89
; %bb.78:                               ;   in Loop: Header=BB619_71 Depth=2
	s_or_b32 exec_lo, exec_lo, s6
	s_and_saveexec_b32 s6, s1
	s_cbranch_execnz .LBB619_90
.LBB619_79:                             ;   in Loop: Header=BB619_71 Depth=2
	s_or_b32 exec_lo, exec_lo, s6
	s_and_saveexec_b32 s6, s0
	s_cbranch_execz .LBB619_70
	s_branch .LBB619_91
.LBB619_80:                             ;   in Loop: Header=BB619_71 Depth=2
	s_mul_u64 s[8:9], s[24:25], s[26:27]
	s_delay_alu instid0(SALU_CYCLE_1)
	v_lshl_add_u64 v[2:3], s[8:9], 1, v[24:25]
	s_clause 0x1
	flat_load_u16 v4, v[28:29]
	flat_load_u16 v5, v[26:27]
	flat_load_b64 v[38:39], v[2:3]
	s_clause 0x1
	flat_load_u16 v6, v[32:33]
	flat_load_u16 v44, v[30:31]
	s_wait_loadcnt_dscnt 0x303
	s_wait_xcnt 0x2
	v_dual_lshlrev_b32 v3, 16, v4 :: v_dual_lshlrev_b32 v2, 16, v5
	s_wait_loadcnt_dscnt 0x202
	v_and_b32_e32 v5, 0xffff0000, v38
	v_lshlrev_b32_e32 v4, 16, v38
	v_and_b32_e32 v45, 0xffff0000, v39
	s_delay_alu instid0(VALU_DEP_2) | instskip(SKIP_2) | instid1(VALU_DEP_2)
	v_pk_mul_f32 v[42:43], v[2:3], v[4:5]
	s_wait_loadcnt_dscnt 0x0
	v_dual_lshlrev_b32 v5, 16, v6 :: v_dual_lshlrev_b32 v4, 16, v44
	v_dual_lshlrev_b32 v44, 16, v39 :: v_dual_add_f32 v6, 0, v42
	s_delay_alu instid0(VALU_DEP_1) | instskip(NEXT) | instid1(VALU_DEP_2)
	v_pk_mul_f32 v[38:39], v[4:5], v[44:45]
	v_add_f32_e32 v6, v6, v43
	s_delay_alu instid0(VALU_DEP_1) | instskip(NEXT) | instid1(VALU_DEP_1)
	v_add_f32_e32 v6, v6, v38
	v_add_f32_e32 v6, v6, v39
	s_wait_xcnt 0x0
	s_and_not1_saveexec_b32 s11, s6
	s_cbranch_execz .LBB619_73
.LBB619_81:                             ;   in Loop: Header=BB619_71 Depth=2
	s_and_saveexec_b32 s67, s5
	s_cbranch_execz .LBB619_88
; %bb.82:                               ;   in Loop: Header=BB619_71 Depth=2
	s_and_not1_b32 vcc_lo, exec_lo, s64
	s_cbranch_vccnz .LBB619_85
; %bb.83:                               ;   in Loop: Header=BB619_71 Depth=2
	v_mov_b64_e32 v[38:39], v[34:35]
	s_mov_b64 s[8:9], 0
.LBB619_84:                             ;   Parent Loop BB619_3 Depth=1
                                        ;     Parent Loop BB619_71 Depth=2
                                        ; =>    This Inner Loop Header: Depth=3
	flat_load_u16 v42, v[38:39]
	s_cmp_eq_u32 s8, 3
	s_wait_xcnt 0x0
	v_add_nc_u64_e32 v[38:39], s[48:49], v[38:39]
	s_cselect_b32 vcc_lo, -1, 0
	s_cmp_eq_u32 s8, 2
	s_cselect_b32 s6, -1, 0
	s_cmp_eq_u32 s8, 1
	s_cselect_b32 s7, -1, 0
	s_cmp_eq_u32 s8, 0
	s_add_nc_u64 s[8:9], s[8:9], 1
	s_wait_loadcnt_dscnt 0x0
	v_lshlrev_b32_e32 v42, 16, v42
	s_delay_alu instid0(VALU_DEP_1) | instskip(SKIP_1) | instid1(SALU_CYCLE_1)
	v_dual_cndmask_b32 v5, v5, v42, vcc_lo :: v_dual_cndmask_b32 v4, v4, v42, s6
	s_cselect_b32 vcc_lo, -1, 0
	v_dual_cndmask_b32 v3, v3, v42, s7 :: v_dual_cndmask_b32 v2, v2, v42, vcc_lo
	s_cmp_eq_u32 s62, s8
	s_cbranch_scc0 .LBB619_84
.LBB619_85:                             ;   in Loop: Header=BB619_71 Depth=2
	s_and_not1_b32 vcc_lo, exec_lo, s64
	s_cbranch_vccnz .LBB619_88
; %bb.86:                               ;   in Loop: Header=BB619_71 Depth=2
	v_mov_b64_e32 v[38:39], v[36:37]
	s_mov_b64 s[6:7], 0
.LBB619_87:                             ;   Parent Loop BB619_3 Depth=1
                                        ;     Parent Loop BB619_71 Depth=2
                                        ; =>    This Inner Loop Header: Depth=3
	flat_load_u16 v42, v[38:39]
	s_cmp_eq_u32 s6, 1
	s_wait_xcnt 0x0
	v_add_nc_u64_e32 v[38:39], 2, v[38:39]
	s_cselect_b32 vcc_lo, -1, 0
	s_cmp_eq_u32 s6, 2
	v_cndmask_b32_e32 v43, v2, v3, vcc_lo
	s_cselect_b32 vcc_lo, -1, 0
	s_cmp_eq_u32 s6, 3
	s_add_nc_u64 s[6:7], s[6:7], 1
	s_delay_alu instid0(VALU_DEP_1) | instskip(SKIP_2) | instid1(VALU_DEP_1)
	v_cndmask_b32_e32 v43, v43, v4, vcc_lo
	s_cselect_b32 vcc_lo, -1, 0
	s_cmp_lg_u32 s62, s6
	v_cndmask_b32_e32 v43, v43, v5, vcc_lo
	s_wait_loadcnt_dscnt 0x0
	s_delay_alu instid0(VALU_DEP_1)
	v_fma_mix_f32_bf16 v6, v43, v42, v6 op_sel_hi:[0,1,0]
	s_cbranch_scc1 .LBB619_87
.LBB619_88:                             ;   in Loop: Header=BB619_71 Depth=2
	s_or_b32 exec_lo, exec_lo, s67
	s_delay_alu instid0(SALU_CYCLE_1)
	s_or_b32 exec_lo, exec_lo, s11
	s_and_saveexec_b32 s6, s1
	s_cbranch_execnz .LBB619_74
	s_branch .LBB619_75
.LBB619_89:                             ;   in Loop: Header=BB619_71 Depth=2
	ds_load_b32 v6, v46
	s_or_b32 exec_lo, exec_lo, s6
	s_and_saveexec_b32 s6, s1
	s_cbranch_execz .LBB619_79
.LBB619_90:                             ;   in Loop: Header=BB619_71 Depth=2
	s_wait_dscnt 0x0
	ds_bpermute_b32 v38, v7, v6
	s_wait_dscnt 0x0
	v_add_f32_e32 v6, v6, v38
	ds_bpermute_b32 v38, v40, v6
	s_wait_dscnt 0x0
	v_add_f32_e32 v6, v6, v38
	;; [unrolled: 3-line block ×3, first 2 shown]
	s_or_b32 exec_lo, exec_lo, s6
	s_and_saveexec_b32 s6, s0
	s_cbranch_execz .LBB619_70
.LBB619_91:                             ;   in Loop: Header=BB619_71 Depth=2
	s_mul_u64 s[8:9], s[24:25], s[30:31]
	s_wait_dscnt 0x0
	v_mul_f32_e32 v6, v50, v6
	s_lshl_b64 s[8:9], s[8:9], 2
	s_delay_alu instid0(SALU_CYCLE_1)
	s_add_nc_u64 s[8:9], s[58:59], s[8:9]
	global_store_b32 v0, v6, s[8:9]
	s_branch .LBB619_70
.LBB619_92:
	s_sendmsg sendmsg(MSG_DEALLOC_VGPRS)
	s_endpgm
	.section	.rodata,"a",@progbits
	.p2align	6, 0x0
	.amdhsa_kernel _ZL23rocblas_gemvt_sn_kernelILb1ELi256ELi4ElPK16rocblas_bfloat16PKffEviiT4_lPKT3_lilS8_lilPT5_i
		.amdhsa_group_segment_fixed_size 128
		.amdhsa_private_segment_fixed_size 0
		.amdhsa_kernarg_size 360
		.amdhsa_user_sgpr_count 2
		.amdhsa_user_sgpr_dispatch_ptr 0
		.amdhsa_user_sgpr_queue_ptr 0
		.amdhsa_user_sgpr_kernarg_segment_ptr 1
		.amdhsa_user_sgpr_dispatch_id 0
		.amdhsa_user_sgpr_kernarg_preload_length 0
		.amdhsa_user_sgpr_kernarg_preload_offset 0
		.amdhsa_user_sgpr_private_segment_size 0
		.amdhsa_wavefront_size32 1
		.amdhsa_uses_dynamic_stack 0
		.amdhsa_enable_private_segment 0
		.amdhsa_system_sgpr_workgroup_id_x 1
		.amdhsa_system_sgpr_workgroup_id_y 0
		.amdhsa_system_sgpr_workgroup_id_z 1
		.amdhsa_system_sgpr_workgroup_info 0
		.amdhsa_system_vgpr_workitem_id 0
		.amdhsa_next_free_vgpr 74
		.amdhsa_next_free_sgpr 70
		.amdhsa_named_barrier_count 0
		.amdhsa_reserve_vcc 1
		.amdhsa_float_round_mode_32 0
		.amdhsa_float_round_mode_16_64 0
		.amdhsa_float_denorm_mode_32 3
		.amdhsa_float_denorm_mode_16_64 3
		.amdhsa_fp16_overflow 0
		.amdhsa_memory_ordered 1
		.amdhsa_forward_progress 1
		.amdhsa_inst_pref_size 33
		.amdhsa_round_robin_scheduling 0
		.amdhsa_exception_fp_ieee_invalid_op 0
		.amdhsa_exception_fp_denorm_src 0
		.amdhsa_exception_fp_ieee_div_zero 0
		.amdhsa_exception_fp_ieee_overflow 0
		.amdhsa_exception_fp_ieee_underflow 0
		.amdhsa_exception_fp_ieee_inexact 0
		.amdhsa_exception_int_div_zero 0
	.end_amdhsa_kernel
	.section	.text._ZL23rocblas_gemvt_sn_kernelILb1ELi256ELi4ElPK16rocblas_bfloat16PKffEviiT4_lPKT3_lilS8_lilPT5_i,"axG",@progbits,_ZL23rocblas_gemvt_sn_kernelILb1ELi256ELi4ElPK16rocblas_bfloat16PKffEviiT4_lPKT3_lilS8_lilPT5_i,comdat
.Lfunc_end619:
	.size	_ZL23rocblas_gemvt_sn_kernelILb1ELi256ELi4ElPK16rocblas_bfloat16PKffEviiT4_lPKT3_lilS8_lilPT5_i, .Lfunc_end619-_ZL23rocblas_gemvt_sn_kernelILb1ELi256ELi4ElPK16rocblas_bfloat16PKffEviiT4_lPKT3_lilS8_lilPT5_i
                                        ; -- End function
	.set _ZL23rocblas_gemvt_sn_kernelILb1ELi256ELi4ElPK16rocblas_bfloat16PKffEviiT4_lPKT3_lilS8_lilPT5_i.num_vgpr, 74
	.set _ZL23rocblas_gemvt_sn_kernelILb1ELi256ELi4ElPK16rocblas_bfloat16PKffEviiT4_lPKT3_lilS8_lilPT5_i.num_agpr, 0
	.set _ZL23rocblas_gemvt_sn_kernelILb1ELi256ELi4ElPK16rocblas_bfloat16PKffEviiT4_lPKT3_lilS8_lilPT5_i.numbered_sgpr, 70
	.set _ZL23rocblas_gemvt_sn_kernelILb1ELi256ELi4ElPK16rocblas_bfloat16PKffEviiT4_lPKT3_lilS8_lilPT5_i.num_named_barrier, 0
	.set _ZL23rocblas_gemvt_sn_kernelILb1ELi256ELi4ElPK16rocblas_bfloat16PKffEviiT4_lPKT3_lilS8_lilPT5_i.private_seg_size, 0
	.set _ZL23rocblas_gemvt_sn_kernelILb1ELi256ELi4ElPK16rocblas_bfloat16PKffEviiT4_lPKT3_lilS8_lilPT5_i.uses_vcc, 1
	.set _ZL23rocblas_gemvt_sn_kernelILb1ELi256ELi4ElPK16rocblas_bfloat16PKffEviiT4_lPKT3_lilS8_lilPT5_i.uses_flat_scratch, 1
	.set _ZL23rocblas_gemvt_sn_kernelILb1ELi256ELi4ElPK16rocblas_bfloat16PKffEviiT4_lPKT3_lilS8_lilPT5_i.has_dyn_sized_stack, 0
	.set _ZL23rocblas_gemvt_sn_kernelILb1ELi256ELi4ElPK16rocblas_bfloat16PKffEviiT4_lPKT3_lilS8_lilPT5_i.has_recursion, 0
	.set _ZL23rocblas_gemvt_sn_kernelILb1ELi256ELi4ElPK16rocblas_bfloat16PKffEviiT4_lPKT3_lilS8_lilPT5_i.has_indirect_call, 0
	.section	.AMDGPU.csdata,"",@progbits
; Kernel info:
; codeLenInByte = 4220
; TotalNumSgprs: 72
; NumVgprs: 74
; ScratchSize: 0
; MemoryBound: 0
; FloatMode: 240
; IeeeMode: 1
; LDSByteSize: 128 bytes/workgroup (compile time only)
; SGPRBlocks: 0
; VGPRBlocks: 4
; NumSGPRsForWavesPerEU: 72
; NumVGPRsForWavesPerEU: 74
; NamedBarCnt: 0
; Occupancy: 12
; WaveLimiterHint : 0
; COMPUTE_PGM_RSRC2:SCRATCH_EN: 0
; COMPUTE_PGM_RSRC2:USER_SGPR: 2
; COMPUTE_PGM_RSRC2:TRAP_HANDLER: 0
; COMPUTE_PGM_RSRC2:TGID_X_EN: 1
; COMPUTE_PGM_RSRC2:TGID_Y_EN: 0
; COMPUTE_PGM_RSRC2:TGID_Z_EN: 1
; COMPUTE_PGM_RSRC2:TIDIG_COMP_CNT: 0
	.section	.text._ZL23rocblas_gemvt_sn_kernelILb1ELi256ELi4EiPK16rocblas_bfloat16ffEviiT4_lPKT3_lilS6_lilPT5_i,"axG",@progbits,_ZL23rocblas_gemvt_sn_kernelILb1ELi256ELi4EiPK16rocblas_bfloat16ffEviiT4_lPKT3_lilS6_lilPT5_i,comdat
	.globl	_ZL23rocblas_gemvt_sn_kernelILb1ELi256ELi4EiPK16rocblas_bfloat16ffEviiT4_lPKT3_lilS6_lilPT5_i ; -- Begin function _ZL23rocblas_gemvt_sn_kernelILb1ELi256ELi4EiPK16rocblas_bfloat16ffEviiT4_lPKT3_lilS6_lilPT5_i
	.p2align	8
	.type	_ZL23rocblas_gemvt_sn_kernelILb1ELi256ELi4EiPK16rocblas_bfloat16ffEviiT4_lPKT3_lilS6_lilPT5_i,@function
_ZL23rocblas_gemvt_sn_kernelILb1ELi256ELi4EiPK16rocblas_bfloat16ffEviiT4_lPKT3_lilS6_lilPT5_i: ; @_ZL23rocblas_gemvt_sn_kernelILb1ELi256ELi4EiPK16rocblas_bfloat16ffEviiT4_lPKT3_lilS6_lilPT5_i
; %bb.0:
	s_load_b32 s23, s[0:1], 0x60
	s_bfe_u32 s2, ttmp6, 0x40014
	s_lshr_b32 s3, ttmp7, 16
	s_add_co_i32 s2, s2, 1
	s_bfe_u32 s5, ttmp6, 0x40008
	s_mul_i32 s2, s3, s2
	s_getreg_b32 s4, hwreg(HW_REG_IB_STS2, 6, 4)
	s_add_co_i32 s5, s5, s2
	s_cmp_eq_u32 s4, 0
	s_mov_b32 s25, 0
	s_cselect_b32 s10, s3, s5
	s_wait_kmcnt 0x0
	s_cmp_ge_u32 s10, s23
	s_cbranch_scc1 .LBB620_94
; %bb.1:
	s_clause 0x6
	s_load_b96 s[20:22], s[0:1], 0x0
	s_load_b128 s[12:15], s[0:1], 0x18
	s_load_b32 s26, s[0:1], 0x28
	s_load_b128 s[16:19], s[0:1], 0x38
	s_load_b32 s33, s[0:1], 0x48
	s_load_b64 s[28:29], s[0:1], 0x58
	s_load_b32 s30, s[0:1], 0x68
	s_wait_xcnt 0x0
	v_cmp_eq_u32_e64 s0, 0, v0
	v_dual_lshrrev_b32 v2, 3, v0 :: v_dual_bitop2_b32 v1, 31, v0 bitop3:0x40
	v_cmp_gt_u32_e64 s1, 32, v0
	v_cmp_gt_u32_e64 s2, 8, v0
	v_mbcnt_lo_u32_b32 v40, -1, 0
	s_delay_alu instid0(VALU_DEP_4)
	v_cmp_eq_u32_e64 s3, 0, v1
	v_dual_lshlrev_b32 v38, 2, v1 :: v_dual_bitop2_b32 v39, 28, v2 bitop3:0x40
	v_mov_b64_e32 v[18:19], 0
	s_mov_b32 s35, s25
	v_lshl_or_b32 v41, v40, 2, 64
	s_mov_b32 s31, s25
	s_wait_kmcnt 0x0
	s_cmp_neq_f32 s22, 0
	s_mov_b32 s6, s21
	s_mov_b32 s27, s25
	;; [unrolled: 1-line block ×3, first 2 shown]
	s_cselect_b32 s62, -1, 0
	s_cmp_eq_f32 s22, 0
	s_cselect_b32 s63, -1, 0
	s_ashr_i32 s7, s21, 31
	s_cmp_gt_i32 s21, 0
	s_mul_u64 s[36:37], s[6:7], s[30:31]
	s_cselect_b32 s5, -1, 0
	s_bfe_u32 s8, ttmp6, 0x4000c
	s_and_b32 s9, ttmp6, 15
	s_add_co_i32 s8, s8, 1
	s_and_b32 s64, s0, s5
	s_mul_i32 s8, ttmp9, s8
	s_delay_alu instid0(SALU_CYCLE_1)
	s_add_co_i32 s9, s9, s8
	s_cmp_eq_u32 s4, 0
	s_cselect_b32 s34, ttmp9, s9
	s_ashr_i32 s5, s20, 31
	s_lshl_b32 s8, s34, 10
	s_lshr_b32 s5, s5, 30
	v_lshl_or_b32 v8, v0, 2, s8
	s_add_co_i32 s5, s20, s5
	s_lshr_b32 s4, s7, 30
	s_and_b32 s5, s5, -4
	s_add_co_i32 s4, s21, s4
	v_mul_lo_u32 v10, s33, v8
	s_sub_co_i32 s66, s20, s5
	s_and_b32 s65, s4, -4
	v_add_nc_u32_e32 v1, s66, v8
	s_cmp_gt_i32 s65, 0
	v_dual_ashrrev_i32 v9, 31, v8 :: v_dual_add_nc_u32 v0, 4, v8
	s_cselect_b32 s67, -1, 0
	s_cmp_gt_i32 s66, 0
	s_cselect_b32 s68, -1, 0
	s_delay_alu instid0(VALU_DEP_3)
	v_add_nc_u32_e32 v12, s33, v10
	s_cmp_gt_u32 s21, 1
	v_ashrrev_i32_e32 v11, 31, v10
	s_cselect_b32 s8, -1, 0
	s_cmp_eq_u32 s30, 1
	v_add_nc_u32_e32 v14, s33, v12
	s_cselect_b32 s9, -1, 0
	v_cmp_ge_i32_e64 s4, s20, v0
	v_cmp_ge_i32_e64 s5, s20, v1
	s_and_b32 s20, s21, 0x7ffffffe
	v_dual_add_nc_u32 v16, s33, v14 :: v_dual_ashrrev_i32 v13, 31, v12
	s_and_b32 s69, s8, s9
	s_cmp_lg_u32 s21, s20
	s_delay_alu instid0(VALU_DEP_1)
	v_dual_ashrrev_i32 v15, 31, v14 :: v_dual_ashrrev_i32 v17, 31, v16
	s_cselect_b32 s70, -1, 0
	s_lshl_b32 s24, s26, 1
	v_mov_b32_e32 v0, 0
	s_lshl_b64 s[38:39], s[34:35], 2
	s_mov_b64 s[48:49], s[24:25]
	s_mul_i32 s24, s26, 3
	s_lshl_b64 s[40:41], s[6:7], 2
	s_lshl_b64 s[42:43], s[30:31], 2
	s_lshl_b32 s44, s26, 2
	s_add_nc_u64 s[46:47], s[28:29], s[38:39]
	s_mov_b64 s[50:51], s[24:25]
	s_lshl_b64 s[14:15], s[14:15], 1
	s_lshl_b64 s[18:19], s[18:19], 1
	s_branch .LBB620_3
.LBB620_2:                              ;   in Loop: Header=BB620_3 Depth=1
	s_add_co_i32 s10, s10, 0x10000
	s_delay_alu instid0(SALU_CYCLE_1)
	s_cmp_lt_u32 s10, s23
	s_cbranch_scc0 .LBB620_94
.LBB620_3:                              ; =>This Loop Header: Depth=1
                                        ;     Child Loop BB620_11 Depth 2
                                        ;     Child Loop BB620_17 Depth 2
	;; [unrolled: 1-line block ×3, first 2 shown]
                                        ;       Child Loop BB620_54 Depth 3
                                        ;       Child Loop BB620_57 Depth 3
                                        ;     Child Loop BB620_73 Depth 2
                                        ;       Child Loop BB620_86 Depth 3
                                        ;       Child Loop BB620_89 Depth 3
	s_mov_b32 s11, s25
	s_and_not1_b32 vcc_lo, exec_lo, s63
	s_mov_b32 s6, -1
	s_cbranch_vccz .LBB620_13
; %bb.4:                                ;   in Loop: Header=BB620_3 Depth=1
	v_mov_b64_e32 v[20:21], 0
	v_mov_b64_e32 v[2:3], 0
	s_and_not1_b32 vcc_lo, exec_lo, s6
	s_cbranch_vccz .LBB620_14
.LBB620_5:                              ;   in Loop: Header=BB620_3 Depth=1
	s_and_not1_b32 vcc_lo, exec_lo, s62
	s_cbranch_vccnz .LBB620_7
.LBB620_6:                              ;   in Loop: Header=BB620_3 Depth=1
	s_wait_xcnt 0x0
	s_lshl_b64 s[6:7], s[10:11], 3
	s_delay_alu instid0(SALU_CYCLE_1)
	s_add_nc_u64 s[6:7], s[16:17], s[6:7]
	global_load_b64 v[4:5], v0, s[6:7]
	s_wait_loadcnt 0x0
	v_add_nc_u64_e32 v[20:21], s[18:19], v[4:5]
.LBB620_7:                              ;   in Loop: Header=BB620_3 Depth=1
	s_wait_xcnt 0x0
	s_mul_u64 s[6:7], s[36:37], s[10:11]
	s_and_not1_b32 vcc_lo, exec_lo, s63
	s_lshl_b64 s[6:7], s[6:7], 2
	s_delay_alu instid0(SALU_CYCLE_1)
	s_add_nc_u64 s[52:53], s[28:29], s[6:7]
	s_mov_b32 s6, -1
	s_cbranch_vccnz .LBB620_19
; %bb.8:                                ;   in Loop: Header=BB620_3 Depth=1
	s_and_saveexec_b32 s8, s64
	s_cbranch_execz .LBB620_18
; %bb.9:                                ;   in Loop: Header=BB620_3 Depth=1
	s_and_not1_b32 vcc_lo, exec_lo, s69
	s_cbranch_vccnz .LBB620_15
; %bb.10:                               ;   in Loop: Header=BB620_3 Depth=1
	s_add_nc_u64 s[6:7], s[52:53], s[38:39]
	s_mov_b32 s9, s20
.LBB620_11:                             ;   Parent Loop BB620_3 Depth=1
                                        ; =>  This Inner Loop Header: Depth=2
	s_delay_alu instid0(SALU_CYCLE_1)
	s_add_co_i32 s9, s9, -2
	global_store_b64 v0, v[18:19], s[6:7]
	s_wait_xcnt 0x0
	s_add_nc_u64 s[6:7], s[6:7], 8
	s_mov_b32 s24, s20
	s_cmp_lg_u32 s9, 0
	s_mov_b32 s35, s70
	s_cbranch_scc1 .LBB620_11
; %bb.12:                               ;   in Loop: Header=BB620_3 Depth=1
	s_and_b32 vcc_lo, exec_lo, s35
	s_cbranch_vccnz .LBB620_16
	s_branch .LBB620_18
.LBB620_13:                             ;   in Loop: Header=BB620_3 Depth=1
	v_mov_b64_e32 v[20:21], 0
	v_mov_b64_e32 v[2:3], 0
	s_cbranch_execnz .LBB620_5
.LBB620_14:                             ;   in Loop: Header=BB620_3 Depth=1
	s_lshl_b64 s[6:7], s[10:11], 3
	s_delay_alu instid0(SALU_CYCLE_1)
	s_add_nc_u64 s[6:7], s[12:13], s[6:7]
	global_load_b64 v[2:3], v0, s[6:7]
	s_wait_loadcnt 0x0
	v_add_nc_u64_e32 v[2:3], s[14:15], v[2:3]
	s_and_not1_b32 vcc_lo, exec_lo, s62
	s_cbranch_vccz .LBB620_6
	s_branch .LBB620_7
.LBB620_15:                             ;   in Loop: Header=BB620_3 Depth=1
	s_mov_b32 s24, 0
	s_cbranch_execz .LBB620_18
.LBB620_16:                             ;   in Loop: Header=BB620_3 Depth=1
	s_mul_u64 s[6:7], s[40:41], s[10:11]
	s_lshl_b64 s[54:55], s[24:25], 2
	s_sub_co_i32 s9, s21, s24
	s_add_nc_u64 s[6:7], s[6:7], s[54:55]
	s_delay_alu instid0(SALU_CYCLE_1) | instskip(NEXT) | instid1(SALU_CYCLE_1)
	s_mul_u64 s[6:7], s[30:31], s[6:7]
	s_add_nc_u64 s[6:7], s[46:47], s[6:7]
.LBB620_17:                             ;   Parent Loop BB620_3 Depth=1
                                        ; =>  This Inner Loop Header: Depth=2
	s_add_co_i32 s9, s9, -1
	global_store_b32 v0, v0, s[6:7]
	s_cmp_eq_u32 s9, 0
	s_wait_xcnt 0x0
	s_add_nc_u64 s[6:7], s[6:7], s[42:43]
	s_cbranch_scc0 .LBB620_17
.LBB620_18:                             ;   in Loop: Header=BB620_3 Depth=1
	s_or_b32 exec_lo, exec_lo, s8
	s_mov_b32 s6, 0
.LBB620_19:                             ;   in Loop: Header=BB620_3 Depth=1
	s_delay_alu instid0(SALU_CYCLE_1)
	s_and_not1_b32 vcc_lo, exec_lo, s6
	s_cbranch_vccnz .LBB620_2
; %bb.20:                               ;   in Loop: Header=BB620_3 Depth=1
	v_lshlrev_b64_e32 v[4:5], 1, v[8:9]
	v_lshl_add_u64 v[22:23], v[8:9], 1, v[2:3]
	v_lshl_add_u64 v[24:25], v[10:11], 1, v[20:21]
	;; [unrolled: 1-line block ×5, first 2 shown]
	v_cmp_gt_u32_e64 s9, 24, v40
	v_add_nc_u64_e32 v[32:33], v[2:3], v[4:5]
	v_cmp_gt_u32_e64 s8, 28, v40
	v_cmp_gt_u32_e64 s7, 30, v40
	v_cmp_ne_u32_e64 s6, 31, v40
	s_and_not1_b32 vcc_lo, exec_lo, s67
	s_cbranch_vccnz .LBB620_69
; %bb.21:                               ;   in Loop: Header=BB620_3 Depth=1
	v_cndmask_b32_e64 v1, 0, 8, s9
	v_cndmask_b32_e64 v4, 0, 4, s8
	v_cndmask_b32_e64 v5, 0, 2, s7
	s_wait_dscnt 0x0
	v_add_co_ci_u32_e64 v6, null, 0, v40, s6
	v_add_lshl_u32 v42, v1, v40, 2
	v_dual_mov_b32 v1, v0 :: v_dual_mov_b32 v2, v0
	s_delay_alu instid0(VALU_DEP_3) | instskip(SKIP_3) | instid1(VALU_DEP_3)
	v_dual_mov_b32 v3, v0 :: v_dual_lshlrev_b32 v45, 2, v6
	v_add_lshl_u32 v43, v4, v40, 2
	v_add_lshl_u32 v44, v5, v40, 2
	s_mov_b32 s54, 0
	v_mov_b64_e32 v[4:5], v[2:3]
	v_mov_b64_e32 v[2:3], v[0:1]
	s_mov_b64 s[8:9], s[50:51]
	s_mov_b64 s[56:57], s[48:49]
	;; [unrolled: 1-line block ×3, first 2 shown]
	s_mov_b32 s24, s54
	s_branch .LBB620_23
.LBB620_22:                             ;   in Loop: Header=BB620_23 Depth=2
	s_wait_xcnt 0x0
	s_or_b32 exec_lo, exec_lo, s6
	s_add_co_i32 s24, s24, 4
	s_add_co_i32 s54, s54, s44
	s_add_nc_u64 s[58:59], s[58:59], s[44:45]
	s_add_nc_u64 s[56:57], s[56:57], s[44:45]
	s_cmp_ge_i32 s24, s65
	s_add_nc_u64 s[8:9], s[8:9], s[44:45]
	s_cbranch_scc1 .LBB620_70
.LBB620_23:                             ;   Parent Loop BB620_3 Depth=1
                                        ; =>  This Loop Header: Depth=2
                                        ;       Child Loop BB620_54 Depth 3
                                        ;       Child Loop BB620_57 Depth 3
                                        ; implicit-def: $vgpr7
                                        ; implicit-def: $vgpr35
	s_and_saveexec_b32 s6, s4
	s_delay_alu instid0(SALU_CYCLE_1)
	s_xor_b32 s6, exec_lo, s6
	s_cbranch_execnz .LBB620_50
; %bb.24:                               ;   in Loop: Header=BB620_23 Depth=2
	s_and_not1_saveexec_b32 s11, s6
	s_cbranch_execnz .LBB620_51
.LBB620_25:                             ;   in Loop: Header=BB620_23 Depth=2
	s_or_b32 exec_lo, exec_lo, s11
	s_and_saveexec_b32 s6, s1
.LBB620_26:                             ;   in Loop: Header=BB620_23 Depth=2
	ds_store_b32 v38, v0
.LBB620_27:                             ;   in Loop: Header=BB620_23 Depth=2
	s_or_b32 exec_lo, exec_lo, s6
	ds_bpermute_b32 v1, v41, v34
	s_wait_storecnt_dscnt 0x0
	s_barrier_signal -1
	s_barrier_wait -1
	v_add_f32_e32 v1, v34, v1
	ds_bpermute_b32 v34, v42, v1
	s_wait_dscnt 0x0
	v_add_f32_e32 v1, v1, v34
	ds_bpermute_b32 v34, v43, v1
	s_wait_dscnt 0x0
	;; [unrolled: 3-line block ×3, first 2 shown]
	v_add_f32_e32 v1, v1, v34
	ds_bpermute_b32 v34, v45, v1
	s_and_saveexec_b32 s6, s3
	s_cbranch_execz .LBB620_29
; %bb.28:                               ;   in Loop: Header=BB620_23 Depth=2
	s_wait_dscnt 0x0
	v_add_f32_e32 v1, v1, v34
	ds_store_b32 v39, v1
.LBB620_29:                             ;   in Loop: Header=BB620_23 Depth=2
	s_or_b32 exec_lo, exec_lo, s6
	v_mov_b32_e32 v1, 0
	s_wait_dscnt 0x0
	s_barrier_signal -1
	s_barrier_wait -1
	s_and_saveexec_b32 s6, s2
	s_cbranch_execnz .LBB620_58
; %bb.30:                               ;   in Loop: Header=BB620_23 Depth=2
	s_or_b32 exec_lo, exec_lo, s6
	s_and_saveexec_b32 s6, s1
	s_cbranch_execnz .LBB620_59
.LBB620_31:                             ;   in Loop: Header=BB620_23 Depth=2
	s_or_b32 exec_lo, exec_lo, s6
	s_and_saveexec_b32 s6, s1
.LBB620_32:                             ;   in Loop: Header=BB620_23 Depth=2
	ds_store_b32 v38, v0
.LBB620_33:                             ;   in Loop: Header=BB620_23 Depth=2
	s_or_b32 exec_lo, exec_lo, s6
	ds_bpermute_b32 v34, v41, v35
	s_wait_dscnt 0x0
	s_barrier_signal -1
	s_barrier_wait -1
	v_add_f32_e32 v34, v35, v34
	ds_bpermute_b32 v35, v42, v34
	s_wait_dscnt 0x0
	v_add_f32_e32 v34, v34, v35
	ds_bpermute_b32 v35, v43, v34
	s_wait_dscnt 0x0
	;; [unrolled: 3-line block ×3, first 2 shown]
	v_add_f32_e32 v34, v34, v35
	ds_bpermute_b32 v35, v45, v34
	s_and_saveexec_b32 s6, s3
	s_cbranch_execz .LBB620_35
; %bb.34:                               ;   in Loop: Header=BB620_23 Depth=2
	s_wait_dscnt 0x0
	v_add_f32_e32 v34, v34, v35
	ds_store_b32 v39, v34
.LBB620_35:                             ;   in Loop: Header=BB620_23 Depth=2
	s_or_b32 exec_lo, exec_lo, s6
	v_mov_b32_e32 v34, 0
	s_wait_dscnt 0x0
	s_barrier_signal -1
	s_barrier_wait -1
	s_and_saveexec_b32 s6, s2
	s_cbranch_execnz .LBB620_60
; %bb.36:                               ;   in Loop: Header=BB620_23 Depth=2
	s_or_b32 exec_lo, exec_lo, s6
	s_and_saveexec_b32 s6, s1
	s_cbranch_execnz .LBB620_61
.LBB620_37:                             ;   in Loop: Header=BB620_23 Depth=2
	s_or_b32 exec_lo, exec_lo, s6
	s_and_saveexec_b32 s6, s1
.LBB620_38:                             ;   in Loop: Header=BB620_23 Depth=2
	ds_store_b32 v38, v0
.LBB620_39:                             ;   in Loop: Header=BB620_23 Depth=2
	s_or_b32 exec_lo, exec_lo, s6
	ds_bpermute_b32 v35, v41, v6
	s_wait_dscnt 0x0
	s_barrier_signal -1
	s_barrier_wait -1
	v_add_f32_e32 v6, v6, v35
	ds_bpermute_b32 v35, v42, v6
	s_wait_dscnt 0x0
	v_add_f32_e32 v6, v6, v35
	ds_bpermute_b32 v35, v43, v6
	s_wait_dscnt 0x0
	;; [unrolled: 3-line block ×3, first 2 shown]
	v_add_f32_e32 v6, v6, v35
	ds_bpermute_b32 v35, v45, v6
	s_and_saveexec_b32 s6, s3
	s_cbranch_execz .LBB620_41
; %bb.40:                               ;   in Loop: Header=BB620_23 Depth=2
	s_wait_dscnt 0x0
	v_add_f32_e32 v6, v6, v35
	ds_store_b32 v39, v6
.LBB620_41:                             ;   in Loop: Header=BB620_23 Depth=2
	s_or_b32 exec_lo, exec_lo, s6
	v_mov_b32_e32 v6, 0
	s_wait_dscnt 0x0
	s_barrier_signal -1
	s_barrier_wait -1
	s_and_saveexec_b32 s6, s2
	s_cbranch_execnz .LBB620_62
; %bb.42:                               ;   in Loop: Header=BB620_23 Depth=2
	s_or_b32 exec_lo, exec_lo, s6
	s_and_saveexec_b32 s6, s1
	s_cbranch_execnz .LBB620_63
.LBB620_43:                             ;   in Loop: Header=BB620_23 Depth=2
	s_or_b32 exec_lo, exec_lo, s6
	s_and_saveexec_b32 s6, s1
.LBB620_44:                             ;   in Loop: Header=BB620_23 Depth=2
	ds_store_b32 v38, v0
.LBB620_45:                             ;   in Loop: Header=BB620_23 Depth=2
	s_or_b32 exec_lo, exec_lo, s6
	ds_bpermute_b32 v35, v41, v7
	s_wait_dscnt 0x0
	s_barrier_signal -1
	s_barrier_wait -1
	v_add_f32_e32 v7, v7, v35
	ds_bpermute_b32 v35, v42, v7
	s_wait_dscnt 0x0
	v_add_f32_e32 v7, v7, v35
	ds_bpermute_b32 v35, v43, v7
	s_wait_dscnt 0x0
	v_add_f32_e32 v7, v7, v35
	ds_bpermute_b32 v35, v44, v7
	s_wait_dscnt 0x0
	v_add_f32_e32 v7, v7, v35
	ds_bpermute_b32 v35, v45, v7
	s_and_saveexec_b32 s6, s3
	s_cbranch_execz .LBB620_47
; %bb.46:                               ;   in Loop: Header=BB620_23 Depth=2
	s_wait_dscnt 0x0
	v_add_f32_e32 v7, v7, v35
	ds_store_b32 v39, v7
.LBB620_47:                             ;   in Loop: Header=BB620_23 Depth=2
	s_or_b32 exec_lo, exec_lo, s6
	v_mov_b32_e32 v7, 0
	s_wait_dscnt 0x0
	s_barrier_signal -1
	s_barrier_wait -1
	s_and_saveexec_b32 s6, s2
	s_cbranch_execnz .LBB620_64
; %bb.48:                               ;   in Loop: Header=BB620_23 Depth=2
	s_or_b32 exec_lo, exec_lo, s6
	s_and_saveexec_b32 s6, s1
	s_cbranch_execnz .LBB620_65
.LBB620_49:                             ;   in Loop: Header=BB620_23 Depth=2
	s_or_b32 exec_lo, exec_lo, s6
	s_and_saveexec_b32 s6, s0
	s_cbranch_execz .LBB620_22
	s_branch .LBB620_66
.LBB620_50:                             ;   in Loop: Header=BB620_23 Depth=2
	s_mul_i32 s60, s24, s26
	s_clause 0x3
	flat_load_u16 v1, v[24:25]
	flat_load_u16 v46, v[26:27]
	;; [unrolled: 1-line block ×4, first 2 shown]
	s_ashr_i32 s61, s60, 31
	s_add_co_i32 s72, s60, s26
	v_lshl_add_u64 v[2:3], s[60:61], 1, v[22:23]
	s_add_co_i32 s60, s72, s26
	s_ashr_i32 s73, s72, 31
	s_add_co_i32 s74, s60, s26
	s_ashr_i32 s61, s60, 31
	s_ashr_i32 s75, s74, 31
	v_lshl_add_u64 v[4:5], s[60:61], 1, v[22:23]
	s_wait_dscnt 0x4
	v_lshl_add_u64 v[6:7], s[74:75], 1, v[22:23]
	s_clause 0x2
	flat_load_b64 v[34:35], v[2:3]
	flat_load_b64 v[4:5], v[4:5]
	;; [unrolled: 1-line block ×3, first 2 shown]
	s_wait_xcnt 0x2
	v_lshl_add_u64 v[2:3], s[72:73], 1, v[22:23]
	flat_load_b64 v[36:37], v[2:3]
	s_wait_loadcnt_dscnt 0x606
	s_wait_xcnt 0x0
	v_dual_lshlrev_b32 v2, 16, v1 :: v_dual_lshlrev_b32 v47, 16, v46
	s_wait_loadcnt_dscnt 0x404
	v_dual_lshlrev_b32 v50, 16, v48 :: v_dual_lshlrev_b32 v49, 16, v49
	s_delay_alu instid0(VALU_DEP_1)
	v_dual_mov_b32 v52, v47 :: v_dual_mov_b32 v54, v49
	s_wait_loadcnt_dscnt 0x303
	v_dual_lshlrev_b32 v56, 16, v34 :: v_dual_lshlrev_b32 v58, 16, v35
	s_wait_loadcnt_dscnt 0x101
	v_dual_lshlrev_b32 v1, 16, v4 :: v_dual_lshlrev_b32 v46, 16, v6
	v_and_b32_e32 v3, 0xffff0000, v6
	v_and_b32_e32 v53, 0xffff0000, v4
	v_dual_lshlrev_b32 v55, 16, v5 :: v_dual_lshlrev_b32 v48, 16, v7
	v_and_b32_e32 v64, 0xffff0000, v5
	s_delay_alu instid0(VALU_DEP_4) | instskip(SKIP_3) | instid1(VALU_DEP_3)
	v_pk_mul_f32 v[4:5], v[46:47], v[2:3]
	v_and_b32_e32 v51, 0xffff0000, v7
	s_wait_loadcnt_dscnt 0x0
	v_dual_mul_f32 v6, v2, v1 :: v_dual_lshlrev_b32 v57, 16, v36
	v_dual_mov_b32 v3, v47 :: v_dual_mov_b32 v7, v4
	v_and_b32_e32 v34, 0xffff0000, v34
	v_and_b32_e32 v60, 0xffff0000, v35
	v_and_b32_e32 v35, 0xffff0000, v36
	v_dual_mul_f32 v4, v47, v53 :: v_dual_mul_f32 v62, v50, v55
	v_pk_mul_f32 v[46:47], v[48:49], v[50:51]
	v_pk_add_f32 v[6:7], v[6:7], 0 op_sel_hi:[1,0]
	v_pk_fma_f32 v[56:57], v[2:3], v[56:57], 0 op_sel_hi:[0,1,0]
	v_lshlrev_b32_e32 v59, 16, v37
	v_and_b32_e32 v61, 0xffff0000, v37
	v_mov_b32_e32 v63, v46
	v_pk_add_f32 v[4:5], v[6:7], v[4:5]
	v_pk_fma_f32 v[6:7], v[52:53], v[34:35], v[56:57] op_sel_hi:[0,1,1]
	v_mul_f32_e32 v46, v49, v64
	s_delay_alu instid0(VALU_DEP_3) | instskip(NEXT) | instid1(VALU_DEP_3)
	v_pk_add_f32 v[34:35], v[4:5], v[62:63]
	v_pk_fma_f32 v[36:37], v[50:51], v[58:59], v[6:7] op_sel_hi:[0,1,1]
	v_dual_mov_b32 v4, v50 :: v_dual_mov_b32 v5, v49
	s_delay_alu instid0(VALU_DEP_3) | instskip(NEXT) | instid1(VALU_DEP_3)
	v_pk_add_f32 v[6:7], v[34:35], v[46:47]
	v_pk_fma_f32 v[34:35], v[54:55], v[60:61], v[36:37] op_sel_hi:[0,1,1]
	s_and_not1_saveexec_b32 s11, s6
	s_cbranch_execz .LBB620_25
.LBB620_51:                             ;   in Loop: Header=BB620_23 Depth=2
	s_wait_dscnt 0x0
	v_dual_mov_b32 v7, 0 :: v_dual_mov_b32 v6, 0
	v_dual_mov_b32 v35, 0 :: v_dual_mov_b32 v34, 0
	s_and_saveexec_b32 s35, s5
	s_cbranch_execz .LBB620_68
; %bb.52:                               ;   in Loop: Header=BB620_23 Depth=2
	s_and_not1_b32 vcc_lo, exec_lo, s68
	s_cbranch_vccnz .LBB620_55
; %bb.53:                               ;   in Loop: Header=BB620_23 Depth=2
	v_mov_b32_e32 v1, v10
	s_mov_b64 s[60:61], 0
.LBB620_54:                             ;   Parent Loop BB620_3 Depth=1
                                        ;     Parent Loop BB620_23 Depth=2
                                        ; =>    This Inner Loop Header: Depth=3
	v_readfirstlane_b32 s6, v20
	v_readfirstlane_b32 s7, v21
	s_cmp_eq_u32 s60, 3
	s_cselect_b32 vcc_lo, -1, 0
	s_cmp_eq_u32 s60, 2
	flat_load_u16 v6, v1, s[6:7] scale_offset
	s_wait_xcnt 0x0
	v_add_nc_u32_e32 v1, s33, v1
	s_cselect_b32 s6, -1, 0
	s_cmp_eq_u32 s60, 1
	s_cselect_b32 s7, -1, 0
	s_cmp_eq_u32 s60, 0
	s_add_nc_u64 s[60:61], s[60:61], 1
	s_wait_loadcnt_dscnt 0x0
	v_lshlrev_b32_e32 v6, 16, v6
	s_delay_alu instid0(VALU_DEP_1) | instskip(SKIP_1) | instid1(SALU_CYCLE_1)
	v_dual_cndmask_b32 v5, v5, v6, vcc_lo :: v_dual_cndmask_b32 v4, v4, v6, s6
	s_cselect_b32 vcc_lo, -1, 0
	v_dual_cndmask_b32 v3, v3, v6, s7 :: v_dual_cndmask_b32 v2, v2, v6, vcc_lo
	s_cmp_eq_u32 s66, s60
	s_cbranch_scc0 .LBB620_54
.LBB620_55:                             ;   in Loop: Header=BB620_23 Depth=2
	s_and_not1_b32 vcc_lo, exec_lo, s68
	s_cbranch_vccnz .LBB620_67
; %bb.56:                               ;   in Loop: Header=BB620_23 Depth=2
	v_mov_b32_e32 v34, 0
	s_ashr_i32 s55, s54, 31
	s_mov_b64 s[6:7], 0
	v_lshl_add_u64 v[36:37], s[54:55], 1, v[32:33]
	s_delay_alu instid0(VALU_DEP_2)
	v_dual_mov_b32 v35, v34 :: v_dual_mov_b32 v6, v34
	v_mov_b32_e32 v7, v34
.LBB620_57:                             ;   Parent Loop BB620_3 Depth=1
                                        ;     Parent Loop BB620_23 Depth=2
                                        ; =>    This Inner Loop Header: Depth=3
	s_cmp_eq_u32 s6, 1
	s_cselect_b32 vcc_lo, -1, 0
	s_cmp_eq_u32 s6, 2
	v_cndmask_b32_e32 v1, v2, v3, vcc_lo
	s_cselect_b32 vcc_lo, -1, 0
	s_cmp_eq_u32 s6, 3
	s_delay_alu instid0(VALU_DEP_1)
	v_cndmask_b32_e32 v1, v1, v4, vcc_lo
	s_cselect_b32 vcc_lo, -1, 0
	s_add_co_i32 s60, s58, s6
	s_add_co_i32 s74, s8, s6
	;; [unrolled: 1-line block ×3, first 2 shown]
	s_ashr_i32 s61, s60, 31
	s_ashr_i32 s75, s74, 31
	s_ashr_i32 s73, s72, 31
	v_lshl_add_u64 v[46:47], s[60:61], 1, v[22:23]
	v_lshl_add_u64 v[48:49], s[74:75], 1, v[22:23]
	;; [unrolled: 1-line block ×3, first 2 shown]
	flat_load_u16 v52, v[36:37]
	s_clause 0x2
	flat_load_u16 v47, v[46:47]
	flat_load_u16 v53, v[48:49]
	;; [unrolled: 1-line block ×3, first 2 shown]
	s_wait_xcnt 0x3
	v_add_nc_u64_e32 v[36:37], 2, v[36:37]
	s_add_nc_u64 s[6:7], s[6:7], 1
	s_delay_alu instid0(SALU_CYCLE_1)
	s_cmp_lg_u32 s66, s6
	s_wait_loadcnt_dscnt 0x202
	s_wait_xcnt 0x1
	v_dual_lshlrev_b32 v48, 16, v52 :: v_dual_lshlrev_b32 v49, 16, v47
	s_wait_loadcnt_dscnt 0x0
	v_dual_cndmask_b32 v46, v1, v5, vcc_lo :: v_dual_lshlrev_b32 v50, 16, v50
	v_lshlrev_b32_e32 v51, 16, v53
	s_delay_alu instid0(VALU_DEP_2) | instskip(NEXT) | instid1(VALU_DEP_2)
	v_pk_fma_f32 v[34:35], v[46:47], v[48:49], v[34:35] op_sel_hi:[0,1,1]
	v_pk_fma_f32 v[6:7], v[46:47], v[50:51], v[6:7] op_sel_hi:[0,1,1]
	s_cbranch_scc1 .LBB620_57
	s_branch .LBB620_68
.LBB620_58:                             ;   in Loop: Header=BB620_23 Depth=2
	ds_load_b32 v1, v38
	s_or_b32 exec_lo, exec_lo, s6
	s_and_saveexec_b32 s6, s1
	s_cbranch_execz .LBB620_31
.LBB620_59:                             ;   in Loop: Header=BB620_23 Depth=2
	s_wait_dscnt 0x0
	ds_bpermute_b32 v34, v43, v1
	s_wait_dscnt 0x0
	v_add_f32_e32 v1, v1, v34
	ds_bpermute_b32 v34, v44, v1
	s_wait_dscnt 0x0
	v_add_f32_e32 v1, v1, v34
	;; [unrolled: 3-line block ×3, first 2 shown]
	s_or_b32 exec_lo, exec_lo, s6
	s_and_saveexec_b32 s6, s1
	s_cbranch_execnz .LBB620_32
	s_branch .LBB620_33
.LBB620_60:                             ;   in Loop: Header=BB620_23 Depth=2
	ds_load_b32 v34, v38
	s_or_b32 exec_lo, exec_lo, s6
	s_and_saveexec_b32 s6, s1
	s_cbranch_execz .LBB620_37
.LBB620_61:                             ;   in Loop: Header=BB620_23 Depth=2
	s_wait_dscnt 0x0
	ds_bpermute_b32 v35, v43, v34
	s_wait_dscnt 0x0
	v_add_f32_e32 v34, v34, v35
	ds_bpermute_b32 v35, v44, v34
	s_wait_dscnt 0x0
	v_add_f32_e32 v34, v34, v35
	;; [unrolled: 3-line block ×3, first 2 shown]
	s_or_b32 exec_lo, exec_lo, s6
	s_and_saveexec_b32 s6, s1
	s_cbranch_execnz .LBB620_38
	s_branch .LBB620_39
.LBB620_62:                             ;   in Loop: Header=BB620_23 Depth=2
	ds_load_b32 v6, v38
	s_or_b32 exec_lo, exec_lo, s6
	s_and_saveexec_b32 s6, s1
	s_cbranch_execz .LBB620_43
.LBB620_63:                             ;   in Loop: Header=BB620_23 Depth=2
	s_wait_dscnt 0x0
	ds_bpermute_b32 v35, v43, v6
	s_wait_dscnt 0x0
	v_add_f32_e32 v6, v6, v35
	ds_bpermute_b32 v35, v44, v6
	s_wait_dscnt 0x0
	v_add_f32_e32 v6, v6, v35
	;; [unrolled: 3-line block ×3, first 2 shown]
	s_or_b32 exec_lo, exec_lo, s6
	s_and_saveexec_b32 s6, s1
	s_cbranch_execnz .LBB620_44
	s_branch .LBB620_45
.LBB620_64:                             ;   in Loop: Header=BB620_23 Depth=2
	ds_load_b32 v7, v38
	s_or_b32 exec_lo, exec_lo, s6
	s_and_saveexec_b32 s6, s1
	s_cbranch_execz .LBB620_49
.LBB620_65:                             ;   in Loop: Header=BB620_23 Depth=2
	s_wait_dscnt 0x0
	ds_bpermute_b32 v35, v43, v7
	s_wait_dscnt 0x0
	v_add_f32_e32 v7, v7, v35
	ds_bpermute_b32 v35, v44, v7
	s_wait_dscnt 0x0
	v_add_f32_e32 v7, v7, v35
	;; [unrolled: 3-line block ×3, first 2 shown]
	s_or_b32 exec_lo, exec_lo, s6
	s_and_saveexec_b32 s6, s0
	s_cbranch_execz .LBB620_22
.LBB620_66:                             ;   in Loop: Header=BB620_23 Depth=2
	s_mul_i32 s7, s24, s30
	v_dual_mul_f32 v1, s22, v1 :: v_dual_mul_f32 v34, s22, v34
	s_add_co_i32 s7, s7, s34
	s_delay_alu instid0(SALU_CYCLE_1) | instskip(NEXT) | instid1(SALU_CYCLE_1)
	s_add_co_i32 s11, s7, s30
	v_dual_mov_b32 v35, s7 :: v_dual_mov_b32 v36, s11
	s_add_co_i32 s7, s11, s30
	s_delay_alu instid0(SALU_CYCLE_1)
	v_dual_mul_f32 v6, s22, v6 :: v_dual_mov_b32 v37, s7
	s_add_co_i32 s7, s7, s30
	s_wait_dscnt 0x0
	v_dual_mul_f32 v7, s22, v7 :: v_dual_mov_b32 v46, s7
	s_clause 0x3
	global_store_b32 v35, v1, s[52:53] scale_offset
	global_store_b32 v36, v34, s[52:53] scale_offset
	global_store_b32 v37, v6, s[52:53] scale_offset
	global_store_b32 v46, v7, s[52:53] scale_offset
	s_branch .LBB620_22
.LBB620_67:                             ;   in Loop: Header=BB620_23 Depth=2
	v_mov_b32_e32 v7, 0
	s_delay_alu instid0(VALU_DEP_1)
	v_dual_mov_b32 v6, v7 :: v_dual_mov_b32 v35, v7
	v_mov_b32_e32 v34, v7
.LBB620_68:                             ;   in Loop: Header=BB620_23 Depth=2
	s_or_b32 exec_lo, exec_lo, s35
	s_delay_alu instid0(SALU_CYCLE_1)
	s_or_b32 exec_lo, exec_lo, s11
	s_and_saveexec_b32 s6, s1
	s_cbranch_execnz .LBB620_26
	s_branch .LBB620_27
.LBB620_69:                             ;   in Loop: Header=BB620_3 Depth=1
	v_dual_mov_b32 v1, v0 :: v_dual_mov_b32 v2, v0
	v_mov_b32_e32 v3, v0
	s_mov_b32 s24, 0
	s_delay_alu instid0(VALU_DEP_1) | instskip(NEXT) | instid1(VALU_DEP_3)
	v_mov_b64_e32 v[4:5], v[2:3]
	v_mov_b64_e32 v[2:3], v[0:1]
.LBB620_70:                             ;   in Loop: Header=BB620_3 Depth=1
	s_cmp_ge_i32 s24, s21
	s_cbranch_scc1 .LBB620_2
; %bb.71:                               ;   in Loop: Header=BB620_3 Depth=1
	v_cmp_gt_u32_e32 vcc_lo, 24, v40
	s_add_nc_u64 s[8:9], s[52:53], s[38:39]
	s_mul_i32 s52, s26, s24
	v_cndmask_b32_e64 v1, 0, 8, vcc_lo
	v_cmp_gt_u32_e32 vcc_lo, 28, v40
	s_delay_alu instid0(VALU_DEP_2) | instskip(SKIP_4) | instid1(VALU_DEP_2)
	v_add_lshl_u32 v1, v1, v40, 2
	s_wait_dscnt 0x0
	v_cndmask_b32_e64 v6, 0, 4, vcc_lo
	v_cmp_gt_u32_e32 vcc_lo, 30, v40
	s_wait_dscnt 0x0
	v_add_lshl_u32 v7, v6, v40, 2
	v_cndmask_b32_e64 v34, 0, 2, vcc_lo
	v_cmp_ne_u32_e32 vcc_lo, 31, v40
	s_delay_alu instid0(VALU_DEP_2) | instskip(SKIP_1) | instid1(VALU_DEP_1)
	v_add_lshl_u32 v36, v34, v40, 2
	v_add_co_ci_u32_e64 v35, null, 0, v40, vcc_lo
	v_lshlrev_b32_e32 v37, 2, v35
	s_branch .LBB620_73
.LBB620_72:                             ;   in Loop: Header=BB620_73 Depth=2
	s_wait_xcnt 0x0
	s_or_b32 exec_lo, exec_lo, s6
	s_add_co_i32 s24, s24, 1
	s_add_co_i32 s52, s52, s26
	s_cmp_ge_i32 s24, s21
	s_cbranch_scc1 .LBB620_2
.LBB620_73:                             ;   Parent Loop BB620_3 Depth=1
                                        ; =>  This Loop Header: Depth=2
                                        ;       Child Loop BB620_86 Depth 3
                                        ;       Child Loop BB620_89 Depth 3
	s_wait_dscnt 0x0
	v_mov_b32_e32 v6, s25
	s_and_saveexec_b32 s6, s4
	s_delay_alu instid0(SALU_CYCLE_1)
	s_xor_b32 s6, exec_lo, s6
	s_cbranch_execnz .LBB620_82
; %bb.74:                               ;   in Loop: Header=BB620_73 Depth=2
	s_and_not1_saveexec_b32 s11, s6
	s_cbranch_execnz .LBB620_83
.LBB620_75:                             ;   in Loop: Header=BB620_73 Depth=2
	s_or_b32 exec_lo, exec_lo, s11
	s_and_saveexec_b32 s6, s1
.LBB620_76:                             ;   in Loop: Header=BB620_73 Depth=2
	ds_store_b32 v38, v0
.LBB620_77:                             ;   in Loop: Header=BB620_73 Depth=2
	s_or_b32 exec_lo, exec_lo, s6
	ds_bpermute_b32 v34, v41, v6
	s_wait_storecnt_dscnt 0x0
	s_barrier_signal -1
	s_barrier_wait -1
	v_add_f32_e32 v6, v6, v34
	ds_bpermute_b32 v34, v1, v6
	s_wait_dscnt 0x0
	v_add_f32_e32 v6, v6, v34
	ds_bpermute_b32 v34, v7, v6
	s_wait_dscnt 0x0
	;; [unrolled: 3-line block ×3, first 2 shown]
	v_add_f32_e32 v6, v6, v34
	ds_bpermute_b32 v34, v37, v6
	s_and_saveexec_b32 s6, s3
	s_cbranch_execz .LBB620_79
; %bb.78:                               ;   in Loop: Header=BB620_73 Depth=2
	s_wait_dscnt 0x0
	v_add_f32_e32 v6, v6, v34
	ds_store_b32 v39, v6
.LBB620_79:                             ;   in Loop: Header=BB620_73 Depth=2
	s_or_b32 exec_lo, exec_lo, s6
	v_mov_b32_e32 v6, 0
	s_wait_dscnt 0x0
	s_barrier_signal -1
	s_barrier_wait -1
	s_and_saveexec_b32 s6, s2
	s_cbranch_execnz .LBB620_91
; %bb.80:                               ;   in Loop: Header=BB620_73 Depth=2
	s_or_b32 exec_lo, exec_lo, s6
	s_and_saveexec_b32 s6, s1
	s_cbranch_execnz .LBB620_92
.LBB620_81:                             ;   in Loop: Header=BB620_73 Depth=2
	s_or_b32 exec_lo, exec_lo, s6
	s_and_saveexec_b32 s6, s0
	s_cbranch_execz .LBB620_72
	s_branch .LBB620_93
.LBB620_82:                             ;   in Loop: Header=BB620_73 Depth=2
	s_mul_i32 s54, s24, s26
	s_delay_alu instid0(SALU_CYCLE_1) | instskip(NEXT) | instid1(SALU_CYCLE_1)
	s_ashr_i32 s55, s54, 31
	v_lshl_add_u64 v[2:3], s[54:55], 1, v[22:23]
	s_clause 0x1
	flat_load_u16 v4, v[26:27]
	flat_load_u16 v5, v[24:25]
	flat_load_b64 v[34:35], v[2:3]
	s_clause 0x1
	flat_load_u16 v6, v[30:31]
	flat_load_u16 v44, v[28:29]
	s_wait_loadcnt_dscnt 0x303
	s_wait_xcnt 0x2
	v_dual_lshlrev_b32 v3, 16, v4 :: v_dual_lshlrev_b32 v2, 16, v5
	s_wait_loadcnt_dscnt 0x202
	v_and_b32_e32 v5, 0xffff0000, v34
	v_lshlrev_b32_e32 v4, 16, v34
	v_and_b32_e32 v45, 0xffff0000, v35
	s_delay_alu instid0(VALU_DEP_2) | instskip(SKIP_2) | instid1(VALU_DEP_2)
	v_pk_mul_f32 v[42:43], v[2:3], v[4:5]
	s_wait_loadcnt_dscnt 0x0
	v_dual_lshlrev_b32 v5, 16, v6 :: v_dual_lshlrev_b32 v4, 16, v44
	v_dual_lshlrev_b32 v44, 16, v35 :: v_dual_add_f32 v6, 0, v42
	s_delay_alu instid0(VALU_DEP_1) | instskip(NEXT) | instid1(VALU_DEP_2)
	v_pk_mul_f32 v[34:35], v[4:5], v[44:45]
	v_add_f32_e32 v6, v6, v43
	s_delay_alu instid0(VALU_DEP_1) | instskip(NEXT) | instid1(VALU_DEP_1)
	v_add_f32_e32 v6, v6, v34
	v_add_f32_e32 v6, v6, v35
	s_wait_xcnt 0x0
	s_and_not1_saveexec_b32 s11, s6
	s_cbranch_execz .LBB620_75
.LBB620_83:                             ;   in Loop: Header=BB620_73 Depth=2
	s_and_saveexec_b32 s35, s5
	s_cbranch_execz .LBB620_90
; %bb.84:                               ;   in Loop: Header=BB620_73 Depth=2
	s_and_not1_b32 vcc_lo, exec_lo, s68
	s_cbranch_vccnz .LBB620_87
; %bb.85:                               ;   in Loop: Header=BB620_73 Depth=2
	v_mov_b32_e32 v34, v10
	s_mov_b64 s[54:55], 0
.LBB620_86:                             ;   Parent Loop BB620_3 Depth=1
                                        ;     Parent Loop BB620_73 Depth=2
                                        ; =>    This Inner Loop Header: Depth=3
	v_readfirstlane_b32 s6, v20
	v_readfirstlane_b32 s7, v21
	s_cmp_eq_u32 s54, 3
	s_cselect_b32 vcc_lo, -1, 0
	s_cmp_eq_u32 s54, 2
	flat_load_u16 v35, v34, s[6:7] scale_offset
	s_wait_xcnt 0x0
	v_add_nc_u32_e32 v34, s33, v34
	s_cselect_b32 s6, -1, 0
	s_cmp_eq_u32 s54, 1
	s_cselect_b32 s7, -1, 0
	s_cmp_eq_u32 s54, 0
	s_add_nc_u64 s[54:55], s[54:55], 1
	s_wait_loadcnt_dscnt 0x0
	v_lshlrev_b32_e32 v35, 16, v35
	s_delay_alu instid0(VALU_DEP_1) | instskip(SKIP_1) | instid1(SALU_CYCLE_1)
	v_dual_cndmask_b32 v5, v5, v35, vcc_lo :: v_dual_cndmask_b32 v4, v4, v35, s6
	s_cselect_b32 vcc_lo, -1, 0
	v_dual_cndmask_b32 v3, v3, v35, s7 :: v_dual_cndmask_b32 v2, v2, v35, vcc_lo
	s_cmp_eq_u32 s66, s54
	s_cbranch_scc0 .LBB620_86
.LBB620_87:                             ;   in Loop: Header=BB620_73 Depth=2
	s_and_not1_b32 vcc_lo, exec_lo, s68
	s_cbranch_vccnz .LBB620_90
; %bb.88:                               ;   in Loop: Header=BB620_73 Depth=2
	s_ashr_i32 s53, s52, 31
	s_mov_b64 s[6:7], 0
	v_lshl_add_u64 v[34:35], s[52:53], 1, v[32:33]
.LBB620_89:                             ;   Parent Loop BB620_3 Depth=1
                                        ;     Parent Loop BB620_73 Depth=2
                                        ; =>    This Inner Loop Header: Depth=3
	flat_load_u16 v42, v[34:35]
	s_cmp_eq_u32 s6, 1
	s_wait_xcnt 0x0
	v_add_nc_u64_e32 v[34:35], 2, v[34:35]
	s_cselect_b32 vcc_lo, -1, 0
	s_cmp_eq_u32 s6, 2
	v_cndmask_b32_e32 v43, v2, v3, vcc_lo
	s_cselect_b32 vcc_lo, -1, 0
	s_cmp_eq_u32 s6, 3
	s_add_nc_u64 s[6:7], s[6:7], 1
	s_delay_alu instid0(VALU_DEP_1) | instskip(SKIP_2) | instid1(VALU_DEP_1)
	v_cndmask_b32_e32 v43, v43, v4, vcc_lo
	s_cselect_b32 vcc_lo, -1, 0
	s_cmp_lg_u32 s66, s6
	v_cndmask_b32_e32 v43, v43, v5, vcc_lo
	s_wait_loadcnt_dscnt 0x0
	s_delay_alu instid0(VALU_DEP_1)
	v_fma_mix_f32_bf16 v6, v43, v42, v6 op_sel_hi:[0,1,0]
	s_cbranch_scc1 .LBB620_89
.LBB620_90:                             ;   in Loop: Header=BB620_73 Depth=2
	s_or_b32 exec_lo, exec_lo, s35
	s_delay_alu instid0(SALU_CYCLE_1)
	s_or_b32 exec_lo, exec_lo, s11
	s_and_saveexec_b32 s6, s1
	s_cbranch_execnz .LBB620_76
	s_branch .LBB620_77
.LBB620_91:                             ;   in Loop: Header=BB620_73 Depth=2
	ds_load_b32 v6, v38
	s_or_b32 exec_lo, exec_lo, s6
	s_and_saveexec_b32 s6, s1
	s_cbranch_execz .LBB620_81
.LBB620_92:                             ;   in Loop: Header=BB620_73 Depth=2
	s_wait_dscnt 0x0
	ds_bpermute_b32 v34, v7, v6
	s_wait_dscnt 0x0
	v_add_f32_e32 v6, v6, v34
	ds_bpermute_b32 v34, v36, v6
	s_wait_dscnt 0x0
	v_add_f32_e32 v6, v6, v34
	;; [unrolled: 3-line block ×3, first 2 shown]
	s_or_b32 exec_lo, exec_lo, s6
	s_and_saveexec_b32 s6, s0
	s_cbranch_execz .LBB620_72
.LBB620_93:                             ;   in Loop: Header=BB620_73 Depth=2
	s_mul_u64 s[54:55], s[24:25], s[30:31]
	s_wait_dscnt 0x0
	v_mul_f32_e32 v6, s22, v6
	s_lshl_b64 s[54:55], s[54:55], 2
	s_delay_alu instid0(SALU_CYCLE_1)
	s_add_nc_u64 s[54:55], s[8:9], s[54:55]
	global_store_b32 v0, v6, s[54:55]
	s_branch .LBB620_72
.LBB620_94:
	s_sendmsg sendmsg(MSG_DEALLOC_VGPRS)
	s_endpgm
	.section	.rodata,"a",@progbits
	.p2align	6, 0x0
	.amdhsa_kernel _ZL23rocblas_gemvt_sn_kernelILb1ELi256ELi4EiPK16rocblas_bfloat16ffEviiT4_lPKT3_lilS6_lilPT5_i
		.amdhsa_group_segment_fixed_size 128
		.amdhsa_private_segment_fixed_size 0
		.amdhsa_kernarg_size 360
		.amdhsa_user_sgpr_count 2
		.amdhsa_user_sgpr_dispatch_ptr 0
		.amdhsa_user_sgpr_queue_ptr 0
		.amdhsa_user_sgpr_kernarg_segment_ptr 1
		.amdhsa_user_sgpr_dispatch_id 0
		.amdhsa_user_sgpr_kernarg_preload_length 0
		.amdhsa_user_sgpr_kernarg_preload_offset 0
		.amdhsa_user_sgpr_private_segment_size 0
		.amdhsa_wavefront_size32 1
		.amdhsa_uses_dynamic_stack 0
		.amdhsa_enable_private_segment 0
		.amdhsa_system_sgpr_workgroup_id_x 1
		.amdhsa_system_sgpr_workgroup_id_y 0
		.amdhsa_system_sgpr_workgroup_id_z 1
		.amdhsa_system_sgpr_workgroup_info 0
		.amdhsa_system_vgpr_workitem_id 0
		.amdhsa_next_free_vgpr 65
		.amdhsa_next_free_sgpr 76
		.amdhsa_named_barrier_count 0
		.amdhsa_reserve_vcc 1
		.amdhsa_float_round_mode_32 0
		.amdhsa_float_round_mode_16_64 0
		.amdhsa_float_denorm_mode_32 3
		.amdhsa_float_denorm_mode_16_64 3
		.amdhsa_fp16_overflow 0
		.amdhsa_memory_ordered 1
		.amdhsa_forward_progress 1
		.amdhsa_inst_pref_size 34
		.amdhsa_round_robin_scheduling 0
		.amdhsa_exception_fp_ieee_invalid_op 0
		.amdhsa_exception_fp_denorm_src 0
		.amdhsa_exception_fp_ieee_div_zero 0
		.amdhsa_exception_fp_ieee_overflow 0
		.amdhsa_exception_fp_ieee_underflow 0
		.amdhsa_exception_fp_ieee_inexact 0
		.amdhsa_exception_int_div_zero 0
	.end_amdhsa_kernel
	.section	.text._ZL23rocblas_gemvt_sn_kernelILb1ELi256ELi4EiPK16rocblas_bfloat16ffEviiT4_lPKT3_lilS6_lilPT5_i,"axG",@progbits,_ZL23rocblas_gemvt_sn_kernelILb1ELi256ELi4EiPK16rocblas_bfloat16ffEviiT4_lPKT3_lilS6_lilPT5_i,comdat
.Lfunc_end620:
	.size	_ZL23rocblas_gemvt_sn_kernelILb1ELi256ELi4EiPK16rocblas_bfloat16ffEviiT4_lPKT3_lilS6_lilPT5_i, .Lfunc_end620-_ZL23rocblas_gemvt_sn_kernelILb1ELi256ELi4EiPK16rocblas_bfloat16ffEviiT4_lPKT3_lilS6_lilPT5_i
                                        ; -- End function
	.set _ZL23rocblas_gemvt_sn_kernelILb1ELi256ELi4EiPK16rocblas_bfloat16ffEviiT4_lPKT3_lilS6_lilPT5_i.num_vgpr, 65
	.set _ZL23rocblas_gemvt_sn_kernelILb1ELi256ELi4EiPK16rocblas_bfloat16ffEviiT4_lPKT3_lilS6_lilPT5_i.num_agpr, 0
	.set _ZL23rocblas_gemvt_sn_kernelILb1ELi256ELi4EiPK16rocblas_bfloat16ffEviiT4_lPKT3_lilS6_lilPT5_i.numbered_sgpr, 76
	.set _ZL23rocblas_gemvt_sn_kernelILb1ELi256ELi4EiPK16rocblas_bfloat16ffEviiT4_lPKT3_lilS6_lilPT5_i.num_named_barrier, 0
	.set _ZL23rocblas_gemvt_sn_kernelILb1ELi256ELi4EiPK16rocblas_bfloat16ffEviiT4_lPKT3_lilS6_lilPT5_i.private_seg_size, 0
	.set _ZL23rocblas_gemvt_sn_kernelILb1ELi256ELi4EiPK16rocblas_bfloat16ffEviiT4_lPKT3_lilS6_lilPT5_i.uses_vcc, 1
	.set _ZL23rocblas_gemvt_sn_kernelILb1ELi256ELi4EiPK16rocblas_bfloat16ffEviiT4_lPKT3_lilS6_lilPT5_i.uses_flat_scratch, 1
	.set _ZL23rocblas_gemvt_sn_kernelILb1ELi256ELi4EiPK16rocblas_bfloat16ffEviiT4_lPKT3_lilS6_lilPT5_i.has_dyn_sized_stack, 0
	.set _ZL23rocblas_gemvt_sn_kernelILb1ELi256ELi4EiPK16rocblas_bfloat16ffEviiT4_lPKT3_lilS6_lilPT5_i.has_recursion, 0
	.set _ZL23rocblas_gemvt_sn_kernelILb1ELi256ELi4EiPK16rocblas_bfloat16ffEviiT4_lPKT3_lilS6_lilPT5_i.has_indirect_call, 0
	.section	.AMDGPU.csdata,"",@progbits
; Kernel info:
; codeLenInByte = 4240
; TotalNumSgprs: 78
; NumVgprs: 65
; ScratchSize: 0
; MemoryBound: 0
; FloatMode: 240
; IeeeMode: 1
; LDSByteSize: 128 bytes/workgroup (compile time only)
; SGPRBlocks: 0
; VGPRBlocks: 4
; NumSGPRsForWavesPerEU: 78
; NumVGPRsForWavesPerEU: 65
; NamedBarCnt: 0
; Occupancy: 12
; WaveLimiterHint : 0
; COMPUTE_PGM_RSRC2:SCRATCH_EN: 0
; COMPUTE_PGM_RSRC2:USER_SGPR: 2
; COMPUTE_PGM_RSRC2:TRAP_HANDLER: 0
; COMPUTE_PGM_RSRC2:TGID_X_EN: 1
; COMPUTE_PGM_RSRC2:TGID_Y_EN: 0
; COMPUTE_PGM_RSRC2:TGID_Z_EN: 1
; COMPUTE_PGM_RSRC2:TIDIG_COMP_CNT: 0
	.section	.text._ZL23rocblas_gemvt_sn_kernelILb1ELi256ELi4ElPK16rocblas_bfloat16ffEviiT4_lPKT3_lilS6_lilPT5_i,"axG",@progbits,_ZL23rocblas_gemvt_sn_kernelILb1ELi256ELi4ElPK16rocblas_bfloat16ffEviiT4_lPKT3_lilS6_lilPT5_i,comdat
	.globl	_ZL23rocblas_gemvt_sn_kernelILb1ELi256ELi4ElPK16rocblas_bfloat16ffEviiT4_lPKT3_lilS6_lilPT5_i ; -- Begin function _ZL23rocblas_gemvt_sn_kernelILb1ELi256ELi4ElPK16rocblas_bfloat16ffEviiT4_lPKT3_lilS6_lilPT5_i
	.p2align	8
	.type	_ZL23rocblas_gemvt_sn_kernelILb1ELi256ELi4ElPK16rocblas_bfloat16ffEviiT4_lPKT3_lilS6_lilPT5_i,@function
_ZL23rocblas_gemvt_sn_kernelILb1ELi256ELi4ElPK16rocblas_bfloat16ffEviiT4_lPKT3_lilS6_lilPT5_i: ; @_ZL23rocblas_gemvt_sn_kernelILb1ELi256ELi4ElPK16rocblas_bfloat16ffEviiT4_lPKT3_lilS6_lilPT5_i
; %bb.0:
	s_load_b32 s23, s[0:1], 0x60
	s_bfe_u32 s2, ttmp6, 0x40014
	s_lshr_b32 s3, ttmp7, 16
	s_add_co_i32 s2, s2, 1
	s_bfe_u32 s5, ttmp6, 0x40008
	s_mul_i32 s2, s3, s2
	s_getreg_b32 s4, hwreg(HW_REG_IB_STS2, 6, 4)
	s_add_co_i32 s5, s5, s2
	s_cmp_eq_u32 s4, 0
	s_mov_b32 s25, 0
	s_cselect_b32 s10, s3, s5
	s_wait_kmcnt 0x0
	s_cmp_ge_u32 s10, s23
	s_cbranch_scc1 .LBB621_94
; %bb.1:
	s_clause 0x6
	s_load_b32 s26, s[0:1], 0x28
	s_load_b32 s6, s[0:1], 0x48
	s_load_b96 s[20:22], s[0:1], 0x0
	s_load_b128 s[12:15], s[0:1], 0x18
	s_load_b128 s[16:19], s[0:1], 0x38
	s_load_b64 s[28:29], s[0:1], 0x58
	s_load_b32 s30, s[0:1], 0x68
	s_wait_xcnt 0x0
	v_cmp_eq_u32_e64 s0, 0, v0
	v_dual_lshrrev_b32 v3, 3, v0 :: v_dual_bitop2_b32 v1, 31, v0 bitop3:0x40
	v_cmp_gt_u32_e64 s1, 32, v0
	v_cmp_gt_u32_e64 s2, 8, v0
	s_delay_alu instid0(VALU_DEP_3) | instskip(SKIP_4) | instid1(VALU_DEP_2)
	v_dual_mov_b32 v2, 0 :: v_dual_lshlrev_b32 v47, 2, v1
	v_cmp_eq_u32_e64 s3, 0, v1
	v_mbcnt_lo_u32_b32 v46, -1, 0
	v_mov_b64_e32 v[22:23], 0
	s_mov_b32 s31, s25
	v_lshl_or_b32 v49, v46, 2, 64
	s_wait_kmcnt 0x0
	s_ashr_i32 s27, s26, 31
	s_ashr_i32 s7, s6, 31
	s_cmp_neq_f32 s22, 0
	s_mov_b32 s8, s21
	s_mul_u64 s[34:35], s[26:27], 6
	s_cselect_b32 s33, -1, 0
	s_cmp_eq_f32 s22, 0
	s_cselect_b32 s56, -1, 0
	s_ashr_i32 s9, s21, 31
	s_cmp_gt_i32 s21, 0
	s_mul_u64 s[36:37], s[8:9], s[30:31]
	s_cselect_b32 s5, -1, 0
	s_bfe_u32 s11, ttmp6, 0x4000c
	s_and_b32 s24, ttmp6, 15
	s_add_co_i32 s11, s11, 1
	s_and_b32 s57, s0, s5
	s_mul_i32 s11, ttmp9, s11
	s_delay_alu instid0(SALU_CYCLE_1)
	s_add_co_i32 s24, s24, s11
	s_cmp_eq_u32 s4, 0
	s_cselect_b32 s24, ttmp9, s24
	s_ashr_i32 s5, s20, 31
	s_lshl_b32 s11, s24, 10
	s_lshr_b32 s4, s9, 30
	v_lshl_or_b32 v8, v0, 2, s11
	s_lshr_b32 s5, s5, 30
	s_add_co_i32 s4, s21, s4
	s_add_co_i32 s5, s20, s5
	s_delay_alu instid0(VALU_DEP_1)
	v_dual_ashrrev_i32 v9, 31, v8 :: v_dual_bitop2_b32 v48, 28, v3 bitop3:0x40
	s_and_b32 s58, s4, -4
	s_and_b32 s4, s5, -4
	v_dual_add_nc_u32 v3, 4, v8 :: v_dual_bitop2_b32 v4, 2, v8 bitop3:0x54
	s_sub_co_i32 s59, s20, s4
	v_or_b32_e32 v6, 3, v8
	v_or_b32_e32 v0, 1, v8
	v_mul_u64_e32 v[10:11], s[6:7], v[8:9]
	v_ashrrev_i32_e32 v5, 31, v4
	s_cmp_gt_i32 s58, 0
	s_delay_alu instid0(VALU_DEP_3) | instskip(SKIP_1) | instid1(VALU_DEP_2)
	v_dual_ashrrev_i32 v7, 31, v6 :: v_dual_ashrrev_i32 v1, 31, v0
	s_cselect_b32 s60, -1, 0
	v_mul_u64_e32 v[14:15], s[6:7], v[4:5]
	s_cmp_gt_i32 s59, 0
	v_cmp_ge_i32_e64 s4, s20, v3
	v_mul_u64_e32 v[12:13], s[6:7], v[0:1]
	v_add_nc_u32_e32 v0, s59, v8
	v_mul_u64_e32 v[16:17], s[6:7], v[6:7]
	s_cselect_b32 s61, -1, 0
	s_cmp_gt_u32 s21, 1
	v_lshlrev_b64_e32 v[18:19], 1, v[8:9]
	s_cselect_b32 s11, -1, 0
	s_cmp_eq_u32 s30, 1
	v_cmp_ge_i32_e64 s5, s20, v0
	s_cselect_b32 s38, -1, 0
	s_and_b32 s20, s21, 0x7ffffffe
	s_and_b32 s62, s11, s38
	s_cmp_lg_u32 s21, s20
	s_cselect_b32 s63, -1, 0
	s_lshl_b64 s[38:39], s[24:25], 2
	s_lshl_b64 s[40:41], s[8:9], 2
	;; [unrolled: 1-line block ×6, first 2 shown]
	s_add_nc_u64 s[50:51], s[28:29], s[38:39]
	s_lshl_b64 s[52:53], s[26:27], 1
	v_lshlrev_b64_e32 v[20:21], 1, v[10:11]
	s_lshl_b64 s[14:15], s[14:15], 1
	s_lshl_b64 s[18:19], s[18:19], 1
	s_branch .LBB621_3
.LBB621_2:                              ;   in Loop: Header=BB621_3 Depth=1
	s_add_co_i32 s10, s10, 0x10000
	s_delay_alu instid0(SALU_CYCLE_1)
	s_cmp_lt_u32 s10, s23
	s_cbranch_scc0 .LBB621_94
.LBB621_3:                              ; =>This Loop Header: Depth=1
                                        ;     Child Loop BB621_11 Depth 2
                                        ;     Child Loop BB621_17 Depth 2
	;; [unrolled: 1-line block ×3, first 2 shown]
                                        ;       Child Loop BB621_54 Depth 3
                                        ;       Child Loop BB621_57 Depth 3
                                        ;     Child Loop BB621_73 Depth 2
                                        ;       Child Loop BB621_86 Depth 3
                                        ;       Child Loop BB621_89 Depth 3
	s_mov_b32 s11, s25
	s_and_not1_b32 vcc_lo, exec_lo, s56
	s_mov_b32 s6, -1
	s_cbranch_vccz .LBB621_13
; %bb.4:                                ;   in Loop: Header=BB621_3 Depth=1
	v_mov_b64_e32 v[6:7], 0
	s_wait_dscnt 0x0
	v_mov_b64_e32 v[0:1], 0
	s_and_not1_b32 vcc_lo, exec_lo, s6
	s_cbranch_vccz .LBB621_14
.LBB621_5:                              ;   in Loop: Header=BB621_3 Depth=1
	s_and_not1_b32 vcc_lo, exec_lo, s33
	s_cbranch_vccnz .LBB621_7
.LBB621_6:                              ;   in Loop: Header=BB621_3 Depth=1
	s_wait_xcnt 0x0
	s_lshl_b64 s[6:7], s[10:11], 3
	s_delay_alu instid0(SALU_CYCLE_1)
	s_add_nc_u64 s[6:7], s[16:17], s[6:7]
	global_load_b64 v[4:5], v2, s[6:7]
	s_wait_loadcnt 0x0
	v_add_nc_u64_e32 v[6:7], s[18:19], v[4:5]
.LBB621_7:                              ;   in Loop: Header=BB621_3 Depth=1
	s_wait_xcnt 0x0
	s_mul_u64 s[6:7], s[36:37], s[10:11]
	s_and_not1_b32 vcc_lo, exec_lo, s56
	s_lshl_b64 s[6:7], s[6:7], 2
	s_delay_alu instid0(SALU_CYCLE_1)
	s_add_nc_u64 s[54:55], s[28:29], s[6:7]
	s_mov_b32 s6, -1
	s_cbranch_vccnz .LBB621_19
; %bb.8:                                ;   in Loop: Header=BB621_3 Depth=1
	s_and_saveexec_b32 s8, s57
	s_cbranch_execz .LBB621_18
; %bb.9:                                ;   in Loop: Header=BB621_3 Depth=1
	s_and_not1_b32 vcc_lo, exec_lo, s62
	s_cbranch_vccnz .LBB621_15
; %bb.10:                               ;   in Loop: Header=BB621_3 Depth=1
	s_add_nc_u64 s[6:7], s[54:55], s[38:39]
	s_mov_b32 s9, s20
.LBB621_11:                             ;   Parent Loop BB621_3 Depth=1
                                        ; =>  This Inner Loop Header: Depth=2
	s_delay_alu instid0(SALU_CYCLE_1)
	s_add_co_i32 s9, s9, -2
	global_store_b64 v2, v[22:23], s[6:7]
	s_wait_xcnt 0x0
	s_add_nc_u64 s[6:7], s[6:7], 8
	s_mov_b32 s24, s20
	s_cmp_lg_u32 s9, 0
	s_mov_b32 s64, s63
	s_cbranch_scc1 .LBB621_11
; %bb.12:                               ;   in Loop: Header=BB621_3 Depth=1
	s_and_b32 vcc_lo, exec_lo, s64
	s_cbranch_vccnz .LBB621_16
	s_branch .LBB621_18
.LBB621_13:                             ;   in Loop: Header=BB621_3 Depth=1
	v_mov_b64_e32 v[6:7], 0
	s_wait_dscnt 0x0
	v_mov_b64_e32 v[0:1], 0
	s_cbranch_execnz .LBB621_5
.LBB621_14:                             ;   in Loop: Header=BB621_3 Depth=1
	s_lshl_b64 s[6:7], s[10:11], 3
	s_delay_alu instid0(SALU_CYCLE_1)
	s_add_nc_u64 s[6:7], s[12:13], s[6:7]
	global_load_b64 v[0:1], v2, s[6:7]
	s_wait_loadcnt 0x0
	v_add_nc_u64_e32 v[0:1], s[14:15], v[0:1]
	s_and_not1_b32 vcc_lo, exec_lo, s33
	s_cbranch_vccz .LBB621_6
	s_branch .LBB621_7
.LBB621_15:                             ;   in Loop: Header=BB621_3 Depth=1
	s_mov_b32 s24, 0
	s_cbranch_execz .LBB621_18
.LBB621_16:                             ;   in Loop: Header=BB621_3 Depth=1
	s_mul_u64 s[6:7], s[40:41], s[10:11]
	s_lshl_b64 s[64:65], s[24:25], 2
	s_sub_co_i32 s9, s21, s24
	s_add_nc_u64 s[6:7], s[6:7], s[64:65]
	s_delay_alu instid0(SALU_CYCLE_1) | instskip(NEXT) | instid1(SALU_CYCLE_1)
	s_mul_u64 s[6:7], s[30:31], s[6:7]
	s_add_nc_u64 s[6:7], s[50:51], s[6:7]
.LBB621_17:                             ;   Parent Loop BB621_3 Depth=1
                                        ; =>  This Inner Loop Header: Depth=2
	s_add_co_i32 s9, s9, -1
	global_store_b32 v2, v2, s[6:7]
	s_cmp_eq_u32 s9, 0
	s_wait_xcnt 0x0
	s_add_nc_u64 s[6:7], s[6:7], s[42:43]
	s_cbranch_scc0 .LBB621_17
.LBB621_18:                             ;   in Loop: Header=BB621_3 Depth=1
	s_or_b32 exec_lo, exec_lo, s8
	s_mov_b32 s6, 0
.LBB621_19:                             ;   in Loop: Header=BB621_3 Depth=1
	s_delay_alu instid0(SALU_CYCLE_1)
	s_and_not1_b32 vcc_lo, exec_lo, s6
	s_cbranch_vccnz .LBB621_2
; %bb.20:                               ;   in Loop: Header=BB621_3 Depth=1
	v_add_nc_u64_e32 v[34:35], v[6:7], v[20:21]
	v_lshl_add_u64 v[24:25], v[8:9], 1, v[0:1]
	v_lshl_add_u64 v[26:27], v[10:11], 1, v[6:7]
	;; [unrolled: 1-line block ×5, first 2 shown]
	v_cmp_gt_u32_e64 s8, 24, v46
	v_cmp_gt_u32_e64 s6, 28, v46
	;; [unrolled: 1-line block ×3, first 2 shown]
	v_cmp_ne_u32_e64 s7, 31, v46
	s_and_not1_b32 vcc_lo, exec_lo, s60
	s_add_nc_u64 s[54:55], s[54:55], s[38:39]
	s_cbranch_vccnz .LBB621_69
; %bb.21:                               ;   in Loop: Header=BB621_3 Depth=1
	v_cndmask_b32_e64 v3, 0, 8, s8
	v_cndmask_b32_e64 v4, 0, 4, s6
	;; [unrolled: 1-line block ×3, first 2 shown]
	v_add_co_ci_u32_e64 v37, null, 0, v46, s7
	s_delay_alu instid0(VALU_DEP_4) | instskip(NEXT) | instid1(VALU_DEP_4)
	v_add_lshl_u32 v50, v3, v46, 2
	v_add_lshl_u32 v51, v4, v46, 2
	v_dual_mov_b32 v3, v2 :: v_dual_mov_b32 v4, v2
	s_delay_alu instid0(VALU_DEP_4) | instskip(SKIP_3) | instid1(VALU_DEP_4)
	v_dual_mov_b32 v5, v2 :: v_dual_lshlrev_b32 v53, 2, v37
	v_add_lshl_u32 v52, v36, v46, 2
	v_add_nc_u64_e32 v[36:37], v[6:7], v[20:21]
	v_mov_b64_e32 v[38:39], v[24:25]
	v_mov_b64_e32 v[6:7], v[4:5]
	;; [unrolled: 1-line block ×3, first 2 shown]
	s_mov_b32 s24, 0
	s_branch .LBB621_23
.LBB621_22:                             ;   in Loop: Header=BB621_23 Depth=2
	s_wait_xcnt 0x0
	s_or_b32 exec_lo, exec_lo, s6
	v_add_nc_u64_e32 v[38:39], s[46:47], v[38:39]
	s_add_co_i32 s24, s24, 4
	s_delay_alu instid0(SALU_CYCLE_1)
	s_cmp_ge_i32 s24, s58
	s_cbranch_scc1 .LBB621_70
.LBB621_23:                             ;   Parent Loop BB621_3 Depth=1
                                        ; =>  This Loop Header: Depth=2
                                        ;       Child Loop BB621_54 Depth 3
                                        ;       Child Loop BB621_57 Depth 3
                                        ; implicit-def: $vgpr41
                                        ; implicit-def: $vgpr43
	s_and_saveexec_b32 s6, s4
	s_delay_alu instid0(SALU_CYCLE_1)
	s_xor_b32 s6, exec_lo, s6
	s_cbranch_execnz .LBB621_50
; %bb.24:                               ;   in Loop: Header=BB621_23 Depth=2
	s_and_not1_saveexec_b32 s11, s6
	s_cbranch_execnz .LBB621_51
.LBB621_25:                             ;   in Loop: Header=BB621_23 Depth=2
	s_or_b32 exec_lo, exec_lo, s11
	s_and_saveexec_b32 s6, s1
.LBB621_26:                             ;   in Loop: Header=BB621_23 Depth=2
	ds_store_b32 v47, v2
.LBB621_27:                             ;   in Loop: Header=BB621_23 Depth=2
	s_or_b32 exec_lo, exec_lo, s6
	ds_bpermute_b32 v3, v49, v42
	s_wait_storecnt_dscnt 0x0
	s_barrier_signal -1
	s_barrier_wait -1
	v_add_f32_e32 v3, v42, v3
	ds_bpermute_b32 v42, v50, v3
	s_wait_dscnt 0x0
	v_add_f32_e32 v3, v3, v42
	ds_bpermute_b32 v42, v51, v3
	s_wait_dscnt 0x0
	;; [unrolled: 3-line block ×3, first 2 shown]
	v_add_f32_e32 v3, v3, v42
	ds_bpermute_b32 v42, v53, v3
	s_and_saveexec_b32 s6, s3
	s_cbranch_execz .LBB621_29
; %bb.28:                               ;   in Loop: Header=BB621_23 Depth=2
	s_wait_dscnt 0x0
	v_add_f32_e32 v3, v3, v42
	ds_store_b32 v48, v3
.LBB621_29:                             ;   in Loop: Header=BB621_23 Depth=2
	s_or_b32 exec_lo, exec_lo, s6
	v_mov_b32_e32 v3, 0
	s_wait_dscnt 0x0
	s_barrier_signal -1
	s_barrier_wait -1
	s_and_saveexec_b32 s6, s2
	s_cbranch_execnz .LBB621_58
; %bb.30:                               ;   in Loop: Header=BB621_23 Depth=2
	s_or_b32 exec_lo, exec_lo, s6
	s_and_saveexec_b32 s6, s1
	s_cbranch_execnz .LBB621_59
.LBB621_31:                             ;   in Loop: Header=BB621_23 Depth=2
	s_or_b32 exec_lo, exec_lo, s6
	s_and_saveexec_b32 s6, s1
.LBB621_32:                             ;   in Loop: Header=BB621_23 Depth=2
	ds_store_b32 v47, v2
.LBB621_33:                             ;   in Loop: Header=BB621_23 Depth=2
	s_or_b32 exec_lo, exec_lo, s6
	ds_bpermute_b32 v42, v49, v43
	s_wait_dscnt 0x0
	s_barrier_signal -1
	s_barrier_wait -1
	v_add_f32_e32 v42, v43, v42
	ds_bpermute_b32 v43, v50, v42
	s_wait_dscnt 0x0
	v_add_f32_e32 v42, v42, v43
	ds_bpermute_b32 v43, v51, v42
	s_wait_dscnt 0x0
	;; [unrolled: 3-line block ×3, first 2 shown]
	v_add_f32_e32 v42, v42, v43
	ds_bpermute_b32 v43, v53, v42
	s_and_saveexec_b32 s6, s3
	s_cbranch_execz .LBB621_35
; %bb.34:                               ;   in Loop: Header=BB621_23 Depth=2
	s_wait_dscnt 0x0
	v_add_f32_e32 v42, v42, v43
	ds_store_b32 v48, v42
.LBB621_35:                             ;   in Loop: Header=BB621_23 Depth=2
	s_or_b32 exec_lo, exec_lo, s6
	v_mov_b32_e32 v42, 0
	s_wait_dscnt 0x0
	s_barrier_signal -1
	s_barrier_wait -1
	s_and_saveexec_b32 s6, s2
	s_cbranch_execnz .LBB621_60
; %bb.36:                               ;   in Loop: Header=BB621_23 Depth=2
	s_or_b32 exec_lo, exec_lo, s6
	s_and_saveexec_b32 s6, s1
	s_cbranch_execnz .LBB621_61
.LBB621_37:                             ;   in Loop: Header=BB621_23 Depth=2
	s_or_b32 exec_lo, exec_lo, s6
	s_and_saveexec_b32 s6, s1
.LBB621_38:                             ;   in Loop: Header=BB621_23 Depth=2
	ds_store_b32 v47, v2
.LBB621_39:                             ;   in Loop: Header=BB621_23 Depth=2
	s_or_b32 exec_lo, exec_lo, s6
	ds_bpermute_b32 v43, v49, v40
	s_wait_dscnt 0x0
	s_barrier_signal -1
	s_barrier_wait -1
	v_add_f32_e32 v40, v40, v43
	ds_bpermute_b32 v43, v50, v40
	s_wait_dscnt 0x0
	v_add_f32_e32 v40, v40, v43
	ds_bpermute_b32 v43, v51, v40
	s_wait_dscnt 0x0
	;; [unrolled: 3-line block ×3, first 2 shown]
	v_add_f32_e32 v40, v40, v43
	ds_bpermute_b32 v43, v53, v40
	s_and_saveexec_b32 s6, s3
	s_cbranch_execz .LBB621_41
; %bb.40:                               ;   in Loop: Header=BB621_23 Depth=2
	s_wait_dscnt 0x0
	v_add_f32_e32 v40, v40, v43
	ds_store_b32 v48, v40
.LBB621_41:                             ;   in Loop: Header=BB621_23 Depth=2
	s_or_b32 exec_lo, exec_lo, s6
	v_mov_b32_e32 v40, 0
	s_wait_dscnt 0x0
	s_barrier_signal -1
	s_barrier_wait -1
	s_and_saveexec_b32 s6, s2
	s_cbranch_execnz .LBB621_62
; %bb.42:                               ;   in Loop: Header=BB621_23 Depth=2
	s_or_b32 exec_lo, exec_lo, s6
	s_and_saveexec_b32 s6, s1
	s_cbranch_execnz .LBB621_63
.LBB621_43:                             ;   in Loop: Header=BB621_23 Depth=2
	s_or_b32 exec_lo, exec_lo, s6
	s_and_saveexec_b32 s6, s1
.LBB621_44:                             ;   in Loop: Header=BB621_23 Depth=2
	ds_store_b32 v47, v2
.LBB621_45:                             ;   in Loop: Header=BB621_23 Depth=2
	s_or_b32 exec_lo, exec_lo, s6
	ds_bpermute_b32 v43, v49, v41
	s_wait_dscnt 0x0
	s_barrier_signal -1
	s_barrier_wait -1
	v_add_f32_e32 v41, v41, v43
	ds_bpermute_b32 v43, v50, v41
	s_wait_dscnt 0x0
	v_add_f32_e32 v41, v41, v43
	ds_bpermute_b32 v43, v51, v41
	s_wait_dscnt 0x0
	;; [unrolled: 3-line block ×3, first 2 shown]
	v_add_f32_e32 v41, v41, v43
	ds_bpermute_b32 v43, v53, v41
	s_and_saveexec_b32 s6, s3
	s_cbranch_execz .LBB621_47
; %bb.46:                               ;   in Loop: Header=BB621_23 Depth=2
	s_wait_dscnt 0x0
	v_add_f32_e32 v41, v41, v43
	ds_store_b32 v48, v41
.LBB621_47:                             ;   in Loop: Header=BB621_23 Depth=2
	s_or_b32 exec_lo, exec_lo, s6
	v_mov_b32_e32 v41, 0
	s_wait_dscnt 0x0
	s_barrier_signal -1
	s_barrier_wait -1
	s_and_saveexec_b32 s6, s2
	s_cbranch_execnz .LBB621_64
; %bb.48:                               ;   in Loop: Header=BB621_23 Depth=2
	s_or_b32 exec_lo, exec_lo, s6
	s_and_saveexec_b32 s6, s1
	s_cbranch_execnz .LBB621_65
.LBB621_49:                             ;   in Loop: Header=BB621_23 Depth=2
	s_or_b32 exec_lo, exec_lo, s6
	s_and_saveexec_b32 s6, s0
	s_cbranch_execz .LBB621_22
	s_branch .LBB621_66
.LBB621_50:                             ;   in Loop: Header=BB621_23 Depth=2
	s_mul_u64 s[8:9], s[24:25], s[26:27]
	s_or_b32 s64, s24, 2
	s_mov_b32 s65, s25
	v_lshl_add_u64 v[4:5], s[8:9], 1, v[24:25]
	s_or_b32 s8, s24, 3
	s_mov_b32 s9, s25
	s_mul_u64 s[64:65], s[64:65], s[26:27]
	s_mul_u64 s[8:9], s[8:9], s[26:27]
	v_lshl_add_u64 v[6:7], s[64:65], 1, v[24:25]
	s_wait_dscnt 0x0
	v_lshl_add_u64 v[40:41], s[8:9], 1, v[24:25]
	s_clause 0x3
	flat_load_u16 v3, v[26:27]
	flat_load_u16 v54, v[28:29]
	;; [unrolled: 1-line block ×4, first 2 shown]
	s_clause 0x2
	flat_load_b64 v[42:43], v[4:5]
	flat_load_b64 v[6:7], v[6:7]
	;; [unrolled: 1-line block ×3, first 2 shown]
	s_or_b32 s8, s24, 1
	s_mov_b32 s9, s25
	s_delay_alu instid0(SALU_CYCLE_1)
	s_mul_u64 s[8:9], s[8:9], s[26:27]
	s_wait_xcnt 0x2
	v_lshl_add_u64 v[4:5], s[8:9], 1, v[24:25]
	flat_load_b64 v[44:45], v[4:5]
	s_wait_loadcnt_dscnt 0x606
	s_wait_xcnt 0x0
	v_dual_lshlrev_b32 v4, 16, v3 :: v_dual_lshlrev_b32 v55, 16, v54
	s_wait_loadcnt_dscnt 0x404
	v_dual_lshlrev_b32 v58, 16, v56 :: v_dual_lshlrev_b32 v57, 16, v57
	s_wait_loadcnt_dscnt 0x303
	;; [unrolled: 2-line block ×3, first 2 shown]
	v_dual_lshlrev_b32 v3, 16, v6 :: v_dual_lshlrev_b32 v54, 16, v40
	v_and_b32_e32 v5, 0xffff0000, v40
	v_and_b32_e32 v61, 0xffff0000, v6
	v_dual_lshlrev_b32 v63, 16, v7 :: v_dual_lshlrev_b32 v56, 16, v41
	v_and_b32_e32 v72, 0xffff0000, v7
	s_delay_alu instid0(VALU_DEP_4) | instskip(SKIP_3) | instid1(VALU_DEP_3)
	v_pk_mul_f32 v[6:7], v[54:55], v[4:5]
	v_and_b32_e32 v59, 0xffff0000, v41
	v_dual_mul_f32 v40, v4, v3 :: v_dual_mov_b32 v5, v55
	s_wait_loadcnt_dscnt 0x0
	v_dual_lshlrev_b32 v65, 16, v44 :: v_dual_mov_b32 v41, v6
	v_dual_mov_b32 v60, v55 :: v_dual_mov_b32 v62, v57
	v_and_b32_e32 v42, 0xffff0000, v42
	v_and_b32_e32 v68, 0xffff0000, v43
	;; [unrolled: 1-line block ×3, first 2 shown]
	v_dual_mul_f32 v6, v55, v61 :: v_dual_mul_f32 v70, v58, v63
	v_pk_mul_f32 v[54:55], v[56:57], v[58:59]
	v_pk_add_f32 v[40:41], v[40:41], 0 op_sel_hi:[1,0]
	v_pk_fma_f32 v[64:65], v[4:5], v[64:65], 0 op_sel_hi:[0,1,0]
	v_lshlrev_b32_e32 v67, 16, v45
	v_and_b32_e32 v69, 0xffff0000, v45
	v_mov_b32_e32 v71, v54
	v_pk_add_f32 v[6:7], v[40:41], v[6:7]
	v_pk_fma_f32 v[40:41], v[60:61], v[42:43], v[64:65] op_sel_hi:[0,1,1]
	v_mul_f32_e32 v54, v57, v72
	s_delay_alu instid0(VALU_DEP_3) | instskip(NEXT) | instid1(VALU_DEP_3)
	v_pk_add_f32 v[42:43], v[6:7], v[70:71]
	v_pk_fma_f32 v[44:45], v[58:59], v[66:67], v[40:41] op_sel_hi:[0,1,1]
	v_dual_mov_b32 v6, v58 :: v_dual_mov_b32 v7, v57
	s_delay_alu instid0(VALU_DEP_3) | instskip(NEXT) | instid1(VALU_DEP_3)
	v_pk_add_f32 v[40:41], v[42:43], v[54:55]
	v_pk_fma_f32 v[42:43], v[62:63], v[68:69], v[44:45] op_sel_hi:[0,1,1]
	s_and_not1_saveexec_b32 s11, s6
	s_cbranch_execz .LBB621_25
.LBB621_51:                             ;   in Loop: Header=BB621_23 Depth=2
	s_wait_dscnt 0x0
	v_dual_mov_b32 v41, 0 :: v_dual_mov_b32 v40, 0
	v_dual_mov_b32 v43, 0 :: v_dual_mov_b32 v42, 0
	s_and_saveexec_b32 s64, s5
	s_cbranch_execz .LBB621_68
; %bb.52:                               ;   in Loop: Header=BB621_23 Depth=2
	s_and_not1_b32 vcc_lo, exec_lo, s61
	s_cbranch_vccnz .LBB621_55
; %bb.53:                               ;   in Loop: Header=BB621_23 Depth=2
	v_mov_b64_e32 v[40:41], v[36:37]
	s_mov_b64 s[8:9], 0
.LBB621_54:                             ;   Parent Loop BB621_3 Depth=1
                                        ;     Parent Loop BB621_23 Depth=2
                                        ; =>    This Inner Loop Header: Depth=3
	flat_load_u16 v3, v[40:41]
	s_cmp_eq_u32 s8, 3
	s_wait_xcnt 0x0
	v_add_nc_u64_e32 v[40:41], s[44:45], v[40:41]
	s_cselect_b32 vcc_lo, -1, 0
	s_cmp_eq_u32 s8, 2
	s_cselect_b32 s6, -1, 0
	s_cmp_eq_u32 s8, 1
	s_cselect_b32 s7, -1, 0
	s_cmp_eq_u32 s8, 0
	s_add_nc_u64 s[8:9], s[8:9], 1
	s_wait_loadcnt_dscnt 0x0
	v_lshlrev_b32_e32 v3, 16, v3
	s_delay_alu instid0(VALU_DEP_1) | instskip(SKIP_1) | instid1(SALU_CYCLE_1)
	v_dual_cndmask_b32 v7, v7, v3, vcc_lo :: v_dual_cndmask_b32 v6, v6, v3, s6
	s_cselect_b32 vcc_lo, -1, 0
	v_dual_cndmask_b32 v5, v5, v3, s7 :: v_dual_cndmask_b32 v4, v4, v3, vcc_lo
	s_cmp_eq_u32 s59, s8
	s_cbranch_scc0 .LBB621_54
.LBB621_55:                             ;   in Loop: Header=BB621_23 Depth=2
	s_and_not1_b32 vcc_lo, exec_lo, s61
	s_cbranch_vccnz .LBB621_67
; %bb.56:                               ;   in Loop: Header=BB621_23 Depth=2
	v_mov_b32_e32 v42, 0
	v_mov_b64_e32 v[44:45], v[38:39]
	s_mov_b64 s[6:7], 0
	s_delay_alu instid0(VALU_DEP_2)
	v_dual_mov_b32 v43, v42 :: v_dual_mov_b32 v40, v42
	v_mov_b32_e32 v41, v42
.LBB621_57:                             ;   Parent Loop BB621_3 Depth=1
                                        ;     Parent Loop BB621_23 Depth=2
                                        ; =>    This Inner Loop Header: Depth=3
	s_delay_alu instid0(VALU_DEP_3)
	v_add_nc_u64_e32 v[54:55], s[52:53], v[44:45]
	v_add_nc_u64_e32 v[56:57], s[34:35], v[44:45]
	;; [unrolled: 1-line block ×3, first 2 shown]
	s_cmp_eq_u32 s6, 1
	s_clause 0x3
	flat_load_u16 v3, v[44:45]
	flat_load_u16 v55, v[54:55]
	;; [unrolled: 1-line block ×4, first 2 shown]
	s_cselect_b32 vcc_lo, -1, 0
	s_cmp_eq_u32 s6, 2
	s_wait_xcnt 0x2
	v_cndmask_b32_e32 v54, v4, v5, vcc_lo
	s_cselect_b32 vcc_lo, -1, 0
	s_cmp_eq_u32 s6, 3
	v_add_nc_u64_e32 v[44:45], 2, v[44:45]
	s_add_nc_u64 s[6:7], s[6:7], 1
	s_wait_loadcnt_dscnt 0x303
	s_wait_xcnt 0x1
	v_dual_lshlrev_b32 v56, 16, v3 :: v_dual_cndmask_b32 v54, v54, v6, vcc_lo
	s_wait_loadcnt_dscnt 0x202
	v_lshlrev_b32_e32 v57, 16, v55
	s_cselect_b32 vcc_lo, -1, 0
	s_wait_loadcnt_dscnt 0x0
	v_dual_lshlrev_b32 v58, 16, v58 :: v_dual_lshlrev_b32 v59, 16, v60
	v_cndmask_b32_e32 v54, v54, v7, vcc_lo
	s_cmp_lg_u32 s59, s6
	s_delay_alu instid0(VALU_DEP_1) | instskip(NEXT) | instid1(VALU_DEP_3)
	v_pk_fma_f32 v[42:43], v[54:55], v[56:57], v[42:43] op_sel_hi:[0,1,1]
	v_pk_fma_f32 v[40:41], v[54:55], v[58:59], v[40:41] op_sel_hi:[0,1,1]
	s_cbranch_scc1 .LBB621_57
	s_branch .LBB621_68
.LBB621_58:                             ;   in Loop: Header=BB621_23 Depth=2
	ds_load_b32 v3, v47
	s_or_b32 exec_lo, exec_lo, s6
	s_and_saveexec_b32 s6, s1
	s_cbranch_execz .LBB621_31
.LBB621_59:                             ;   in Loop: Header=BB621_23 Depth=2
	s_wait_dscnt 0x0
	ds_bpermute_b32 v42, v51, v3
	s_wait_dscnt 0x0
	v_add_f32_e32 v3, v3, v42
	ds_bpermute_b32 v42, v52, v3
	s_wait_dscnt 0x0
	v_add_f32_e32 v3, v3, v42
	;; [unrolled: 3-line block ×3, first 2 shown]
	s_or_b32 exec_lo, exec_lo, s6
	s_and_saveexec_b32 s6, s1
	s_cbranch_execnz .LBB621_32
	s_branch .LBB621_33
.LBB621_60:                             ;   in Loop: Header=BB621_23 Depth=2
	ds_load_b32 v42, v47
	s_or_b32 exec_lo, exec_lo, s6
	s_and_saveexec_b32 s6, s1
	s_cbranch_execz .LBB621_37
.LBB621_61:                             ;   in Loop: Header=BB621_23 Depth=2
	s_wait_dscnt 0x0
	ds_bpermute_b32 v43, v51, v42
	s_wait_dscnt 0x0
	v_add_f32_e32 v42, v42, v43
	ds_bpermute_b32 v43, v52, v42
	s_wait_dscnt 0x0
	v_add_f32_e32 v42, v42, v43
	;; [unrolled: 3-line block ×3, first 2 shown]
	s_or_b32 exec_lo, exec_lo, s6
	s_and_saveexec_b32 s6, s1
	s_cbranch_execnz .LBB621_38
	s_branch .LBB621_39
.LBB621_62:                             ;   in Loop: Header=BB621_23 Depth=2
	ds_load_b32 v40, v47
	s_or_b32 exec_lo, exec_lo, s6
	s_and_saveexec_b32 s6, s1
	s_cbranch_execz .LBB621_43
.LBB621_63:                             ;   in Loop: Header=BB621_23 Depth=2
	s_wait_dscnt 0x0
	ds_bpermute_b32 v43, v51, v40
	s_wait_dscnt 0x0
	v_add_f32_e32 v40, v40, v43
	ds_bpermute_b32 v43, v52, v40
	s_wait_dscnt 0x0
	v_add_f32_e32 v40, v40, v43
	;; [unrolled: 3-line block ×3, first 2 shown]
	s_or_b32 exec_lo, exec_lo, s6
	s_and_saveexec_b32 s6, s1
	s_cbranch_execnz .LBB621_44
	s_branch .LBB621_45
.LBB621_64:                             ;   in Loop: Header=BB621_23 Depth=2
	ds_load_b32 v41, v47
	s_or_b32 exec_lo, exec_lo, s6
	s_and_saveexec_b32 s6, s1
	s_cbranch_execz .LBB621_49
.LBB621_65:                             ;   in Loop: Header=BB621_23 Depth=2
	s_wait_dscnt 0x0
	ds_bpermute_b32 v43, v51, v41
	s_wait_dscnt 0x0
	v_add_f32_e32 v41, v41, v43
	ds_bpermute_b32 v43, v52, v41
	s_wait_dscnt 0x0
	v_add_f32_e32 v41, v41, v43
	;; [unrolled: 3-line block ×3, first 2 shown]
	s_or_b32 exec_lo, exec_lo, s6
	s_and_saveexec_b32 s6, s0
	s_cbranch_execz .LBB621_22
.LBB621_66:                             ;   in Loop: Header=BB621_23 Depth=2
	s_or_b32 s64, s24, 1
	s_mov_b32 s65, s25
	s_mul_u64 s[8:9], s[24:25], s[30:31]
	v_dual_mul_f32 v3, s22, v3 :: v_dual_mul_f32 v42, s22, v42
	s_mul_u64 s[64:65], s[64:65], s[30:31]
	s_lshl_b64 s[8:9], s[8:9], 2
	s_lshl_b64 s[64:65], s[64:65], 2
	s_add_nc_u64 s[8:9], s[54:55], s[8:9]
	s_add_nc_u64 s[64:65], s[54:55], s[64:65]
	s_clause 0x1
	global_store_b32 v2, v3, s[8:9]
	global_store_b32 v2, v42, s[64:65]
	s_wait_xcnt 0x1
	s_or_b32 s8, s24, 2
	s_mov_b32 s9, s25
	s_wait_xcnt 0x0
	s_or_b32 s64, s24, 3
	s_mov_b32 s65, s25
	s_mul_u64 s[8:9], s[8:9], s[30:31]
	s_wait_dscnt 0x0
	v_dual_mul_f32 v3, s22, v40 :: v_dual_mul_f32 v40, s22, v41
	s_mul_u64 s[64:65], s[64:65], s[30:31]
	s_lshl_b64 s[8:9], s[8:9], 2
	s_lshl_b64 s[64:65], s[64:65], 2
	s_add_nc_u64 s[8:9], s[54:55], s[8:9]
	s_add_nc_u64 s[64:65], s[54:55], s[64:65]
	s_clause 0x1
	global_store_b32 v2, v3, s[8:9]
	global_store_b32 v2, v40, s[64:65]
	s_branch .LBB621_22
.LBB621_67:                             ;   in Loop: Header=BB621_23 Depth=2
	v_mov_b32_e32 v41, 0
	s_delay_alu instid0(VALU_DEP_1)
	v_dual_mov_b32 v40, v41 :: v_dual_mov_b32 v43, v41
	v_mov_b32_e32 v42, v41
.LBB621_68:                             ;   in Loop: Header=BB621_23 Depth=2
	s_or_b32 exec_lo, exec_lo, s64
	s_delay_alu instid0(SALU_CYCLE_1)
	s_or_b32 exec_lo, exec_lo, s11
	s_and_saveexec_b32 s6, s1
	s_cbranch_execnz .LBB621_26
	s_branch .LBB621_27
.LBB621_69:                             ;   in Loop: Header=BB621_3 Depth=1
	v_dual_mov_b32 v3, v2 :: v_dual_mov_b32 v4, v2
	v_mov_b32_e32 v5, v2
	s_mov_b32 s24, 0
	s_delay_alu instid0(VALU_DEP_1) | instskip(NEXT) | instid1(VALU_DEP_3)
	v_mov_b64_e32 v[6:7], v[4:5]
	v_mov_b64_e32 v[4:5], v[2:3]
.LBB621_70:                             ;   in Loop: Header=BB621_3 Depth=1
	s_cmp_ge_i32 s24, s21
	s_cbranch_scc1 .LBB621_2
; %bb.71:                               ;   in Loop: Header=BB621_3 Depth=1
	v_add_nc_u64_e32 v[0:1], v[0:1], v[18:19]
	v_cmp_gt_u32_e32 vcc_lo, 24, v46
	s_delay_alu instid0(VALU_DEP_2) | instskip(SKIP_2) | instid1(VALU_DEP_2)
	v_mad_nc_u64_u32 v[36:37], s52, s24, v[0:1]
	v_cndmask_b32_e64 v0, 0, 8, vcc_lo
	v_cmp_gt_u32_e32 vcc_lo, 28, v46
	v_add_lshl_u32 v1, v0, v46, 2
	v_cndmask_b32_e64 v3, 0, 4, vcc_lo
	v_cmp_gt_u32_e32 vcc_lo, 30, v46
	v_mad_u32 v37, s53, s24, v37
	s_delay_alu instid0(VALU_DEP_3) | instskip(SKIP_2) | instid1(VALU_DEP_2)
	v_add_lshl_u32 v3, v3, v46, 2
	v_cndmask_b32_e64 v38, 0, 2, vcc_lo
	v_cmp_ne_u32_e32 vcc_lo, 31, v46
	v_add_lshl_u32 v40, v38, v46, 2
	v_add_co_ci_u32_e64 v39, null, 0, v46, vcc_lo
	s_wait_dscnt 0x0
	s_delay_alu instid0(VALU_DEP_1)
	v_lshlrev_b32_e32 v41, 2, v39
	s_branch .LBB621_73
.LBB621_72:                             ;   in Loop: Header=BB621_73 Depth=2
	s_wait_xcnt 0x0
	s_or_b32 exec_lo, exec_lo, s6
	v_add_nc_u64_e32 v[36:37], s[52:53], v[36:37]
	s_add_co_i32 s24, s24, 1
	s_delay_alu instid0(SALU_CYCLE_1)
	s_cmp_ge_i32 s24, s21
	s_cbranch_scc1 .LBB621_2
.LBB621_73:                             ;   Parent Loop BB621_3 Depth=1
                                        ; =>  This Loop Header: Depth=2
                                        ;       Child Loop BB621_86 Depth 3
                                        ;       Child Loop BB621_89 Depth 3
	s_wait_dscnt 0x0
	v_mov_b32_e32 v0, s25
	s_and_saveexec_b32 s6, s4
	s_delay_alu instid0(SALU_CYCLE_1)
	s_xor_b32 s6, exec_lo, s6
	s_cbranch_execnz .LBB621_82
; %bb.74:                               ;   in Loop: Header=BB621_73 Depth=2
	s_and_not1_saveexec_b32 s11, s6
	s_cbranch_execnz .LBB621_83
.LBB621_75:                             ;   in Loop: Header=BB621_73 Depth=2
	s_or_b32 exec_lo, exec_lo, s11
	s_and_saveexec_b32 s6, s1
.LBB621_76:                             ;   in Loop: Header=BB621_73 Depth=2
	ds_store_b32 v47, v2
.LBB621_77:                             ;   in Loop: Header=BB621_73 Depth=2
	s_or_b32 exec_lo, exec_lo, s6
	ds_bpermute_b32 v38, v49, v0
	s_wait_storecnt_dscnt 0x0
	s_barrier_signal -1
	s_barrier_wait -1
	v_add_f32_e32 v0, v0, v38
	ds_bpermute_b32 v38, v1, v0
	s_wait_dscnt 0x0
	v_add_f32_e32 v0, v0, v38
	ds_bpermute_b32 v38, v3, v0
	s_wait_dscnt 0x0
	;; [unrolled: 3-line block ×3, first 2 shown]
	v_add_f32_e32 v0, v0, v38
	ds_bpermute_b32 v38, v41, v0
	s_and_saveexec_b32 s6, s3
	s_cbranch_execz .LBB621_79
; %bb.78:                               ;   in Loop: Header=BB621_73 Depth=2
	s_wait_dscnt 0x0
	v_add_f32_e32 v0, v0, v38
	ds_store_b32 v48, v0
.LBB621_79:                             ;   in Loop: Header=BB621_73 Depth=2
	s_or_b32 exec_lo, exec_lo, s6
	v_mov_b32_e32 v0, 0
	s_wait_dscnt 0x0
	s_barrier_signal -1
	s_barrier_wait -1
	s_and_saveexec_b32 s6, s2
	s_cbranch_execnz .LBB621_91
; %bb.80:                               ;   in Loop: Header=BB621_73 Depth=2
	s_or_b32 exec_lo, exec_lo, s6
	s_and_saveexec_b32 s6, s1
	s_cbranch_execnz .LBB621_92
.LBB621_81:                             ;   in Loop: Header=BB621_73 Depth=2
	s_or_b32 exec_lo, exec_lo, s6
	s_and_saveexec_b32 s6, s0
	s_cbranch_execz .LBB621_72
	s_branch .LBB621_93
.LBB621_82:                             ;   in Loop: Header=BB621_73 Depth=2
	s_mul_u64 s[8:9], s[24:25], s[26:27]
	s_delay_alu instid0(SALU_CYCLE_1)
	v_lshl_add_u64 v[4:5], s[8:9], 1, v[24:25]
	s_clause 0x1
	flat_load_u16 v0, v[28:29]
	flat_load_u16 v6, v[26:27]
	flat_load_b64 v[38:39], v[4:5]
	s_clause 0x1
	flat_load_u16 v44, v[32:33]
	flat_load_u16 v45, v[30:31]
	s_wait_loadcnt_dscnt 0x303
	s_wait_xcnt 0x2
	v_dual_lshlrev_b32 v5, 16, v0 :: v_dual_lshlrev_b32 v4, 16, v6
	s_wait_loadcnt_dscnt 0x202
	v_and_b32_e32 v7, 0xffff0000, v38
	v_lshlrev_b32_e32 v6, 16, v38
	s_delay_alu instid0(VALU_DEP_1) | instskip(SKIP_3) | instid1(VALU_DEP_3)
	v_pk_mul_f32 v[42:43], v[4:5], v[6:7]
	s_wait_loadcnt_dscnt 0x0
	v_dual_lshlrev_b32 v6, 16, v45 :: v_dual_lshlrev_b32 v7, 16, v44
	v_and_b32_e32 v45, 0xffff0000, v39
	v_add_f32_e32 v0, 0, v42
	s_delay_alu instid0(VALU_DEP_1) | instskip(SKIP_1) | instid1(VALU_DEP_1)
	v_add_f32_e32 v0, v0, v43
	v_lshlrev_b32_e32 v44, 16, v39
	v_pk_mul_f32 v[38:39], v[6:7], v[44:45]
	s_delay_alu instid0(VALU_DEP_1) | instskip(NEXT) | instid1(VALU_DEP_1)
	v_add_f32_e32 v0, v0, v38
	v_add_f32_e32 v0, v0, v39
	s_wait_xcnt 0x0
	s_and_not1_saveexec_b32 s11, s6
	s_cbranch_execz .LBB621_75
.LBB621_83:                             ;   in Loop: Header=BB621_73 Depth=2
	s_and_saveexec_b32 s64, s5
	s_cbranch_execz .LBB621_90
; %bb.84:                               ;   in Loop: Header=BB621_73 Depth=2
	s_and_not1_b32 vcc_lo, exec_lo, s61
	s_cbranch_vccnz .LBB621_87
; %bb.85:                               ;   in Loop: Header=BB621_73 Depth=2
	v_mov_b64_e32 v[38:39], v[34:35]
	s_mov_b64 s[8:9], 0
.LBB621_86:                             ;   Parent Loop BB621_3 Depth=1
                                        ;     Parent Loop BB621_73 Depth=2
                                        ; =>    This Inner Loop Header: Depth=3
	flat_load_u16 v42, v[38:39]
	s_cmp_eq_u32 s8, 3
	s_wait_xcnt 0x0
	v_add_nc_u64_e32 v[38:39], s[44:45], v[38:39]
	s_cselect_b32 vcc_lo, -1, 0
	s_cmp_eq_u32 s8, 2
	s_cselect_b32 s6, -1, 0
	s_cmp_eq_u32 s8, 1
	s_cselect_b32 s7, -1, 0
	s_cmp_eq_u32 s8, 0
	s_add_nc_u64 s[8:9], s[8:9], 1
	s_wait_loadcnt_dscnt 0x0
	v_lshlrev_b32_e32 v42, 16, v42
	s_delay_alu instid0(VALU_DEP_1) | instskip(SKIP_1) | instid1(SALU_CYCLE_1)
	v_dual_cndmask_b32 v7, v7, v42, vcc_lo :: v_dual_cndmask_b32 v6, v6, v42, s6
	s_cselect_b32 vcc_lo, -1, 0
	v_dual_cndmask_b32 v5, v5, v42, s7 :: v_dual_cndmask_b32 v4, v4, v42, vcc_lo
	s_cmp_eq_u32 s59, s8
	s_cbranch_scc0 .LBB621_86
.LBB621_87:                             ;   in Loop: Header=BB621_73 Depth=2
	s_and_not1_b32 vcc_lo, exec_lo, s61
	s_cbranch_vccnz .LBB621_90
; %bb.88:                               ;   in Loop: Header=BB621_73 Depth=2
	v_mov_b64_e32 v[38:39], v[36:37]
	s_mov_b64 s[6:7], 0
.LBB621_89:                             ;   Parent Loop BB621_3 Depth=1
                                        ;     Parent Loop BB621_73 Depth=2
                                        ; =>    This Inner Loop Header: Depth=3
	flat_load_u16 v42, v[38:39]
	s_cmp_eq_u32 s6, 1
	s_wait_xcnt 0x0
	v_add_nc_u64_e32 v[38:39], 2, v[38:39]
	s_cselect_b32 vcc_lo, -1, 0
	s_cmp_eq_u32 s6, 2
	v_cndmask_b32_e32 v43, v4, v5, vcc_lo
	s_cselect_b32 vcc_lo, -1, 0
	s_cmp_eq_u32 s6, 3
	s_add_nc_u64 s[6:7], s[6:7], 1
	s_delay_alu instid0(VALU_DEP_1) | instskip(SKIP_2) | instid1(VALU_DEP_1)
	v_cndmask_b32_e32 v43, v43, v6, vcc_lo
	s_cselect_b32 vcc_lo, -1, 0
	s_cmp_lg_u32 s59, s6
	v_cndmask_b32_e32 v43, v43, v7, vcc_lo
	s_wait_loadcnt_dscnt 0x0
	s_delay_alu instid0(VALU_DEP_1)
	v_fma_mix_f32_bf16 v0, v43, v42, v0 op_sel_hi:[0,1,0]
	s_cbranch_scc1 .LBB621_89
.LBB621_90:                             ;   in Loop: Header=BB621_73 Depth=2
	s_or_b32 exec_lo, exec_lo, s64
	s_delay_alu instid0(SALU_CYCLE_1)
	s_or_b32 exec_lo, exec_lo, s11
	s_and_saveexec_b32 s6, s1
	s_cbranch_execnz .LBB621_76
	s_branch .LBB621_77
.LBB621_91:                             ;   in Loop: Header=BB621_73 Depth=2
	ds_load_b32 v0, v47
	s_or_b32 exec_lo, exec_lo, s6
	s_and_saveexec_b32 s6, s1
	s_cbranch_execz .LBB621_81
.LBB621_92:                             ;   in Loop: Header=BB621_73 Depth=2
	s_wait_dscnt 0x0
	ds_bpermute_b32 v38, v3, v0
	s_wait_dscnt 0x0
	v_add_f32_e32 v0, v0, v38
	ds_bpermute_b32 v38, v40, v0
	s_wait_dscnt 0x0
	v_add_f32_e32 v0, v0, v38
	;; [unrolled: 3-line block ×3, first 2 shown]
	s_or_b32 exec_lo, exec_lo, s6
	s_and_saveexec_b32 s6, s0
	s_cbranch_execz .LBB621_72
.LBB621_93:                             ;   in Loop: Header=BB621_73 Depth=2
	s_mul_u64 s[8:9], s[24:25], s[30:31]
	s_wait_dscnt 0x0
	v_mul_f32_e32 v0, s22, v0
	s_lshl_b64 s[8:9], s[8:9], 2
	s_delay_alu instid0(SALU_CYCLE_1)
	s_add_nc_u64 s[8:9], s[54:55], s[8:9]
	global_store_b32 v2, v0, s[8:9]
	s_branch .LBB621_72
.LBB621_94:
	s_sendmsg sendmsg(MSG_DEALLOC_VGPRS)
	s_endpgm
	.section	.rodata,"a",@progbits
	.p2align	6, 0x0
	.amdhsa_kernel _ZL23rocblas_gemvt_sn_kernelILb1ELi256ELi4ElPK16rocblas_bfloat16ffEviiT4_lPKT3_lilS6_lilPT5_i
		.amdhsa_group_segment_fixed_size 128
		.amdhsa_private_segment_fixed_size 0
		.amdhsa_kernarg_size 360
		.amdhsa_user_sgpr_count 2
		.amdhsa_user_sgpr_dispatch_ptr 0
		.amdhsa_user_sgpr_queue_ptr 0
		.amdhsa_user_sgpr_kernarg_segment_ptr 1
		.amdhsa_user_sgpr_dispatch_id 0
		.amdhsa_user_sgpr_kernarg_preload_length 0
		.amdhsa_user_sgpr_kernarg_preload_offset 0
		.amdhsa_user_sgpr_private_segment_size 0
		.amdhsa_wavefront_size32 1
		.amdhsa_uses_dynamic_stack 0
		.amdhsa_enable_private_segment 0
		.amdhsa_system_sgpr_workgroup_id_x 1
		.amdhsa_system_sgpr_workgroup_id_y 0
		.amdhsa_system_sgpr_workgroup_id_z 1
		.amdhsa_system_sgpr_workgroup_info 0
		.amdhsa_system_vgpr_workitem_id 0
		.amdhsa_next_free_vgpr 73
		.amdhsa_next_free_sgpr 66
		.amdhsa_named_barrier_count 0
		.amdhsa_reserve_vcc 1
		.amdhsa_float_round_mode_32 0
		.amdhsa_float_round_mode_16_64 0
		.amdhsa_float_denorm_mode_32 3
		.amdhsa_float_denorm_mode_16_64 3
		.amdhsa_fp16_overflow 0
		.amdhsa_memory_ordered 1
		.amdhsa_forward_progress 1
		.amdhsa_inst_pref_size 33
		.amdhsa_round_robin_scheduling 0
		.amdhsa_exception_fp_ieee_invalid_op 0
		.amdhsa_exception_fp_denorm_src 0
		.amdhsa_exception_fp_ieee_div_zero 0
		.amdhsa_exception_fp_ieee_overflow 0
		.amdhsa_exception_fp_ieee_underflow 0
		.amdhsa_exception_fp_ieee_inexact 0
		.amdhsa_exception_int_div_zero 0
	.end_amdhsa_kernel
	.section	.text._ZL23rocblas_gemvt_sn_kernelILb1ELi256ELi4ElPK16rocblas_bfloat16ffEviiT4_lPKT3_lilS6_lilPT5_i,"axG",@progbits,_ZL23rocblas_gemvt_sn_kernelILb1ELi256ELi4ElPK16rocblas_bfloat16ffEviiT4_lPKT3_lilS6_lilPT5_i,comdat
.Lfunc_end621:
	.size	_ZL23rocblas_gemvt_sn_kernelILb1ELi256ELi4ElPK16rocblas_bfloat16ffEviiT4_lPKT3_lilS6_lilPT5_i, .Lfunc_end621-_ZL23rocblas_gemvt_sn_kernelILb1ELi256ELi4ElPK16rocblas_bfloat16ffEviiT4_lPKT3_lilS6_lilPT5_i
                                        ; -- End function
	.set _ZL23rocblas_gemvt_sn_kernelILb1ELi256ELi4ElPK16rocblas_bfloat16ffEviiT4_lPKT3_lilS6_lilPT5_i.num_vgpr, 73
	.set _ZL23rocblas_gemvt_sn_kernelILb1ELi256ELi4ElPK16rocblas_bfloat16ffEviiT4_lPKT3_lilS6_lilPT5_i.num_agpr, 0
	.set _ZL23rocblas_gemvt_sn_kernelILb1ELi256ELi4ElPK16rocblas_bfloat16ffEviiT4_lPKT3_lilS6_lilPT5_i.numbered_sgpr, 66
	.set _ZL23rocblas_gemvt_sn_kernelILb1ELi256ELi4ElPK16rocblas_bfloat16ffEviiT4_lPKT3_lilS6_lilPT5_i.num_named_barrier, 0
	.set _ZL23rocblas_gemvt_sn_kernelILb1ELi256ELi4ElPK16rocblas_bfloat16ffEviiT4_lPKT3_lilS6_lilPT5_i.private_seg_size, 0
	.set _ZL23rocblas_gemvt_sn_kernelILb1ELi256ELi4ElPK16rocblas_bfloat16ffEviiT4_lPKT3_lilS6_lilPT5_i.uses_vcc, 1
	.set _ZL23rocblas_gemvt_sn_kernelILb1ELi256ELi4ElPK16rocblas_bfloat16ffEviiT4_lPKT3_lilS6_lilPT5_i.uses_flat_scratch, 1
	.set _ZL23rocblas_gemvt_sn_kernelILb1ELi256ELi4ElPK16rocblas_bfloat16ffEviiT4_lPKT3_lilS6_lilPT5_i.has_dyn_sized_stack, 0
	.set _ZL23rocblas_gemvt_sn_kernelILb1ELi256ELi4ElPK16rocblas_bfloat16ffEviiT4_lPKT3_lilS6_lilPT5_i.has_recursion, 0
	.set _ZL23rocblas_gemvt_sn_kernelILb1ELi256ELi4ElPK16rocblas_bfloat16ffEviiT4_lPKT3_lilS6_lilPT5_i.has_indirect_call, 0
	.section	.AMDGPU.csdata,"",@progbits
; Kernel info:
; codeLenInByte = 4224
; TotalNumSgprs: 68
; NumVgprs: 73
; ScratchSize: 0
; MemoryBound: 0
; FloatMode: 240
; IeeeMode: 1
; LDSByteSize: 128 bytes/workgroup (compile time only)
; SGPRBlocks: 0
; VGPRBlocks: 4
; NumSGPRsForWavesPerEU: 68
; NumVGPRsForWavesPerEU: 73
; NamedBarCnt: 0
; Occupancy: 12
; WaveLimiterHint : 0
; COMPUTE_PGM_RSRC2:SCRATCH_EN: 0
; COMPUTE_PGM_RSRC2:USER_SGPR: 2
; COMPUTE_PGM_RSRC2:TRAP_HANDLER: 0
; COMPUTE_PGM_RSRC2:TGID_X_EN: 1
; COMPUTE_PGM_RSRC2:TGID_Y_EN: 0
; COMPUTE_PGM_RSRC2:TGID_Z_EN: 1
; COMPUTE_PGM_RSRC2:TIDIG_COMP_CNT: 0
	.section	.text._ZL20rocblas_gemvt_kernelILb1ELi256EPK16rocblas_bfloat16PKfKPS0_EviiT2_lPKT1_lilSA_lilS7_lPT3_lili,"axG",@progbits,_ZL20rocblas_gemvt_kernelILb1ELi256EPK16rocblas_bfloat16PKfKPS0_EviiT2_lPKT1_lilSA_lilS7_lPT3_lili,comdat
	.globl	_ZL20rocblas_gemvt_kernelILb1ELi256EPK16rocblas_bfloat16PKfKPS0_EviiT2_lPKT1_lilSA_lilS7_lPT3_lili ; -- Begin function _ZL20rocblas_gemvt_kernelILb1ELi256EPK16rocblas_bfloat16PKfKPS0_EviiT2_lPKT1_lilSA_lilS7_lPT3_lili
	.p2align	8
	.type	_ZL20rocblas_gemvt_kernelILb1ELi256EPK16rocblas_bfloat16PKfKPS0_EviiT2_lPKT1_lilSA_lilS7_lPT3_lili,@function
_ZL20rocblas_gemvt_kernelILb1ELi256EPK16rocblas_bfloat16PKfKPS0_EviiT2_lPKT1_lilSA_lilS7_lPT3_lili: ; @_ZL20rocblas_gemvt_kernelILb1ELi256EPK16rocblas_bfloat16PKfKPS0_EviiT2_lPKT1_lilSA_lilS7_lPT3_lili
; %bb.0:
	s_load_b32 s33, s[0:1], 0x88
	s_bfe_u32 s2, ttmp6, 0x40014
	s_lshr_b32 s3, ttmp7, 16
	s_add_co_i32 s2, s2, 1
	s_bfe_u32 s5, ttmp6, 0x40008
	s_mul_i32 s4, s3, s2
	s_getreg_b32 s2, hwreg(HW_REG_IB_STS2, 6, 4)
	s_add_co_i32 s5, s5, s4
	s_cmp_eq_u32 s2, 0
	s_mov_b32 s11, 0
	s_cselect_b32 s10, s3, s5
	s_wait_kmcnt 0x0
	s_cmp_ge_u32 s10, s33
	s_cbranch_scc1 .LBB622_70
; %bb.1:
	s_clause 0x3
	s_load_b32 s4, s[0:1], 0x28
	s_load_b32 s38, s[0:1], 0x48
	;; [unrolled: 1-line block ×4, first 2 shown]
	s_bfe_u32 s3, ttmp6, 0x4000c
	s_and_b32 s5, ttmp6, 15
	s_add_co_i32 s3, s3, 1
	s_load_b128 s[28:31], s[0:1], 0x38
	s_mul_i32 s3, ttmp9, s3
	s_clause 0x1
	s_load_b256 s[12:19], s[0:1], 0x8
	s_load_b256 s[20:27], s[0:1], 0x58
	s_add_co_i32 s3, s5, s3
	s_wait_xcnt 0x0
	v_cmp_eq_u32_e64 s0, 0, v0
	v_lshlrev_b32_e32 v16, 2, v0
	s_wait_kmcnt 0x0
	s_ashr_i32 s5, s4, 31
	s_ashr_i32 s39, s38, 31
	;; [unrolled: 1-line block ×3, first 2 shown]
	s_cmp_eq_u32 s2, 0
	v_cmp_gt_i32_e32 vcc_lo, s8, v0
	s_cselect_b32 s2, ttmp9, s3
	s_ashr_i32 s3, s8, 31
	s_delay_alu instid0(SALU_CYCLE_1) | instskip(SKIP_2) | instid1(SALU_CYCLE_1)
	s_lshr_b32 s3, s3, 24
	v_cndmask_b32_e32 v8, 0, v0, vcc_lo
	s_add_co_i32 s3, s8, s3
	s_and_b32 s34, s3, 0xffffff00
	s_delay_alu instid0(SALU_CYCLE_1) | instskip(SKIP_3) | instid1(VALU_DEP_1)
	v_dual_mov_b32 v1, 0 :: v_dual_bitop2_b32 v4, s34, v0 bitop3:0x54
	s_ashr_i32 s3, s2, 31
	s_cmp_gt_i32 s8, 0xff
	s_mul_u64 s[40:41], s[6:7], s[2:3]
	v_mul_u64_e32 v[6:7], s[38:39], v[0:1]
	v_ashrrev_i32_e32 v5, 31, v4
	v_cmp_gt_i32_e64 s1, s8, v4
	s_mul_u64 s[36:37], s[4:5], s[2:3]
	v_cmp_gt_u32_e64 s2, 0x80, v0
	v_cmp_gt_u32_e64 s3, 64, v0
	v_mul_u64_e32 v[2:3], s[38:39], v[4:5]
	v_cmp_gt_u32_e64 s4, 32, v0
	v_cmp_gt_u32_e64 s5, 16, v0
	;; [unrolled: 1-line block ×5, first 2 shown]
	v_lshlrev_b32_e32 v0, 1, v8
	s_cselect_b32 s42, -1, 0
	s_ashr_i32 s35, s34, 31
	s_lshl_b64 s[38:39], s[38:39], 9
	s_lshl_b64 s[18:19], s[18:19], 1
	s_lshl_b64 s[30:31], s[30:31], 1
	s_lshl_b64 s[26:27], s[26:27], 1
	s_lshl_b64 s[40:41], s[40:41], 1
	v_lshlrev_b64_e32 v[4:5], 1, v[6:7]
	s_branch .LBB622_4
.LBB622_2:                              ;   in Loop: Header=BB622_4 Depth=1
	s_wait_xcnt 0x0
	s_or_b32 exec_lo, exec_lo, s9
.LBB622_3:                              ;   in Loop: Header=BB622_4 Depth=1
	s_add_co_i32 s10, s10, 0x10000
	s_delay_alu instid0(SALU_CYCLE_1)
	s_cmp_lt_u32 s10, s33
	s_cbranch_scc0 .LBB622_70
.LBB622_4:                              ; =>This Loop Header: Depth=1
                                        ;     Child Loop BB622_23 Depth 2
	s_mul_u64 s[44:45], s[14:15], s[10:11]
	s_wait_xcnt 0x0
	s_mul_u64 s[46:47], s[22:23], s[10:11]
	s_lshl_b64 s[44:45], s[44:45], 2
	s_lshl_b64 s[46:47], s[46:47], 2
	s_add_nc_u64 s[44:45], s[12:13], s[44:45]
	s_add_nc_u64 s[46:47], s[20:21], s[46:47]
	s_clause 0x1
	global_load_b32 v6, v1, s[44:45]
	global_load_b32 v7, v1, s[46:47]
	s_wait_loadcnt 0x1
	v_cmp_eq_f32_e32 vcc_lo, 0, v6
	s_wait_loadcnt 0x0
	v_cmp_eq_f32_e64 s9, 1.0, v7
	s_wait_xcnt 0x1
	v_readfirstlane_b32 s44, v6
	s_and_b32 s43, vcc_lo, s9
	v_readfirstlane_b32 s9, v7
	s_and_b32 vcc_lo, exec_lo, s43
	s_cbranch_vccnz .LBB622_3
; %bb.5:                                ;   in Loop: Header=BB622_4 Depth=1
	s_cmp_neq_f32 s44, 0
	v_mov_b64_e32 v[8:9], 0
	v_mov_b64_e32 v[10:11], 0
	s_cselect_b32 s45, -1, 0
	s_cmp_eq_f32 s44, 0
	s_cselect_b32 s43, -1, 0
	s_delay_alu instid0(SALU_CYCLE_1)
	s_and_b32 vcc_lo, exec_lo, s43
	s_cbranch_vccnz .LBB622_7
; %bb.6:                                ;   in Loop: Header=BB622_4 Depth=1
	s_wait_xcnt 0x0
	s_lshl_b64 s[46:47], s[10:11], 3
	s_delay_alu instid0(SALU_CYCLE_1)
	s_add_nc_u64 s[46:47], s[16:17], s[46:47]
	global_load_b64 v[6:7], v1, s[46:47]
	s_wait_loadcnt 0x0
	v_add_nc_u64_e32 v[10:11], s[18:19], v[6:7]
.LBB622_7:                              ;   in Loop: Header=BB622_4 Depth=1
	s_and_not1_b32 vcc_lo, exec_lo, s45
	s_cbranch_vccnz .LBB622_9
; %bb.8:                                ;   in Loop: Header=BB622_4 Depth=1
	s_wait_xcnt 0x0
	s_lshl_b64 s[46:47], s[10:11], 3
	s_delay_alu instid0(SALU_CYCLE_1)
	s_add_nc_u64 s[46:47], s[28:29], s[46:47]
	global_load_b64 v[6:7], v1, s[46:47]
	s_wait_loadcnt 0x0
	v_add_nc_u64_e32 v[8:9], s[30:31], v[6:7]
.LBB622_9:                              ;   in Loop: Header=BB622_4 Depth=1
	s_wait_xcnt 0x0
	s_lshl_b64 s[46:47], s[10:11], 3
	s_and_not1_b32 vcc_lo, exec_lo, s43
	s_add_nc_u64 s[46:47], s[24:25], s[46:47]
	global_load_b64 v[6:7], v1, s[46:47]
	s_wait_loadcnt 0x0
	v_add_nc_u64_e32 v[6:7], s[26:27], v[6:7]
	s_cbranch_vccnz .LBB622_17
; %bb.10:                               ;   in Loop: Header=BB622_4 Depth=1
	s_mov_b32 s45, 0
	s_mov_b32 s43, 0
                                        ; implicit-def: $vgpr12
	s_wait_xcnt 0x0
	s_and_saveexec_b32 s46, s0
	s_cbranch_execz .LBB622_18
; %bb.11:                               ;   in Loop: Header=BB622_4 Depth=1
	s_cmp_eq_f32 s9, 0
	s_cbranch_scc1 .LBB622_19
; %bb.12:                               ;   in Loop: Header=BB622_4 Depth=1
	v_add_nc_u64_e32 v[12:13], s[40:41], v[6:7]
	flat_load_u16 v12, v[12:13]
	s_wait_loadcnt_dscnt 0x0
	s_wait_xcnt 0x0
	v_lshlrev_b32_e32 v12, 16, v12
	s_delay_alu instid0(VALU_DEP_1) | instskip(NEXT) | instid1(VALU_DEP_1)
	v_mul_f32_e32 v12, s9, v12
	v_and_b32_e32 v13, 0x7f800000, v12
	s_delay_alu instid0(VALU_DEP_1) | instskip(SKIP_1) | instid1(SALU_CYCLE_1)
	v_cmp_ne_u32_e32 vcc_lo, 0x7f800000, v13
                                        ; implicit-def: $vgpr13
	s_and_saveexec_b32 s43, vcc_lo
	s_xor_b32 s43, exec_lo, s43
; %bb.13:                               ;   in Loop: Header=BB622_4 Depth=1
	v_bfe_u32 v13, v12, 16, 1
	s_delay_alu instid0(VALU_DEP_1)
	v_add3_u32 v13, v12, v13, 0x7fff
                                        ; implicit-def: $vgpr12
; %bb.14:                               ;   in Loop: Header=BB622_4 Depth=1
	s_and_not1_saveexec_b32 s43, s43
; %bb.15:                               ;   in Loop: Header=BB622_4 Depth=1
	v_and_b32_e32 v13, 0xffff, v12
	v_or_b32_e32 v14, 0x10000, v12
	s_delay_alu instid0(VALU_DEP_2) | instskip(NEXT) | instid1(VALU_DEP_2)
	v_cmp_eq_u32_e32 vcc_lo, 0, v13
	v_cndmask_b32_e32 v13, v14, v12, vcc_lo
; %bb.16:                               ;   in Loop: Header=BB622_4 Depth=1
	s_or_b32 exec_lo, exec_lo, s43
	s_delay_alu instid0(VALU_DEP_1) | instskip(SKIP_2) | instid1(SALU_CYCLE_1)
	v_lshrrev_b32_e32 v12, 16, v13
	s_mov_b32 s43, exec_lo
	s_or_b32 exec_lo, exec_lo, s46
	s_and_b32 vcc_lo, exec_lo, s45
	s_cbranch_vccnz .LBB622_20
	s_branch .LBB622_68
.LBB622_17:                             ;   in Loop: Header=BB622_4 Depth=1
	s_mov_b32 s43, 0
                                        ; implicit-def: $vgpr12
	s_cbranch_execnz .LBB622_20
	s_branch .LBB622_68
.LBB622_18:                             ;   in Loop: Header=BB622_4 Depth=1
	s_or_b32 exec_lo, exec_lo, s46
	s_delay_alu instid0(SALU_CYCLE_1)
	s_and_b32 vcc_lo, exec_lo, s45
	s_cbranch_vccnz .LBB622_20
	s_branch .LBB622_68
.LBB622_19:                             ;   in Loop: Header=BB622_4 Depth=1
	v_mov_b32_e32 v12, 0
	s_mov_b32 s43, exec_lo
	s_or_b32 exec_lo, exec_lo, s46
	s_delay_alu instid0(SALU_CYCLE_1)
	s_and_b32 vcc_lo, exec_lo, s45
	s_cbranch_vccz .LBB622_68
.LBB622_20:                             ;   in Loop: Header=BB622_4 Depth=1
	v_add_nc_u64_e32 v[10:11], v[10:11], v[0:1]
	v_mov_b32_e32 v17, 0
	s_and_not1_b32 vcc_lo, exec_lo, s42
	s_delay_alu instid0(VALU_DEP_2)
	v_lshl_add_u64 v[10:11], s[36:37], 1, v[10:11]
	s_cbranch_vccnz .LBB622_27
; %bb.21:                               ;   in Loop: Header=BB622_4 Depth=1
	v_add_nc_u64_e32 v[12:13], v[8:9], v[4:5]
	s_delay_alu instid0(VALU_DEP_2)
	v_mov_b64_e32 v[14:15], v[10:11]
	v_mov_b32_e32 v17, 0
	s_mov_b32 s45, 0
	s_branch .LBB622_23
.LBB622_22:                             ;   in Loop: Header=BB622_23 Depth=2
	s_or_b32 exec_lo, exec_lo, s46
	s_delay_alu instid0(VALU_DEP_1) | instskip(SKIP_3) | instid1(SALU_CYCLE_1)
	v_and_b32_e32 v18, 0xffff0000, v19
	v_add_nc_u64_e32 v[12:13], s[38:39], v[12:13]
	v_add_nc_u64_e32 v[14:15], 0x200, v[14:15]
	s_addk_co_i32 s45, 0x100
	s_cmp_ge_i32 s45, s34
	v_add_f32_e32 v17, v17, v18
	s_cbranch_scc1 .LBB622_27
.LBB622_23:                             ;   Parent Loop BB622_4 Depth=1
                                        ; =>  This Inner Loop Header: Depth=2
	flat_load_u16 v18, v[14:15]
	flat_load_u16 v19, v[12:13]
	s_wait_loadcnt_dscnt 0x0
	v_dual_lshlrev_b32 v18, 16, v18 :: v_dual_lshlrev_b32 v19, 16, v19
	s_delay_alu instid0(VALU_DEP_1) | instskip(NEXT) | instid1(VALU_DEP_1)
	v_mul_f32_e32 v18, v19, v18
	v_and_b32_e32 v19, 0x7f800000, v18
	s_delay_alu instid0(VALU_DEP_1) | instskip(SKIP_2) | instid1(SALU_CYCLE_1)
	v_cmp_ne_u32_e32 vcc_lo, 0x7f800000, v19
                                        ; implicit-def: $vgpr19
	s_wait_xcnt 0x0
	s_and_saveexec_b32 s46, vcc_lo
	s_xor_b32 s46, exec_lo, s46
; %bb.24:                               ;   in Loop: Header=BB622_23 Depth=2
	v_bfe_u32 v19, v18, 16, 1
	s_delay_alu instid0(VALU_DEP_1)
	v_add3_u32 v19, v18, v19, 0x7fff
                                        ; implicit-def: $vgpr18
; %bb.25:                               ;   in Loop: Header=BB622_23 Depth=2
	s_and_not1_saveexec_b32 s46, s46
	s_cbranch_execz .LBB622_22
; %bb.26:                               ;   in Loop: Header=BB622_23 Depth=2
	v_and_b32_e32 v19, 0xffff, v18
	v_or_b32_e32 v20, 0x10000, v18
	s_delay_alu instid0(VALU_DEP_2) | instskip(NEXT) | instid1(VALU_DEP_2)
	v_cmp_eq_u32_e32 vcc_lo, 0, v19
	v_cndmask_b32_e32 v19, v20, v18, vcc_lo
	s_branch .LBB622_22
.LBB622_27:                             ;   in Loop: Header=BB622_4 Depth=1
	s_wait_xcnt 0x0
	s_and_saveexec_b32 s45, s1
	s_cbranch_execz .LBB622_33
; %bb.28:                               ;   in Loop: Header=BB622_4 Depth=1
	v_lshl_add_u64 v[10:11], s[34:35], 1, v[10:11]
	v_lshl_add_u64 v[8:9], v[2:3], 1, v[8:9]
	flat_load_u16 v12, v[10:11]
	flat_load_u16 v13, v[8:9]
	s_wait_loadcnt_dscnt 0x0
	s_wait_xcnt 0x0
	v_dual_lshlrev_b32 v8, 16, v12 :: v_dual_lshlrev_b32 v9, 16, v13
	s_delay_alu instid0(VALU_DEP_1) | instskip(NEXT) | instid1(VALU_DEP_1)
	v_mul_f32_e32 v8, v9, v8
	v_and_b32_e32 v9, 0x7f800000, v8
	s_delay_alu instid0(VALU_DEP_1) | instskip(SKIP_1) | instid1(SALU_CYCLE_1)
	v_cmp_ne_u32_e32 vcc_lo, 0x7f800000, v9
                                        ; implicit-def: $vgpr9
	s_and_saveexec_b32 s46, vcc_lo
	s_xor_b32 s46, exec_lo, s46
; %bb.29:                               ;   in Loop: Header=BB622_4 Depth=1
	v_bfe_u32 v9, v8, 16, 1
	s_delay_alu instid0(VALU_DEP_1)
	v_add3_u32 v9, v8, v9, 0x7fff
                                        ; implicit-def: $vgpr8
; %bb.30:                               ;   in Loop: Header=BB622_4 Depth=1
	s_and_not1_saveexec_b32 s46, s46
; %bb.31:                               ;   in Loop: Header=BB622_4 Depth=1
	v_and_b32_e32 v9, 0xffff, v8
	v_or_b32_e32 v10, 0x10000, v8
	s_delay_alu instid0(VALU_DEP_2) | instskip(NEXT) | instid1(VALU_DEP_2)
	v_cmp_eq_u32_e32 vcc_lo, 0, v9
	v_cndmask_b32_e32 v9, v10, v8, vcc_lo
; %bb.32:                               ;   in Loop: Header=BB622_4 Depth=1
	s_or_b32 exec_lo, exec_lo, s46
	s_delay_alu instid0(VALU_DEP_1) | instskip(NEXT) | instid1(VALU_DEP_1)
	v_and_b32_e32 v8, 0xffff0000, v9
	v_add_f32_e32 v17, v17, v8
.LBB622_33:                             ;   in Loop: Header=BB622_4 Depth=1
	s_or_b32 exec_lo, exec_lo, s45
	ds_store_b32 v16, v17
	s_wait_dscnt 0x0
	s_barrier_signal -1
	s_barrier_wait -1
	s_and_saveexec_b32 s45, s2
	s_cbranch_execz .LBB622_35
; %bb.34:                               ;   in Loop: Header=BB622_4 Depth=1
	ds_load_2addr_stride64_b32 v[8:9], v16 offset1:2
	s_wait_dscnt 0x0
	v_add_f32_e32 v8, v9, v8
	ds_store_b32 v16, v8
.LBB622_35:                             ;   in Loop: Header=BB622_4 Depth=1
	s_or_b32 exec_lo, exec_lo, s45
	s_wait_dscnt 0x0
	s_barrier_signal -1
	s_barrier_wait -1
	s_and_saveexec_b32 s45, s3
	s_cbranch_execz .LBB622_37
; %bb.36:                               ;   in Loop: Header=BB622_4 Depth=1
	ds_load_2addr_stride64_b32 v[8:9], v16 offset1:1
	s_wait_dscnt 0x0
	v_add_f32_e32 v8, v9, v8
	ds_store_b32 v16, v8
.LBB622_37:                             ;   in Loop: Header=BB622_4 Depth=1
	s_or_b32 exec_lo, exec_lo, s45
	s_wait_dscnt 0x0
	s_barrier_signal -1
	s_barrier_wait -1
	s_and_saveexec_b32 s45, s4
	s_cbranch_execz .LBB622_39
; %bb.38:                               ;   in Loop: Header=BB622_4 Depth=1
	ds_load_2addr_b32 v[8:9], v16 offset1:32
	s_wait_dscnt 0x0
	v_add_f32_e32 v8, v9, v8
	ds_store_b32 v16, v8
.LBB622_39:                             ;   in Loop: Header=BB622_4 Depth=1
	s_or_b32 exec_lo, exec_lo, s45
	s_wait_dscnt 0x0
	s_barrier_signal -1
	s_barrier_wait -1
	s_and_saveexec_b32 s45, s5
	s_cbranch_execz .LBB622_41
; %bb.40:                               ;   in Loop: Header=BB622_4 Depth=1
	ds_load_2addr_b32 v[8:9], v16 offset1:16
	s_wait_dscnt 0x0
	v_add_f32_e32 v8, v9, v8
	ds_store_b32 v16, v8
.LBB622_41:                             ;   in Loop: Header=BB622_4 Depth=1
	;; [unrolled: 12-line block ×5, first 2 shown]
	s_or_b32 exec_lo, exec_lo, s45
	s_wait_dscnt 0x0
	s_barrier_signal -1
	s_barrier_wait -1
	s_and_saveexec_b32 s45, s0
	s_cbranch_execz .LBB622_49
; %bb.48:                               ;   in Loop: Header=BB622_4 Depth=1
	ds_load_b64 v[8:9], v1
	s_wait_dscnt 0x0
	v_add_f32_e32 v8, v9, v8
	ds_store_b32 v1, v8
.LBB622_49:                             ;   in Loop: Header=BB622_4 Depth=1
	s_or_b32 exec_lo, exec_lo, s45
	s_wait_dscnt 0x0
	s_barrier_signal -1
	s_barrier_wait -1
                                        ; implicit-def: $vgpr12
	s_and_saveexec_b32 s45, s0
	s_cbranch_execz .LBB622_67
; %bb.50:                               ;   in Loop: Header=BB622_4 Depth=1
	ds_load_b32 v8, v1
	s_cmp_eq_f32 s9, 0
	s_wait_dscnt 0x0
	v_readfirstlane_b32 s46, v8
	s_mul_f32 s44, s44, s46
	s_cbranch_scc0 .LBB622_56
; %bb.51:                               ;   in Loop: Header=BB622_4 Depth=1
	s_delay_alu instid0(SALU_CYCLE_2)
	s_and_b32 s46, s44, 0x7f800000
	s_mov_b32 s47, -1
	s_cmp_eq_u32 s46, 0x7f800000
                                        ; implicit-def: $sgpr46
	s_cbranch_scc1 .LBB622_53
; %bb.52:                               ;   in Loop: Header=BB622_4 Depth=1
	s_bfe_u32 s46, s44, 0x10010
	s_mov_b32 s47, 0
	s_add_co_i32 s46, s44, s46
	s_delay_alu instid0(SALU_CYCLE_1)
	s_addk_co_i32 s46, 0x7fff
.LBB622_53:                             ;   in Loop: Header=BB622_4 Depth=1
	s_and_not1_b32 vcc_lo, exec_lo, s47
	s_cbranch_vccnz .LBB622_55
; %bb.54:                               ;   in Loop: Header=BB622_4 Depth=1
	s_and_b32 s46, s44, 0xffff
	s_or_b32 s47, s44, 0x10000
	s_cmp_eq_u32 s46, 0
	s_cselect_b32 s46, s44, s47
.LBB622_55:                             ;   in Loop: Header=BB622_4 Depth=1
	s_delay_alu instid0(SALU_CYCLE_1)
	v_mov_b32_e32 v8, s46
	s_cbranch_execz .LBB622_57
	s_branch .LBB622_66
.LBB622_56:                             ;   in Loop: Header=BB622_4 Depth=1
                                        ; implicit-def: $sgpr46
	v_mov_b32_e32 v8, s46
.LBB622_57:                             ;   in Loop: Header=BB622_4 Depth=1
	v_add_nc_u64_e32 v[8:9], s[40:41], v[6:7]
	flat_load_u16 v8, v[8:9]
	s_wait_loadcnt_dscnt 0x0
	s_wait_xcnt 0x0
	v_lshlrev_b32_e32 v8, 16, v8
	s_delay_alu instid0(VALU_DEP_1) | instskip(NEXT) | instid1(VALU_DEP_1)
	v_mul_f32_e32 v8, s9, v8
	v_and_b32_e32 v9, 0x7f800000, v8
	s_delay_alu instid0(VALU_DEP_1) | instskip(SKIP_1) | instid1(SALU_CYCLE_1)
	v_cmp_ne_u32_e32 vcc_lo, 0x7f800000, v9
                                        ; implicit-def: $vgpr9
	s_and_saveexec_b32 s9, vcc_lo
	s_xor_b32 s9, exec_lo, s9
; %bb.58:                               ;   in Loop: Header=BB622_4 Depth=1
	v_bfe_u32 v9, v8, 16, 1
	s_delay_alu instid0(VALU_DEP_1)
	v_add3_u32 v9, v8, v9, 0x7fff
                                        ; implicit-def: $vgpr8
; %bb.59:                               ;   in Loop: Header=BB622_4 Depth=1
	s_and_not1_saveexec_b32 s9, s9
; %bb.60:                               ;   in Loop: Header=BB622_4 Depth=1
	v_and_b32_e32 v9, 0xffff, v8
	v_or_b32_e32 v10, 0x10000, v8
	s_delay_alu instid0(VALU_DEP_2) | instskip(NEXT) | instid1(VALU_DEP_2)
	v_cmp_eq_u32_e32 vcc_lo, 0, v9
	v_cndmask_b32_e32 v9, v10, v8, vcc_lo
; %bb.61:                               ;   in Loop: Header=BB622_4 Depth=1
	s_or_b32 exec_lo, exec_lo, s9
	s_delay_alu instid0(VALU_DEP_1) | instskip(NEXT) | instid1(VALU_DEP_1)
	v_and_b32_e32 v8, 0xffff0000, v9
	v_add_f32_e32 v9, s44, v8
	s_delay_alu instid0(VALU_DEP_1) | instskip(NEXT) | instid1(VALU_DEP_1)
	v_and_b32_e32 v8, 0x7f800000, v9
	v_cmp_ne_u32_e32 vcc_lo, 0x7f800000, v8
                                        ; implicit-def: $vgpr8
	s_and_saveexec_b32 s9, vcc_lo
	s_delay_alu instid0(SALU_CYCLE_1)
	s_xor_b32 s9, exec_lo, s9
; %bb.62:                               ;   in Loop: Header=BB622_4 Depth=1
	v_bfe_u32 v8, v9, 16, 1
	s_delay_alu instid0(VALU_DEP_1)
	v_add3_u32 v8, v9, v8, 0x7fff
                                        ; implicit-def: $vgpr9
; %bb.63:                               ;   in Loop: Header=BB622_4 Depth=1
	s_and_not1_saveexec_b32 s9, s9
; %bb.64:                               ;   in Loop: Header=BB622_4 Depth=1
	v_and_b32_e32 v8, 0xffff, v9
	v_or_b32_e32 v10, 0x10000, v9
	s_delay_alu instid0(VALU_DEP_2) | instskip(NEXT) | instid1(VALU_DEP_2)
	v_cmp_eq_u32_e32 vcc_lo, 0, v8
	v_cndmask_b32_e32 v8, v10, v9, vcc_lo
; %bb.65:                               ;   in Loop: Header=BB622_4 Depth=1
	s_or_b32 exec_lo, exec_lo, s9
.LBB622_66:                             ;   in Loop: Header=BB622_4 Depth=1
	s_delay_alu instid0(VALU_DEP_1)
	v_lshrrev_b32_e32 v12, 16, v8
	s_or_b32 s43, s43, exec_lo
.LBB622_67:                             ;   in Loop: Header=BB622_4 Depth=1
	s_or_b32 exec_lo, exec_lo, s45
.LBB622_68:                             ;   in Loop: Header=BB622_4 Depth=1
	s_wait_xcnt 0x0
	s_and_saveexec_b32 s9, s43
	s_cbranch_execz .LBB622_2
; %bb.69:                               ;   in Loop: Header=BB622_4 Depth=1
	v_add_nc_u64_e32 v[6:7], s[40:41], v[6:7]
	flat_store_b16 v[6:7], v12
	s_branch .LBB622_2
.LBB622_70:
	s_endpgm
	.section	.rodata,"a",@progbits
	.p2align	6, 0x0
	.amdhsa_kernel _ZL20rocblas_gemvt_kernelILb1ELi256EPK16rocblas_bfloat16PKfKPS0_EviiT2_lPKT1_lilSA_lilS7_lPT3_lili
		.amdhsa_group_segment_fixed_size 1024
		.amdhsa_private_segment_fixed_size 0
		.amdhsa_kernarg_size 140
		.amdhsa_user_sgpr_count 2
		.amdhsa_user_sgpr_dispatch_ptr 0
		.amdhsa_user_sgpr_queue_ptr 0
		.amdhsa_user_sgpr_kernarg_segment_ptr 1
		.amdhsa_user_sgpr_dispatch_id 0
		.amdhsa_user_sgpr_kernarg_preload_length 0
		.amdhsa_user_sgpr_kernarg_preload_offset 0
		.amdhsa_user_sgpr_private_segment_size 0
		.amdhsa_wavefront_size32 1
		.amdhsa_uses_dynamic_stack 0
		.amdhsa_enable_private_segment 0
		.amdhsa_system_sgpr_workgroup_id_x 1
		.amdhsa_system_sgpr_workgroup_id_y 0
		.amdhsa_system_sgpr_workgroup_id_z 1
		.amdhsa_system_sgpr_workgroup_info 0
		.amdhsa_system_vgpr_workitem_id 0
		.amdhsa_next_free_vgpr 21
		.amdhsa_next_free_sgpr 48
		.amdhsa_named_barrier_count 0
		.amdhsa_reserve_vcc 1
		.amdhsa_float_round_mode_32 0
		.amdhsa_float_round_mode_16_64 0
		.amdhsa_float_denorm_mode_32 3
		.amdhsa_float_denorm_mode_16_64 3
		.amdhsa_fp16_overflow 0
		.amdhsa_memory_ordered 1
		.amdhsa_forward_progress 1
		.amdhsa_inst_pref_size 17
		.amdhsa_round_robin_scheduling 0
		.amdhsa_exception_fp_ieee_invalid_op 0
		.amdhsa_exception_fp_denorm_src 0
		.amdhsa_exception_fp_ieee_div_zero 0
		.amdhsa_exception_fp_ieee_overflow 0
		.amdhsa_exception_fp_ieee_underflow 0
		.amdhsa_exception_fp_ieee_inexact 0
		.amdhsa_exception_int_div_zero 0
	.end_amdhsa_kernel
	.section	.text._ZL20rocblas_gemvt_kernelILb1ELi256EPK16rocblas_bfloat16PKfKPS0_EviiT2_lPKT1_lilSA_lilS7_lPT3_lili,"axG",@progbits,_ZL20rocblas_gemvt_kernelILb1ELi256EPK16rocblas_bfloat16PKfKPS0_EviiT2_lPKT1_lilSA_lilS7_lPT3_lili,comdat
.Lfunc_end622:
	.size	_ZL20rocblas_gemvt_kernelILb1ELi256EPK16rocblas_bfloat16PKfKPS0_EviiT2_lPKT1_lilSA_lilS7_lPT3_lili, .Lfunc_end622-_ZL20rocblas_gemvt_kernelILb1ELi256EPK16rocblas_bfloat16PKfKPS0_EviiT2_lPKT1_lilSA_lilS7_lPT3_lili
                                        ; -- End function
	.set _ZL20rocblas_gemvt_kernelILb1ELi256EPK16rocblas_bfloat16PKfKPS0_EviiT2_lPKT1_lilSA_lilS7_lPT3_lili.num_vgpr, 21
	.set _ZL20rocblas_gemvt_kernelILb1ELi256EPK16rocblas_bfloat16PKfKPS0_EviiT2_lPKT1_lilSA_lilS7_lPT3_lili.num_agpr, 0
	.set _ZL20rocblas_gemvt_kernelILb1ELi256EPK16rocblas_bfloat16PKfKPS0_EviiT2_lPKT1_lilSA_lilS7_lPT3_lili.numbered_sgpr, 48
	.set _ZL20rocblas_gemvt_kernelILb1ELi256EPK16rocblas_bfloat16PKfKPS0_EviiT2_lPKT1_lilSA_lilS7_lPT3_lili.num_named_barrier, 0
	.set _ZL20rocblas_gemvt_kernelILb1ELi256EPK16rocblas_bfloat16PKfKPS0_EviiT2_lPKT1_lilSA_lilS7_lPT3_lili.private_seg_size, 0
	.set _ZL20rocblas_gemvt_kernelILb1ELi256EPK16rocblas_bfloat16PKfKPS0_EviiT2_lPKT1_lilSA_lilS7_lPT3_lili.uses_vcc, 1
	.set _ZL20rocblas_gemvt_kernelILb1ELi256EPK16rocblas_bfloat16PKfKPS0_EviiT2_lPKT1_lilSA_lilS7_lPT3_lili.uses_flat_scratch, 0
	.set _ZL20rocblas_gemvt_kernelILb1ELi256EPK16rocblas_bfloat16PKfKPS0_EviiT2_lPKT1_lilSA_lilS7_lPT3_lili.has_dyn_sized_stack, 0
	.set _ZL20rocblas_gemvt_kernelILb1ELi256EPK16rocblas_bfloat16PKfKPS0_EviiT2_lPKT1_lilSA_lilS7_lPT3_lili.has_recursion, 0
	.set _ZL20rocblas_gemvt_kernelILb1ELi256EPK16rocblas_bfloat16PKfKPS0_EviiT2_lPKT1_lilSA_lilS7_lPT3_lili.has_indirect_call, 0
	.section	.AMDGPU.csdata,"",@progbits
; Kernel info:
; codeLenInByte = 2160
; TotalNumSgprs: 50
; NumVgprs: 21
; ScratchSize: 0
; MemoryBound: 0
; FloatMode: 240
; IeeeMode: 1
; LDSByteSize: 1024 bytes/workgroup (compile time only)
; SGPRBlocks: 0
; VGPRBlocks: 1
; NumSGPRsForWavesPerEU: 50
; NumVGPRsForWavesPerEU: 21
; NamedBarCnt: 0
; Occupancy: 16
; WaveLimiterHint : 1
; COMPUTE_PGM_RSRC2:SCRATCH_EN: 0
; COMPUTE_PGM_RSRC2:USER_SGPR: 2
; COMPUTE_PGM_RSRC2:TRAP_HANDLER: 0
; COMPUTE_PGM_RSRC2:TGID_X_EN: 1
; COMPUTE_PGM_RSRC2:TGID_Y_EN: 0
; COMPUTE_PGM_RSRC2:TGID_Z_EN: 1
; COMPUTE_PGM_RSRC2:TIDIG_COMP_CNT: 0
	.section	.text._ZL20rocblas_gemvt_kernelILb1ELi256EPK16rocblas_bfloat16fKPS0_EviiT2_lPKT1_lilS8_lilS5_lPT3_lili,"axG",@progbits,_ZL20rocblas_gemvt_kernelILb1ELi256EPK16rocblas_bfloat16fKPS0_EviiT2_lPKT1_lilS8_lilS5_lPT3_lili,comdat
	.globl	_ZL20rocblas_gemvt_kernelILb1ELi256EPK16rocblas_bfloat16fKPS0_EviiT2_lPKT1_lilS8_lilS5_lPT3_lili ; -- Begin function _ZL20rocblas_gemvt_kernelILb1ELi256EPK16rocblas_bfloat16fKPS0_EviiT2_lPKT1_lilS8_lilS5_lPT3_lili
	.p2align	8
	.type	_ZL20rocblas_gemvt_kernelILb1ELi256EPK16rocblas_bfloat16fKPS0_EviiT2_lPKT1_lilS8_lilS5_lPT3_lili,@function
_ZL20rocblas_gemvt_kernelILb1ELi256EPK16rocblas_bfloat16fKPS0_EviiT2_lPKT1_lilS8_lilS5_lPT3_lili: ; @_ZL20rocblas_gemvt_kernelILb1ELi256EPK16rocblas_bfloat16fKPS0_EviiT2_lPKT1_lilS8_lilS5_lPT3_lili
; %bb.0:
	s_load_b32 s9, s[0:1], 0x88
	s_bfe_u32 s2, ttmp6, 0x40014
	s_lshr_b32 s3, ttmp7, 16
	s_add_co_i32 s2, s2, 1
	s_bfe_u32 s5, ttmp6, 0x40008
	s_mul_i32 s2, s3, s2
	s_getreg_b32 s4, hwreg(HW_REG_IB_STS2, 6, 4)
	s_add_co_i32 s5, s5, s2
	s_cmp_eq_u32 s4, 0
	s_mov_b32 s11, 0
	s_cselect_b32 s10, s3, s5
	s_wait_kmcnt 0x0
	s_cmp_ge_u32 s10, s9
	s_cbranch_scc1 .LBB623_72
; %bb.1:
	s_clause 0x7
	s_load_b32 s2, s[0:1], 0x28
	s_load_b32 s28, s[0:1], 0x48
	;; [unrolled: 1-line block ×5, first 2 shown]
	s_load_b128 s[12:15], s[0:1], 0x18
	s_load_b32 s8, s[0:1], 0x0
	s_load_b128 s[20:23], s[0:1], 0x68
	v_lshlrev_b32_e32 v17, 2, v0
	s_wait_kmcnt 0x0
	s_ashr_i32 s3, s2, 31
	s_ashr_i32 s29, s28, 31
	;; [unrolled: 1-line block ×3, first 2 shown]
	s_cmp_eq_f32 s33, 0
	s_cselect_b32 s35, -1, 0
	s_cmp_neq_f32 s34, 1.0
	s_cselect_b32 s5, -1, 0
	s_cmp_neq_f32 s33, 0
	s_cselect_b32 s16, -1, 0
	s_delay_alu instid0(SALU_CYCLE_1)
	s_or_b32 s36, s16, s5
	s_cmp_neq_f32 s34, 0
	v_cndmask_b32_e64 v16, 0, 1, s16
	s_cselect_b32 s37, -1, 0
	s_cmp_eq_f32 s34, 0
	s_cselect_b32 s38, -1, 0
	s_bfe_u32 s5, ttmp6, 0x4000c
	s_and_b32 s16, ttmp6, 15
	s_add_co_i32 s5, s5, 1
	s_delay_alu instid0(SALU_CYCLE_1) | instskip(NEXT) | instid1(SALU_CYCLE_1)
	s_mul_i32 s5, ttmp9, s5
	s_add_co_i32 s16, s16, s5
	s_cmp_eq_u32 s4, 0
	s_cselect_b32 s4, ttmp9, s16
	s_load_b128 s[16:19], s[0:1], 0x38
	s_ashr_i32 s5, s8, 31
	v_cmp_gt_i32_e32 vcc_lo, s8, v0
	s_lshr_b32 s5, s5, 24
	s_wait_xcnt 0x0
	v_cmp_eq_u32_e64 s0, 0, v0
	s_add_co_i32 s5, s8, s5
	s_delay_alu instid0(SALU_CYCLE_1) | instskip(NEXT) | instid1(SALU_CYCLE_1)
	s_and_b32 s24, s5, 0xffffff00
	v_dual_mov_b32 v1, 0 :: v_dual_bitop2_b32 v6, s24, v0 bitop3:0x54
	v_cndmask_b32_e32 v8, 0, v0, vcc_lo
	s_ashr_i32 s5, s4, 31
	s_cmp_gt_i32 s8, 0xff
	s_delay_alu instid0(VALU_DEP_2)
	v_mul_u64_e32 v[4:5], s[28:29], v[0:1]
	v_ashrrev_i32_e32 v7, 31, v6
	s_mul_u64 s[30:31], s[6:7], s[4:5]
	s_mul_u64 s[26:27], s[2:3], s[4:5]
	v_cmp_gt_i32_e64 s1, s8, v6
	v_cmp_gt_u32_e64 s2, 0x80, v0
	v_mul_u64_e32 v[2:3], s[28:29], v[6:7]
	v_cmp_gt_u32_e64 s3, 64, v0
	v_cmp_gt_u32_e64 s4, 32, v0
	;; [unrolled: 1-line block ×6, first 2 shown]
	v_lshlrev_b32_e32 v0, 1, v8
	s_cselect_b32 s39, -1, 0
	s_ashr_i32 s25, s24, 31
	s_lshl_b64 s[28:29], s[28:29], 9
	s_lshl_b64 s[14:15], s[14:15], 1
	s_wait_kmcnt 0x0
	s_lshl_b64 s[18:19], s[18:19], 1
	s_lshl_b64 s[22:23], s[22:23], 1
	;; [unrolled: 1-line block ×3, first 2 shown]
	v_lshlrev_b64_e32 v[4:5], 1, v[4:5]
	s_branch .LBB623_4
.LBB623_2:                              ;   in Loop: Header=BB623_4 Depth=1
	s_wait_xcnt 0x0
	s_or_b32 exec_lo, exec_lo, s41
.LBB623_3:                              ;   in Loop: Header=BB623_4 Depth=1
	s_add_co_i32 s10, s10, 0x10000
	s_delay_alu instid0(SALU_CYCLE_1)
	s_cmp_lt_u32 s10, s9
	s_cbranch_scc0 .LBB623_72
.LBB623_4:                              ; =>This Loop Header: Depth=1
                                        ;     Child Loop BB623_25 Depth 2
	s_and_not1_b32 vcc_lo, exec_lo, s36
	s_cbranch_vccnz .LBB623_3
; %bb.5:                                ;   in Loop: Header=BB623_4 Depth=1
	s_and_not1_b32 vcc_lo, exec_lo, s35
	s_cbranch_vccnz .LBB623_7
; %bb.6:                                ;   in Loop: Header=BB623_4 Depth=1
	v_mov_b64_e32 v[8:9], 0
	v_mov_b64_e32 v[10:11], 0
	s_cbranch_execz .LBB623_8
	s_branch .LBB623_9
.LBB623_7:                              ;   in Loop: Header=BB623_4 Depth=1
	v_mov_b64_e32 v[8:9], 0
	v_mov_b64_e32 v[10:11], 0
.LBB623_8:                              ;   in Loop: Header=BB623_4 Depth=1
	s_lshl_b64 s[40:41], s[10:11], 3
	s_delay_alu instid0(SALU_CYCLE_1)
	s_add_nc_u64 s[40:41], s[12:13], s[40:41]
	global_load_b64 v[6:7], v1, s[40:41]
	s_wait_loadcnt 0x0
	v_add_nc_u64_e32 v[10:11], s[14:15], v[6:7]
.LBB623_9:                              ;   in Loop: Header=BB623_4 Depth=1
	v_cmp_ne_u32_e32 vcc_lo, 1, v16
	s_cbranch_vccnz .LBB623_11
; %bb.10:                               ;   in Loop: Header=BB623_4 Depth=1
	s_wait_xcnt 0x0
	s_lshl_b64 s[40:41], s[10:11], 3
	s_delay_alu instid0(SALU_CYCLE_1)
	s_add_nc_u64 s[40:41], s[16:17], s[40:41]
	global_load_b64 v[6:7], v1, s[40:41]
	s_wait_loadcnt 0x0
	v_add_nc_u64_e32 v[8:9], s[18:19], v[6:7]
.LBB623_11:                             ;   in Loop: Header=BB623_4 Depth=1
	s_wait_xcnt 0x0
	s_lshl_b64 s[40:41], s[10:11], 3
	s_and_not1_b32 vcc_lo, exec_lo, s35
	s_add_nc_u64 s[40:41], s[20:21], s[40:41]
	global_load_b64 v[6:7], v1, s[40:41]
	s_wait_loadcnt 0x0
	v_add_nc_u64_e32 v[6:7], s[22:23], v[6:7]
	s_cbranch_vccnz .LBB623_19
; %bb.12:                               ;   in Loop: Header=BB623_4 Depth=1
	s_wait_xcnt 0x0
	s_mov_b32 s41, 0
	s_mov_b32 s40, 0
                                        ; implicit-def: $vgpr12
	s_and_saveexec_b32 s42, s0
	s_cbranch_execz .LBB623_20
; %bb.13:                               ;   in Loop: Header=BB623_4 Depth=1
	s_and_not1_b32 vcc_lo, exec_lo, s37
	s_cbranch_vccnz .LBB623_21
; %bb.14:                               ;   in Loop: Header=BB623_4 Depth=1
	v_add_nc_u64_e32 v[12:13], s[30:31], v[6:7]
	flat_load_u16 v12, v[12:13]
	s_wait_loadcnt_dscnt 0x0
	s_wait_xcnt 0x0
	v_lshlrev_b32_e32 v12, 16, v12
	s_delay_alu instid0(VALU_DEP_1) | instskip(NEXT) | instid1(VALU_DEP_1)
	v_mul_f32_e32 v12, s34, v12
	v_and_b32_e32 v13, 0x7f800000, v12
	s_delay_alu instid0(VALU_DEP_1) | instskip(SKIP_1) | instid1(SALU_CYCLE_1)
	v_cmp_ne_u32_e32 vcc_lo, 0x7f800000, v13
                                        ; implicit-def: $vgpr13
	s_and_saveexec_b32 s40, vcc_lo
	s_xor_b32 s40, exec_lo, s40
; %bb.15:                               ;   in Loop: Header=BB623_4 Depth=1
	v_bfe_u32 v13, v12, 16, 1
	s_delay_alu instid0(VALU_DEP_1)
	v_add3_u32 v13, v12, v13, 0x7fff
                                        ; implicit-def: $vgpr12
; %bb.16:                               ;   in Loop: Header=BB623_4 Depth=1
	s_and_not1_saveexec_b32 s40, s40
; %bb.17:                               ;   in Loop: Header=BB623_4 Depth=1
	v_and_b32_e32 v13, 0xffff, v12
	v_or_b32_e32 v14, 0x10000, v12
	s_delay_alu instid0(VALU_DEP_2) | instskip(NEXT) | instid1(VALU_DEP_2)
	v_cmp_eq_u32_e32 vcc_lo, 0, v13
	v_cndmask_b32_e32 v13, v14, v12, vcc_lo
; %bb.18:                               ;   in Loop: Header=BB623_4 Depth=1
	s_or_b32 exec_lo, exec_lo, s40
	s_delay_alu instid0(VALU_DEP_1) | instskip(SKIP_2) | instid1(SALU_CYCLE_1)
	v_lshrrev_b32_e32 v12, 16, v13
	s_mov_b32 s40, exec_lo
	s_or_b32 exec_lo, exec_lo, s42
	s_and_b32 vcc_lo, exec_lo, s41
	s_cbranch_vccnz .LBB623_22
	s_branch .LBB623_70
.LBB623_19:                             ;   in Loop: Header=BB623_4 Depth=1
	s_wait_xcnt 0x0
	s_mov_b32 s40, 0
                                        ; implicit-def: $vgpr12
	s_cbranch_execnz .LBB623_22
	s_branch .LBB623_70
.LBB623_20:                             ;   in Loop: Header=BB623_4 Depth=1
	s_or_b32 exec_lo, exec_lo, s42
	s_delay_alu instid0(SALU_CYCLE_1)
	s_and_b32 vcc_lo, exec_lo, s41
	s_cbranch_vccnz .LBB623_22
	s_branch .LBB623_70
.LBB623_21:                             ;   in Loop: Header=BB623_4 Depth=1
	v_mov_b32_e32 v12, 0
	s_mov_b32 s40, exec_lo
	s_or_b32 exec_lo, exec_lo, s42
	s_delay_alu instid0(SALU_CYCLE_1)
	s_and_b32 vcc_lo, exec_lo, s41
	s_cbranch_vccz .LBB623_70
.LBB623_22:                             ;   in Loop: Header=BB623_4 Depth=1
	v_add_nc_u64_e32 v[10:11], v[10:11], v[0:1]
	v_mov_b32_e32 v18, 0
	s_and_not1_b32 vcc_lo, exec_lo, s39
	s_delay_alu instid0(VALU_DEP_2)
	v_lshl_add_u64 v[10:11], s[26:27], 1, v[10:11]
	s_cbranch_vccnz .LBB623_29
; %bb.23:                               ;   in Loop: Header=BB623_4 Depth=1
	v_add_nc_u64_e32 v[12:13], v[8:9], v[4:5]
	s_delay_alu instid0(VALU_DEP_2)
	v_mov_b64_e32 v[14:15], v[10:11]
	v_mov_b32_e32 v18, 0
	s_mov_b32 s41, 0
	s_branch .LBB623_25
.LBB623_24:                             ;   in Loop: Header=BB623_25 Depth=2
	s_or_b32 exec_lo, exec_lo, s42
	s_delay_alu instid0(VALU_DEP_1) | instskip(SKIP_3) | instid1(SALU_CYCLE_1)
	v_and_b32_e32 v19, 0xffff0000, v20
	v_add_nc_u64_e32 v[12:13], s[28:29], v[12:13]
	v_add_nc_u64_e32 v[14:15], 0x200, v[14:15]
	s_addk_co_i32 s41, 0x100
	s_cmp_ge_i32 s41, s24
	v_add_f32_e32 v18, v18, v19
	s_cbranch_scc1 .LBB623_29
.LBB623_25:                             ;   Parent Loop BB623_4 Depth=1
                                        ; =>  This Inner Loop Header: Depth=2
	flat_load_u16 v19, v[14:15]
	flat_load_u16 v20, v[12:13]
	s_wait_loadcnt_dscnt 0x0
	v_dual_lshlrev_b32 v19, 16, v19 :: v_dual_lshlrev_b32 v20, 16, v20
	s_delay_alu instid0(VALU_DEP_1) | instskip(NEXT) | instid1(VALU_DEP_1)
	v_mul_f32_e32 v19, v20, v19
	v_and_b32_e32 v20, 0x7f800000, v19
	s_delay_alu instid0(VALU_DEP_1) | instskip(SKIP_2) | instid1(SALU_CYCLE_1)
	v_cmp_ne_u32_e32 vcc_lo, 0x7f800000, v20
                                        ; implicit-def: $vgpr20
	s_wait_xcnt 0x0
	s_and_saveexec_b32 s42, vcc_lo
	s_xor_b32 s42, exec_lo, s42
; %bb.26:                               ;   in Loop: Header=BB623_25 Depth=2
	v_bfe_u32 v20, v19, 16, 1
	s_delay_alu instid0(VALU_DEP_1)
	v_add3_u32 v20, v19, v20, 0x7fff
                                        ; implicit-def: $vgpr19
; %bb.27:                               ;   in Loop: Header=BB623_25 Depth=2
	s_and_not1_saveexec_b32 s42, s42
	s_cbranch_execz .LBB623_24
; %bb.28:                               ;   in Loop: Header=BB623_25 Depth=2
	v_and_b32_e32 v20, 0xffff, v19
	v_or_b32_e32 v21, 0x10000, v19
	s_delay_alu instid0(VALU_DEP_2) | instskip(NEXT) | instid1(VALU_DEP_2)
	v_cmp_eq_u32_e32 vcc_lo, 0, v20
	v_cndmask_b32_e32 v20, v21, v19, vcc_lo
	s_branch .LBB623_24
.LBB623_29:                             ;   in Loop: Header=BB623_4 Depth=1
	s_and_saveexec_b32 s41, s1
	s_cbranch_execz .LBB623_35
; %bb.30:                               ;   in Loop: Header=BB623_4 Depth=1
	s_delay_alu instid0(VALU_DEP_1)
	v_lshl_add_u64 v[10:11], s[24:25], 1, v[10:11]
	v_lshl_add_u64 v[8:9], v[2:3], 1, v[8:9]
	flat_load_u16 v12, v[10:11]
	flat_load_u16 v13, v[8:9]
	s_wait_loadcnt_dscnt 0x0
	s_wait_xcnt 0x0
	v_dual_lshlrev_b32 v8, 16, v12 :: v_dual_lshlrev_b32 v9, 16, v13
	s_delay_alu instid0(VALU_DEP_1) | instskip(NEXT) | instid1(VALU_DEP_1)
	v_mul_f32_e32 v8, v9, v8
	v_and_b32_e32 v9, 0x7f800000, v8
	s_delay_alu instid0(VALU_DEP_1) | instskip(SKIP_1) | instid1(SALU_CYCLE_1)
	v_cmp_ne_u32_e32 vcc_lo, 0x7f800000, v9
                                        ; implicit-def: $vgpr9
	s_and_saveexec_b32 s42, vcc_lo
	s_xor_b32 s42, exec_lo, s42
; %bb.31:                               ;   in Loop: Header=BB623_4 Depth=1
	v_bfe_u32 v9, v8, 16, 1
	s_delay_alu instid0(VALU_DEP_1)
	v_add3_u32 v9, v8, v9, 0x7fff
                                        ; implicit-def: $vgpr8
; %bb.32:                               ;   in Loop: Header=BB623_4 Depth=1
	s_and_not1_saveexec_b32 s42, s42
; %bb.33:                               ;   in Loop: Header=BB623_4 Depth=1
	v_and_b32_e32 v9, 0xffff, v8
	v_or_b32_e32 v10, 0x10000, v8
	s_delay_alu instid0(VALU_DEP_2) | instskip(NEXT) | instid1(VALU_DEP_2)
	v_cmp_eq_u32_e32 vcc_lo, 0, v9
	v_cndmask_b32_e32 v9, v10, v8, vcc_lo
; %bb.34:                               ;   in Loop: Header=BB623_4 Depth=1
	s_or_b32 exec_lo, exec_lo, s42
	s_delay_alu instid0(VALU_DEP_1) | instskip(NEXT) | instid1(VALU_DEP_1)
	v_and_b32_e32 v8, 0xffff0000, v9
	v_add_f32_e32 v18, v18, v8
.LBB623_35:                             ;   in Loop: Header=BB623_4 Depth=1
	s_or_b32 exec_lo, exec_lo, s41
	ds_store_b32 v17, v18
	s_wait_dscnt 0x0
	s_barrier_signal -1
	s_barrier_wait -1
	s_and_saveexec_b32 s41, s2
	s_cbranch_execz .LBB623_37
; %bb.36:                               ;   in Loop: Header=BB623_4 Depth=1
	ds_load_2addr_stride64_b32 v[8:9], v17 offset1:2
	s_wait_dscnt 0x0
	v_add_f32_e32 v8, v9, v8
	ds_store_b32 v17, v8
.LBB623_37:                             ;   in Loop: Header=BB623_4 Depth=1
	s_or_b32 exec_lo, exec_lo, s41
	s_wait_dscnt 0x0
	s_barrier_signal -1
	s_barrier_wait -1
	s_and_saveexec_b32 s41, s3
	s_cbranch_execz .LBB623_39
; %bb.38:                               ;   in Loop: Header=BB623_4 Depth=1
	ds_load_2addr_stride64_b32 v[8:9], v17 offset1:1
	s_wait_dscnt 0x0
	v_add_f32_e32 v8, v9, v8
	ds_store_b32 v17, v8
.LBB623_39:                             ;   in Loop: Header=BB623_4 Depth=1
	s_or_b32 exec_lo, exec_lo, s41
	s_wait_dscnt 0x0
	s_barrier_signal -1
	s_barrier_wait -1
	s_and_saveexec_b32 s41, s4
	s_cbranch_execz .LBB623_41
; %bb.40:                               ;   in Loop: Header=BB623_4 Depth=1
	ds_load_2addr_b32 v[8:9], v17 offset1:32
	s_wait_dscnt 0x0
	v_add_f32_e32 v8, v9, v8
	ds_store_b32 v17, v8
.LBB623_41:                             ;   in Loop: Header=BB623_4 Depth=1
	s_or_b32 exec_lo, exec_lo, s41
	s_wait_dscnt 0x0
	s_barrier_signal -1
	s_barrier_wait -1
	s_and_saveexec_b32 s41, s5
	s_cbranch_execz .LBB623_43
; %bb.42:                               ;   in Loop: Header=BB623_4 Depth=1
	ds_load_2addr_b32 v[8:9], v17 offset1:16
	s_wait_dscnt 0x0
	v_add_f32_e32 v8, v9, v8
	ds_store_b32 v17, v8
.LBB623_43:                             ;   in Loop: Header=BB623_4 Depth=1
	;; [unrolled: 12-line block ×5, first 2 shown]
	s_or_b32 exec_lo, exec_lo, s41
	s_wait_dscnt 0x0
	s_barrier_signal -1
	s_barrier_wait -1
	s_and_saveexec_b32 s41, s0
	s_cbranch_execz .LBB623_51
; %bb.50:                               ;   in Loop: Header=BB623_4 Depth=1
	ds_load_b64 v[8:9], v1
	s_wait_dscnt 0x0
	v_add_f32_e32 v8, v9, v8
	ds_store_b32 v1, v8
.LBB623_51:                             ;   in Loop: Header=BB623_4 Depth=1
	s_or_b32 exec_lo, exec_lo, s41
	s_wait_dscnt 0x0
	s_barrier_signal -1
	s_barrier_wait -1
                                        ; implicit-def: $vgpr12
	s_and_saveexec_b32 s41, s0
	s_cbranch_execz .LBB623_69
; %bb.52:                               ;   in Loop: Header=BB623_4 Depth=1
	ds_load_b32 v8, v1
	s_and_b32 vcc_lo, exec_lo, s38
	s_mov_b32 s44, -1
                                        ; implicit-def: $sgpr43
	s_wait_dscnt 0x0
	v_readfirstlane_b32 s42, v8
	s_mul_f32 s42, s33, s42
	s_cbranch_vccz .LBB623_58
; %bb.53:                               ;   in Loop: Header=BB623_4 Depth=1
	s_delay_alu instid0(SALU_CYCLE_2) | instskip(NEXT) | instid1(SALU_CYCLE_1)
	s_and_b32 s43, s42, 0x7f800000
	s_cmp_eq_u32 s43, 0x7f800000
                                        ; implicit-def: $sgpr43
	s_cbranch_scc1 .LBB623_55
; %bb.54:                               ;   in Loop: Header=BB623_4 Depth=1
	s_bfe_u32 s43, s42, 0x10010
	s_mov_b32 s44, 0
	s_add_co_i32 s43, s42, s43
	s_delay_alu instid0(SALU_CYCLE_1)
	s_addk_co_i32 s43, 0x7fff
.LBB623_55:                             ;   in Loop: Header=BB623_4 Depth=1
	s_and_not1_b32 vcc_lo, exec_lo, s44
	s_cbranch_vccnz .LBB623_57
; %bb.56:                               ;   in Loop: Header=BB623_4 Depth=1
	s_and_b32 s43, s42, 0xffff
	s_or_b32 s44, s42, 0x10000
	s_cmp_eq_u32 s43, 0
	s_cselect_b32 s43, s42, s44
.LBB623_57:                             ;   in Loop: Header=BB623_4 Depth=1
	s_mov_b32 s44, 0
.LBB623_58:                             ;   in Loop: Header=BB623_4 Depth=1
	v_mov_b32_e32 v8, s43
	s_and_not1_b32 vcc_lo, exec_lo, s44
	s_cbranch_vccnz .LBB623_68
; %bb.59:                               ;   in Loop: Header=BB623_4 Depth=1
	v_add_nc_u64_e32 v[8:9], s[30:31], v[6:7]
	flat_load_u16 v8, v[8:9]
	s_wait_loadcnt_dscnt 0x0
	s_wait_xcnt 0x0
	v_lshlrev_b32_e32 v8, 16, v8
	s_delay_alu instid0(VALU_DEP_1) | instskip(NEXT) | instid1(VALU_DEP_1)
	v_mul_f32_e32 v8, s34, v8
	v_and_b32_e32 v9, 0x7f800000, v8
	s_delay_alu instid0(VALU_DEP_1) | instskip(SKIP_1) | instid1(SALU_CYCLE_1)
	v_cmp_ne_u32_e32 vcc_lo, 0x7f800000, v9
                                        ; implicit-def: $vgpr9
	s_and_saveexec_b32 s43, vcc_lo
	s_xor_b32 s43, exec_lo, s43
; %bb.60:                               ;   in Loop: Header=BB623_4 Depth=1
	v_bfe_u32 v9, v8, 16, 1
	s_delay_alu instid0(VALU_DEP_1)
	v_add3_u32 v9, v8, v9, 0x7fff
                                        ; implicit-def: $vgpr8
; %bb.61:                               ;   in Loop: Header=BB623_4 Depth=1
	s_and_not1_saveexec_b32 s43, s43
; %bb.62:                               ;   in Loop: Header=BB623_4 Depth=1
	v_and_b32_e32 v9, 0xffff, v8
	v_or_b32_e32 v10, 0x10000, v8
	s_delay_alu instid0(VALU_DEP_2) | instskip(NEXT) | instid1(VALU_DEP_2)
	v_cmp_eq_u32_e32 vcc_lo, 0, v9
	v_cndmask_b32_e32 v9, v10, v8, vcc_lo
; %bb.63:                               ;   in Loop: Header=BB623_4 Depth=1
	s_or_b32 exec_lo, exec_lo, s43
	s_delay_alu instid0(VALU_DEP_1) | instskip(NEXT) | instid1(VALU_DEP_1)
	v_and_b32_e32 v8, 0xffff0000, v9
	v_add_f32_e32 v9, s42, v8
	s_delay_alu instid0(VALU_DEP_1) | instskip(NEXT) | instid1(VALU_DEP_1)
	v_and_b32_e32 v8, 0x7f800000, v9
	v_cmp_ne_u32_e32 vcc_lo, 0x7f800000, v8
                                        ; implicit-def: $vgpr8
	s_and_saveexec_b32 s42, vcc_lo
	s_delay_alu instid0(SALU_CYCLE_1)
	s_xor_b32 s42, exec_lo, s42
; %bb.64:                               ;   in Loop: Header=BB623_4 Depth=1
	v_bfe_u32 v8, v9, 16, 1
	s_delay_alu instid0(VALU_DEP_1)
	v_add3_u32 v8, v9, v8, 0x7fff
                                        ; implicit-def: $vgpr9
; %bb.65:                               ;   in Loop: Header=BB623_4 Depth=1
	s_and_not1_saveexec_b32 s42, s42
; %bb.66:                               ;   in Loop: Header=BB623_4 Depth=1
	v_and_b32_e32 v8, 0xffff, v9
	v_or_b32_e32 v10, 0x10000, v9
	s_delay_alu instid0(VALU_DEP_2) | instskip(NEXT) | instid1(VALU_DEP_2)
	v_cmp_eq_u32_e32 vcc_lo, 0, v8
	v_cndmask_b32_e32 v8, v10, v9, vcc_lo
; %bb.67:                               ;   in Loop: Header=BB623_4 Depth=1
	s_or_b32 exec_lo, exec_lo, s42
.LBB623_68:                             ;   in Loop: Header=BB623_4 Depth=1
	s_delay_alu instid0(VALU_DEP_1)
	v_lshrrev_b32_e32 v12, 16, v8
	s_or_b32 s40, s40, exec_lo
.LBB623_69:                             ;   in Loop: Header=BB623_4 Depth=1
	s_or_b32 exec_lo, exec_lo, s41
.LBB623_70:                             ;   in Loop: Header=BB623_4 Depth=1
	s_and_saveexec_b32 s41, s40
	s_cbranch_execz .LBB623_2
; %bb.71:                               ;   in Loop: Header=BB623_4 Depth=1
	v_add_nc_u64_e32 v[6:7], s[30:31], v[6:7]
	flat_store_b16 v[6:7], v12
	s_branch .LBB623_2
.LBB623_72:
	s_endpgm
	.section	.rodata,"a",@progbits
	.p2align	6, 0x0
	.amdhsa_kernel _ZL20rocblas_gemvt_kernelILb1ELi256EPK16rocblas_bfloat16fKPS0_EviiT2_lPKT1_lilS8_lilS5_lPT3_lili
		.amdhsa_group_segment_fixed_size 1024
		.amdhsa_private_segment_fixed_size 0
		.amdhsa_kernarg_size 140
		.amdhsa_user_sgpr_count 2
		.amdhsa_user_sgpr_dispatch_ptr 0
		.amdhsa_user_sgpr_queue_ptr 0
		.amdhsa_user_sgpr_kernarg_segment_ptr 1
		.amdhsa_user_sgpr_dispatch_id 0
		.amdhsa_user_sgpr_kernarg_preload_length 0
		.amdhsa_user_sgpr_kernarg_preload_offset 0
		.amdhsa_user_sgpr_private_segment_size 0
		.amdhsa_wavefront_size32 1
		.amdhsa_uses_dynamic_stack 0
		.amdhsa_enable_private_segment 0
		.amdhsa_system_sgpr_workgroup_id_x 1
		.amdhsa_system_sgpr_workgroup_id_y 0
		.amdhsa_system_sgpr_workgroup_id_z 1
		.amdhsa_system_sgpr_workgroup_info 0
		.amdhsa_system_vgpr_workitem_id 0
		.amdhsa_next_free_vgpr 22
		.amdhsa_next_free_sgpr 45
		.amdhsa_named_barrier_count 0
		.amdhsa_reserve_vcc 1
		.amdhsa_float_round_mode_32 0
		.amdhsa_float_round_mode_16_64 0
		.amdhsa_float_denorm_mode_32 3
		.amdhsa_float_denorm_mode_16_64 3
		.amdhsa_fp16_overflow 0
		.amdhsa_memory_ordered 1
		.amdhsa_forward_progress 1
		.amdhsa_inst_pref_size 17
		.amdhsa_round_robin_scheduling 0
		.amdhsa_exception_fp_ieee_invalid_op 0
		.amdhsa_exception_fp_denorm_src 0
		.amdhsa_exception_fp_ieee_div_zero 0
		.amdhsa_exception_fp_ieee_overflow 0
		.amdhsa_exception_fp_ieee_underflow 0
		.amdhsa_exception_fp_ieee_inexact 0
		.amdhsa_exception_int_div_zero 0
	.end_amdhsa_kernel
	.section	.text._ZL20rocblas_gemvt_kernelILb1ELi256EPK16rocblas_bfloat16fKPS0_EviiT2_lPKT1_lilS8_lilS5_lPT3_lili,"axG",@progbits,_ZL20rocblas_gemvt_kernelILb1ELi256EPK16rocblas_bfloat16fKPS0_EviiT2_lPKT1_lilS8_lilS5_lPT3_lili,comdat
.Lfunc_end623:
	.size	_ZL20rocblas_gemvt_kernelILb1ELi256EPK16rocblas_bfloat16fKPS0_EviiT2_lPKT1_lilS8_lilS5_lPT3_lili, .Lfunc_end623-_ZL20rocblas_gemvt_kernelILb1ELi256EPK16rocblas_bfloat16fKPS0_EviiT2_lPKT1_lilS8_lilS5_lPT3_lili
                                        ; -- End function
	.set _ZL20rocblas_gemvt_kernelILb1ELi256EPK16rocblas_bfloat16fKPS0_EviiT2_lPKT1_lilS8_lilS5_lPT3_lili.num_vgpr, 22
	.set _ZL20rocblas_gemvt_kernelILb1ELi256EPK16rocblas_bfloat16fKPS0_EviiT2_lPKT1_lilS8_lilS5_lPT3_lili.num_agpr, 0
	.set _ZL20rocblas_gemvt_kernelILb1ELi256EPK16rocblas_bfloat16fKPS0_EviiT2_lPKT1_lilS8_lilS5_lPT3_lili.numbered_sgpr, 45
	.set _ZL20rocblas_gemvt_kernelILb1ELi256EPK16rocblas_bfloat16fKPS0_EviiT2_lPKT1_lilS8_lilS5_lPT3_lili.num_named_barrier, 0
	.set _ZL20rocblas_gemvt_kernelILb1ELi256EPK16rocblas_bfloat16fKPS0_EviiT2_lPKT1_lilS8_lilS5_lPT3_lili.private_seg_size, 0
	.set _ZL20rocblas_gemvt_kernelILb1ELi256EPK16rocblas_bfloat16fKPS0_EviiT2_lPKT1_lilS8_lilS5_lPT3_lili.uses_vcc, 1
	.set _ZL20rocblas_gemvt_kernelILb1ELi256EPK16rocblas_bfloat16fKPS0_EviiT2_lPKT1_lilS8_lilS5_lPT3_lili.uses_flat_scratch, 0
	.set _ZL20rocblas_gemvt_kernelILb1ELi256EPK16rocblas_bfloat16fKPS0_EviiT2_lPKT1_lilS8_lilS5_lPT3_lili.has_dyn_sized_stack, 0
	.set _ZL20rocblas_gemvt_kernelILb1ELi256EPK16rocblas_bfloat16fKPS0_EviiT2_lPKT1_lilS8_lilS5_lPT3_lili.has_recursion, 0
	.set _ZL20rocblas_gemvt_kernelILb1ELi256EPK16rocblas_bfloat16fKPS0_EviiT2_lPKT1_lilS8_lilS5_lPT3_lili.has_indirect_call, 0
	.section	.AMDGPU.csdata,"",@progbits
; Kernel info:
; codeLenInByte = 2132
; TotalNumSgprs: 47
; NumVgprs: 22
; ScratchSize: 0
; MemoryBound: 0
; FloatMode: 240
; IeeeMode: 1
; LDSByteSize: 1024 bytes/workgroup (compile time only)
; SGPRBlocks: 0
; VGPRBlocks: 1
; NumSGPRsForWavesPerEU: 47
; NumVGPRsForWavesPerEU: 22
; NamedBarCnt: 0
; Occupancy: 16
; WaveLimiterHint : 1
; COMPUTE_PGM_RSRC2:SCRATCH_EN: 0
; COMPUTE_PGM_RSRC2:USER_SGPR: 2
; COMPUTE_PGM_RSRC2:TRAP_HANDLER: 0
; COMPUTE_PGM_RSRC2:TGID_X_EN: 1
; COMPUTE_PGM_RSRC2:TGID_Y_EN: 0
; COMPUTE_PGM_RSRC2:TGID_Z_EN: 1
; COMPUTE_PGM_RSRC2:TIDIG_COMP_CNT: 0
	.section	.text._ZL32rocblas_gemvt_warp_reduce_kernelILb1ELi1024EiPK16rocblas_bfloat16PKfKPS0_EviiT3_lPKT2_lT1_lSA_lSB_lS7_lPT4_lSB_li,"axG",@progbits,_ZL32rocblas_gemvt_warp_reduce_kernelILb1ELi1024EiPK16rocblas_bfloat16PKfKPS0_EviiT3_lPKT2_lT1_lSA_lSB_lS7_lPT4_lSB_li,comdat
	.globl	_ZL32rocblas_gemvt_warp_reduce_kernelILb1ELi1024EiPK16rocblas_bfloat16PKfKPS0_EviiT3_lPKT2_lT1_lSA_lSB_lS7_lPT4_lSB_li ; -- Begin function _ZL32rocblas_gemvt_warp_reduce_kernelILb1ELi1024EiPK16rocblas_bfloat16PKfKPS0_EviiT3_lPKT2_lT1_lSA_lSB_lS7_lPT4_lSB_li
	.p2align	8
	.type	_ZL32rocblas_gemvt_warp_reduce_kernelILb1ELi1024EiPK16rocblas_bfloat16PKfKPS0_EviiT3_lPKT2_lT1_lSA_lSB_lS7_lPT4_lSB_li,@function
_ZL32rocblas_gemvt_warp_reduce_kernelILb1ELi1024EiPK16rocblas_bfloat16PKfKPS0_EviiT3_lPKT2_lT1_lSA_lSB_lS7_lPT4_lSB_li: ; @_ZL32rocblas_gemvt_warp_reduce_kernelILb1ELi1024EiPK16rocblas_bfloat16PKfKPS0_EviiT3_lPKT2_lT1_lSA_lSB_lS7_lPT4_lSB_li
; %bb.0:
	s_load_b32 s7, s[0:1], 0x88
	s_bfe_u32 s2, ttmp6, 0x40014
	s_lshr_b32 s3, ttmp7, 16
	s_add_co_i32 s2, s2, 1
	s_bfe_u32 s5, ttmp6, 0x40008
	s_mul_i32 s4, s3, s2
	s_getreg_b32 s2, hwreg(HW_REG_IB_STS2, 6, 4)
	s_add_co_i32 s5, s5, s4
	s_cmp_eq_u32 s2, 0
	s_mov_b32 s29, 0
	s_cselect_b32 s28, s3, s5
	s_wait_kmcnt 0x0
	s_cmp_ge_u32 s28, s7
	s_cbranch_scc1 .LBB624_63
; %bb.1:
	s_clause 0x6
	s_load_b32 s4, s[0:1], 0x0
	s_load_b256 s[8:15], s[0:1], 0x8
	s_load_b32 s3, s[0:1], 0x28
	s_load_b128 s[24:27], s[0:1], 0x38
	s_load_b32 s5, s[0:1], 0x48
	s_load_b256 s[16:23], s[0:1], 0x58
	s_load_b32 s6, s[0:1], 0x78
	s_wait_xcnt 0x0
	s_bfe_u32 s1, ttmp6, 0x4000c
	s_and_b32 s30, ttmp6, 15
	s_add_co_i32 s1, s1, 1
	v_dual_mov_b32 v3, 0 :: v_dual_bitop2_b32 v2, 31, v0 bitop3:0x40
	s_mul_i32 s1, ttmp9, s1
	v_lshrrev_b32_e32 v4, 3, v0
	s_add_co_i32 s30, s30, s1
	s_cmp_eq_u32 s2, 0
	v_lshlrev_b32_e32 v14, 2, v2
	s_cselect_b32 s31, ttmp9, s30
	v_and_b32_e32 v15, 0x7c, v4
	v_mbcnt_lo_u32_b32 v1, -1, 0
	s_wait_kmcnt 0x0
	s_ashr_i32 s2, s4, 31
	v_cmp_gt_i32_e32 vcc_lo, s4, v0
	s_lshr_b32 s2, s2, 22
	v_cmp_eq_u32_e64 s0, 0, v0
	s_add_co_i32 s2, s4, s2
	v_mul_lo_u32 v16, v0, s5
	s_and_b32 s30, s2, 0xfffffc00
	v_cmp_eq_u32_e64 s2, 0, v2
	v_dual_cndmask_b32 v2, 0, v0, vcc_lo :: v_dual_bitop2_b32 v5, s30, v0 bitop3:0x54
	s_mul_i32 s36, s6, s31
	v_cmp_gt_u32_e64 s1, 32, v0
	s_mul_i32 s34, s3, s31
	v_mul_lo_u32 v4, s5, v5
	v_lshlrev_b32_e32 v2, 1, v2
	v_cmp_gt_i32_e64 s3, s30, v0
	v_cmp_gt_i32_e64 s4, s4, v5
	v_lshl_or_b32 v17, v1, 2, 64
	s_ashr_i32 s37, s36, 31
	s_lshl_b32 s33, s5, 10
	s_lshl_b64 s[14:15], s[14:15], 1
	s_ashr_i32 s35, s34, 31
	s_ashr_i32 s31, s30, 31
	s_lshl_b64 s[26:27], s[26:27], 1
	v_ashrrev_i32_e32 v5, 31, v4
	s_lshl_b64 s[22:23], s[22:23], 1
	s_lshl_b64 s[36:37], s[36:37], 1
	s_branch .LBB624_4
.LBB624_2:                              ;   in Loop: Header=BB624_4 Depth=1
	s_wait_xcnt 0x0
	s_or_b32 exec_lo, exec_lo, s6
.LBB624_3:                              ;   in Loop: Header=BB624_4 Depth=1
	s_add_co_i32 s28, s28, 0x10000
	s_delay_alu instid0(SALU_CYCLE_1)
	s_cmp_lt_u32 s28, s7
	s_cbranch_scc0 .LBB624_63
.LBB624_4:                              ; =>This Loop Header: Depth=1
                                        ;     Child Loop BB624_31 Depth 2
	s_mul_u64 s[38:39], s[10:11], s[28:29]
	s_wait_xcnt 0x0
	s_mul_u64 s[40:41], s[18:19], s[28:29]
	s_lshl_b64 s[38:39], s[38:39], 2
	s_lshl_b64 s[40:41], s[40:41], 2
	s_add_nc_u64 s[38:39], s[8:9], s[38:39]
	s_add_nc_u64 s[40:41], s[16:17], s[40:41]
	s_clause 0x1
	global_load_b32 v18, v3, s[38:39]
	global_load_b32 v6, v3, s[40:41]
	s_wait_loadcnt 0x1
	v_cmp_eq_f32_e64 s5, 0, v18
	s_wait_loadcnt 0x0
	v_cmp_eq_f32_e32 vcc_lo, 1.0, v6
	s_wait_xcnt 0x1
	v_readfirstlane_b32 s38, v6
	s_and_b32 s6, s5, vcc_lo
	s_delay_alu instid0(SALU_CYCLE_1)
	s_and_b32 vcc_lo, exec_lo, s6
	s_cbranch_vccnz .LBB624_3
; %bb.5:                                ;   in Loop: Header=BB624_4 Depth=1
	v_mov_b64_e32 v[8:9], 0
	v_mov_b64_e32 v[10:11], 0
	v_cmp_neq_f32_e64 s6, 0, v18
	s_and_b32 vcc_lo, exec_lo, s5
	s_cbranch_vccnz .LBB624_7
; %bb.6:                                ;   in Loop: Header=BB624_4 Depth=1
	s_wait_xcnt 0x0
	s_lshl_b64 s[40:41], s[28:29], 3
	s_delay_alu instid0(SALU_CYCLE_1)
	s_add_nc_u64 s[40:41], s[12:13], s[40:41]
	global_load_b64 v[6:7], v3, s[40:41]
	s_wait_loadcnt 0x0
	v_add_nc_u64_e32 v[10:11], s[14:15], v[6:7]
.LBB624_7:                              ;   in Loop: Header=BB624_4 Depth=1
	s_and_not1_b32 vcc_lo, exec_lo, s6
	s_cbranch_vccnz .LBB624_9
; %bb.8:                                ;   in Loop: Header=BB624_4 Depth=1
	s_wait_xcnt 0x0
	s_lshl_b64 s[40:41], s[28:29], 3
	s_delay_alu instid0(SALU_CYCLE_1)
	s_add_nc_u64 s[40:41], s[24:25], s[40:41]
	global_load_b64 v[6:7], v3, s[40:41]
	s_wait_loadcnt 0x0
	v_add_nc_u64_e32 v[8:9], s[26:27], v[6:7]
.LBB624_9:                              ;   in Loop: Header=BB624_4 Depth=1
	s_wait_xcnt 0x0
	s_lshl_b64 s[40:41], s[28:29], 3
	s_and_not1_b32 vcc_lo, exec_lo, s5
	s_add_nc_u64 s[40:41], s[20:21], s[40:41]
	global_load_b64 v[6:7], v3, s[40:41]
	s_wait_loadcnt 0x0
	v_add_nc_u64_e32 v[6:7], s[22:23], v[6:7]
	s_cbranch_vccnz .LBB624_17
; %bb.10:                               ;   in Loop: Header=BB624_4 Depth=1
	s_mov_b32 s6, 0
	s_mov_b32 s5, 0
                                        ; implicit-def: $vgpr12
	s_wait_xcnt 0x0
	s_and_saveexec_b32 s39, s0
	s_cbranch_execz .LBB624_18
; %bb.11:                               ;   in Loop: Header=BB624_4 Depth=1
	s_cmp_eq_f32 s38, 0
	s_cbranch_scc1 .LBB624_19
; %bb.12:                               ;   in Loop: Header=BB624_4 Depth=1
	s_wait_dscnt 0x0
	v_add_nc_u64_e32 v[12:13], s[36:37], v[6:7]
	flat_load_u16 v12, v[12:13]
	s_wait_loadcnt_dscnt 0x0
	s_wait_xcnt 0x0
	v_lshlrev_b32_e32 v12, 16, v12
	s_delay_alu instid0(VALU_DEP_1) | instskip(NEXT) | instid1(VALU_DEP_1)
	v_mul_f32_e32 v12, s38, v12
	v_and_b32_e32 v13, 0x7f800000, v12
	s_delay_alu instid0(VALU_DEP_1) | instskip(SKIP_1) | instid1(SALU_CYCLE_1)
	v_cmp_ne_u32_e32 vcc_lo, 0x7f800000, v13
                                        ; implicit-def: $vgpr13
	s_and_saveexec_b32 s5, vcc_lo
	s_xor_b32 s5, exec_lo, s5
; %bb.13:                               ;   in Loop: Header=BB624_4 Depth=1
	v_bfe_u32 v13, v12, 16, 1
	s_delay_alu instid0(VALU_DEP_1)
	v_add3_u32 v13, v12, v13, 0x7fff
                                        ; implicit-def: $vgpr12
; %bb.14:                               ;   in Loop: Header=BB624_4 Depth=1
	s_and_not1_saveexec_b32 s5, s5
; %bb.15:                               ;   in Loop: Header=BB624_4 Depth=1
	v_and_b32_e32 v13, 0xffff, v12
	v_or_b32_e32 v19, 0x10000, v12
	s_delay_alu instid0(VALU_DEP_2) | instskip(NEXT) | instid1(VALU_DEP_2)
	v_cmp_eq_u32_e32 vcc_lo, 0, v13
	v_cndmask_b32_e32 v13, v19, v12, vcc_lo
; %bb.16:                               ;   in Loop: Header=BB624_4 Depth=1
	s_or_b32 exec_lo, exec_lo, s5
	s_delay_alu instid0(VALU_DEP_1) | instskip(SKIP_2) | instid1(SALU_CYCLE_1)
	v_lshrrev_b32_e32 v12, 16, v13
	s_mov_b32 s5, exec_lo
	s_or_b32 exec_lo, exec_lo, s39
	s_and_b32 vcc_lo, exec_lo, s6
	s_cbranch_vccnz .LBB624_20
	s_branch .LBB624_61
.LBB624_17:                             ;   in Loop: Header=BB624_4 Depth=1
	s_mov_b32 s5, 0
                                        ; implicit-def: $vgpr12
	s_cbranch_execnz .LBB624_20
	s_branch .LBB624_61
.LBB624_18:                             ;   in Loop: Header=BB624_4 Depth=1
	s_or_b32 exec_lo, exec_lo, s39
	s_delay_alu instid0(SALU_CYCLE_1)
	s_and_b32 vcc_lo, exec_lo, s6
	s_cbranch_vccnz .LBB624_20
	s_branch .LBB624_61
.LBB624_19:                             ;   in Loop: Header=BB624_4 Depth=1
	v_mov_b32_e32 v12, 0
	s_mov_b32 s5, exec_lo
	s_or_b32 exec_lo, exec_lo, s39
	s_delay_alu instid0(SALU_CYCLE_1)
	s_and_b32 vcc_lo, exec_lo, s6
	s_cbranch_vccz .LBB624_61
.LBB624_20:                             ;   in Loop: Header=BB624_4 Depth=1
	v_add_nc_u64_e32 v[10:11], v[10:11], v[2:3]
	v_mov_b32_e32 v19, 0
	s_delay_alu instid0(VALU_DEP_2)
	v_lshl_add_u64 v[10:11], s[34:35], 1, v[10:11]
	s_wait_xcnt 0x0
	s_and_saveexec_b32 s6, s3
	s_cbranch_execnz .LBB624_29
; %bb.21:                               ;   in Loop: Header=BB624_4 Depth=1
	s_or_b32 exec_lo, exec_lo, s6
	s_and_saveexec_b32 s6, s4
	s_cbranch_execnz .LBB624_44
.LBB624_22:                             ;   in Loop: Header=BB624_4 Depth=1
	s_or_b32 exec_lo, exec_lo, s6
	s_and_saveexec_b32 s6, s1
.LBB624_23:                             ;   in Loop: Header=BB624_4 Depth=1
	ds_store_b32 v14, v3
.LBB624_24:                             ;   in Loop: Header=BB624_4 Depth=1
	s_or_b32 exec_lo, exec_lo, s6
	ds_bpermute_b32 v9, v17, v19
	v_cmp_gt_u32_e32 vcc_lo, 24, v1
	s_wait_dscnt 0x0
	s_barrier_signal -1
	s_barrier_wait -1
	v_cndmask_b32_e64 v8, 0, 8, vcc_lo
	v_cmp_gt_u32_e32 vcc_lo, 28, v1
	s_delay_alu instid0(VALU_DEP_2)
	v_add_lshl_u32 v8, v8, v1, 2
	v_add_f32_e32 v10, v19, v9
	v_cndmask_b32_e64 v9, 0, 4, vcc_lo
	v_cmp_gt_u32_e32 vcc_lo, 30, v1
	ds_bpermute_b32 v11, v8, v10
	v_add_lshl_u32 v9, v9, v1, 2
	s_wait_dscnt 0x0
	v_add_f32_e32 v11, v10, v11
	v_cndmask_b32_e64 v10, 0, 2, vcc_lo
	v_cmp_ne_u32_e32 vcc_lo, 31, v1
	ds_bpermute_b32 v12, v9, v11
	v_add_lshl_u32 v10, v10, v1, 2
	v_add_co_ci_u32_e64 v13, null, 0, v1, vcc_lo
	s_wait_dscnt 0x0
	v_add_f32_e32 v11, v11, v12
	ds_bpermute_b32 v12, v10, v11
	s_wait_dscnt 0x0
	v_dual_add_f32 v12, v11, v12 :: v_dual_lshlrev_b32 v11, 2, v13
	ds_bpermute_b32 v13, v11, v12
	s_and_saveexec_b32 s6, s2
	s_cbranch_execz .LBB624_26
; %bb.25:                               ;   in Loop: Header=BB624_4 Depth=1
	s_wait_dscnt 0x0
	v_add_f32_e32 v12, v12, v13
	ds_store_b32 v15, v12
.LBB624_26:                             ;   in Loop: Header=BB624_4 Depth=1
	s_or_b32 exec_lo, exec_lo, s6
	s_wait_dscnt 0x0
	v_mov_b32_e32 v13, 0
	s_barrier_signal -1
	s_barrier_wait -1
	s_and_saveexec_b32 s6, s1
	s_cbranch_execnz .LBB624_35
; %bb.27:                               ;   in Loop: Header=BB624_4 Depth=1
	s_or_b32 exec_lo, exec_lo, s6
	s_and_saveexec_b32 s6, s1
	s_cbranch_execnz .LBB624_36
.LBB624_28:                             ;   in Loop: Header=BB624_4 Depth=1
	s_or_b32 exec_lo, exec_lo, s6
                                        ; implicit-def: $vgpr12
	s_and_saveexec_b32 s6, s0
	s_cbranch_execnz .LBB624_37
	s_branch .LBB624_60
.LBB624_29:                             ;   in Loop: Header=BB624_4 Depth=1
	s_wait_dscnt 0x0
	v_mov_b64_e32 v[12:13], v[10:11]
	v_dual_mov_b32 v19, 0 :: v_dual_mov_b32 v20, v0
	v_mov_b32_e32 v21, v16
	s_mov_b32 s39, 0
	s_branch .LBB624_31
.LBB624_30:                             ;   in Loop: Header=BB624_31 Depth=2
	s_or_b32 exec_lo, exec_lo, s40
	s_delay_alu instid0(VALU_DEP_1) | instskip(SKIP_2) | instid1(VALU_DEP_3)
	v_and_b32_e32 v22, 0xffff0000, v22
	v_add_nc_u32_e32 v20, 0x400, v20
	v_add_nc_u64_e32 v[12:13], 0x800, v[12:13]
	v_dual_add_nc_u32 v21, s33, v21 :: v_dual_add_f32 v19, v19, v22
	s_delay_alu instid0(VALU_DEP_3) | instskip(SKIP_1) | instid1(SALU_CYCLE_1)
	v_cmp_le_i32_e32 vcc_lo, s30, v20
	s_or_b32 s39, vcc_lo, s39
	s_and_not1_b32 exec_lo, exec_lo, s39
	s_cbranch_execz .LBB624_43
.LBB624_31:                             ;   Parent Loop BB624_4 Depth=1
                                        ; =>  This Inner Loop Header: Depth=2
	v_readfirstlane_b32 s40, v8
	v_readfirstlane_b32 s41, v9
	flat_load_u16 v22, v[12:13]
	flat_load_u16 v23, v21, s[40:41] scale_offset
	s_wait_loadcnt_dscnt 0x0
	v_dual_lshlrev_b32 v22, 16, v22 :: v_dual_lshlrev_b32 v23, 16, v23
	s_delay_alu instid0(VALU_DEP_1) | instskip(NEXT) | instid1(VALU_DEP_1)
	v_mul_f32_e32 v23, v23, v22
	v_and_b32_e32 v22, 0x7f800000, v23
	s_delay_alu instid0(VALU_DEP_1) | instskip(SKIP_2) | instid1(SALU_CYCLE_1)
	v_cmp_ne_u32_e32 vcc_lo, 0x7f800000, v22
                                        ; implicit-def: $vgpr22
	s_wait_xcnt 0x0
	s_and_saveexec_b32 s40, vcc_lo
	s_xor_b32 s40, exec_lo, s40
; %bb.32:                               ;   in Loop: Header=BB624_31 Depth=2
	v_bfe_u32 v22, v23, 16, 1
	s_delay_alu instid0(VALU_DEP_1)
	v_add3_u32 v22, v23, v22, 0x7fff
                                        ; implicit-def: $vgpr23
; %bb.33:                               ;   in Loop: Header=BB624_31 Depth=2
	s_and_not1_saveexec_b32 s40, s40
	s_cbranch_execz .LBB624_30
; %bb.34:                               ;   in Loop: Header=BB624_31 Depth=2
	v_and_b32_e32 v22, 0xffff, v23
	v_or_b32_e32 v24, 0x10000, v23
	s_delay_alu instid0(VALU_DEP_2) | instskip(NEXT) | instid1(VALU_DEP_2)
	v_cmp_eq_u32_e32 vcc_lo, 0, v22
	v_cndmask_b32_e32 v22, v24, v23, vcc_lo
	s_branch .LBB624_30
.LBB624_35:                             ;   in Loop: Header=BB624_4 Depth=1
	ds_load_b32 v13, v14
	s_or_b32 exec_lo, exec_lo, s6
	s_and_saveexec_b32 s6, s1
	s_cbranch_execz .LBB624_28
.LBB624_36:                             ;   in Loop: Header=BB624_4 Depth=1
	s_wait_dscnt 0x0
	ds_bpermute_b32 v12, v17, v13
	s_wait_dscnt 0x0
	v_add_f32_e32 v12, v13, v12
	ds_bpermute_b32 v8, v8, v12
	s_wait_dscnt 0x0
	v_add_f32_e32 v8, v12, v8
	;; [unrolled: 3-line block ×5, first 2 shown]
	s_or_b32 exec_lo, exec_lo, s6
                                        ; implicit-def: $vgpr12
	s_and_saveexec_b32 s6, s0
	s_cbranch_execz .LBB624_60
.LBB624_37:                             ;   in Loop: Header=BB624_4 Depth=1
	s_wait_dscnt 0x0
	v_mul_f32_e32 v8, v18, v13
	s_cmp_eq_f32 s38, 0
	s_cbranch_scc0 .LBB624_49
; %bb.38:                               ;   in Loop: Header=BB624_4 Depth=1
	s_delay_alu instid0(VALU_DEP_1) | instskip(NEXT) | instid1(VALU_DEP_1)
	v_and_b32_e32 v9, 0x7f800000, v8
	v_cmp_ne_u32_e32 vcc_lo, 0x7f800000, v9
                                        ; implicit-def: $vgpr9
	s_and_saveexec_b32 s39, vcc_lo
	s_delay_alu instid0(SALU_CYCLE_1)
	s_xor_b32 s39, exec_lo, s39
; %bb.39:                               ;   in Loop: Header=BB624_4 Depth=1
	v_bfe_u32 v9, v8, 16, 1
	s_delay_alu instid0(VALU_DEP_1)
	v_add3_u32 v9, v8, v9, 0x7fff
; %bb.40:                               ;   in Loop: Header=BB624_4 Depth=1
	s_and_not1_saveexec_b32 s39, s39
; %bb.41:                               ;   in Loop: Header=BB624_4 Depth=1
	v_and_b32_e32 v9, 0xffff, v8
	v_or_b32_e32 v10, 0x10000, v8
	s_delay_alu instid0(VALU_DEP_2) | instskip(NEXT) | instid1(VALU_DEP_2)
	v_cmp_eq_u32_e32 vcc_lo, 0, v9
	v_cndmask_b32_e32 v9, v10, v8, vcc_lo
; %bb.42:                               ;   in Loop: Header=BB624_4 Depth=1
	s_or_b32 exec_lo, exec_lo, s39
	s_cbranch_execz .LBB624_50
	s_branch .LBB624_59
.LBB624_43:                             ;   in Loop: Header=BB624_4 Depth=1
	s_or_b32 exec_lo, exec_lo, s39
	s_delay_alu instid0(SALU_CYCLE_1)
	s_or_b32 exec_lo, exec_lo, s6
	s_and_saveexec_b32 s6, s4
	s_cbranch_execz .LBB624_22
.LBB624_44:                             ;   in Loop: Header=BB624_4 Depth=1
	v_lshl_add_u64 v[10:11], s[30:31], 1, v[10:11]
	v_lshl_add_u64 v[8:9], v[4:5], 1, v[8:9]
	flat_load_u16 v12, v[10:11]
	s_wait_dscnt 0x1
	flat_load_u16 v13, v[8:9]
	s_wait_loadcnt_dscnt 0x0
	s_wait_xcnt 0x0
	v_dual_lshlrev_b32 v8, 16, v12 :: v_dual_lshlrev_b32 v9, 16, v13
	s_delay_alu instid0(VALU_DEP_1) | instskip(NEXT) | instid1(VALU_DEP_1)
	v_mul_f32_e32 v8, v9, v8
	v_and_b32_e32 v9, 0x7f800000, v8
	s_delay_alu instid0(VALU_DEP_1) | instskip(SKIP_1) | instid1(SALU_CYCLE_1)
	v_cmp_ne_u32_e32 vcc_lo, 0x7f800000, v9
                                        ; implicit-def: $vgpr9
	s_and_saveexec_b32 s39, vcc_lo
	s_xor_b32 s39, exec_lo, s39
; %bb.45:                               ;   in Loop: Header=BB624_4 Depth=1
	v_bfe_u32 v9, v8, 16, 1
	s_delay_alu instid0(VALU_DEP_1)
	v_add3_u32 v9, v8, v9, 0x7fff
                                        ; implicit-def: $vgpr8
; %bb.46:                               ;   in Loop: Header=BB624_4 Depth=1
	s_and_not1_saveexec_b32 s39, s39
; %bb.47:                               ;   in Loop: Header=BB624_4 Depth=1
	v_and_b32_e32 v9, 0xffff, v8
	v_or_b32_e32 v10, 0x10000, v8
	s_delay_alu instid0(VALU_DEP_2) | instskip(NEXT) | instid1(VALU_DEP_2)
	v_cmp_eq_u32_e32 vcc_lo, 0, v9
	v_cndmask_b32_e32 v9, v10, v8, vcc_lo
; %bb.48:                               ;   in Loop: Header=BB624_4 Depth=1
	s_or_b32 exec_lo, exec_lo, s39
	s_delay_alu instid0(VALU_DEP_1) | instskip(NEXT) | instid1(VALU_DEP_1)
	v_and_b32_e32 v8, 0xffff0000, v9
	v_add_f32_e32 v19, v19, v8
	s_or_b32 exec_lo, exec_lo, s6
	s_and_saveexec_b32 s6, s1
	s_cbranch_execnz .LBB624_23
	s_branch .LBB624_24
.LBB624_49:                             ;   in Loop: Header=BB624_4 Depth=1
                                        ; implicit-def: $vgpr9
.LBB624_50:                             ;   in Loop: Header=BB624_4 Depth=1
	v_add_nc_u64_e32 v[10:11], s[36:37], v[6:7]
	flat_load_u16 v9, v[10:11]
	s_wait_loadcnt_dscnt 0x0
	v_lshlrev_b32_e32 v9, 16, v9
	s_delay_alu instid0(VALU_DEP_1) | instskip(SKIP_1) | instid1(VALU_DEP_1)
	v_mul_f32_e32 v9, s38, v9
	s_wait_xcnt 0x0
	v_and_b32_e32 v10, 0x7f800000, v9
	s_delay_alu instid0(VALU_DEP_1) | instskip(SKIP_1) | instid1(SALU_CYCLE_1)
	v_cmp_ne_u32_e32 vcc_lo, 0x7f800000, v10
                                        ; implicit-def: $vgpr10
	s_and_saveexec_b32 s38, vcc_lo
	s_xor_b32 s38, exec_lo, s38
; %bb.51:                               ;   in Loop: Header=BB624_4 Depth=1
	v_bfe_u32 v10, v9, 16, 1
	s_delay_alu instid0(VALU_DEP_1)
	v_add3_u32 v10, v9, v10, 0x7fff
                                        ; implicit-def: $vgpr9
; %bb.52:                               ;   in Loop: Header=BB624_4 Depth=1
	s_and_not1_saveexec_b32 s38, s38
; %bb.53:                               ;   in Loop: Header=BB624_4 Depth=1
	v_and_b32_e32 v10, 0xffff, v9
	v_or_b32_e32 v11, 0x10000, v9
	s_delay_alu instid0(VALU_DEP_2) | instskip(NEXT) | instid1(VALU_DEP_2)
	v_cmp_eq_u32_e32 vcc_lo, 0, v10
	v_cndmask_b32_e32 v10, v11, v9, vcc_lo
; %bb.54:                               ;   in Loop: Header=BB624_4 Depth=1
	s_or_b32 exec_lo, exec_lo, s38
	s_delay_alu instid0(VALU_DEP_1) | instskip(NEXT) | instid1(VALU_DEP_1)
	v_and_b32_e32 v9, 0xffff0000, v10
	v_add_f32_e32 v8, v8, v9
	s_delay_alu instid0(VALU_DEP_1) | instskip(NEXT) | instid1(VALU_DEP_1)
	v_and_b32_e32 v9, 0x7f800000, v8
	v_cmp_ne_u32_e32 vcc_lo, 0x7f800000, v9
                                        ; implicit-def: $vgpr9
	s_and_saveexec_b32 s38, vcc_lo
	s_delay_alu instid0(SALU_CYCLE_1)
	s_xor_b32 s38, exec_lo, s38
; %bb.55:                               ;   in Loop: Header=BB624_4 Depth=1
	v_bfe_u32 v9, v8, 16, 1
	s_delay_alu instid0(VALU_DEP_1)
	v_add3_u32 v9, v8, v9, 0x7fff
                                        ; implicit-def: $vgpr8
; %bb.56:                               ;   in Loop: Header=BB624_4 Depth=1
	s_and_not1_saveexec_b32 s38, s38
; %bb.57:                               ;   in Loop: Header=BB624_4 Depth=1
	v_and_b32_e32 v9, 0xffff, v8
	v_or_b32_e32 v10, 0x10000, v8
	s_delay_alu instid0(VALU_DEP_2) | instskip(NEXT) | instid1(VALU_DEP_2)
	v_cmp_eq_u32_e32 vcc_lo, 0, v9
	v_cndmask_b32_e32 v9, v10, v8, vcc_lo
; %bb.58:                               ;   in Loop: Header=BB624_4 Depth=1
	s_or_b32 exec_lo, exec_lo, s38
.LBB624_59:                             ;   in Loop: Header=BB624_4 Depth=1
	s_delay_alu instid0(VALU_DEP_1)
	v_lshrrev_b32_e32 v12, 16, v9
	s_or_b32 s5, s5, exec_lo
.LBB624_60:                             ;   in Loop: Header=BB624_4 Depth=1
	s_or_b32 exec_lo, exec_lo, s6
.LBB624_61:                             ;   in Loop: Header=BB624_4 Depth=1
	s_wait_xcnt 0x0
	s_and_saveexec_b32 s6, s5
	s_cbranch_execz .LBB624_2
; %bb.62:                               ;   in Loop: Header=BB624_4 Depth=1
	v_add_nc_u64_e32 v[6:7], s[36:37], v[6:7]
	flat_store_b16 v[6:7], v12
	s_branch .LBB624_2
.LBB624_63:
	s_endpgm
	.section	.rodata,"a",@progbits
	.p2align	6, 0x0
	.amdhsa_kernel _ZL32rocblas_gemvt_warp_reduce_kernelILb1ELi1024EiPK16rocblas_bfloat16PKfKPS0_EviiT3_lPKT2_lT1_lSA_lSB_lS7_lPT4_lSB_li
		.amdhsa_group_segment_fixed_size 128
		.amdhsa_private_segment_fixed_size 0
		.amdhsa_kernarg_size 140
		.amdhsa_user_sgpr_count 2
		.amdhsa_user_sgpr_dispatch_ptr 0
		.amdhsa_user_sgpr_queue_ptr 0
		.amdhsa_user_sgpr_kernarg_segment_ptr 1
		.amdhsa_user_sgpr_dispatch_id 0
		.amdhsa_user_sgpr_kernarg_preload_length 0
		.amdhsa_user_sgpr_kernarg_preload_offset 0
		.amdhsa_user_sgpr_private_segment_size 0
		.amdhsa_wavefront_size32 1
		.amdhsa_uses_dynamic_stack 0
		.amdhsa_enable_private_segment 0
		.amdhsa_system_sgpr_workgroup_id_x 1
		.amdhsa_system_sgpr_workgroup_id_y 0
		.amdhsa_system_sgpr_workgroup_id_z 1
		.amdhsa_system_sgpr_workgroup_info 0
		.amdhsa_system_vgpr_workitem_id 0
		.amdhsa_next_free_vgpr 25
		.amdhsa_next_free_sgpr 42
		.amdhsa_named_barrier_count 0
		.amdhsa_reserve_vcc 1
		.amdhsa_float_round_mode_32 0
		.amdhsa_float_round_mode_16_64 0
		.amdhsa_float_denorm_mode_32 3
		.amdhsa_float_denorm_mode_16_64 3
		.amdhsa_fp16_overflow 0
		.amdhsa_memory_ordered 1
		.amdhsa_forward_progress 1
		.amdhsa_inst_pref_size 17
		.amdhsa_round_robin_scheduling 0
		.amdhsa_exception_fp_ieee_invalid_op 0
		.amdhsa_exception_fp_denorm_src 0
		.amdhsa_exception_fp_ieee_div_zero 0
		.amdhsa_exception_fp_ieee_overflow 0
		.amdhsa_exception_fp_ieee_underflow 0
		.amdhsa_exception_fp_ieee_inexact 0
		.amdhsa_exception_int_div_zero 0
	.end_amdhsa_kernel
	.section	.text._ZL32rocblas_gemvt_warp_reduce_kernelILb1ELi1024EiPK16rocblas_bfloat16PKfKPS0_EviiT3_lPKT2_lT1_lSA_lSB_lS7_lPT4_lSB_li,"axG",@progbits,_ZL32rocblas_gemvt_warp_reduce_kernelILb1ELi1024EiPK16rocblas_bfloat16PKfKPS0_EviiT3_lPKT2_lT1_lSA_lSB_lS7_lPT4_lSB_li,comdat
.Lfunc_end624:
	.size	_ZL32rocblas_gemvt_warp_reduce_kernelILb1ELi1024EiPK16rocblas_bfloat16PKfKPS0_EviiT3_lPKT2_lT1_lSA_lSB_lS7_lPT4_lSB_li, .Lfunc_end624-_ZL32rocblas_gemvt_warp_reduce_kernelILb1ELi1024EiPK16rocblas_bfloat16PKfKPS0_EviiT3_lPKT2_lT1_lSA_lSB_lS7_lPT4_lSB_li
                                        ; -- End function
	.set _ZL32rocblas_gemvt_warp_reduce_kernelILb1ELi1024EiPK16rocblas_bfloat16PKfKPS0_EviiT3_lPKT2_lT1_lSA_lSB_lS7_lPT4_lSB_li.num_vgpr, 25
	.set _ZL32rocblas_gemvt_warp_reduce_kernelILb1ELi1024EiPK16rocblas_bfloat16PKfKPS0_EviiT3_lPKT2_lT1_lSA_lSB_lS7_lPT4_lSB_li.num_agpr, 0
	.set _ZL32rocblas_gemvt_warp_reduce_kernelILb1ELi1024EiPK16rocblas_bfloat16PKfKPS0_EviiT3_lPKT2_lT1_lSA_lSB_lS7_lPT4_lSB_li.numbered_sgpr, 42
	.set _ZL32rocblas_gemvt_warp_reduce_kernelILb1ELi1024EiPK16rocblas_bfloat16PKfKPS0_EviiT3_lPKT2_lT1_lSA_lSB_lS7_lPT4_lSB_li.num_named_barrier, 0
	.set _ZL32rocblas_gemvt_warp_reduce_kernelILb1ELi1024EiPK16rocblas_bfloat16PKfKPS0_EviiT3_lPKT2_lT1_lSA_lSB_lS7_lPT4_lSB_li.private_seg_size, 0
	.set _ZL32rocblas_gemvt_warp_reduce_kernelILb1ELi1024EiPK16rocblas_bfloat16PKfKPS0_EviiT3_lPKT2_lT1_lSA_lSB_lS7_lPT4_lSB_li.uses_vcc, 1
	.set _ZL32rocblas_gemvt_warp_reduce_kernelILb1ELi1024EiPK16rocblas_bfloat16PKfKPS0_EviiT3_lPKT2_lT1_lSA_lSB_lS7_lPT4_lSB_li.uses_flat_scratch, 0
	.set _ZL32rocblas_gemvt_warp_reduce_kernelILb1ELi1024EiPK16rocblas_bfloat16PKfKPS0_EviiT3_lPKT2_lT1_lSA_lSB_lS7_lPT4_lSB_li.has_dyn_sized_stack, 0
	.set _ZL32rocblas_gemvt_warp_reduce_kernelILb1ELi1024EiPK16rocblas_bfloat16PKfKPS0_EviiT3_lPKT2_lT1_lSA_lSB_lS7_lPT4_lSB_li.has_recursion, 0
	.set _ZL32rocblas_gemvt_warp_reduce_kernelILb1ELi1024EiPK16rocblas_bfloat16PKfKPS0_EviiT3_lPKT2_lT1_lSA_lSB_lS7_lPT4_lSB_li.has_indirect_call, 0
	.section	.AMDGPU.csdata,"",@progbits
; Kernel info:
; codeLenInByte = 2144
; TotalNumSgprs: 44
; NumVgprs: 25
; ScratchSize: 0
; MemoryBound: 0
; FloatMode: 240
; IeeeMode: 1
; LDSByteSize: 128 bytes/workgroup (compile time only)
; SGPRBlocks: 0
; VGPRBlocks: 1
; NumSGPRsForWavesPerEU: 44
; NumVGPRsForWavesPerEU: 25
; NamedBarCnt: 0
; Occupancy: 16
; WaveLimiterHint : 1
; COMPUTE_PGM_RSRC2:SCRATCH_EN: 0
; COMPUTE_PGM_RSRC2:USER_SGPR: 2
; COMPUTE_PGM_RSRC2:TRAP_HANDLER: 0
; COMPUTE_PGM_RSRC2:TGID_X_EN: 1
; COMPUTE_PGM_RSRC2:TGID_Y_EN: 0
; COMPUTE_PGM_RSRC2:TGID_Z_EN: 1
; COMPUTE_PGM_RSRC2:TIDIG_COMP_CNT: 0
	.section	.text._ZL32rocblas_gemvt_warp_reduce_kernelILb1ELi1024ElPK16rocblas_bfloat16PKfKPS0_EviiT3_lPKT2_lT1_lSA_lSB_lS7_lPT4_lSB_li,"axG",@progbits,_ZL32rocblas_gemvt_warp_reduce_kernelILb1ELi1024ElPK16rocblas_bfloat16PKfKPS0_EviiT3_lPKT2_lT1_lSA_lSB_lS7_lPT4_lSB_li,comdat
	.globl	_ZL32rocblas_gemvt_warp_reduce_kernelILb1ELi1024ElPK16rocblas_bfloat16PKfKPS0_EviiT3_lPKT2_lT1_lSA_lSB_lS7_lPT4_lSB_li ; -- Begin function _ZL32rocblas_gemvt_warp_reduce_kernelILb1ELi1024ElPK16rocblas_bfloat16PKfKPS0_EviiT3_lPKT2_lT1_lSA_lSB_lS7_lPT4_lSB_li
	.p2align	8
	.type	_ZL32rocblas_gemvt_warp_reduce_kernelILb1ELi1024ElPK16rocblas_bfloat16PKfKPS0_EviiT3_lPKT2_lT1_lSA_lSB_lS7_lPT4_lSB_li,@function
_ZL32rocblas_gemvt_warp_reduce_kernelILb1ELi1024ElPK16rocblas_bfloat16PKfKPS0_EviiT3_lPKT2_lT1_lSA_lSB_lS7_lPT4_lSB_li: ; @_ZL32rocblas_gemvt_warp_reduce_kernelILb1ELi1024ElPK16rocblas_bfloat16PKfKPS0_EviiT3_lPKT2_lT1_lSA_lSB_lS7_lPT4_lSB_li
; %bb.0:
	s_load_b32 s7, s[0:1], 0x88
	s_bfe_u32 s2, ttmp6, 0x40014
	s_lshr_b32 s3, ttmp7, 16
	s_add_co_i32 s2, s2, 1
	s_bfe_u32 s5, ttmp6, 0x40008
	s_mul_i32 s4, s3, s2
	s_getreg_b32 s2, hwreg(HW_REG_IB_STS2, 6, 4)
	s_add_co_i32 s5, s5, s4
	s_cmp_eq_u32 s2, 0
	s_mov_b32 s29, 0
	s_cselect_b32 s28, s3, s5
	s_wait_kmcnt 0x0
	s_cmp_ge_u32 s28, s7
	s_cbranch_scc1 .LBB625_63
; %bb.1:
	s_clause 0x1
	s_load_b32 s6, s[0:1], 0x0
	s_load_b64 s[36:37], s[0:1], 0x48
	s_bfe_u32 s3, ttmp6, 0x4000c
	s_and_b32 s4, ttmp6, 15
	s_add_co_i32 s3, s3, 1
	s_clause 0x2
	s_load_b256 s[8:15], s[0:1], 0x8
	s_load_b128 s[24:27], s[0:1], 0x38
	s_load_b256 s[16:23], s[0:1], 0x58
	s_mul_i32 s3, ttmp9, s3
	v_mbcnt_lo_u32_b32 v19, -1, 0
	s_add_co_i32 s4, s4, s3
	s_cmp_eq_u32 s2, 0
	s_load_b64 s[34:35], s[0:1], 0x28
	s_cselect_b32 s2, ttmp9, s4
	s_load_b64 s[4:5], s[0:1], 0x78
	s_wait_xcnt 0x0
	v_cmp_eq_u32_e64 s0, 0, v0
	v_lshl_or_b32 v20, v19, 2, 64
	s_wait_kmcnt 0x0
	s_ashr_i32 s3, s6, 31
	v_cmp_gt_i32_e32 vcc_lo, s6, v0
	s_lshr_b32 s3, s3, 22
	s_lshl_b64 s[14:15], s[14:15], 1
	s_add_co_i32 s3, s6, s3
	s_lshl_b64 s[26:27], s[26:27], 1
	s_and_b32 s30, s3, 0xfffffc00
	s_delay_alu instid0(SALU_CYCLE_1) | instskip(SKIP_3) | instid1(VALU_DEP_2)
	v_dual_mov_b32 v3, 0 :: v_dual_bitop2_b32 v6, s30, v0 bitop3:0x54
	s_ashr_i32 s3, s2, 31
	v_cndmask_b32_e32 v2, 0, v0, vcc_lo
	s_mul_u64 s[34:35], s[34:35], s[2:3]
	v_dual_mov_b32 v1, v3 :: v_dual_ashrrev_i32 v7, 31, v6
	s_mul_u64 s[38:39], s[4:5], s[2:3]
	v_cmp_gt_i32_e64 s2, s6, v6
	v_cmp_gt_i32_e64 s1, s30, v0
	s_delay_alu instid0(VALU_DEP_3)
	v_mul_u64_e32 v[8:9], s[36:37], v[0:1]
	v_mul_u64_e32 v[4:5], s[36:37], v[6:7]
	v_dual_lshrrev_b32 v6, 3, v0 :: v_dual_bitop2_b32 v7, 31, v0 bitop3:0x40
	v_cmp_gt_u32_e64 s3, 32, v0
	v_lshlrev_b32_e32 v2, 1, v2
	s_ashr_i32 s31, s30, 31
	v_lshlrev_b32_e32 v1, 2, v7
	v_cmp_eq_u32_e64 s4, 0, v7
	v_and_b32_e32 v18, 0x7c, v6
	s_lshl_b64 s[36:37], s[36:37], 11
	s_lshl_b64 s[22:23], s[22:23], 1
	;; [unrolled: 1-line block ×3, first 2 shown]
	v_lshlrev_b64_e32 v[6:7], 1, v[8:9]
	s_branch .LBB625_4
.LBB625_2:                              ;   in Loop: Header=BB625_4 Depth=1
	s_wait_xcnt 0x0
	s_or_b32 exec_lo, exec_lo, s6
.LBB625_3:                              ;   in Loop: Header=BB625_4 Depth=1
	s_add_co_i32 s28, s28, 0x10000
	s_delay_alu instid0(SALU_CYCLE_1)
	s_cmp_lt_u32 s28, s7
	s_cbranch_scc0 .LBB625_63
.LBB625_4:                              ; =>This Loop Header: Depth=1
                                        ;     Child Loop BB625_31 Depth 2
	s_wait_xcnt 0x1
	s_mul_u64 s[40:41], s[10:11], s[28:29]
	s_wait_xcnt 0x0
	s_mul_u64 s[42:43], s[18:19], s[28:29]
	s_lshl_b64 s[40:41], s[40:41], 2
	s_lshl_b64 s[42:43], s[42:43], 2
	s_add_nc_u64 s[40:41], s[8:9], s[40:41]
	s_add_nc_u64 s[42:43], s[16:17], s[42:43]
	s_clause 0x1
	global_load_b32 v21, v3, s[40:41]
	global_load_b32 v8, v3, s[42:43]
	s_wait_loadcnt 0x1
	v_cmp_eq_f32_e64 s5, 0, v21
	s_wait_loadcnt 0x0
	v_cmp_eq_f32_e32 vcc_lo, 1.0, v8
	v_readfirstlane_b32 s33, v8
	s_and_b32 s6, s5, vcc_lo
	s_delay_alu instid0(SALU_CYCLE_1)
	s_and_b32 vcc_lo, exec_lo, s6
	s_cbranch_vccnz .LBB625_3
; %bb.5:                                ;   in Loop: Header=BB625_4 Depth=1
	v_mov_b64_e32 v[10:11], 0
	v_mov_b64_e32 v[12:13], 0
	v_cmp_neq_f32_e64 s6, 0, v21
	s_and_b32 vcc_lo, exec_lo, s5
	s_cbranch_vccnz .LBB625_7
; %bb.6:                                ;   in Loop: Header=BB625_4 Depth=1
	s_wait_xcnt 0x1
	s_lshl_b64 s[40:41], s[28:29], 3
	s_delay_alu instid0(SALU_CYCLE_1)
	s_add_nc_u64 s[40:41], s[12:13], s[40:41]
	global_load_b64 v[8:9], v3, s[40:41]
	s_wait_loadcnt 0x0
	v_add_nc_u64_e32 v[12:13], s[14:15], v[8:9]
.LBB625_7:                              ;   in Loop: Header=BB625_4 Depth=1
	s_and_not1_b32 vcc_lo, exec_lo, s6
	s_cbranch_vccnz .LBB625_9
; %bb.8:                                ;   in Loop: Header=BB625_4 Depth=1
	s_wait_xcnt 0x0
	s_lshl_b64 s[40:41], s[28:29], 3
	s_delay_alu instid0(SALU_CYCLE_1)
	s_add_nc_u64 s[40:41], s[24:25], s[40:41]
	global_load_b64 v[8:9], v3, s[40:41]
	s_wait_loadcnt 0x0
	v_add_nc_u64_e32 v[10:11], s[26:27], v[8:9]
.LBB625_9:                              ;   in Loop: Header=BB625_4 Depth=1
	s_wait_xcnt 0x0
	s_lshl_b64 s[40:41], s[28:29], 3
	s_and_not1_b32 vcc_lo, exec_lo, s5
	s_add_nc_u64 s[40:41], s[20:21], s[40:41]
	global_load_b64 v[8:9], v3, s[40:41]
	s_wait_loadcnt 0x0
	v_add_nc_u64_e32 v[8:9], s[22:23], v[8:9]
	s_cbranch_vccnz .LBB625_17
; %bb.10:                               ;   in Loop: Header=BB625_4 Depth=1
	s_mov_b32 s6, 0
	s_mov_b32 s5, 0
                                        ; implicit-def: $vgpr14
	s_wait_xcnt 0x0
	s_and_saveexec_b32 s40, s0
	s_cbranch_execz .LBB625_18
; %bb.11:                               ;   in Loop: Header=BB625_4 Depth=1
	s_cmp_eq_f32 s33, 0
	s_cbranch_scc1 .LBB625_19
; %bb.12:                               ;   in Loop: Header=BB625_4 Depth=1
	s_wait_dscnt 0x0
	v_add_nc_u64_e32 v[14:15], s[38:39], v[8:9]
	flat_load_u16 v14, v[14:15]
	s_wait_loadcnt_dscnt 0x0
	s_wait_xcnt 0x0
	v_lshlrev_b32_e32 v14, 16, v14
	s_delay_alu instid0(VALU_DEP_1) | instskip(NEXT) | instid1(VALU_DEP_1)
	v_mul_f32_e32 v14, s33, v14
	v_and_b32_e32 v15, 0x7f800000, v14
	s_delay_alu instid0(VALU_DEP_1) | instskip(SKIP_1) | instid1(SALU_CYCLE_1)
	v_cmp_ne_u32_e32 vcc_lo, 0x7f800000, v15
                                        ; implicit-def: $vgpr15
	s_and_saveexec_b32 s5, vcc_lo
	s_xor_b32 s5, exec_lo, s5
; %bb.13:                               ;   in Loop: Header=BB625_4 Depth=1
	v_bfe_u32 v15, v14, 16, 1
	s_delay_alu instid0(VALU_DEP_1)
	v_add3_u32 v15, v14, v15, 0x7fff
                                        ; implicit-def: $vgpr14
; %bb.14:                               ;   in Loop: Header=BB625_4 Depth=1
	s_and_not1_saveexec_b32 s5, s5
; %bb.15:                               ;   in Loop: Header=BB625_4 Depth=1
	v_and_b32_e32 v15, 0xffff, v14
	v_or_b32_e32 v16, 0x10000, v14
	s_delay_alu instid0(VALU_DEP_2) | instskip(NEXT) | instid1(VALU_DEP_2)
	v_cmp_eq_u32_e32 vcc_lo, 0, v15
	v_cndmask_b32_e32 v15, v16, v14, vcc_lo
; %bb.16:                               ;   in Loop: Header=BB625_4 Depth=1
	s_or_b32 exec_lo, exec_lo, s5
	s_delay_alu instid0(VALU_DEP_1) | instskip(SKIP_2) | instid1(SALU_CYCLE_1)
	v_lshrrev_b32_e32 v14, 16, v15
	s_mov_b32 s5, exec_lo
	s_or_b32 exec_lo, exec_lo, s40
	s_and_b32 vcc_lo, exec_lo, s6
	s_cbranch_vccnz .LBB625_20
	s_branch .LBB625_61
.LBB625_17:                             ;   in Loop: Header=BB625_4 Depth=1
	s_mov_b32 s5, 0
                                        ; implicit-def: $vgpr14
	s_cbranch_execnz .LBB625_20
	s_branch .LBB625_61
.LBB625_18:                             ;   in Loop: Header=BB625_4 Depth=1
	s_or_b32 exec_lo, exec_lo, s40
	s_delay_alu instid0(SALU_CYCLE_1)
	s_and_b32 vcc_lo, exec_lo, s6
	s_cbranch_vccnz .LBB625_20
	s_branch .LBB625_61
.LBB625_19:                             ;   in Loop: Header=BB625_4 Depth=1
	v_mov_b32_e32 v14, 0
	s_mov_b32 s5, exec_lo
	s_or_b32 exec_lo, exec_lo, s40
	s_delay_alu instid0(SALU_CYCLE_1)
	s_and_b32 vcc_lo, exec_lo, s6
	s_cbranch_vccz .LBB625_61
.LBB625_20:                             ;   in Loop: Header=BB625_4 Depth=1
	v_add_nc_u64_e32 v[12:13], v[12:13], v[2:3]
	v_mov_b32_e32 v22, 0
	s_delay_alu instid0(VALU_DEP_2)
	v_lshl_add_u64 v[12:13], s[34:35], 1, v[12:13]
	s_wait_xcnt 0x0
	s_and_saveexec_b32 s6, s1
	s_cbranch_execnz .LBB625_29
; %bb.21:                               ;   in Loop: Header=BB625_4 Depth=1
	s_or_b32 exec_lo, exec_lo, s6
	s_and_saveexec_b32 s6, s2
	s_cbranch_execnz .LBB625_44
.LBB625_22:                             ;   in Loop: Header=BB625_4 Depth=1
	s_or_b32 exec_lo, exec_lo, s6
	s_and_saveexec_b32 s6, s3
.LBB625_23:                             ;   in Loop: Header=BB625_4 Depth=1
	ds_store_b32 v1, v3
.LBB625_24:                             ;   in Loop: Header=BB625_4 Depth=1
	s_or_b32 exec_lo, exec_lo, s6
	ds_bpermute_b32 v11, v20, v22
	v_cmp_gt_u32_e32 vcc_lo, 24, v19
	s_wait_dscnt 0x0
	s_barrier_signal -1
	s_barrier_wait -1
	v_cndmask_b32_e64 v10, 0, 8, vcc_lo
	v_cmp_gt_u32_e32 vcc_lo, 28, v19
	s_delay_alu instid0(VALU_DEP_2)
	v_add_lshl_u32 v10, v10, v19, 2
	v_add_f32_e32 v12, v22, v11
	v_cndmask_b32_e64 v11, 0, 4, vcc_lo
	v_cmp_gt_u32_e32 vcc_lo, 30, v19
	ds_bpermute_b32 v13, v10, v12
	v_add_lshl_u32 v11, v11, v19, 2
	s_wait_dscnt 0x0
	v_add_f32_e32 v13, v12, v13
	v_cndmask_b32_e64 v12, 0, 2, vcc_lo
	v_cmp_ne_u32_e32 vcc_lo, 31, v19
	ds_bpermute_b32 v14, v11, v13
	v_add_lshl_u32 v12, v12, v19, 2
	v_add_co_ci_u32_e64 v15, null, 0, v19, vcc_lo
	s_wait_dscnt 0x0
	v_add_f32_e32 v13, v13, v14
	ds_bpermute_b32 v14, v12, v13
	s_wait_dscnt 0x0
	v_dual_add_f32 v14, v13, v14 :: v_dual_lshlrev_b32 v13, 2, v15
	ds_bpermute_b32 v15, v13, v14
	s_and_saveexec_b32 s6, s4
	s_cbranch_execz .LBB625_26
; %bb.25:                               ;   in Loop: Header=BB625_4 Depth=1
	s_wait_dscnt 0x0
	v_add_f32_e32 v14, v14, v15
	ds_store_b32 v18, v14
.LBB625_26:                             ;   in Loop: Header=BB625_4 Depth=1
	s_or_b32 exec_lo, exec_lo, s6
	s_wait_dscnt 0x0
	v_mov_b32_e32 v15, 0
	s_barrier_signal -1
	s_barrier_wait -1
	s_and_saveexec_b32 s6, s3
	s_cbranch_execnz .LBB625_35
; %bb.27:                               ;   in Loop: Header=BB625_4 Depth=1
	s_or_b32 exec_lo, exec_lo, s6
	s_and_saveexec_b32 s6, s3
	s_cbranch_execnz .LBB625_36
.LBB625_28:                             ;   in Loop: Header=BB625_4 Depth=1
	s_or_b32 exec_lo, exec_lo, s6
                                        ; implicit-def: $vgpr14
	s_and_saveexec_b32 s6, s0
	s_cbranch_execnz .LBB625_37
	s_branch .LBB625_60
.LBB625_29:                             ;   in Loop: Header=BB625_4 Depth=1
	s_wait_dscnt 0x0
	v_add_nc_u64_e32 v[14:15], v[10:11], v[6:7]
	v_mov_b64_e32 v[16:17], v[12:13]
	v_dual_mov_b32 v22, 0 :: v_dual_mov_b32 v23, v0
	s_mov_b32 s40, 0
	s_branch .LBB625_31
.LBB625_30:                             ;   in Loop: Header=BB625_31 Depth=2
	s_or_b32 exec_lo, exec_lo, s41
	s_delay_alu instid0(VALU_DEP_1) | instskip(SKIP_3) | instid1(VALU_DEP_4)
	v_and_b32_e32 v24, 0xffff0000, v25
	v_add_nc_u32_e32 v23, 0x400, v23
	v_add_nc_u64_e32 v[16:17], 0x800, v[16:17]
	v_add_nc_u64_e32 v[14:15], s[36:37], v[14:15]
	v_add_f32_e32 v22, v22, v24
	s_delay_alu instid0(VALU_DEP_4) | instskip(SKIP_1) | instid1(SALU_CYCLE_1)
	v_cmp_le_i32_e32 vcc_lo, s30, v23
	s_or_b32 s40, vcc_lo, s40
	s_and_not1_b32 exec_lo, exec_lo, s40
	s_cbranch_execz .LBB625_43
.LBB625_31:                             ;   Parent Loop BB625_4 Depth=1
                                        ; =>  This Inner Loop Header: Depth=2
	flat_load_u16 v24, v[16:17]
	flat_load_u16 v25, v[14:15]
	s_wait_loadcnt_dscnt 0x0
	v_dual_lshlrev_b32 v24, 16, v24 :: v_dual_lshlrev_b32 v25, 16, v25
	s_delay_alu instid0(VALU_DEP_1) | instskip(NEXT) | instid1(VALU_DEP_1)
	v_mul_f32_e32 v24, v25, v24
	v_and_b32_e32 v25, 0x7f800000, v24
	s_delay_alu instid0(VALU_DEP_1) | instskip(SKIP_2) | instid1(SALU_CYCLE_1)
	v_cmp_ne_u32_e32 vcc_lo, 0x7f800000, v25
                                        ; implicit-def: $vgpr25
	s_wait_xcnt 0x0
	s_and_saveexec_b32 s41, vcc_lo
	s_xor_b32 s41, exec_lo, s41
; %bb.32:                               ;   in Loop: Header=BB625_31 Depth=2
	v_bfe_u32 v25, v24, 16, 1
	s_delay_alu instid0(VALU_DEP_1)
	v_add3_u32 v25, v24, v25, 0x7fff
                                        ; implicit-def: $vgpr24
; %bb.33:                               ;   in Loop: Header=BB625_31 Depth=2
	s_and_not1_saveexec_b32 s41, s41
	s_cbranch_execz .LBB625_30
; %bb.34:                               ;   in Loop: Header=BB625_31 Depth=2
	v_and_b32_e32 v25, 0xffff, v24
	v_or_b32_e32 v26, 0x10000, v24
	s_delay_alu instid0(VALU_DEP_2) | instskip(NEXT) | instid1(VALU_DEP_2)
	v_cmp_eq_u32_e32 vcc_lo, 0, v25
	v_cndmask_b32_e32 v25, v26, v24, vcc_lo
	s_branch .LBB625_30
.LBB625_35:                             ;   in Loop: Header=BB625_4 Depth=1
	ds_load_b32 v15, v1
	s_or_b32 exec_lo, exec_lo, s6
	s_and_saveexec_b32 s6, s3
	s_cbranch_execz .LBB625_28
.LBB625_36:                             ;   in Loop: Header=BB625_4 Depth=1
	s_wait_dscnt 0x0
	ds_bpermute_b32 v14, v20, v15
	s_wait_dscnt 0x0
	v_add_f32_e32 v14, v15, v14
	ds_bpermute_b32 v10, v10, v14
	s_wait_dscnt 0x0
	v_add_f32_e32 v10, v14, v10
	;; [unrolled: 3-line block ×5, first 2 shown]
	s_or_b32 exec_lo, exec_lo, s6
                                        ; implicit-def: $vgpr14
	s_and_saveexec_b32 s6, s0
	s_cbranch_execz .LBB625_60
.LBB625_37:                             ;   in Loop: Header=BB625_4 Depth=1
	s_wait_dscnt 0x0
	v_mul_f32_e32 v10, v21, v15
	s_cmp_eq_f32 s33, 0
	s_cbranch_scc0 .LBB625_49
; %bb.38:                               ;   in Loop: Header=BB625_4 Depth=1
	s_delay_alu instid0(VALU_DEP_1) | instskip(NEXT) | instid1(VALU_DEP_1)
	v_and_b32_e32 v11, 0x7f800000, v10
	v_cmp_ne_u32_e32 vcc_lo, 0x7f800000, v11
                                        ; implicit-def: $vgpr11
	s_and_saveexec_b32 s40, vcc_lo
	s_delay_alu instid0(SALU_CYCLE_1)
	s_xor_b32 s40, exec_lo, s40
; %bb.39:                               ;   in Loop: Header=BB625_4 Depth=1
	v_bfe_u32 v11, v10, 16, 1
	s_delay_alu instid0(VALU_DEP_1)
	v_add3_u32 v11, v10, v11, 0x7fff
; %bb.40:                               ;   in Loop: Header=BB625_4 Depth=1
	s_and_not1_saveexec_b32 s40, s40
; %bb.41:                               ;   in Loop: Header=BB625_4 Depth=1
	v_and_b32_e32 v11, 0xffff, v10
	v_or_b32_e32 v12, 0x10000, v10
	s_delay_alu instid0(VALU_DEP_2) | instskip(NEXT) | instid1(VALU_DEP_2)
	v_cmp_eq_u32_e32 vcc_lo, 0, v11
	v_cndmask_b32_e32 v11, v12, v10, vcc_lo
; %bb.42:                               ;   in Loop: Header=BB625_4 Depth=1
	s_or_b32 exec_lo, exec_lo, s40
	s_cbranch_execz .LBB625_50
	s_branch .LBB625_59
.LBB625_43:                             ;   in Loop: Header=BB625_4 Depth=1
	s_or_b32 exec_lo, exec_lo, s40
	s_delay_alu instid0(SALU_CYCLE_1)
	s_or_b32 exec_lo, exec_lo, s6
	s_and_saveexec_b32 s6, s2
	s_cbranch_execz .LBB625_22
.LBB625_44:                             ;   in Loop: Header=BB625_4 Depth=1
	v_lshl_add_u64 v[12:13], s[30:31], 1, v[12:13]
	v_lshl_add_u64 v[10:11], v[4:5], 1, v[10:11]
	flat_load_u16 v14, v[12:13]
	s_wait_dscnt 0x1
	flat_load_u16 v15, v[10:11]
	s_wait_loadcnt_dscnt 0x0
	s_wait_xcnt 0x0
	v_dual_lshlrev_b32 v10, 16, v14 :: v_dual_lshlrev_b32 v11, 16, v15
	s_delay_alu instid0(VALU_DEP_1) | instskip(NEXT) | instid1(VALU_DEP_1)
	v_mul_f32_e32 v10, v11, v10
	v_and_b32_e32 v11, 0x7f800000, v10
	s_delay_alu instid0(VALU_DEP_1) | instskip(SKIP_1) | instid1(SALU_CYCLE_1)
	v_cmp_ne_u32_e32 vcc_lo, 0x7f800000, v11
                                        ; implicit-def: $vgpr11
	s_and_saveexec_b32 s40, vcc_lo
	s_xor_b32 s40, exec_lo, s40
; %bb.45:                               ;   in Loop: Header=BB625_4 Depth=1
	v_bfe_u32 v11, v10, 16, 1
	s_delay_alu instid0(VALU_DEP_1)
	v_add3_u32 v11, v10, v11, 0x7fff
                                        ; implicit-def: $vgpr10
; %bb.46:                               ;   in Loop: Header=BB625_4 Depth=1
	s_and_not1_saveexec_b32 s40, s40
; %bb.47:                               ;   in Loop: Header=BB625_4 Depth=1
	v_and_b32_e32 v11, 0xffff, v10
	v_or_b32_e32 v12, 0x10000, v10
	s_delay_alu instid0(VALU_DEP_2) | instskip(NEXT) | instid1(VALU_DEP_2)
	v_cmp_eq_u32_e32 vcc_lo, 0, v11
	v_cndmask_b32_e32 v11, v12, v10, vcc_lo
; %bb.48:                               ;   in Loop: Header=BB625_4 Depth=1
	s_or_b32 exec_lo, exec_lo, s40
	s_delay_alu instid0(VALU_DEP_1) | instskip(NEXT) | instid1(VALU_DEP_1)
	v_and_b32_e32 v10, 0xffff0000, v11
	v_add_f32_e32 v22, v22, v10
	s_or_b32 exec_lo, exec_lo, s6
	s_and_saveexec_b32 s6, s3
	s_cbranch_execnz .LBB625_23
	s_branch .LBB625_24
.LBB625_49:                             ;   in Loop: Header=BB625_4 Depth=1
                                        ; implicit-def: $vgpr11
.LBB625_50:                             ;   in Loop: Header=BB625_4 Depth=1
	v_add_nc_u64_e32 v[12:13], s[38:39], v[8:9]
	flat_load_u16 v11, v[12:13]
	s_wait_loadcnt_dscnt 0x0
	v_lshlrev_b32_e32 v11, 16, v11
	s_delay_alu instid0(VALU_DEP_1) | instskip(SKIP_1) | instid1(VALU_DEP_1)
	v_mul_f32_e32 v11, s33, v11
	s_wait_xcnt 0x0
	v_and_b32_e32 v12, 0x7f800000, v11
	s_delay_alu instid0(VALU_DEP_1) | instskip(SKIP_1) | instid1(SALU_CYCLE_1)
	v_cmp_ne_u32_e32 vcc_lo, 0x7f800000, v12
                                        ; implicit-def: $vgpr12
	s_and_saveexec_b32 s33, vcc_lo
	s_xor_b32 s33, exec_lo, s33
; %bb.51:                               ;   in Loop: Header=BB625_4 Depth=1
	v_bfe_u32 v12, v11, 16, 1
	s_delay_alu instid0(VALU_DEP_1)
	v_add3_u32 v12, v11, v12, 0x7fff
                                        ; implicit-def: $vgpr11
; %bb.52:                               ;   in Loop: Header=BB625_4 Depth=1
	s_and_not1_saveexec_b32 s33, s33
; %bb.53:                               ;   in Loop: Header=BB625_4 Depth=1
	v_and_b32_e32 v12, 0xffff, v11
	v_or_b32_e32 v13, 0x10000, v11
	s_delay_alu instid0(VALU_DEP_2) | instskip(NEXT) | instid1(VALU_DEP_2)
	v_cmp_eq_u32_e32 vcc_lo, 0, v12
	v_cndmask_b32_e32 v12, v13, v11, vcc_lo
; %bb.54:                               ;   in Loop: Header=BB625_4 Depth=1
	s_or_b32 exec_lo, exec_lo, s33
	s_delay_alu instid0(VALU_DEP_1) | instskip(NEXT) | instid1(VALU_DEP_1)
	v_and_b32_e32 v11, 0xffff0000, v12
	v_add_f32_e32 v10, v10, v11
	s_delay_alu instid0(VALU_DEP_1) | instskip(NEXT) | instid1(VALU_DEP_1)
	v_and_b32_e32 v11, 0x7f800000, v10
	v_cmp_ne_u32_e32 vcc_lo, 0x7f800000, v11
                                        ; implicit-def: $vgpr11
	s_and_saveexec_b32 s33, vcc_lo
	s_delay_alu instid0(SALU_CYCLE_1)
	s_xor_b32 s33, exec_lo, s33
; %bb.55:                               ;   in Loop: Header=BB625_4 Depth=1
	v_bfe_u32 v11, v10, 16, 1
	s_delay_alu instid0(VALU_DEP_1)
	v_add3_u32 v11, v10, v11, 0x7fff
                                        ; implicit-def: $vgpr10
; %bb.56:                               ;   in Loop: Header=BB625_4 Depth=1
	s_and_not1_saveexec_b32 s33, s33
; %bb.57:                               ;   in Loop: Header=BB625_4 Depth=1
	v_and_b32_e32 v11, 0xffff, v10
	v_or_b32_e32 v12, 0x10000, v10
	s_delay_alu instid0(VALU_DEP_2) | instskip(NEXT) | instid1(VALU_DEP_2)
	v_cmp_eq_u32_e32 vcc_lo, 0, v11
	v_cndmask_b32_e32 v11, v12, v10, vcc_lo
; %bb.58:                               ;   in Loop: Header=BB625_4 Depth=1
	s_or_b32 exec_lo, exec_lo, s33
.LBB625_59:                             ;   in Loop: Header=BB625_4 Depth=1
	s_delay_alu instid0(VALU_DEP_1)
	v_lshrrev_b32_e32 v14, 16, v11
	s_or_b32 s5, s5, exec_lo
.LBB625_60:                             ;   in Loop: Header=BB625_4 Depth=1
	s_or_b32 exec_lo, exec_lo, s6
.LBB625_61:                             ;   in Loop: Header=BB625_4 Depth=1
	s_wait_xcnt 0x0
	s_and_saveexec_b32 s6, s5
	s_cbranch_execz .LBB625_2
; %bb.62:                               ;   in Loop: Header=BB625_4 Depth=1
	v_add_nc_u64_e32 v[8:9], s[38:39], v[8:9]
	flat_store_b16 v[8:9], v14
	s_branch .LBB625_2
.LBB625_63:
	s_endpgm
	.section	.rodata,"a",@progbits
	.p2align	6, 0x0
	.amdhsa_kernel _ZL32rocblas_gemvt_warp_reduce_kernelILb1ELi1024ElPK16rocblas_bfloat16PKfKPS0_EviiT3_lPKT2_lT1_lSA_lSB_lS7_lPT4_lSB_li
		.amdhsa_group_segment_fixed_size 128
		.amdhsa_private_segment_fixed_size 0
		.amdhsa_kernarg_size 140
		.amdhsa_user_sgpr_count 2
		.amdhsa_user_sgpr_dispatch_ptr 0
		.amdhsa_user_sgpr_queue_ptr 0
		.amdhsa_user_sgpr_kernarg_segment_ptr 1
		.amdhsa_user_sgpr_dispatch_id 0
		.amdhsa_user_sgpr_kernarg_preload_length 0
		.amdhsa_user_sgpr_kernarg_preload_offset 0
		.amdhsa_user_sgpr_private_segment_size 0
		.amdhsa_wavefront_size32 1
		.amdhsa_uses_dynamic_stack 0
		.amdhsa_enable_private_segment 0
		.amdhsa_system_sgpr_workgroup_id_x 1
		.amdhsa_system_sgpr_workgroup_id_y 0
		.amdhsa_system_sgpr_workgroup_id_z 1
		.amdhsa_system_sgpr_workgroup_info 0
		.amdhsa_system_vgpr_workitem_id 0
		.amdhsa_next_free_vgpr 27
		.amdhsa_next_free_sgpr 44
		.amdhsa_named_barrier_count 0
		.amdhsa_reserve_vcc 1
		.amdhsa_float_round_mode_32 0
		.amdhsa_float_round_mode_16_64 0
		.amdhsa_float_denorm_mode_32 3
		.amdhsa_float_denorm_mode_16_64 3
		.amdhsa_fp16_overflow 0
		.amdhsa_memory_ordered 1
		.amdhsa_forward_progress 1
		.amdhsa_inst_pref_size 17
		.amdhsa_round_robin_scheduling 0
		.amdhsa_exception_fp_ieee_invalid_op 0
		.amdhsa_exception_fp_denorm_src 0
		.amdhsa_exception_fp_ieee_div_zero 0
		.amdhsa_exception_fp_ieee_overflow 0
		.amdhsa_exception_fp_ieee_underflow 0
		.amdhsa_exception_fp_ieee_inexact 0
		.amdhsa_exception_int_div_zero 0
	.end_amdhsa_kernel
	.section	.text._ZL32rocblas_gemvt_warp_reduce_kernelILb1ELi1024ElPK16rocblas_bfloat16PKfKPS0_EviiT3_lPKT2_lT1_lSA_lSB_lS7_lPT4_lSB_li,"axG",@progbits,_ZL32rocblas_gemvt_warp_reduce_kernelILb1ELi1024ElPK16rocblas_bfloat16PKfKPS0_EviiT3_lPKT2_lT1_lSA_lSB_lS7_lPT4_lSB_li,comdat
.Lfunc_end625:
	.size	_ZL32rocblas_gemvt_warp_reduce_kernelILb1ELi1024ElPK16rocblas_bfloat16PKfKPS0_EviiT3_lPKT2_lT1_lSA_lSB_lS7_lPT4_lSB_li, .Lfunc_end625-_ZL32rocblas_gemvt_warp_reduce_kernelILb1ELi1024ElPK16rocblas_bfloat16PKfKPS0_EviiT3_lPKT2_lT1_lSA_lSB_lS7_lPT4_lSB_li
                                        ; -- End function
	.set _ZL32rocblas_gemvt_warp_reduce_kernelILb1ELi1024ElPK16rocblas_bfloat16PKfKPS0_EviiT3_lPKT2_lT1_lSA_lSB_lS7_lPT4_lSB_li.num_vgpr, 27
	.set _ZL32rocblas_gemvt_warp_reduce_kernelILb1ELi1024ElPK16rocblas_bfloat16PKfKPS0_EviiT3_lPKT2_lT1_lSA_lSB_lS7_lPT4_lSB_li.num_agpr, 0
	.set _ZL32rocblas_gemvt_warp_reduce_kernelILb1ELi1024ElPK16rocblas_bfloat16PKfKPS0_EviiT3_lPKT2_lT1_lSA_lSB_lS7_lPT4_lSB_li.numbered_sgpr, 44
	.set _ZL32rocblas_gemvt_warp_reduce_kernelILb1ELi1024ElPK16rocblas_bfloat16PKfKPS0_EviiT3_lPKT2_lT1_lSA_lSB_lS7_lPT4_lSB_li.num_named_barrier, 0
	.set _ZL32rocblas_gemvt_warp_reduce_kernelILb1ELi1024ElPK16rocblas_bfloat16PKfKPS0_EviiT3_lPKT2_lT1_lSA_lSB_lS7_lPT4_lSB_li.private_seg_size, 0
	.set _ZL32rocblas_gemvt_warp_reduce_kernelILb1ELi1024ElPK16rocblas_bfloat16PKfKPS0_EviiT3_lPKT2_lT1_lSA_lSB_lS7_lPT4_lSB_li.uses_vcc, 1
	.set _ZL32rocblas_gemvt_warp_reduce_kernelILb1ELi1024ElPK16rocblas_bfloat16PKfKPS0_EviiT3_lPKT2_lT1_lSA_lSB_lS7_lPT4_lSB_li.uses_flat_scratch, 0
	.set _ZL32rocblas_gemvt_warp_reduce_kernelILb1ELi1024ElPK16rocblas_bfloat16PKfKPS0_EviiT3_lPKT2_lT1_lSA_lSB_lS7_lPT4_lSB_li.has_dyn_sized_stack, 0
	.set _ZL32rocblas_gemvt_warp_reduce_kernelILb1ELi1024ElPK16rocblas_bfloat16PKfKPS0_EviiT3_lPKT2_lT1_lSA_lSB_lS7_lPT4_lSB_li.has_recursion, 0
	.set _ZL32rocblas_gemvt_warp_reduce_kernelILb1ELi1024ElPK16rocblas_bfloat16PKfKPS0_EviiT3_lPKT2_lT1_lSA_lSB_lS7_lPT4_lSB_li.has_indirect_call, 0
	.section	.AMDGPU.csdata,"",@progbits
; Kernel info:
; codeLenInByte = 2144
; TotalNumSgprs: 46
; NumVgprs: 27
; ScratchSize: 0
; MemoryBound: 0
; FloatMode: 240
; IeeeMode: 1
; LDSByteSize: 128 bytes/workgroup (compile time only)
; SGPRBlocks: 0
; VGPRBlocks: 1
; NumSGPRsForWavesPerEU: 46
; NumVGPRsForWavesPerEU: 27
; NamedBarCnt: 0
; Occupancy: 16
; WaveLimiterHint : 1
; COMPUTE_PGM_RSRC2:SCRATCH_EN: 0
; COMPUTE_PGM_RSRC2:USER_SGPR: 2
; COMPUTE_PGM_RSRC2:TRAP_HANDLER: 0
; COMPUTE_PGM_RSRC2:TGID_X_EN: 1
; COMPUTE_PGM_RSRC2:TGID_Y_EN: 0
; COMPUTE_PGM_RSRC2:TGID_Z_EN: 1
; COMPUTE_PGM_RSRC2:TIDIG_COMP_CNT: 0
	.section	.text._ZL32rocblas_gemvt_warp_reduce_kernelILb1ELi1024EiPK16rocblas_bfloat16fKPS0_EviiT3_lPKT2_lT1_lS8_lS9_lS5_lPT4_lS9_li,"axG",@progbits,_ZL32rocblas_gemvt_warp_reduce_kernelILb1ELi1024EiPK16rocblas_bfloat16fKPS0_EviiT3_lPKT2_lT1_lS8_lS9_lS5_lPT4_lS9_li,comdat
	.globl	_ZL32rocblas_gemvt_warp_reduce_kernelILb1ELi1024EiPK16rocblas_bfloat16fKPS0_EviiT3_lPKT2_lT1_lS8_lS9_lS5_lPT4_lS9_li ; -- Begin function _ZL32rocblas_gemvt_warp_reduce_kernelILb1ELi1024EiPK16rocblas_bfloat16fKPS0_EviiT3_lPKT2_lT1_lS8_lS9_lS5_lPT4_lS9_li
	.p2align	8
	.type	_ZL32rocblas_gemvt_warp_reduce_kernelILb1ELi1024EiPK16rocblas_bfloat16fKPS0_EviiT3_lPKT2_lT1_lS8_lS9_lS5_lPT4_lS9_li,@function
_ZL32rocblas_gemvt_warp_reduce_kernelILb1ELi1024EiPK16rocblas_bfloat16fKPS0_EviiT3_lPKT2_lT1_lS8_lS9_lS5_lPT4_lS9_li: ; @_ZL32rocblas_gemvt_warp_reduce_kernelILb1ELi1024EiPK16rocblas_bfloat16fKPS0_EviiT3_lPKT2_lT1_lS8_lS9_lS5_lPT4_lS9_li
; %bb.0:
	s_load_b32 s5, s[0:1], 0x88
	s_bfe_u32 s2, ttmp6, 0x40014
	s_lshr_b32 s3, ttmp7, 16
	s_add_co_i32 s2, s2, 1
	s_bfe_u32 s6, ttmp6, 0x40008
	s_mul_i32 s4, s3, s2
	s_getreg_b32 s2, hwreg(HW_REG_IB_STS2, 6, 4)
	s_add_co_i32 s6, s6, s4
	s_cmp_eq_u32 s2, 0
	s_mov_b32 s7, 0
	s_cselect_b32 s6, s3, s6
	s_wait_kmcnt 0x0
	s_cmp_ge_u32 s6, s5
	s_cbranch_scc1 .LBB626_65
; %bb.1:
	s_clause 0x4
	s_load_b32 s26, s[0:1], 0x8
	s_load_b32 s27, s[0:1], 0x58
	s_load_b128 s[8:11], s[0:1], 0x18
	s_load_b32 s3, s[0:1], 0x28
	s_load_b32 s34, s[0:1], 0x0
	v_dual_mov_b32 v3, 0 :: v_dual_bitop2_b32 v2, 31, v0 bitop3:0x40
	v_lshrrev_b32_e32 v4, 3, v0
	v_mbcnt_lo_u32_b32 v14, -1, 0
	s_delay_alu instid0(VALU_DEP_3) | instskip(NEXT) | instid1(VALU_DEP_3)
	v_lshlrev_b32_e32 v15, 2, v2
	v_and_b32_e32 v16, 0x7c, v4
	s_delay_alu instid0(VALU_DEP_3)
	v_lshl_or_b32 v18, v14, 2, 64
	s_wait_kmcnt 0x0
	s_cmp_eq_f32 s26, 0
	v_cmp_gt_i32_e32 vcc_lo, s34, v0
	s_cselect_b32 s28, -1, 0
	s_cmp_neq_f32 s27, 1.0
	s_cselect_b32 s4, -1, 0
	s_cmp_neq_f32 s26, 0
	s_cselect_b32 s12, -1, 0
	s_delay_alu instid0(SALU_CYCLE_1)
	s_or_b32 s29, s12, s4
	s_cmp_neq_f32 s27, 0
	v_cndmask_b32_e64 v1, 0, 1, s12
	s_clause 0x3
	s_load_b128 s[12:15], s[0:1], 0x38
	s_load_b32 s4, s[0:1], 0x48
	s_load_b128 s[16:19], s[0:1], 0x68
	s_load_b32 s21, s[0:1], 0x78
	s_wait_xcnt 0x0
	v_cmp_eq_u32_e64 s0, 0, v0
	s_cselect_b32 s30, -1, 0
	s_cmp_eq_f32 s27, 0
	v_cmp_gt_u32_e64 s1, 32, v0
	s_cselect_b32 s31, -1, 0
	s_bfe_u32 s20, ttmp6, 0x4000c
	s_and_b32 s22, ttmp6, 15
	s_add_co_i32 s20, s20, 1
	s_delay_alu instid0(SALU_CYCLE_1) | instskip(NEXT) | instid1(SALU_CYCLE_1)
	s_mul_i32 s20, ttmp9, s20
	s_add_co_i32 s22, s22, s20
	s_cmp_eq_u32 s2, 0
	s_cselect_b32 s22, ttmp9, s22
	s_ashr_i32 s2, s34, 31
	s_wait_kmcnt 0x0
	v_mul_lo_u32 v17, v0, s4
	s_lshr_b32 s20, s2, 22
	v_cmp_eq_u32_e64 s2, 0, v2
	s_add_co_i32 s20, s34, s20
	s_mul_i32 s24, s21, s22
	s_and_b32 s20, s20, 0xfffffc00
	s_delay_alu instid0(SALU_CYCLE_1)
	v_dual_cndmask_b32 v2, 0, v0, vcc_lo :: v_dual_bitop2_b32 v5, s20, v0 bitop3:0x54
	s_lshl_b32 s33, s4, 10
	s_mul_i32 s22, s3, s22
	v_cmp_gt_i32_e64 s3, s20, v0
	s_ashr_i32 s25, s24, 31
	v_mul_lo_u32 v4, s4, v5
	v_lshlrev_b32_e32 v2, 1, v2
	v_cmp_gt_i32_e64 s4, s34, v5
	s_lshl_b64 s[10:11], s[10:11], 1
	s_ashr_i32 s23, s22, 31
	s_ashr_i32 s21, s20, 31
	s_lshl_b64 s[14:15], s[14:15], 1
	s_lshl_b64 s[18:19], s[18:19], 1
	;; [unrolled: 1-line block ×3, first 2 shown]
	v_ashrrev_i32_e32 v5, 31, v4
	s_branch .LBB626_4
.LBB626_2:                              ;   in Loop: Header=BB626_4 Depth=1
	s_wait_xcnt 0x0
	s_or_b32 exec_lo, exec_lo, s35
.LBB626_3:                              ;   in Loop: Header=BB626_4 Depth=1
	s_add_co_i32 s6, s6, 0x10000
	s_delay_alu instid0(SALU_CYCLE_1)
	s_cmp_lt_u32 s6, s5
	s_cbranch_scc0 .LBB626_65
.LBB626_4:                              ; =>This Loop Header: Depth=1
                                        ;     Child Loop BB626_33 Depth 2
	s_and_not1_b32 vcc_lo, exec_lo, s29
	s_cbranch_vccnz .LBB626_3
; %bb.5:                                ;   in Loop: Header=BB626_4 Depth=1
	s_and_not1_b32 vcc_lo, exec_lo, s28
	s_cbranch_vccnz .LBB626_7
; %bb.6:                                ;   in Loop: Header=BB626_4 Depth=1
	v_mov_b64_e32 v[8:9], 0
	v_mov_b64_e32 v[10:11], 0
	s_cbranch_execz .LBB626_8
	s_branch .LBB626_9
.LBB626_7:                              ;   in Loop: Header=BB626_4 Depth=1
	v_mov_b64_e32 v[8:9], 0
	v_mov_b64_e32 v[10:11], 0
.LBB626_8:                              ;   in Loop: Header=BB626_4 Depth=1
	s_lshl_b64 s[34:35], s[6:7], 3
	s_delay_alu instid0(SALU_CYCLE_1)
	s_add_nc_u64 s[34:35], s[8:9], s[34:35]
	global_load_b64 v[6:7], v3, s[34:35]
	s_wait_loadcnt 0x0
	v_add_nc_u64_e32 v[10:11], s[10:11], v[6:7]
.LBB626_9:                              ;   in Loop: Header=BB626_4 Depth=1
	v_cmp_ne_u32_e32 vcc_lo, 1, v1
	s_cbranch_vccnz .LBB626_11
; %bb.10:                               ;   in Loop: Header=BB626_4 Depth=1
	s_wait_xcnt 0x0
	s_lshl_b64 s[34:35], s[6:7], 3
	s_delay_alu instid0(SALU_CYCLE_1)
	s_add_nc_u64 s[34:35], s[12:13], s[34:35]
	global_load_b64 v[6:7], v3, s[34:35]
	s_wait_loadcnt 0x0
	v_add_nc_u64_e32 v[8:9], s[14:15], v[6:7]
.LBB626_11:                             ;   in Loop: Header=BB626_4 Depth=1
	s_wait_xcnt 0x0
	s_lshl_b64 s[34:35], s[6:7], 3
	s_and_not1_b32 vcc_lo, exec_lo, s28
	s_add_nc_u64 s[34:35], s[16:17], s[34:35]
	global_load_b64 v[6:7], v3, s[34:35]
	s_wait_loadcnt 0x0
	v_add_nc_u64_e32 v[6:7], s[18:19], v[6:7]
	s_cbranch_vccnz .LBB626_19
; %bb.12:                               ;   in Loop: Header=BB626_4 Depth=1
	s_wait_xcnt 0x0
	s_mov_b32 s35, 0
	s_mov_b32 s34, 0
                                        ; implicit-def: $vgpr12
	s_and_saveexec_b32 s36, s0
	s_cbranch_execz .LBB626_20
; %bb.13:                               ;   in Loop: Header=BB626_4 Depth=1
	s_and_not1_b32 vcc_lo, exec_lo, s30
	s_cbranch_vccnz .LBB626_21
; %bb.14:                               ;   in Loop: Header=BB626_4 Depth=1
	s_wait_dscnt 0x0
	v_add_nc_u64_e32 v[12:13], s[24:25], v[6:7]
	flat_load_u16 v12, v[12:13]
	s_wait_loadcnt_dscnt 0x0
	s_wait_xcnt 0x0
	v_lshlrev_b32_e32 v12, 16, v12
	s_delay_alu instid0(VALU_DEP_1) | instskip(NEXT) | instid1(VALU_DEP_1)
	v_mul_f32_e32 v12, s27, v12
	v_and_b32_e32 v13, 0x7f800000, v12
	s_delay_alu instid0(VALU_DEP_1) | instskip(SKIP_1) | instid1(SALU_CYCLE_1)
	v_cmp_ne_u32_e32 vcc_lo, 0x7f800000, v13
                                        ; implicit-def: $vgpr13
	s_and_saveexec_b32 s34, vcc_lo
	s_xor_b32 s34, exec_lo, s34
; %bb.15:                               ;   in Loop: Header=BB626_4 Depth=1
	v_bfe_u32 v13, v12, 16, 1
	s_delay_alu instid0(VALU_DEP_1)
	v_add3_u32 v13, v12, v13, 0x7fff
                                        ; implicit-def: $vgpr12
; %bb.16:                               ;   in Loop: Header=BB626_4 Depth=1
	s_and_not1_saveexec_b32 s34, s34
; %bb.17:                               ;   in Loop: Header=BB626_4 Depth=1
	v_and_b32_e32 v13, 0xffff, v12
	v_or_b32_e32 v19, 0x10000, v12
	s_delay_alu instid0(VALU_DEP_2) | instskip(NEXT) | instid1(VALU_DEP_2)
	v_cmp_eq_u32_e32 vcc_lo, 0, v13
	v_cndmask_b32_e32 v13, v19, v12, vcc_lo
; %bb.18:                               ;   in Loop: Header=BB626_4 Depth=1
	s_or_b32 exec_lo, exec_lo, s34
	s_delay_alu instid0(VALU_DEP_1) | instskip(SKIP_2) | instid1(SALU_CYCLE_1)
	v_lshrrev_b32_e32 v12, 16, v13
	s_mov_b32 s34, exec_lo
	s_or_b32 exec_lo, exec_lo, s36
	s_and_b32 vcc_lo, exec_lo, s35
	s_cbranch_vccnz .LBB626_22
	s_branch .LBB626_57
.LBB626_19:                             ;   in Loop: Header=BB626_4 Depth=1
	s_wait_xcnt 0x0
	s_mov_b32 s34, 0
                                        ; implicit-def: $vgpr12
	s_cbranch_execnz .LBB626_22
	s_branch .LBB626_57
.LBB626_20:                             ;   in Loop: Header=BB626_4 Depth=1
	s_or_b32 exec_lo, exec_lo, s36
	s_delay_alu instid0(SALU_CYCLE_1)
	s_and_b32 vcc_lo, exec_lo, s35
	s_cbranch_vccnz .LBB626_22
	s_branch .LBB626_57
.LBB626_21:                             ;   in Loop: Header=BB626_4 Depth=1
	v_mov_b32_e32 v12, 0
	s_mov_b32 s34, exec_lo
	s_or_b32 exec_lo, exec_lo, s36
	s_delay_alu instid0(SALU_CYCLE_1)
	s_and_b32 vcc_lo, exec_lo, s35
	s_cbranch_vccz .LBB626_57
.LBB626_22:                             ;   in Loop: Header=BB626_4 Depth=1
	v_add_nc_u64_e32 v[10:11], v[10:11], v[2:3]
	v_mov_b32_e32 v19, 0
	s_delay_alu instid0(VALU_DEP_2)
	v_lshl_add_u64 v[10:11], s[22:23], 1, v[10:11]
	s_and_saveexec_b32 s35, s3
	s_cbranch_execnz .LBB626_31
; %bb.23:                               ;   in Loop: Header=BB626_4 Depth=1
	s_or_b32 exec_lo, exec_lo, s35
	s_and_saveexec_b32 s35, s4
	s_cbranch_execnz .LBB626_60
.LBB626_24:                             ;   in Loop: Header=BB626_4 Depth=1
	s_or_b32 exec_lo, exec_lo, s35
	s_and_saveexec_b32 s35, s1
.LBB626_25:                             ;   in Loop: Header=BB626_4 Depth=1
	ds_store_b32 v15, v3
.LBB626_26:                             ;   in Loop: Header=BB626_4 Depth=1
	s_or_b32 exec_lo, exec_lo, s35
	ds_bpermute_b32 v9, v18, v19
	v_cmp_gt_u32_e32 vcc_lo, 24, v14
	s_wait_dscnt 0x0
	s_barrier_signal -1
	s_barrier_wait -1
	v_cndmask_b32_e64 v8, 0, 8, vcc_lo
	v_cmp_gt_u32_e32 vcc_lo, 28, v14
	s_delay_alu instid0(VALU_DEP_2)
	v_add_lshl_u32 v8, v8, v14, 2
	v_add_f32_e32 v10, v19, v9
	v_cndmask_b32_e64 v9, 0, 4, vcc_lo
	v_cmp_gt_u32_e32 vcc_lo, 30, v14
	ds_bpermute_b32 v11, v8, v10
	v_add_lshl_u32 v9, v9, v14, 2
	s_wait_dscnt 0x0
	v_add_f32_e32 v11, v10, v11
	v_cndmask_b32_e64 v10, 0, 2, vcc_lo
	v_cmp_ne_u32_e32 vcc_lo, 31, v14
	ds_bpermute_b32 v12, v9, v11
	v_add_lshl_u32 v10, v10, v14, 2
	v_add_co_ci_u32_e64 v13, null, 0, v14, vcc_lo
	s_wait_dscnt 0x0
	v_add_f32_e32 v11, v11, v12
	ds_bpermute_b32 v12, v10, v11
	s_wait_dscnt 0x0
	v_dual_add_f32 v12, v11, v12 :: v_dual_lshlrev_b32 v11, 2, v13
	ds_bpermute_b32 v13, v11, v12
	s_and_saveexec_b32 s35, s2
	s_cbranch_execz .LBB626_28
; %bb.27:                               ;   in Loop: Header=BB626_4 Depth=1
	s_wait_dscnt 0x0
	v_add_f32_e32 v12, v12, v13
	ds_store_b32 v16, v12
.LBB626_28:                             ;   in Loop: Header=BB626_4 Depth=1
	s_or_b32 exec_lo, exec_lo, s35
	s_wait_dscnt 0x0
	v_mov_b32_e32 v13, 0
	s_barrier_signal -1
	s_barrier_wait -1
	s_and_saveexec_b32 s35, s1
	s_cbranch_execnz .LBB626_37
; %bb.29:                               ;   in Loop: Header=BB626_4 Depth=1
	s_or_b32 exec_lo, exec_lo, s35
	s_and_saveexec_b32 s35, s1
	s_cbranch_execnz .LBB626_38
.LBB626_30:                             ;   in Loop: Header=BB626_4 Depth=1
	s_or_b32 exec_lo, exec_lo, s35
                                        ; implicit-def: $vgpr12
	s_and_saveexec_b32 s35, s0
	s_cbranch_execnz .LBB626_39
	s_branch .LBB626_56
.LBB626_31:                             ;   in Loop: Header=BB626_4 Depth=1
	s_wait_dscnt 0x0
	s_delay_alu instid0(VALU_DEP_1)
	v_mov_b64_e32 v[12:13], v[10:11]
	v_dual_mov_b32 v19, 0 :: v_dual_mov_b32 v20, v0
	v_mov_b32_e32 v21, v17
	s_mov_b32 s36, 0
	s_branch .LBB626_33
.LBB626_32:                             ;   in Loop: Header=BB626_33 Depth=2
	s_or_b32 exec_lo, exec_lo, s37
	s_delay_alu instid0(VALU_DEP_1) | instskip(SKIP_2) | instid1(VALU_DEP_3)
	v_and_b32_e32 v22, 0xffff0000, v22
	v_add_nc_u32_e32 v20, 0x400, v20
	v_add_nc_u64_e32 v[12:13], 0x800, v[12:13]
	v_dual_add_nc_u32 v21, s33, v21 :: v_dual_add_f32 v19, v19, v22
	s_delay_alu instid0(VALU_DEP_3) | instskip(SKIP_1) | instid1(SALU_CYCLE_1)
	v_cmp_le_i32_e32 vcc_lo, s20, v20
	s_or_b32 s36, vcc_lo, s36
	s_and_not1_b32 exec_lo, exec_lo, s36
	s_cbranch_execz .LBB626_59
.LBB626_33:                             ;   Parent Loop BB626_4 Depth=1
                                        ; =>  This Inner Loop Header: Depth=2
	v_readfirstlane_b32 s38, v8
	v_readfirstlane_b32 s39, v9
	flat_load_u16 v22, v[12:13]
	flat_load_u16 v23, v21, s[38:39] scale_offset
	s_wait_loadcnt_dscnt 0x0
	v_dual_lshlrev_b32 v22, 16, v22 :: v_dual_lshlrev_b32 v23, 16, v23
	s_delay_alu instid0(VALU_DEP_1) | instskip(NEXT) | instid1(VALU_DEP_1)
	v_mul_f32_e32 v23, v23, v22
	v_and_b32_e32 v22, 0x7f800000, v23
	s_delay_alu instid0(VALU_DEP_1) | instskip(SKIP_2) | instid1(SALU_CYCLE_1)
	v_cmp_ne_u32_e32 vcc_lo, 0x7f800000, v22
                                        ; implicit-def: $vgpr22
	s_wait_xcnt 0x0
	s_and_saveexec_b32 s37, vcc_lo
	s_xor_b32 s37, exec_lo, s37
; %bb.34:                               ;   in Loop: Header=BB626_33 Depth=2
	v_bfe_u32 v22, v23, 16, 1
	s_delay_alu instid0(VALU_DEP_1)
	v_add3_u32 v22, v23, v22, 0x7fff
                                        ; implicit-def: $vgpr23
; %bb.35:                               ;   in Loop: Header=BB626_33 Depth=2
	s_and_not1_saveexec_b32 s37, s37
	s_cbranch_execz .LBB626_32
; %bb.36:                               ;   in Loop: Header=BB626_33 Depth=2
	v_and_b32_e32 v22, 0xffff, v23
	v_or_b32_e32 v24, 0x10000, v23
	s_delay_alu instid0(VALU_DEP_2) | instskip(NEXT) | instid1(VALU_DEP_2)
	v_cmp_eq_u32_e32 vcc_lo, 0, v22
	v_cndmask_b32_e32 v22, v24, v23, vcc_lo
	s_branch .LBB626_32
.LBB626_37:                             ;   in Loop: Header=BB626_4 Depth=1
	ds_load_b32 v13, v15
	s_or_b32 exec_lo, exec_lo, s35
	s_and_saveexec_b32 s35, s1
	s_cbranch_execz .LBB626_30
.LBB626_38:                             ;   in Loop: Header=BB626_4 Depth=1
	s_wait_dscnt 0x0
	ds_bpermute_b32 v12, v18, v13
	s_wait_dscnt 0x0
	v_add_f32_e32 v12, v13, v12
	ds_bpermute_b32 v8, v8, v12
	s_wait_dscnt 0x0
	v_add_f32_e32 v8, v12, v8
	;; [unrolled: 3-line block ×5, first 2 shown]
	s_or_b32 exec_lo, exec_lo, s35
                                        ; implicit-def: $vgpr12
	s_and_saveexec_b32 s35, s0
	s_cbranch_execz .LBB626_56
.LBB626_39:                             ;   in Loop: Header=BB626_4 Depth=1
	s_wait_dscnt 0x0
	v_mul_f32_e32 v8, s26, v13
	s_and_b32 vcc_lo, exec_lo, s31
	s_mov_b32 s36, -1
                                        ; implicit-def: $vgpr9
	s_cbranch_vccz .LBB626_45
; %bb.40:                               ;   in Loop: Header=BB626_4 Depth=1
	s_delay_alu instid0(VALU_DEP_1) | instskip(NEXT) | instid1(VALU_DEP_1)
	v_and_b32_e32 v9, 0x7f800000, v8
	v_cmp_ne_u32_e32 vcc_lo, 0x7f800000, v9
                                        ; implicit-def: $vgpr9
	s_and_saveexec_b32 s36, vcc_lo
	s_delay_alu instid0(SALU_CYCLE_1)
	s_xor_b32 s36, exec_lo, s36
; %bb.41:                               ;   in Loop: Header=BB626_4 Depth=1
	v_bfe_u32 v9, v8, 16, 1
	s_delay_alu instid0(VALU_DEP_1)
	v_add3_u32 v9, v8, v9, 0x7fff
; %bb.42:                               ;   in Loop: Header=BB626_4 Depth=1
	s_and_not1_saveexec_b32 s36, s36
; %bb.43:                               ;   in Loop: Header=BB626_4 Depth=1
	v_and_b32_e32 v9, 0xffff, v8
	v_or_b32_e32 v10, 0x10000, v8
	s_delay_alu instid0(VALU_DEP_2) | instskip(NEXT) | instid1(VALU_DEP_2)
	v_cmp_eq_u32_e32 vcc_lo, 0, v9
	v_cndmask_b32_e32 v9, v10, v8, vcc_lo
; %bb.44:                               ;   in Loop: Header=BB626_4 Depth=1
	s_or_b32 exec_lo, exec_lo, s36
	s_mov_b32 s36, 0
.LBB626_45:                             ;   in Loop: Header=BB626_4 Depth=1
	s_delay_alu instid0(SALU_CYCLE_1)
	s_and_not1_b32 vcc_lo, exec_lo, s36
	s_cbranch_vccnz .LBB626_55
; %bb.46:                               ;   in Loop: Header=BB626_4 Depth=1
	v_add_nc_u64_e32 v[10:11], s[24:25], v[6:7]
	flat_load_u16 v9, v[10:11]
	s_wait_loadcnt_dscnt 0x0
	v_lshlrev_b32_e32 v9, 16, v9
	s_delay_alu instid0(VALU_DEP_1) | instskip(SKIP_1) | instid1(VALU_DEP_1)
	v_mul_f32_e32 v9, s27, v9
	s_wait_xcnt 0x0
	v_and_b32_e32 v10, 0x7f800000, v9
	s_delay_alu instid0(VALU_DEP_1) | instskip(SKIP_1) | instid1(SALU_CYCLE_1)
	v_cmp_ne_u32_e32 vcc_lo, 0x7f800000, v10
                                        ; implicit-def: $vgpr10
	s_and_saveexec_b32 s36, vcc_lo
	s_xor_b32 s36, exec_lo, s36
; %bb.47:                               ;   in Loop: Header=BB626_4 Depth=1
	v_bfe_u32 v10, v9, 16, 1
	s_delay_alu instid0(VALU_DEP_1)
	v_add3_u32 v10, v9, v10, 0x7fff
                                        ; implicit-def: $vgpr9
; %bb.48:                               ;   in Loop: Header=BB626_4 Depth=1
	s_and_not1_saveexec_b32 s36, s36
; %bb.49:                               ;   in Loop: Header=BB626_4 Depth=1
	v_and_b32_e32 v10, 0xffff, v9
	v_or_b32_e32 v11, 0x10000, v9
	s_delay_alu instid0(VALU_DEP_2) | instskip(NEXT) | instid1(VALU_DEP_2)
	v_cmp_eq_u32_e32 vcc_lo, 0, v10
	v_cndmask_b32_e32 v10, v11, v9, vcc_lo
; %bb.50:                               ;   in Loop: Header=BB626_4 Depth=1
	s_or_b32 exec_lo, exec_lo, s36
	s_delay_alu instid0(VALU_DEP_1) | instskip(NEXT) | instid1(VALU_DEP_1)
	v_and_b32_e32 v9, 0xffff0000, v10
	v_add_f32_e32 v8, v8, v9
	s_delay_alu instid0(VALU_DEP_1) | instskip(NEXT) | instid1(VALU_DEP_1)
	v_and_b32_e32 v9, 0x7f800000, v8
	v_cmp_ne_u32_e32 vcc_lo, 0x7f800000, v9
                                        ; implicit-def: $vgpr9
	s_and_saveexec_b32 s36, vcc_lo
	s_delay_alu instid0(SALU_CYCLE_1)
	s_xor_b32 s36, exec_lo, s36
; %bb.51:                               ;   in Loop: Header=BB626_4 Depth=1
	v_bfe_u32 v9, v8, 16, 1
	s_delay_alu instid0(VALU_DEP_1)
	v_add3_u32 v9, v8, v9, 0x7fff
                                        ; implicit-def: $vgpr8
; %bb.52:                               ;   in Loop: Header=BB626_4 Depth=1
	s_and_not1_saveexec_b32 s36, s36
; %bb.53:                               ;   in Loop: Header=BB626_4 Depth=1
	v_and_b32_e32 v9, 0xffff, v8
	v_or_b32_e32 v10, 0x10000, v8
	s_delay_alu instid0(VALU_DEP_2) | instskip(NEXT) | instid1(VALU_DEP_2)
	v_cmp_eq_u32_e32 vcc_lo, 0, v9
	v_cndmask_b32_e32 v9, v10, v8, vcc_lo
; %bb.54:                               ;   in Loop: Header=BB626_4 Depth=1
	s_or_b32 exec_lo, exec_lo, s36
.LBB626_55:                             ;   in Loop: Header=BB626_4 Depth=1
	s_delay_alu instid0(VALU_DEP_1)
	v_lshrrev_b32_e32 v12, 16, v9
	s_or_b32 s34, s34, exec_lo
.LBB626_56:                             ;   in Loop: Header=BB626_4 Depth=1
	s_or_b32 exec_lo, exec_lo, s35
.LBB626_57:                             ;   in Loop: Header=BB626_4 Depth=1
	s_and_saveexec_b32 s35, s34
	s_cbranch_execz .LBB626_2
; %bb.58:                               ;   in Loop: Header=BB626_4 Depth=1
	v_add_nc_u64_e32 v[6:7], s[24:25], v[6:7]
	flat_store_b16 v[6:7], v12
	s_branch .LBB626_2
.LBB626_59:                             ;   in Loop: Header=BB626_4 Depth=1
	s_or_b32 exec_lo, exec_lo, s36
	s_delay_alu instid0(SALU_CYCLE_1)
	s_or_b32 exec_lo, exec_lo, s35
	s_and_saveexec_b32 s35, s4
	s_cbranch_execz .LBB626_24
.LBB626_60:                             ;   in Loop: Header=BB626_4 Depth=1
	v_lshl_add_u64 v[10:11], s[20:21], 1, v[10:11]
	v_lshl_add_u64 v[8:9], v[4:5], 1, v[8:9]
	flat_load_u16 v12, v[10:11]
	s_wait_dscnt 0x1
	flat_load_u16 v13, v[8:9]
	s_wait_loadcnt_dscnt 0x0
	s_wait_xcnt 0x0
	v_dual_lshlrev_b32 v8, 16, v12 :: v_dual_lshlrev_b32 v9, 16, v13
	s_delay_alu instid0(VALU_DEP_1) | instskip(NEXT) | instid1(VALU_DEP_1)
	v_mul_f32_e32 v8, v9, v8
	v_and_b32_e32 v9, 0x7f800000, v8
	s_delay_alu instid0(VALU_DEP_1) | instskip(SKIP_1) | instid1(SALU_CYCLE_1)
	v_cmp_ne_u32_e32 vcc_lo, 0x7f800000, v9
                                        ; implicit-def: $vgpr9
	s_and_saveexec_b32 s36, vcc_lo
	s_xor_b32 s36, exec_lo, s36
; %bb.61:                               ;   in Loop: Header=BB626_4 Depth=1
	v_bfe_u32 v9, v8, 16, 1
	s_delay_alu instid0(VALU_DEP_1)
	v_add3_u32 v9, v8, v9, 0x7fff
                                        ; implicit-def: $vgpr8
; %bb.62:                               ;   in Loop: Header=BB626_4 Depth=1
	s_and_not1_saveexec_b32 s36, s36
; %bb.63:                               ;   in Loop: Header=BB626_4 Depth=1
	v_and_b32_e32 v9, 0xffff, v8
	v_or_b32_e32 v10, 0x10000, v8
	s_delay_alu instid0(VALU_DEP_2) | instskip(NEXT) | instid1(VALU_DEP_2)
	v_cmp_eq_u32_e32 vcc_lo, 0, v9
	v_cndmask_b32_e32 v9, v10, v8, vcc_lo
; %bb.64:                               ;   in Loop: Header=BB626_4 Depth=1
	s_or_b32 exec_lo, exec_lo, s36
	s_delay_alu instid0(VALU_DEP_1) | instskip(NEXT) | instid1(VALU_DEP_1)
	v_and_b32_e32 v8, 0xffff0000, v9
	v_add_f32_e32 v19, v19, v8
	s_or_b32 exec_lo, exec_lo, s35
	s_and_saveexec_b32 s35, s1
	s_cbranch_execnz .LBB626_25
	s_branch .LBB626_26
.LBB626_65:
	s_endpgm
	.section	.rodata,"a",@progbits
	.p2align	6, 0x0
	.amdhsa_kernel _ZL32rocblas_gemvt_warp_reduce_kernelILb1ELi1024EiPK16rocblas_bfloat16fKPS0_EviiT3_lPKT2_lT1_lS8_lS9_lS5_lPT4_lS9_li
		.amdhsa_group_segment_fixed_size 128
		.amdhsa_private_segment_fixed_size 0
		.amdhsa_kernarg_size 140
		.amdhsa_user_sgpr_count 2
		.amdhsa_user_sgpr_dispatch_ptr 0
		.amdhsa_user_sgpr_queue_ptr 0
		.amdhsa_user_sgpr_kernarg_segment_ptr 1
		.amdhsa_user_sgpr_dispatch_id 0
		.amdhsa_user_sgpr_kernarg_preload_length 0
		.amdhsa_user_sgpr_kernarg_preload_offset 0
		.amdhsa_user_sgpr_private_segment_size 0
		.amdhsa_wavefront_size32 1
		.amdhsa_uses_dynamic_stack 0
		.amdhsa_enable_private_segment 0
		.amdhsa_system_sgpr_workgroup_id_x 1
		.amdhsa_system_sgpr_workgroup_id_y 0
		.amdhsa_system_sgpr_workgroup_id_z 1
		.amdhsa_system_sgpr_workgroup_info 0
		.amdhsa_system_vgpr_workitem_id 0
		.amdhsa_next_free_vgpr 25
		.amdhsa_next_free_sgpr 40
		.amdhsa_named_barrier_count 0
		.amdhsa_reserve_vcc 1
		.amdhsa_float_round_mode_32 0
		.amdhsa_float_round_mode_16_64 0
		.amdhsa_float_denorm_mode_32 3
		.amdhsa_float_denorm_mode_16_64 3
		.amdhsa_fp16_overflow 0
		.amdhsa_memory_ordered 1
		.amdhsa_forward_progress 1
		.amdhsa_inst_pref_size 17
		.amdhsa_round_robin_scheduling 0
		.amdhsa_exception_fp_ieee_invalid_op 0
		.amdhsa_exception_fp_denorm_src 0
		.amdhsa_exception_fp_ieee_div_zero 0
		.amdhsa_exception_fp_ieee_overflow 0
		.amdhsa_exception_fp_ieee_underflow 0
		.amdhsa_exception_fp_ieee_inexact 0
		.amdhsa_exception_int_div_zero 0
	.end_amdhsa_kernel
	.section	.text._ZL32rocblas_gemvt_warp_reduce_kernelILb1ELi1024EiPK16rocblas_bfloat16fKPS0_EviiT3_lPKT2_lT1_lS8_lS9_lS5_lPT4_lS9_li,"axG",@progbits,_ZL32rocblas_gemvt_warp_reduce_kernelILb1ELi1024EiPK16rocblas_bfloat16fKPS0_EviiT3_lPKT2_lT1_lS8_lS9_lS5_lPT4_lS9_li,comdat
.Lfunc_end626:
	.size	_ZL32rocblas_gemvt_warp_reduce_kernelILb1ELi1024EiPK16rocblas_bfloat16fKPS0_EviiT3_lPKT2_lT1_lS8_lS9_lS5_lPT4_lS9_li, .Lfunc_end626-_ZL32rocblas_gemvt_warp_reduce_kernelILb1ELi1024EiPK16rocblas_bfloat16fKPS0_EviiT3_lPKT2_lT1_lS8_lS9_lS5_lPT4_lS9_li
                                        ; -- End function
	.set _ZL32rocblas_gemvt_warp_reduce_kernelILb1ELi1024EiPK16rocblas_bfloat16fKPS0_EviiT3_lPKT2_lT1_lS8_lS9_lS5_lPT4_lS9_li.num_vgpr, 25
	.set _ZL32rocblas_gemvt_warp_reduce_kernelILb1ELi1024EiPK16rocblas_bfloat16fKPS0_EviiT3_lPKT2_lT1_lS8_lS9_lS5_lPT4_lS9_li.num_agpr, 0
	.set _ZL32rocblas_gemvt_warp_reduce_kernelILb1ELi1024EiPK16rocblas_bfloat16fKPS0_EviiT3_lPKT2_lT1_lS8_lS9_lS5_lPT4_lS9_li.numbered_sgpr, 40
	.set _ZL32rocblas_gemvt_warp_reduce_kernelILb1ELi1024EiPK16rocblas_bfloat16fKPS0_EviiT3_lPKT2_lT1_lS8_lS9_lS5_lPT4_lS9_li.num_named_barrier, 0
	.set _ZL32rocblas_gemvt_warp_reduce_kernelILb1ELi1024EiPK16rocblas_bfloat16fKPS0_EviiT3_lPKT2_lT1_lS8_lS9_lS5_lPT4_lS9_li.private_seg_size, 0
	.set _ZL32rocblas_gemvt_warp_reduce_kernelILb1ELi1024EiPK16rocblas_bfloat16fKPS0_EviiT3_lPKT2_lT1_lS8_lS9_lS5_lPT4_lS9_li.uses_vcc, 1
	.set _ZL32rocblas_gemvt_warp_reduce_kernelILb1ELi1024EiPK16rocblas_bfloat16fKPS0_EviiT3_lPKT2_lT1_lS8_lS9_lS5_lPT4_lS9_li.uses_flat_scratch, 0
	.set _ZL32rocblas_gemvt_warp_reduce_kernelILb1ELi1024EiPK16rocblas_bfloat16fKPS0_EviiT3_lPKT2_lT1_lS8_lS9_lS5_lPT4_lS9_li.has_dyn_sized_stack, 0
	.set _ZL32rocblas_gemvt_warp_reduce_kernelILb1ELi1024EiPK16rocblas_bfloat16fKPS0_EviiT3_lPKT2_lT1_lS8_lS9_lS5_lPT4_lS9_li.has_recursion, 0
	.set _ZL32rocblas_gemvt_warp_reduce_kernelILb1ELi1024EiPK16rocblas_bfloat16fKPS0_EviiT3_lPKT2_lT1_lS8_lS9_lS5_lPT4_lS9_li.has_indirect_call, 0
	.section	.AMDGPU.csdata,"",@progbits
; Kernel info:
; codeLenInByte = 2164
; TotalNumSgprs: 42
; NumVgprs: 25
; ScratchSize: 0
; MemoryBound: 0
; FloatMode: 240
; IeeeMode: 1
; LDSByteSize: 128 bytes/workgroup (compile time only)
; SGPRBlocks: 0
; VGPRBlocks: 1
; NumSGPRsForWavesPerEU: 42
; NumVGPRsForWavesPerEU: 25
; NamedBarCnt: 0
; Occupancy: 16
; WaveLimiterHint : 1
; COMPUTE_PGM_RSRC2:SCRATCH_EN: 0
; COMPUTE_PGM_RSRC2:USER_SGPR: 2
; COMPUTE_PGM_RSRC2:TRAP_HANDLER: 0
; COMPUTE_PGM_RSRC2:TGID_X_EN: 1
; COMPUTE_PGM_RSRC2:TGID_Y_EN: 0
; COMPUTE_PGM_RSRC2:TGID_Z_EN: 1
; COMPUTE_PGM_RSRC2:TIDIG_COMP_CNT: 0
	.section	.text._ZL32rocblas_gemvt_warp_reduce_kernelILb1ELi1024ElPK16rocblas_bfloat16fKPS0_EviiT3_lPKT2_lT1_lS8_lS9_lS5_lPT4_lS9_li,"axG",@progbits,_ZL32rocblas_gemvt_warp_reduce_kernelILb1ELi1024ElPK16rocblas_bfloat16fKPS0_EviiT3_lPKT2_lT1_lS8_lS9_lS5_lPT4_lS9_li,comdat
	.globl	_ZL32rocblas_gemvt_warp_reduce_kernelILb1ELi1024ElPK16rocblas_bfloat16fKPS0_EviiT3_lPKT2_lT1_lS8_lS9_lS5_lPT4_lS9_li ; -- Begin function _ZL32rocblas_gemvt_warp_reduce_kernelILb1ELi1024ElPK16rocblas_bfloat16fKPS0_EviiT3_lPKT2_lT1_lS8_lS9_lS5_lPT4_lS9_li
	.p2align	8
	.type	_ZL32rocblas_gemvt_warp_reduce_kernelILb1ELi1024ElPK16rocblas_bfloat16fKPS0_EviiT3_lPKT2_lT1_lS8_lS9_lS5_lPT4_lS9_li,@function
_ZL32rocblas_gemvt_warp_reduce_kernelILb1ELi1024ElPK16rocblas_bfloat16fKPS0_EviiT3_lPKT2_lT1_lS8_lS9_lS5_lPT4_lS9_li: ; @_ZL32rocblas_gemvt_warp_reduce_kernelILb1ELi1024ElPK16rocblas_bfloat16fKPS0_EviiT3_lPKT2_lT1_lS8_lS9_lS5_lPT4_lS9_li
; %bb.0:
	s_load_b32 s5, s[0:1], 0x88
	s_bfe_u32 s2, ttmp6, 0x40014
	s_lshr_b32 s3, ttmp7, 16
	s_add_co_i32 s2, s2, 1
	s_bfe_u32 s6, ttmp6, 0x40008
	s_mul_i32 s4, s3, s2
	s_getreg_b32 s2, hwreg(HW_REG_IB_STS2, 6, 4)
	s_add_co_i32 s6, s6, s4
	s_cmp_eq_u32 s2, 0
	s_mov_b32 s7, 0
	s_cselect_b32 s6, s3, s6
	s_wait_kmcnt 0x0
	s_cmp_ge_u32 s6, s5
	s_cbranch_scc1 .LBB627_65
; %bb.1:
	s_clause 0x7
	s_load_b32 s28, s[0:1], 0x8
	s_load_b32 s29, s[0:1], 0x58
	s_load_b128 s[8:11], s[0:1], 0x18
	s_load_b64 s[22:23], s[0:1], 0x28
	s_load_b32 s4, s[0:1], 0x0
	s_load_b128 s[12:15], s[0:1], 0x68
	s_load_b64 s[24:25], s[0:1], 0x48
	s_load_b64 s[26:27], s[0:1], 0x78
	v_mbcnt_lo_u32_b32 v20, -1, 0
	s_delay_alu instid0(VALU_DEP_1)
	v_lshl_or_b32 v21, v20, 2, 64
	s_wait_kmcnt 0x0
	s_cmp_eq_f32 s28, 0
	s_cselect_b32 s30, -1, 0
	s_cmp_neq_f32 s29, 1.0
	s_cselect_b32 s3, -1, 0
	s_cmp_neq_f32 s28, 0
	s_cselect_b32 s16, -1, 0
	s_delay_alu instid0(SALU_CYCLE_1)
	s_or_b32 s31, s16, s3
	s_cmp_neq_f32 s29, 0
	v_cndmask_b32_e64 v18, 0, 1, s16
	s_cselect_b32 s33, -1, 0
	s_cmp_eq_f32 s29, 0
	s_cselect_b32 s34, -1, 0
	s_bfe_u32 s3, ttmp6, 0x4000c
	s_and_b32 s16, ttmp6, 15
	s_add_co_i32 s3, s3, 1
	s_delay_alu instid0(SALU_CYCLE_1) | instskip(NEXT) | instid1(SALU_CYCLE_1)
	s_mul_i32 s3, ttmp9, s3
	s_add_co_i32 s16, s16, s3
	s_cmp_eq_u32 s2, 0
	s_cselect_b32 s2, ttmp9, s16
	s_load_b128 s[16:19], s[0:1], 0x38
	s_ashr_i32 s3, s4, 31
	v_cmp_gt_i32_e32 vcc_lo, s4, v0
	s_lshr_b32 s3, s3, 22
	s_wait_xcnt 0x0
	v_cmp_eq_u32_e64 s0, 0, v0
	s_add_co_i32 s3, s4, s3
	s_lshl_b64 s[10:11], s[10:11], 1
	s_and_b32 s20, s3, 0xfffffc00
	s_delay_alu instid0(SALU_CYCLE_1) | instskip(SKIP_3) | instid1(VALU_DEP_2)
	v_dual_mov_b32 v3, 0 :: v_dual_bitop2_b32 v8, s20, v0 bitop3:0x54
	s_ashr_i32 s3, s2, 31
	v_cndmask_b32_e32 v2, 0, v0, vcc_lo
	s_mul_u64 s[26:27], s[26:27], s[2:3]
	v_dual_mov_b32 v1, v3 :: v_dual_ashrrev_i32 v9, 31, v8
	s_mul_u64 s[22:23], s[22:23], s[2:3]
	v_cmp_gt_i32_e64 s2, s4, v8
	v_cmp_gt_i32_e64 s1, s20, v0
	s_delay_alu instid0(VALU_DEP_3)
	v_mul_u64_e32 v[6:7], s[24:25], v[0:1]
	v_mul_u64_e32 v[4:5], s[24:25], v[8:9]
	v_dual_lshrrev_b32 v8, 3, v0 :: v_dual_bitop2_b32 v9, 31, v0 bitop3:0x40
	v_cmp_gt_u32_e64 s3, 32, v0
	v_lshlrev_b32_e32 v2, 1, v2
	s_ashr_i32 s21, s20, 31
	v_lshlrev_b32_e32 v1, 2, v9
	v_cmp_eq_u32_e64 s4, 0, v9
	v_and_b32_e32 v19, 0x7c, v8
	s_lshl_b64 s[24:25], s[24:25], 11
	s_wait_kmcnt 0x0
	s_lshl_b64 s[18:19], s[18:19], 1
	s_lshl_b64 s[14:15], s[14:15], 1
	;; [unrolled: 1-line block ×3, first 2 shown]
	v_lshlrev_b64_e32 v[6:7], 1, v[6:7]
	s_branch .LBB627_4
.LBB627_2:                              ;   in Loop: Header=BB627_4 Depth=1
	s_wait_xcnt 0x0
	s_or_b32 exec_lo, exec_lo, s36
.LBB627_3:                              ;   in Loop: Header=BB627_4 Depth=1
	s_add_co_i32 s6, s6, 0x10000
	s_delay_alu instid0(SALU_CYCLE_1)
	s_cmp_lt_u32 s6, s5
	s_cbranch_scc0 .LBB627_65
.LBB627_4:                              ; =>This Loop Header: Depth=1
                                        ;     Child Loop BB627_33 Depth 2
	s_and_not1_b32 vcc_lo, exec_lo, s31
	s_cbranch_vccnz .LBB627_3
; %bb.5:                                ;   in Loop: Header=BB627_4 Depth=1
	s_and_not1_b32 vcc_lo, exec_lo, s30
	s_cbranch_vccnz .LBB627_7
; %bb.6:                                ;   in Loop: Header=BB627_4 Depth=1
	v_mov_b64_e32 v[10:11], 0
	v_mov_b64_e32 v[12:13], 0
	s_cbranch_execz .LBB627_8
	s_branch .LBB627_9
.LBB627_7:                              ;   in Loop: Header=BB627_4 Depth=1
	v_mov_b64_e32 v[10:11], 0
	v_mov_b64_e32 v[12:13], 0
.LBB627_8:                              ;   in Loop: Header=BB627_4 Depth=1
	s_lshl_b64 s[36:37], s[6:7], 3
	s_delay_alu instid0(SALU_CYCLE_1)
	s_add_nc_u64 s[36:37], s[8:9], s[36:37]
	global_load_b64 v[8:9], v3, s[36:37]
	s_wait_loadcnt 0x0
	v_add_nc_u64_e32 v[12:13], s[10:11], v[8:9]
.LBB627_9:                              ;   in Loop: Header=BB627_4 Depth=1
	v_cmp_ne_u32_e32 vcc_lo, 1, v18
	s_cbranch_vccnz .LBB627_11
; %bb.10:                               ;   in Loop: Header=BB627_4 Depth=1
	s_wait_xcnt 0x0
	s_lshl_b64 s[36:37], s[6:7], 3
	s_delay_alu instid0(SALU_CYCLE_1)
	s_add_nc_u64 s[36:37], s[16:17], s[36:37]
	global_load_b64 v[8:9], v3, s[36:37]
	s_wait_loadcnt 0x0
	v_add_nc_u64_e32 v[10:11], s[18:19], v[8:9]
.LBB627_11:                             ;   in Loop: Header=BB627_4 Depth=1
	s_wait_xcnt 0x0
	s_lshl_b64 s[36:37], s[6:7], 3
	s_and_not1_b32 vcc_lo, exec_lo, s30
	s_add_nc_u64 s[36:37], s[12:13], s[36:37]
	global_load_b64 v[8:9], v3, s[36:37]
	s_wait_loadcnt 0x0
	v_add_nc_u64_e32 v[8:9], s[14:15], v[8:9]
	s_cbranch_vccnz .LBB627_19
; %bb.12:                               ;   in Loop: Header=BB627_4 Depth=1
	s_wait_xcnt 0x0
	s_mov_b32 s36, 0
	s_mov_b32 s35, 0
                                        ; implicit-def: $vgpr14
	s_and_saveexec_b32 s37, s0
	s_cbranch_execz .LBB627_20
; %bb.13:                               ;   in Loop: Header=BB627_4 Depth=1
	s_and_not1_b32 vcc_lo, exec_lo, s33
	s_cbranch_vccnz .LBB627_21
; %bb.14:                               ;   in Loop: Header=BB627_4 Depth=1
	s_wait_dscnt 0x0
	v_add_nc_u64_e32 v[14:15], s[26:27], v[8:9]
	flat_load_u16 v14, v[14:15]
	s_wait_loadcnt_dscnt 0x0
	s_wait_xcnt 0x0
	v_lshlrev_b32_e32 v14, 16, v14
	s_delay_alu instid0(VALU_DEP_1) | instskip(NEXT) | instid1(VALU_DEP_1)
	v_mul_f32_e32 v14, s29, v14
	v_and_b32_e32 v15, 0x7f800000, v14
	s_delay_alu instid0(VALU_DEP_1) | instskip(SKIP_1) | instid1(SALU_CYCLE_1)
	v_cmp_ne_u32_e32 vcc_lo, 0x7f800000, v15
                                        ; implicit-def: $vgpr15
	s_and_saveexec_b32 s35, vcc_lo
	s_xor_b32 s35, exec_lo, s35
; %bb.15:                               ;   in Loop: Header=BB627_4 Depth=1
	v_bfe_u32 v15, v14, 16, 1
	s_delay_alu instid0(VALU_DEP_1)
	v_add3_u32 v15, v14, v15, 0x7fff
                                        ; implicit-def: $vgpr14
; %bb.16:                               ;   in Loop: Header=BB627_4 Depth=1
	s_and_not1_saveexec_b32 s35, s35
; %bb.17:                               ;   in Loop: Header=BB627_4 Depth=1
	v_and_b32_e32 v15, 0xffff, v14
	v_or_b32_e32 v16, 0x10000, v14
	s_delay_alu instid0(VALU_DEP_2) | instskip(NEXT) | instid1(VALU_DEP_2)
	v_cmp_eq_u32_e32 vcc_lo, 0, v15
	v_cndmask_b32_e32 v15, v16, v14, vcc_lo
; %bb.18:                               ;   in Loop: Header=BB627_4 Depth=1
	s_or_b32 exec_lo, exec_lo, s35
	s_delay_alu instid0(VALU_DEP_1) | instskip(SKIP_2) | instid1(SALU_CYCLE_1)
	v_lshrrev_b32_e32 v14, 16, v15
	s_mov_b32 s35, exec_lo
	s_or_b32 exec_lo, exec_lo, s37
	s_and_b32 vcc_lo, exec_lo, s36
	s_cbranch_vccnz .LBB627_22
	s_branch .LBB627_57
.LBB627_19:                             ;   in Loop: Header=BB627_4 Depth=1
	s_wait_xcnt 0x0
	s_mov_b32 s35, 0
                                        ; implicit-def: $vgpr14
	s_cbranch_execnz .LBB627_22
	s_branch .LBB627_57
.LBB627_20:                             ;   in Loop: Header=BB627_4 Depth=1
	s_or_b32 exec_lo, exec_lo, s37
	s_delay_alu instid0(SALU_CYCLE_1)
	s_and_b32 vcc_lo, exec_lo, s36
	s_cbranch_vccnz .LBB627_22
	s_branch .LBB627_57
.LBB627_21:                             ;   in Loop: Header=BB627_4 Depth=1
	v_mov_b32_e32 v14, 0
	s_mov_b32 s35, exec_lo
	s_or_b32 exec_lo, exec_lo, s37
	s_delay_alu instid0(SALU_CYCLE_1)
	s_and_b32 vcc_lo, exec_lo, s36
	s_cbranch_vccz .LBB627_57
.LBB627_22:                             ;   in Loop: Header=BB627_4 Depth=1
	v_add_nc_u64_e32 v[12:13], v[12:13], v[2:3]
	v_mov_b32_e32 v22, 0
	s_delay_alu instid0(VALU_DEP_2)
	v_lshl_add_u64 v[12:13], s[22:23], 1, v[12:13]
	s_and_saveexec_b32 s36, s1
	s_cbranch_execnz .LBB627_31
; %bb.23:                               ;   in Loop: Header=BB627_4 Depth=1
	s_or_b32 exec_lo, exec_lo, s36
	s_and_saveexec_b32 s36, s2
	s_cbranch_execnz .LBB627_60
.LBB627_24:                             ;   in Loop: Header=BB627_4 Depth=1
	s_or_b32 exec_lo, exec_lo, s36
	s_and_saveexec_b32 s36, s3
.LBB627_25:                             ;   in Loop: Header=BB627_4 Depth=1
	ds_store_b32 v1, v3
.LBB627_26:                             ;   in Loop: Header=BB627_4 Depth=1
	s_or_b32 exec_lo, exec_lo, s36
	ds_bpermute_b32 v11, v21, v22
	v_cmp_gt_u32_e32 vcc_lo, 24, v20
	s_wait_dscnt 0x0
	s_barrier_signal -1
	s_barrier_wait -1
	v_cndmask_b32_e64 v10, 0, 8, vcc_lo
	v_cmp_gt_u32_e32 vcc_lo, 28, v20
	s_delay_alu instid0(VALU_DEP_2)
	v_add_lshl_u32 v10, v10, v20, 2
	v_add_f32_e32 v12, v22, v11
	v_cndmask_b32_e64 v11, 0, 4, vcc_lo
	v_cmp_gt_u32_e32 vcc_lo, 30, v20
	ds_bpermute_b32 v13, v10, v12
	v_add_lshl_u32 v11, v11, v20, 2
	s_wait_dscnt 0x0
	v_add_f32_e32 v13, v12, v13
	v_cndmask_b32_e64 v12, 0, 2, vcc_lo
	v_cmp_ne_u32_e32 vcc_lo, 31, v20
	ds_bpermute_b32 v14, v11, v13
	v_add_lshl_u32 v12, v12, v20, 2
	v_add_co_ci_u32_e64 v15, null, 0, v20, vcc_lo
	s_wait_dscnt 0x0
	v_add_f32_e32 v13, v13, v14
	ds_bpermute_b32 v14, v12, v13
	s_wait_dscnt 0x0
	v_dual_add_f32 v14, v13, v14 :: v_dual_lshlrev_b32 v13, 2, v15
	ds_bpermute_b32 v15, v13, v14
	s_and_saveexec_b32 s36, s4
	s_cbranch_execz .LBB627_28
; %bb.27:                               ;   in Loop: Header=BB627_4 Depth=1
	s_wait_dscnt 0x0
	v_add_f32_e32 v14, v14, v15
	ds_store_b32 v19, v14
.LBB627_28:                             ;   in Loop: Header=BB627_4 Depth=1
	s_or_b32 exec_lo, exec_lo, s36
	s_wait_dscnt 0x0
	v_mov_b32_e32 v15, 0
	s_barrier_signal -1
	s_barrier_wait -1
	s_and_saveexec_b32 s36, s3
	s_cbranch_execnz .LBB627_37
; %bb.29:                               ;   in Loop: Header=BB627_4 Depth=1
	s_or_b32 exec_lo, exec_lo, s36
	s_and_saveexec_b32 s36, s3
	s_cbranch_execnz .LBB627_38
.LBB627_30:                             ;   in Loop: Header=BB627_4 Depth=1
	s_or_b32 exec_lo, exec_lo, s36
                                        ; implicit-def: $vgpr14
	s_and_saveexec_b32 s36, s0
	s_cbranch_execnz .LBB627_39
	s_branch .LBB627_56
.LBB627_31:                             ;   in Loop: Header=BB627_4 Depth=1
	s_wait_dscnt 0x0
	v_add_nc_u64_e32 v[14:15], v[10:11], v[6:7]
	v_mov_b64_e32 v[16:17], v[12:13]
	v_dual_mov_b32 v22, 0 :: v_dual_mov_b32 v23, v0
	s_mov_b32 s37, 0
	s_branch .LBB627_33
.LBB627_32:                             ;   in Loop: Header=BB627_33 Depth=2
	s_or_b32 exec_lo, exec_lo, s38
	s_delay_alu instid0(VALU_DEP_1) | instskip(SKIP_3) | instid1(VALU_DEP_4)
	v_and_b32_e32 v24, 0xffff0000, v25
	v_add_nc_u32_e32 v23, 0x400, v23
	v_add_nc_u64_e32 v[16:17], 0x800, v[16:17]
	v_add_nc_u64_e32 v[14:15], s[24:25], v[14:15]
	v_add_f32_e32 v22, v22, v24
	s_delay_alu instid0(VALU_DEP_4) | instskip(SKIP_1) | instid1(SALU_CYCLE_1)
	v_cmp_le_i32_e32 vcc_lo, s20, v23
	s_or_b32 s37, vcc_lo, s37
	s_and_not1_b32 exec_lo, exec_lo, s37
	s_cbranch_execz .LBB627_59
.LBB627_33:                             ;   Parent Loop BB627_4 Depth=1
                                        ; =>  This Inner Loop Header: Depth=2
	flat_load_u16 v24, v[16:17]
	flat_load_u16 v25, v[14:15]
	s_wait_loadcnt_dscnt 0x0
	v_dual_lshlrev_b32 v24, 16, v24 :: v_dual_lshlrev_b32 v25, 16, v25
	s_delay_alu instid0(VALU_DEP_1) | instskip(NEXT) | instid1(VALU_DEP_1)
	v_mul_f32_e32 v24, v25, v24
	v_and_b32_e32 v25, 0x7f800000, v24
	s_delay_alu instid0(VALU_DEP_1) | instskip(SKIP_2) | instid1(SALU_CYCLE_1)
	v_cmp_ne_u32_e32 vcc_lo, 0x7f800000, v25
                                        ; implicit-def: $vgpr25
	s_wait_xcnt 0x0
	s_and_saveexec_b32 s38, vcc_lo
	s_xor_b32 s38, exec_lo, s38
; %bb.34:                               ;   in Loop: Header=BB627_33 Depth=2
	v_bfe_u32 v25, v24, 16, 1
	s_delay_alu instid0(VALU_DEP_1)
	v_add3_u32 v25, v24, v25, 0x7fff
                                        ; implicit-def: $vgpr24
; %bb.35:                               ;   in Loop: Header=BB627_33 Depth=2
	s_and_not1_saveexec_b32 s38, s38
	s_cbranch_execz .LBB627_32
; %bb.36:                               ;   in Loop: Header=BB627_33 Depth=2
	v_and_b32_e32 v25, 0xffff, v24
	v_or_b32_e32 v26, 0x10000, v24
	s_delay_alu instid0(VALU_DEP_2) | instskip(NEXT) | instid1(VALU_DEP_2)
	v_cmp_eq_u32_e32 vcc_lo, 0, v25
	v_cndmask_b32_e32 v25, v26, v24, vcc_lo
	s_branch .LBB627_32
.LBB627_37:                             ;   in Loop: Header=BB627_4 Depth=1
	ds_load_b32 v15, v1
	s_or_b32 exec_lo, exec_lo, s36
	s_and_saveexec_b32 s36, s3
	s_cbranch_execz .LBB627_30
.LBB627_38:                             ;   in Loop: Header=BB627_4 Depth=1
	s_wait_dscnt 0x0
	ds_bpermute_b32 v14, v21, v15
	s_wait_dscnt 0x0
	v_add_f32_e32 v14, v15, v14
	ds_bpermute_b32 v10, v10, v14
	s_wait_dscnt 0x0
	v_add_f32_e32 v10, v14, v10
	;; [unrolled: 3-line block ×5, first 2 shown]
	s_or_b32 exec_lo, exec_lo, s36
                                        ; implicit-def: $vgpr14
	s_and_saveexec_b32 s36, s0
	s_cbranch_execz .LBB627_56
.LBB627_39:                             ;   in Loop: Header=BB627_4 Depth=1
	s_wait_dscnt 0x0
	v_mul_f32_e32 v10, s28, v15
	s_and_b32 vcc_lo, exec_lo, s34
	s_mov_b32 s37, -1
                                        ; implicit-def: $vgpr11
	s_cbranch_vccz .LBB627_45
; %bb.40:                               ;   in Loop: Header=BB627_4 Depth=1
	s_delay_alu instid0(VALU_DEP_1) | instskip(NEXT) | instid1(VALU_DEP_1)
	v_and_b32_e32 v11, 0x7f800000, v10
	v_cmp_ne_u32_e32 vcc_lo, 0x7f800000, v11
                                        ; implicit-def: $vgpr11
	s_and_saveexec_b32 s37, vcc_lo
	s_delay_alu instid0(SALU_CYCLE_1)
	s_xor_b32 s37, exec_lo, s37
; %bb.41:                               ;   in Loop: Header=BB627_4 Depth=1
	v_bfe_u32 v11, v10, 16, 1
	s_delay_alu instid0(VALU_DEP_1)
	v_add3_u32 v11, v10, v11, 0x7fff
; %bb.42:                               ;   in Loop: Header=BB627_4 Depth=1
	s_and_not1_saveexec_b32 s37, s37
; %bb.43:                               ;   in Loop: Header=BB627_4 Depth=1
	v_and_b32_e32 v11, 0xffff, v10
	v_or_b32_e32 v12, 0x10000, v10
	s_delay_alu instid0(VALU_DEP_2) | instskip(NEXT) | instid1(VALU_DEP_2)
	v_cmp_eq_u32_e32 vcc_lo, 0, v11
	v_cndmask_b32_e32 v11, v12, v10, vcc_lo
; %bb.44:                               ;   in Loop: Header=BB627_4 Depth=1
	s_or_b32 exec_lo, exec_lo, s37
	s_mov_b32 s37, 0
.LBB627_45:                             ;   in Loop: Header=BB627_4 Depth=1
	s_delay_alu instid0(SALU_CYCLE_1)
	s_and_not1_b32 vcc_lo, exec_lo, s37
	s_cbranch_vccnz .LBB627_55
; %bb.46:                               ;   in Loop: Header=BB627_4 Depth=1
	v_add_nc_u64_e32 v[12:13], s[26:27], v[8:9]
	flat_load_u16 v11, v[12:13]
	s_wait_loadcnt_dscnt 0x0
	v_lshlrev_b32_e32 v11, 16, v11
	s_delay_alu instid0(VALU_DEP_1) | instskip(SKIP_1) | instid1(VALU_DEP_1)
	v_mul_f32_e32 v11, s29, v11
	s_wait_xcnt 0x0
	v_and_b32_e32 v12, 0x7f800000, v11
	s_delay_alu instid0(VALU_DEP_1) | instskip(SKIP_1) | instid1(SALU_CYCLE_1)
	v_cmp_ne_u32_e32 vcc_lo, 0x7f800000, v12
                                        ; implicit-def: $vgpr12
	s_and_saveexec_b32 s37, vcc_lo
	s_xor_b32 s37, exec_lo, s37
; %bb.47:                               ;   in Loop: Header=BB627_4 Depth=1
	v_bfe_u32 v12, v11, 16, 1
	s_delay_alu instid0(VALU_DEP_1)
	v_add3_u32 v12, v11, v12, 0x7fff
                                        ; implicit-def: $vgpr11
; %bb.48:                               ;   in Loop: Header=BB627_4 Depth=1
	s_and_not1_saveexec_b32 s37, s37
; %bb.49:                               ;   in Loop: Header=BB627_4 Depth=1
	v_and_b32_e32 v12, 0xffff, v11
	v_or_b32_e32 v13, 0x10000, v11
	s_delay_alu instid0(VALU_DEP_2) | instskip(NEXT) | instid1(VALU_DEP_2)
	v_cmp_eq_u32_e32 vcc_lo, 0, v12
	v_cndmask_b32_e32 v12, v13, v11, vcc_lo
; %bb.50:                               ;   in Loop: Header=BB627_4 Depth=1
	s_or_b32 exec_lo, exec_lo, s37
	s_delay_alu instid0(VALU_DEP_1) | instskip(NEXT) | instid1(VALU_DEP_1)
	v_and_b32_e32 v11, 0xffff0000, v12
	v_add_f32_e32 v10, v10, v11
	s_delay_alu instid0(VALU_DEP_1) | instskip(NEXT) | instid1(VALU_DEP_1)
	v_and_b32_e32 v11, 0x7f800000, v10
	v_cmp_ne_u32_e32 vcc_lo, 0x7f800000, v11
                                        ; implicit-def: $vgpr11
	s_and_saveexec_b32 s37, vcc_lo
	s_delay_alu instid0(SALU_CYCLE_1)
	s_xor_b32 s37, exec_lo, s37
; %bb.51:                               ;   in Loop: Header=BB627_4 Depth=1
	v_bfe_u32 v11, v10, 16, 1
	s_delay_alu instid0(VALU_DEP_1)
	v_add3_u32 v11, v10, v11, 0x7fff
                                        ; implicit-def: $vgpr10
; %bb.52:                               ;   in Loop: Header=BB627_4 Depth=1
	s_and_not1_saveexec_b32 s37, s37
; %bb.53:                               ;   in Loop: Header=BB627_4 Depth=1
	v_and_b32_e32 v11, 0xffff, v10
	v_or_b32_e32 v12, 0x10000, v10
	s_delay_alu instid0(VALU_DEP_2) | instskip(NEXT) | instid1(VALU_DEP_2)
	v_cmp_eq_u32_e32 vcc_lo, 0, v11
	v_cndmask_b32_e32 v11, v12, v10, vcc_lo
; %bb.54:                               ;   in Loop: Header=BB627_4 Depth=1
	s_or_b32 exec_lo, exec_lo, s37
.LBB627_55:                             ;   in Loop: Header=BB627_4 Depth=1
	s_delay_alu instid0(VALU_DEP_1)
	v_lshrrev_b32_e32 v14, 16, v11
	s_or_b32 s35, s35, exec_lo
.LBB627_56:                             ;   in Loop: Header=BB627_4 Depth=1
	s_or_b32 exec_lo, exec_lo, s36
.LBB627_57:                             ;   in Loop: Header=BB627_4 Depth=1
	s_and_saveexec_b32 s36, s35
	s_cbranch_execz .LBB627_2
; %bb.58:                               ;   in Loop: Header=BB627_4 Depth=1
	v_add_nc_u64_e32 v[8:9], s[26:27], v[8:9]
	flat_store_b16 v[8:9], v14
	s_branch .LBB627_2
.LBB627_59:                             ;   in Loop: Header=BB627_4 Depth=1
	s_or_b32 exec_lo, exec_lo, s37
	s_delay_alu instid0(SALU_CYCLE_1)
	s_or_b32 exec_lo, exec_lo, s36
	s_and_saveexec_b32 s36, s2
	s_cbranch_execz .LBB627_24
.LBB627_60:                             ;   in Loop: Header=BB627_4 Depth=1
	v_lshl_add_u64 v[12:13], s[20:21], 1, v[12:13]
	v_lshl_add_u64 v[10:11], v[4:5], 1, v[10:11]
	flat_load_u16 v14, v[12:13]
	s_wait_dscnt 0x1
	flat_load_u16 v15, v[10:11]
	s_wait_loadcnt_dscnt 0x0
	s_wait_xcnt 0x0
	v_dual_lshlrev_b32 v10, 16, v14 :: v_dual_lshlrev_b32 v11, 16, v15
	s_delay_alu instid0(VALU_DEP_1) | instskip(NEXT) | instid1(VALU_DEP_1)
	v_mul_f32_e32 v10, v11, v10
	v_and_b32_e32 v11, 0x7f800000, v10
	s_delay_alu instid0(VALU_DEP_1) | instskip(SKIP_1) | instid1(SALU_CYCLE_1)
	v_cmp_ne_u32_e32 vcc_lo, 0x7f800000, v11
                                        ; implicit-def: $vgpr11
	s_and_saveexec_b32 s37, vcc_lo
	s_xor_b32 s37, exec_lo, s37
; %bb.61:                               ;   in Loop: Header=BB627_4 Depth=1
	v_bfe_u32 v11, v10, 16, 1
	s_delay_alu instid0(VALU_DEP_1)
	v_add3_u32 v11, v10, v11, 0x7fff
                                        ; implicit-def: $vgpr10
; %bb.62:                               ;   in Loop: Header=BB627_4 Depth=1
	s_and_not1_saveexec_b32 s37, s37
; %bb.63:                               ;   in Loop: Header=BB627_4 Depth=1
	v_and_b32_e32 v11, 0xffff, v10
	v_or_b32_e32 v12, 0x10000, v10
	s_delay_alu instid0(VALU_DEP_2) | instskip(NEXT) | instid1(VALU_DEP_2)
	v_cmp_eq_u32_e32 vcc_lo, 0, v11
	v_cndmask_b32_e32 v11, v12, v10, vcc_lo
; %bb.64:                               ;   in Loop: Header=BB627_4 Depth=1
	s_or_b32 exec_lo, exec_lo, s37
	s_delay_alu instid0(VALU_DEP_1) | instskip(NEXT) | instid1(VALU_DEP_1)
	v_and_b32_e32 v10, 0xffff0000, v11
	v_add_f32_e32 v22, v22, v10
	s_or_b32 exec_lo, exec_lo, s36
	s_and_saveexec_b32 s36, s3
	s_cbranch_execnz .LBB627_25
	s_branch .LBB627_26
.LBB627_65:
	s_endpgm
	.section	.rodata,"a",@progbits
	.p2align	6, 0x0
	.amdhsa_kernel _ZL32rocblas_gemvt_warp_reduce_kernelILb1ELi1024ElPK16rocblas_bfloat16fKPS0_EviiT3_lPKT2_lT1_lS8_lS9_lS5_lPT4_lS9_li
		.amdhsa_group_segment_fixed_size 128
		.amdhsa_private_segment_fixed_size 0
		.amdhsa_kernarg_size 140
		.amdhsa_user_sgpr_count 2
		.amdhsa_user_sgpr_dispatch_ptr 0
		.amdhsa_user_sgpr_queue_ptr 0
		.amdhsa_user_sgpr_kernarg_segment_ptr 1
		.amdhsa_user_sgpr_dispatch_id 0
		.amdhsa_user_sgpr_kernarg_preload_length 0
		.amdhsa_user_sgpr_kernarg_preload_offset 0
		.amdhsa_user_sgpr_private_segment_size 0
		.amdhsa_wavefront_size32 1
		.amdhsa_uses_dynamic_stack 0
		.amdhsa_enable_private_segment 0
		.amdhsa_system_sgpr_workgroup_id_x 1
		.amdhsa_system_sgpr_workgroup_id_y 0
		.amdhsa_system_sgpr_workgroup_id_z 1
		.amdhsa_system_sgpr_workgroup_info 0
		.amdhsa_system_vgpr_workitem_id 0
		.amdhsa_next_free_vgpr 27
		.amdhsa_next_free_sgpr 39
		.amdhsa_named_barrier_count 0
		.amdhsa_reserve_vcc 1
		.amdhsa_float_round_mode_32 0
		.amdhsa_float_round_mode_16_64 0
		.amdhsa_float_denorm_mode_32 3
		.amdhsa_float_denorm_mode_16_64 3
		.amdhsa_fp16_overflow 0
		.amdhsa_memory_ordered 1
		.amdhsa_forward_progress 1
		.amdhsa_inst_pref_size 17
		.amdhsa_round_robin_scheduling 0
		.amdhsa_exception_fp_ieee_invalid_op 0
		.amdhsa_exception_fp_denorm_src 0
		.amdhsa_exception_fp_ieee_div_zero 0
		.amdhsa_exception_fp_ieee_overflow 0
		.amdhsa_exception_fp_ieee_underflow 0
		.amdhsa_exception_fp_ieee_inexact 0
		.amdhsa_exception_int_div_zero 0
	.end_amdhsa_kernel
	.section	.text._ZL32rocblas_gemvt_warp_reduce_kernelILb1ELi1024ElPK16rocblas_bfloat16fKPS0_EviiT3_lPKT2_lT1_lS8_lS9_lS5_lPT4_lS9_li,"axG",@progbits,_ZL32rocblas_gemvt_warp_reduce_kernelILb1ELi1024ElPK16rocblas_bfloat16fKPS0_EviiT3_lPKT2_lT1_lS8_lS9_lS5_lPT4_lS9_li,comdat
.Lfunc_end627:
	.size	_ZL32rocblas_gemvt_warp_reduce_kernelILb1ELi1024ElPK16rocblas_bfloat16fKPS0_EviiT3_lPKT2_lT1_lS8_lS9_lS5_lPT4_lS9_li, .Lfunc_end627-_ZL32rocblas_gemvt_warp_reduce_kernelILb1ELi1024ElPK16rocblas_bfloat16fKPS0_EviiT3_lPKT2_lT1_lS8_lS9_lS5_lPT4_lS9_li
                                        ; -- End function
	.set _ZL32rocblas_gemvt_warp_reduce_kernelILb1ELi1024ElPK16rocblas_bfloat16fKPS0_EviiT3_lPKT2_lT1_lS8_lS9_lS5_lPT4_lS9_li.num_vgpr, 27
	.set _ZL32rocblas_gemvt_warp_reduce_kernelILb1ELi1024ElPK16rocblas_bfloat16fKPS0_EviiT3_lPKT2_lT1_lS8_lS9_lS5_lPT4_lS9_li.num_agpr, 0
	.set _ZL32rocblas_gemvt_warp_reduce_kernelILb1ELi1024ElPK16rocblas_bfloat16fKPS0_EviiT3_lPKT2_lT1_lS8_lS9_lS5_lPT4_lS9_li.numbered_sgpr, 39
	.set _ZL32rocblas_gemvt_warp_reduce_kernelILb1ELi1024ElPK16rocblas_bfloat16fKPS0_EviiT3_lPKT2_lT1_lS8_lS9_lS5_lPT4_lS9_li.num_named_barrier, 0
	.set _ZL32rocblas_gemvt_warp_reduce_kernelILb1ELi1024ElPK16rocblas_bfloat16fKPS0_EviiT3_lPKT2_lT1_lS8_lS9_lS5_lPT4_lS9_li.private_seg_size, 0
	.set _ZL32rocblas_gemvt_warp_reduce_kernelILb1ELi1024ElPK16rocblas_bfloat16fKPS0_EviiT3_lPKT2_lT1_lS8_lS9_lS5_lPT4_lS9_li.uses_vcc, 1
	.set _ZL32rocblas_gemvt_warp_reduce_kernelILb1ELi1024ElPK16rocblas_bfloat16fKPS0_EviiT3_lPKT2_lT1_lS8_lS9_lS5_lPT4_lS9_li.uses_flat_scratch, 0
	.set _ZL32rocblas_gemvt_warp_reduce_kernelILb1ELi1024ElPK16rocblas_bfloat16fKPS0_EviiT3_lPKT2_lT1_lS8_lS9_lS5_lPT4_lS9_li.has_dyn_sized_stack, 0
	.set _ZL32rocblas_gemvt_warp_reduce_kernelILb1ELi1024ElPK16rocblas_bfloat16fKPS0_EviiT3_lPKT2_lT1_lS8_lS9_lS5_lPT4_lS9_li.has_recursion, 0
	.set _ZL32rocblas_gemvt_warp_reduce_kernelILb1ELi1024ElPK16rocblas_bfloat16fKPS0_EviiT3_lPKT2_lT1_lS8_lS9_lS5_lPT4_lS9_li.has_indirect_call, 0
	.section	.AMDGPU.csdata,"",@progbits
; Kernel info:
; codeLenInByte = 2144
; TotalNumSgprs: 41
; NumVgprs: 27
; ScratchSize: 0
; MemoryBound: 0
; FloatMode: 240
; IeeeMode: 1
; LDSByteSize: 128 bytes/workgroup (compile time only)
; SGPRBlocks: 0
; VGPRBlocks: 1
; NumSGPRsForWavesPerEU: 41
; NumVGPRsForWavesPerEU: 27
; NamedBarCnt: 0
; Occupancy: 16
; WaveLimiterHint : 1
; COMPUTE_PGM_RSRC2:SCRATCH_EN: 0
; COMPUTE_PGM_RSRC2:USER_SGPR: 2
; COMPUTE_PGM_RSRC2:TRAP_HANDLER: 0
; COMPUTE_PGM_RSRC2:TGID_X_EN: 1
; COMPUTE_PGM_RSRC2:TGID_Y_EN: 0
; COMPUTE_PGM_RSRC2:TGID_Z_EN: 1
; COMPUTE_PGM_RSRC2:TIDIG_COMP_CNT: 0
	.section	.text._ZL34rocblas_gemvn_sm_mn_batched_kernelILi32ELi24E16rocblas_bfloat16PKffEviiT2_lPKT1_lilS6_lilS3_lPT3_lili,"axG",@progbits,_ZL34rocblas_gemvn_sm_mn_batched_kernelILi32ELi24E16rocblas_bfloat16PKffEviiT2_lPKT1_lilS6_lilS3_lPT3_lili,comdat
	.globl	_ZL34rocblas_gemvn_sm_mn_batched_kernelILi32ELi24E16rocblas_bfloat16PKffEviiT2_lPKT1_lilS6_lilS3_lPT3_lili ; -- Begin function _ZL34rocblas_gemvn_sm_mn_batched_kernelILi32ELi24E16rocblas_bfloat16PKffEviiT2_lPKT1_lilS6_lilS3_lPT3_lili
	.p2align	8
	.type	_ZL34rocblas_gemvn_sm_mn_batched_kernelILi32ELi24E16rocblas_bfloat16PKffEviiT2_lPKT1_lilS6_lilS3_lPT3_lili,@function
_ZL34rocblas_gemvn_sm_mn_batched_kernelILi32ELi24E16rocblas_bfloat16PKffEviiT2_lPKT1_lilS6_lilS3_lPT3_lili: ; @_ZL34rocblas_gemvn_sm_mn_batched_kernelILi32ELi24E16rocblas_bfloat16PKffEviiT2_lPKT1_lilS6_lilS3_lPT3_lili
; %bb.0:
	s_endpgm
	.section	.rodata,"a",@progbits
	.p2align	6, 0x0
	.amdhsa_kernel _ZL34rocblas_gemvn_sm_mn_batched_kernelILi32ELi24E16rocblas_bfloat16PKffEviiT2_lPKT1_lilS6_lilS3_lPT3_lili
		.amdhsa_group_segment_fixed_size 0
		.amdhsa_private_segment_fixed_size 0
		.amdhsa_kernarg_size 140
		.amdhsa_user_sgpr_count 2
		.amdhsa_user_sgpr_dispatch_ptr 0
		.amdhsa_user_sgpr_queue_ptr 0
		.amdhsa_user_sgpr_kernarg_segment_ptr 1
		.amdhsa_user_sgpr_dispatch_id 0
		.amdhsa_user_sgpr_kernarg_preload_length 0
		.amdhsa_user_sgpr_kernarg_preload_offset 0
		.amdhsa_user_sgpr_private_segment_size 0
		.amdhsa_wavefront_size32 1
		.amdhsa_uses_dynamic_stack 0
		.amdhsa_enable_private_segment 0
		.amdhsa_system_sgpr_workgroup_id_x 1
		.amdhsa_system_sgpr_workgroup_id_y 0
		.amdhsa_system_sgpr_workgroup_id_z 0
		.amdhsa_system_sgpr_workgroup_info 0
		.amdhsa_system_vgpr_workitem_id 0
		.amdhsa_next_free_vgpr 1
		.amdhsa_next_free_sgpr 1
		.amdhsa_named_barrier_count 0
		.amdhsa_reserve_vcc 0
		.amdhsa_float_round_mode_32 0
		.amdhsa_float_round_mode_16_64 0
		.amdhsa_float_denorm_mode_32 3
		.amdhsa_float_denorm_mode_16_64 3
		.amdhsa_fp16_overflow 0
		.amdhsa_memory_ordered 1
		.amdhsa_forward_progress 1
		.amdhsa_inst_pref_size 1
		.amdhsa_round_robin_scheduling 0
		.amdhsa_exception_fp_ieee_invalid_op 0
		.amdhsa_exception_fp_denorm_src 0
		.amdhsa_exception_fp_ieee_div_zero 0
		.amdhsa_exception_fp_ieee_overflow 0
		.amdhsa_exception_fp_ieee_underflow 0
		.amdhsa_exception_fp_ieee_inexact 0
		.amdhsa_exception_int_div_zero 0
	.end_amdhsa_kernel
	.section	.text._ZL34rocblas_gemvn_sm_mn_batched_kernelILi32ELi24E16rocblas_bfloat16PKffEviiT2_lPKT1_lilS6_lilS3_lPT3_lili,"axG",@progbits,_ZL34rocblas_gemvn_sm_mn_batched_kernelILi32ELi24E16rocblas_bfloat16PKffEviiT2_lPKT1_lilS6_lilS3_lPT3_lili,comdat
.Lfunc_end628:
	.size	_ZL34rocblas_gemvn_sm_mn_batched_kernelILi32ELi24E16rocblas_bfloat16PKffEviiT2_lPKT1_lilS6_lilS3_lPT3_lili, .Lfunc_end628-_ZL34rocblas_gemvn_sm_mn_batched_kernelILi32ELi24E16rocblas_bfloat16PKffEviiT2_lPKT1_lilS6_lilS3_lPT3_lili
                                        ; -- End function
	.set _ZL34rocblas_gemvn_sm_mn_batched_kernelILi32ELi24E16rocblas_bfloat16PKffEviiT2_lPKT1_lilS6_lilS3_lPT3_lili.num_vgpr, 0
	.set _ZL34rocblas_gemvn_sm_mn_batched_kernelILi32ELi24E16rocblas_bfloat16PKffEviiT2_lPKT1_lilS6_lilS3_lPT3_lili.num_agpr, 0
	.set _ZL34rocblas_gemvn_sm_mn_batched_kernelILi32ELi24E16rocblas_bfloat16PKffEviiT2_lPKT1_lilS6_lilS3_lPT3_lili.numbered_sgpr, 0
	.set _ZL34rocblas_gemvn_sm_mn_batched_kernelILi32ELi24E16rocblas_bfloat16PKffEviiT2_lPKT1_lilS6_lilS3_lPT3_lili.num_named_barrier, 0
	.set _ZL34rocblas_gemvn_sm_mn_batched_kernelILi32ELi24E16rocblas_bfloat16PKffEviiT2_lPKT1_lilS6_lilS3_lPT3_lili.private_seg_size, 0
	.set _ZL34rocblas_gemvn_sm_mn_batched_kernelILi32ELi24E16rocblas_bfloat16PKffEviiT2_lPKT1_lilS6_lilS3_lPT3_lili.uses_vcc, 0
	.set _ZL34rocblas_gemvn_sm_mn_batched_kernelILi32ELi24E16rocblas_bfloat16PKffEviiT2_lPKT1_lilS6_lilS3_lPT3_lili.uses_flat_scratch, 0
	.set _ZL34rocblas_gemvn_sm_mn_batched_kernelILi32ELi24E16rocblas_bfloat16PKffEviiT2_lPKT1_lilS6_lilS3_lPT3_lili.has_dyn_sized_stack, 0
	.set _ZL34rocblas_gemvn_sm_mn_batched_kernelILi32ELi24E16rocblas_bfloat16PKffEviiT2_lPKT1_lilS6_lilS3_lPT3_lili.has_recursion, 0
	.set _ZL34rocblas_gemvn_sm_mn_batched_kernelILi32ELi24E16rocblas_bfloat16PKffEviiT2_lPKT1_lilS6_lilS3_lPT3_lili.has_indirect_call, 0
	.section	.AMDGPU.csdata,"",@progbits
; Kernel info:
; codeLenInByte = 4
; TotalNumSgprs: 0
; NumVgprs: 0
; ScratchSize: 0
; MemoryBound: 0
; FloatMode: 240
; IeeeMode: 1
; LDSByteSize: 0 bytes/workgroup (compile time only)
; SGPRBlocks: 0
; VGPRBlocks: 0
; NumSGPRsForWavesPerEU: 1
; NumVGPRsForWavesPerEU: 1
; NamedBarCnt: 0
; Occupancy: 16
; WaveLimiterHint : 0
; COMPUTE_PGM_RSRC2:SCRATCH_EN: 0
; COMPUTE_PGM_RSRC2:USER_SGPR: 2
; COMPUTE_PGM_RSRC2:TRAP_HANDLER: 0
; COMPUTE_PGM_RSRC2:TGID_X_EN: 1
; COMPUTE_PGM_RSRC2:TGID_Y_EN: 0
; COMPUTE_PGM_RSRC2:TGID_Z_EN: 0
; COMPUTE_PGM_RSRC2:TIDIG_COMP_CNT: 0
	.section	.text._ZL34rocblas_gemvn_sm_mn_batched_kernelILi32ELi24E16rocblas_bfloat16ffEviiT2_lPKT1_lilS4_lilS1_lPT3_lili,"axG",@progbits,_ZL34rocblas_gemvn_sm_mn_batched_kernelILi32ELi24E16rocblas_bfloat16ffEviiT2_lPKT1_lilS4_lilS1_lPT3_lili,comdat
	.globl	_ZL34rocblas_gemvn_sm_mn_batched_kernelILi32ELi24E16rocblas_bfloat16ffEviiT2_lPKT1_lilS4_lilS1_lPT3_lili ; -- Begin function _ZL34rocblas_gemvn_sm_mn_batched_kernelILi32ELi24E16rocblas_bfloat16ffEviiT2_lPKT1_lilS4_lilS1_lPT3_lili
	.p2align	8
	.type	_ZL34rocblas_gemvn_sm_mn_batched_kernelILi32ELi24E16rocblas_bfloat16ffEviiT2_lPKT1_lilS4_lilS1_lPT3_lili,@function
_ZL34rocblas_gemvn_sm_mn_batched_kernelILi32ELi24E16rocblas_bfloat16ffEviiT2_lPKT1_lilS4_lilS1_lPT3_lili: ; @_ZL34rocblas_gemvn_sm_mn_batched_kernelILi32ELi24E16rocblas_bfloat16ffEviiT2_lPKT1_lilS4_lilS1_lPT3_lili
; %bb.0:
	s_endpgm
	.section	.rodata,"a",@progbits
	.p2align	6, 0x0
	.amdhsa_kernel _ZL34rocblas_gemvn_sm_mn_batched_kernelILi32ELi24E16rocblas_bfloat16ffEviiT2_lPKT1_lilS4_lilS1_lPT3_lili
		.amdhsa_group_segment_fixed_size 0
		.amdhsa_private_segment_fixed_size 0
		.amdhsa_kernarg_size 140
		.amdhsa_user_sgpr_count 2
		.amdhsa_user_sgpr_dispatch_ptr 0
		.amdhsa_user_sgpr_queue_ptr 0
		.amdhsa_user_sgpr_kernarg_segment_ptr 1
		.amdhsa_user_sgpr_dispatch_id 0
		.amdhsa_user_sgpr_kernarg_preload_length 0
		.amdhsa_user_sgpr_kernarg_preload_offset 0
		.amdhsa_user_sgpr_private_segment_size 0
		.amdhsa_wavefront_size32 1
		.amdhsa_uses_dynamic_stack 0
		.amdhsa_enable_private_segment 0
		.amdhsa_system_sgpr_workgroup_id_x 1
		.amdhsa_system_sgpr_workgroup_id_y 0
		.amdhsa_system_sgpr_workgroup_id_z 0
		.amdhsa_system_sgpr_workgroup_info 0
		.amdhsa_system_vgpr_workitem_id 0
		.amdhsa_next_free_vgpr 1
		.amdhsa_next_free_sgpr 1
		.amdhsa_named_barrier_count 0
		.amdhsa_reserve_vcc 0
		.amdhsa_float_round_mode_32 0
		.amdhsa_float_round_mode_16_64 0
		.amdhsa_float_denorm_mode_32 3
		.amdhsa_float_denorm_mode_16_64 3
		.amdhsa_fp16_overflow 0
		.amdhsa_memory_ordered 1
		.amdhsa_forward_progress 1
		.amdhsa_inst_pref_size 1
		.amdhsa_round_robin_scheduling 0
		.amdhsa_exception_fp_ieee_invalid_op 0
		.amdhsa_exception_fp_denorm_src 0
		.amdhsa_exception_fp_ieee_div_zero 0
		.amdhsa_exception_fp_ieee_overflow 0
		.amdhsa_exception_fp_ieee_underflow 0
		.amdhsa_exception_fp_ieee_inexact 0
		.amdhsa_exception_int_div_zero 0
	.end_amdhsa_kernel
	.section	.text._ZL34rocblas_gemvn_sm_mn_batched_kernelILi32ELi24E16rocblas_bfloat16ffEviiT2_lPKT1_lilS4_lilS1_lPT3_lili,"axG",@progbits,_ZL34rocblas_gemvn_sm_mn_batched_kernelILi32ELi24E16rocblas_bfloat16ffEviiT2_lPKT1_lilS4_lilS1_lPT3_lili,comdat
.Lfunc_end629:
	.size	_ZL34rocblas_gemvn_sm_mn_batched_kernelILi32ELi24E16rocblas_bfloat16ffEviiT2_lPKT1_lilS4_lilS1_lPT3_lili, .Lfunc_end629-_ZL34rocblas_gemvn_sm_mn_batched_kernelILi32ELi24E16rocblas_bfloat16ffEviiT2_lPKT1_lilS4_lilS1_lPT3_lili
                                        ; -- End function
	.set _ZL34rocblas_gemvn_sm_mn_batched_kernelILi32ELi24E16rocblas_bfloat16ffEviiT2_lPKT1_lilS4_lilS1_lPT3_lili.num_vgpr, 0
	.set _ZL34rocblas_gemvn_sm_mn_batched_kernelILi32ELi24E16rocblas_bfloat16ffEviiT2_lPKT1_lilS4_lilS1_lPT3_lili.num_agpr, 0
	.set _ZL34rocblas_gemvn_sm_mn_batched_kernelILi32ELi24E16rocblas_bfloat16ffEviiT2_lPKT1_lilS4_lilS1_lPT3_lili.numbered_sgpr, 0
	.set _ZL34rocblas_gemvn_sm_mn_batched_kernelILi32ELi24E16rocblas_bfloat16ffEviiT2_lPKT1_lilS4_lilS1_lPT3_lili.num_named_barrier, 0
	.set _ZL34rocblas_gemvn_sm_mn_batched_kernelILi32ELi24E16rocblas_bfloat16ffEviiT2_lPKT1_lilS4_lilS1_lPT3_lili.private_seg_size, 0
	.set _ZL34rocblas_gemvn_sm_mn_batched_kernelILi32ELi24E16rocblas_bfloat16ffEviiT2_lPKT1_lilS4_lilS1_lPT3_lili.uses_vcc, 0
	.set _ZL34rocblas_gemvn_sm_mn_batched_kernelILi32ELi24E16rocblas_bfloat16ffEviiT2_lPKT1_lilS4_lilS1_lPT3_lili.uses_flat_scratch, 0
	.set _ZL34rocblas_gemvn_sm_mn_batched_kernelILi32ELi24E16rocblas_bfloat16ffEviiT2_lPKT1_lilS4_lilS1_lPT3_lili.has_dyn_sized_stack, 0
	.set _ZL34rocblas_gemvn_sm_mn_batched_kernelILi32ELi24E16rocblas_bfloat16ffEviiT2_lPKT1_lilS4_lilS1_lPT3_lili.has_recursion, 0
	.set _ZL34rocblas_gemvn_sm_mn_batched_kernelILi32ELi24E16rocblas_bfloat16ffEviiT2_lPKT1_lilS4_lilS1_lPT3_lili.has_indirect_call, 0
	.section	.AMDGPU.csdata,"",@progbits
; Kernel info:
; codeLenInByte = 4
; TotalNumSgprs: 0
; NumVgprs: 0
; ScratchSize: 0
; MemoryBound: 0
; FloatMode: 240
; IeeeMode: 1
; LDSByteSize: 0 bytes/workgroup (compile time only)
; SGPRBlocks: 0
; VGPRBlocks: 0
; NumSGPRsForWavesPerEU: 1
; NumVGPRsForWavesPerEU: 1
; NamedBarCnt: 0
; Occupancy: 16
; WaveLimiterHint : 0
; COMPUTE_PGM_RSRC2:SCRATCH_EN: 0
; COMPUTE_PGM_RSRC2:USER_SGPR: 2
; COMPUTE_PGM_RSRC2:TRAP_HANDLER: 0
; COMPUTE_PGM_RSRC2:TGID_X_EN: 1
; COMPUTE_PGM_RSRC2:TGID_Y_EN: 0
; COMPUTE_PGM_RSRC2:TGID_Z_EN: 0
; COMPUTE_PGM_RSRC2:TIDIG_COMP_CNT: 0
	.section	.text._ZL20rocblas_gemvn_kernelILi64ELi4Ei16rocblas_bfloat16PKffEviiT3_lPKT2_lT1_lS6_lS7_lS3_lPT4_lS7_li,"axG",@progbits,_ZL20rocblas_gemvn_kernelILi64ELi4Ei16rocblas_bfloat16PKffEviiT3_lPKT2_lT1_lS6_lS7_lS3_lPT4_lS7_li,comdat
	.globl	_ZL20rocblas_gemvn_kernelILi64ELi4Ei16rocblas_bfloat16PKffEviiT3_lPKT2_lT1_lS6_lS7_lS3_lPT4_lS7_li ; -- Begin function _ZL20rocblas_gemvn_kernelILi64ELi4Ei16rocblas_bfloat16PKffEviiT3_lPKT2_lT1_lS6_lS7_lS3_lPT4_lS7_li
	.p2align	8
	.type	_ZL20rocblas_gemvn_kernelILi64ELi4Ei16rocblas_bfloat16PKffEviiT3_lPKT2_lT1_lS6_lS7_lS3_lPT4_lS7_li,@function
_ZL20rocblas_gemvn_kernelILi64ELi4Ei16rocblas_bfloat16PKffEviiT3_lPKT2_lT1_lS6_lS7_lS3_lPT4_lS7_li: ; @_ZL20rocblas_gemvn_kernelILi64ELi4Ei16rocblas_bfloat16PKffEviiT3_lPKT2_lT1_lS6_lS7_lS3_lPT4_lS7_li
; %bb.0:
	s_load_b64 s[2:3], s[0:1], 0x9c
	s_wait_kmcnt 0x0
	s_lshr_b32 s4, s2, 16
	s_and_b32 s2, s2, 0xffff
	s_and_b32 s3, s3, 0xffff
	s_mul_i32 s2, s4, s2
	s_delay_alu instid0(SALU_CYCLE_1) | instskip(NEXT) | instid1(SALU_CYCLE_1)
	s_mul_i32 s2, s2, s3
	s_cmp_lg_u32 s2, 0x100
	s_cbranch_scc1 .LBB630_53
; %bb.1:
	s_load_b32 s31, s[0:1], 0x88
	s_bfe_u32 s2, ttmp6, 0x40014
	s_lshr_b32 s3, ttmp7, 16
	s_add_co_i32 s2, s2, 1
	s_bfe_u32 s5, ttmp6, 0x40008
	s_mul_i32 s4, s3, s2
	s_getreg_b32 s2, hwreg(HW_REG_IB_STS2, 6, 4)
	s_add_co_i32 s5, s5, s4
	s_cmp_eq_u32 s2, 0
	s_mov_b32 s35, 0
	s_cselect_b32 s34, s3, s5
	s_wait_kmcnt 0x0
	s_cmp_ge_u32 s34, s31
	s_cbranch_scc1 .LBB630_53
; %bb.2:
	s_clause 0x7
	s_load_b256 s[8:15], s[0:1], 0x8
	s_load_b96 s[28:30], s[0:1], 0x40
	s_load_b96 s[4:6], s[0:1], 0x70
	s_load_b64 s[36:37], s[0:1], 0x0
	s_load_b32 s33, s[0:1], 0x28
	s_load_b128 s[24:27], s[0:1], 0x30
	s_load_b256 s[16:23], s[0:1], 0x50
	s_load_b64 s[38:39], s[0:1], 0x80
	s_wait_xcnt 0x0
	s_bfe_u32 s0, ttmp6, 0x4000c
	v_and_b32_e32 v6, 0x3ff, v0
	s_add_co_i32 s0, s0, 1
	v_bfe_u32 v5, v0, 10, 10
	s_and_b32 s1, ttmp6, 15
	s_mul_i32 s0, ttmp9, s0
	s_delay_alu instid0(SALU_CYCLE_1) | instskip(NEXT) | instid1(VALU_DEP_1)
	s_add_co_i32 s7, s1, s0
	v_lshl_add_u32 v4, v5, 6, v6
	s_wait_kmcnt 0x0
	s_lshl_b64 s[0:1], s[14:15], 1
	s_lshl_b64 s[14:15], s[28:29], 1
	;; [unrolled: 1-line block ×3, first 2 shown]
	s_ashr_i32 s3, s6, 31
	s_cmp_eq_u32 s2, 0
	s_mov_b32 s2, s6
	s_cselect_b32 s7, ttmp9, s7
	s_mov_b32 s28, s36
	s_lshl_b32 s42, s7, 8
	s_delay_alu instid0(SALU_CYCLE_1)
	v_dual_mov_b32 v1, 0 :: v_dual_add_nc_u32 v0, s42, v4
	v_or_b32_e32 v22, s42, v6
	s_ashr_i32 s29, s36, 31
	s_add_nc_u64 s[12:13], s[12:13], s[0:1]
	s_ashr_i32 s0, s37, 31
	v_mul_u64_e32 v[2:3], s[2:3], v[0:1]
	v_cmp_gt_i64_e32 vcc_lo, s[28:29], v[0:1]
	v_dual_lshlrev_b32 v0, 2, v5 :: v_dual_add_nc_u32 v7, 64, v22
	v_or_b32_e32 v9, s42, v4
	s_lshr_b32 s0, s0, 28
	v_mul_lo_u32 v13, v5, s30
	s_add_co_i32 s0, s37, s0
	v_add_nc_u32_e32 v8, 0x80, v22
	v_cmp_gt_i32_e64 s2, s36, v7
	v_add_nc_u32_e32 v7, 0xc0, v22
	s_and_b32 s43, s0, -16
	s_add_nc_u64 s[22:23], s[22:23], s[4:5]
	s_sub_co_i32 s4, s37, s43
	v_cmp_gt_i32_e64 s3, s36, v8
	v_lshlrev_b32_e32 v8, 2, v6
	s_cmp_gt_i32 s4, 0
	v_cmp_gt_i32_e64 s4, s36, v7
	v_cmp_gt_u32_e64 s5, 0x100, v4
	v_mul_lo_u32 v4, s6, v9
	v_or_b32_e32 v7, 2, v0
	v_dual_lshlrev_b32 v32, 2, v13 :: v_dual_bitop2_b32 v10, 3, v0 bitop3:0x54
	v_mul_lo_u32 v11, s33, v0
	v_mul_lo_u32 v12, v5, s33
	s_delay_alu instid0(VALU_DEP_4) | instskip(NEXT) | instid1(VALU_DEP_4)
	v_mad_u32 v24, s33, v7, v6
	v_mad_u32 v25, s33, v10, v6
	;; [unrolled: 1-line block ×3, first 2 shown]
	v_mul_lo_u32 v27, s30, v7
	v_mul_lo_u32 v28, s30, v10
	v_cmp_gt_i32_e64 s0, s43, v0
	v_cmp_gt_i32_e64 s1, s36, v22
	v_lshl_add_u32 v23, v5, 10, v8
	v_lshl_add_u32 v29, v5, 8, v8
	v_cmp_gt_i32_e64 s6, s36, v9
	v_ashrrev_i32_e32 v5, 31, v4
	v_add3_u32 v30, v11, s33, v6
	v_lshl_add_u32 v31, v12, 2, v6
	s_add_nc_u64 s[14:15], s[26:27], s[14:15]
	s_cselect_b32 s44, -1, 0
	s_and_b32 s36, s5, vcc_lo
	s_lshl_b32 s45, s33, 4
	s_lshl_b32 s46, s30, 4
	s_branch .LBB630_5
.LBB630_3:                              ;   in Loop: Header=BB630_5 Depth=1
	s_wait_xcnt 0x0
	s_or_b32 exec_lo, exec_lo, s7
.LBB630_4:                              ;   in Loop: Header=BB630_5 Depth=1
	s_add_co_i32 s34, s34, 0x10000
	s_delay_alu instid0(SALU_CYCLE_1)
	s_cmp_lt_u32 s34, s31
	s_cbranch_scc0 .LBB630_53
.LBB630_5:                              ; =>This Loop Header: Depth=1
                                        ;     Child Loop BB630_21 Depth 2
	s_wait_xcnt 0x1
	s_mul_u64 s[26:27], s[10:11], s[34:35]
	s_wait_xcnt 0x0
	s_mul_u64 s[28:29], s[20:21], s[34:35]
	s_lshl_b64 s[26:27], s[26:27], 2
	s_lshl_b64 s[28:29], s[28:29], 2
	s_add_nc_u64 s[26:27], s[8:9], s[26:27]
	s_add_nc_u64 s[28:29], s[18:19], s[28:29]
	s_clause 0x1
	global_load_b32 v33, v1, s[26:27]
	global_load_b32 v6, v1, s[28:29]
	s_wait_loadcnt 0x1
	v_cmp_eq_f32_e32 vcc_lo, 0, v33
	s_wait_loadcnt 0x0
	v_cmp_eq_f32_e64 s7, 1.0, v6
	v_readfirstlane_b32 s48, v6
	s_and_b32 s7, vcc_lo, s7
	s_delay_alu instid0(SALU_CYCLE_1)
	s_and_b32 vcc_lo, exec_lo, s7
	s_cbranch_vccnz .LBB630_4
; %bb.6:                                ;   in Loop: Header=BB630_5 Depth=1
	v_cmp_neq_f32_e32 vcc_lo, 0, v33
	s_wait_xcnt 0x1
	s_mul_u64 s[26:27], s[38:39], s[34:35]
	s_delay_alu instid0(SALU_CYCLE_1) | instskip(NEXT) | instid1(SALU_CYCLE_1)
	s_lshl_b64 s[26:27], s[26:27], 2
	s_add_nc_u64 s[26:27], s[22:23], s[26:27]
	s_cbranch_vccnz .LBB630_10
; %bb.7:                                ;   in Loop: Header=BB630_5 Depth=1
	s_mov_b32 s7, 0
	s_mov_b32 s47, 0
                                        ; implicit-def: $vgpr8
	s_wait_xcnt 0x0
	s_and_saveexec_b32 s28, s36
	s_cbranch_execz .LBB630_11
; %bb.8:                                ;   in Loop: Header=BB630_5 Depth=1
	s_cmp_eq_f32 s48, 0
	s_cbranch_scc1 .LBB630_13
; %bb.9:                                ;   in Loop: Header=BB630_5 Depth=1
	v_lshl_add_u64 v[6:7], v[2:3], 2, s[26:27]
	global_load_b32 v6, v[6:7], off
	s_wait_loadcnt 0x0
	v_mul_f32_e32 v8, s48, v6
	s_branch .LBB630_14
.LBB630_10:                             ;   in Loop: Header=BB630_5 Depth=1
	s_mov_b32 s47, 0
                                        ; implicit-def: $vgpr8
	s_cbranch_execz .LBB630_12
	s_branch .LBB630_15
.LBB630_11:                             ;   in Loop: Header=BB630_5 Depth=1
	s_or_b32 exec_lo, exec_lo, s28
	s_delay_alu instid0(SALU_CYCLE_1)
	s_and_b32 vcc_lo, exec_lo, s7
	s_cbranch_vccnz .LBB630_15
.LBB630_12:                             ;   in Loop: Header=BB630_5 Depth=1
	v_mov_b64_e32 v[6:7], v[2:3]
	s_wait_xcnt 0x0
	s_and_saveexec_b32 s7, s47
	s_cbranch_execz .LBB630_3
	s_branch .LBB630_52
.LBB630_13:                             ;   in Loop: Header=BB630_5 Depth=1
	v_mov_b32_e32 v8, 0
.LBB630_14:                             ;   in Loop: Header=BB630_5 Depth=1
	s_mov_b32 s47, exec_lo
	s_wait_xcnt 0x0
	s_or_b32 exec_lo, exec_lo, s28
	s_delay_alu instid0(SALU_CYCLE_1)
	s_and_b32 vcc_lo, exec_lo, s7
	s_cbranch_vccz .LBB630_12
.LBB630_15:                             ;   in Loop: Header=BB630_5 Depth=1
	s_wait_xcnt 0x0
	s_mul_u64 s[28:29], s[24:25], s[34:35]
	s_mul_u64 s[40:41], s[16:17], s[34:35]
	v_dual_mov_b32 v34, 0 :: v_dual_mov_b32 v38, v0
	v_dual_mov_b32 v35, 0 :: v_dual_mov_b32 v36, 0
	v_mov_b32_e32 v37, 0
	s_lshl_b64 s[28:29], s[28:29], 1
	s_lshl_b64 s[40:41], s[40:41], 1
	s_add_nc_u64 s[28:29], s[12:13], s[28:29]
	s_add_nc_u64 s[40:41], s[14:15], s[40:41]
	s_and_saveexec_b32 s7, s0
	s_cbranch_execz .LBB630_27
; %bb.16:                               ;   in Loop: Header=BB630_5 Depth=1
	v_dual_mov_b32 v34, 0 :: v_dual_mov_b32 v39, v31
	v_dual_mov_b32 v40, v25 :: v_dual_mov_b32 v41, v24
	;; [unrolled: 1-line block ×4, first 2 shown]
	v_mov_b32_e32 v37, 0
	s_mov_b32 s49, 0
	s_mov_b32 s50, 0
	s_branch .LBB630_21
.LBB630_17:                             ;   in Loop: Header=BB630_21 Depth=2
	s_or_b32 exec_lo, exec_lo, s54
	s_wait_loadcnt 0x2
	v_dual_lshlrev_b32 v11, 16, v50 :: v_dual_lshlrev_b32 v10, 16, v49
	s_delay_alu instid0(VALU_DEP_1) | instskip(SKIP_1) | instid1(VALU_DEP_1)
	v_pk_mul_f32 v[10:11], v[8:9], v[10:11]
	s_wait_loadcnt 0x0
	v_dual_add_f32 v10, v36, v10 :: v_dual_lshlrev_b32 v13, 16, v48
	s_delay_alu instid0(VALU_DEP_1) | instskip(SKIP_1) | instid1(VALU_DEP_1)
	v_add_f32_e32 v18, v10, v11
	v_lshlrev_b32_e32 v12, 16, v47
	v_pk_mul_f32 v[10:11], v[6:7], v[12:13]
	s_delay_alu instid0(VALU_DEP_1) | instskip(NEXT) | instid1(VALU_DEP_1)
	v_add_f32_e32 v10, v18, v10
	v_add_f32_e32 v36, v10, v11
.LBB630_18:                             ;   in Loop: Header=BB630_21 Depth=2
	s_or_b32 exec_lo, exec_lo, s53
	s_wait_loadcnt 0x2
	v_dual_lshlrev_b32 v11, 16, v17 :: v_dual_lshlrev_b32 v10, 16, v16
	s_delay_alu instid0(VALU_DEP_1) | instskip(SKIP_1) | instid1(VALU_DEP_1)
	v_pk_mul_f32 v[10:11], v[8:9], v[10:11]
	s_wait_loadcnt 0x0
	v_dual_add_f32 v10, v35, v10 :: v_dual_lshlrev_b32 v13, 16, v15
	s_delay_alu instid0(VALU_DEP_1) | instskip(NEXT) | instid1(VALU_DEP_1)
	v_dual_lshlrev_b32 v12, 16, v14 :: v_dual_add_f32 v14, v10, v11
	v_pk_mul_f32 v[10:11], v[6:7], v[12:13]
	s_delay_alu instid0(VALU_DEP_1) | instskip(NEXT) | instid1(VALU_DEP_1)
	v_add_f32_e32 v10, v14, v10
	v_add_f32_e32 v35, v10, v11
.LBB630_19:                             ;   in Loop: Header=BB630_21 Depth=2
	s_or_b32 exec_lo, exec_lo, s52
	s_wait_loadcnt 0x2
	v_dual_lshlrev_b32 v11, 16, v46 :: v_dual_lshlrev_b32 v10, 16, v45
	s_delay_alu instid0(VALU_DEP_1) | instskip(SKIP_2) | instid1(VALU_DEP_2)
	v_pk_mul_f32 v[8:9], v[8:9], v[10:11]
	s_wait_loadcnt 0x0
	v_dual_lshlrev_b32 v11, 16, v44 :: v_dual_lshlrev_b32 v10, 16, v43
	v_add_f32_e32 v8, v34, v8
	s_delay_alu instid0(VALU_DEP_2) | instskip(NEXT) | instid1(VALU_DEP_2)
	v_pk_mul_f32 v[6:7], v[6:7], v[10:11]
	v_add_f32_e32 v8, v8, v9
	s_delay_alu instid0(VALU_DEP_1) | instskip(NEXT) | instid1(VALU_DEP_1)
	v_add_f32_e32 v6, v8, v6
	v_add_f32_e32 v34, v6, v7
.LBB630_20:                             ;   in Loop: Header=BB630_21 Depth=2
	s_or_b32 exec_lo, exec_lo, s51
	v_dual_add_nc_u32 v38, 16, v38 :: v_dual_add_nc_u32 v41, s45, v41
	v_dual_add_nc_u32 v42, s45, v42 :: v_dual_add_nc_u32 v40, s45, v40
	v_add_nc_u32_e32 v39, s45, v39
	s_delay_alu instid0(VALU_DEP_3) | instskip(SKIP_2) | instid1(SALU_CYCLE_1)
	v_cmp_le_i32_e32 vcc_lo, s43, v38
	s_add_co_i32 s50, s50, s46
	s_or_b32 s49, vcc_lo, s49
	s_and_not1_b32 exec_lo, exec_lo, s49
	s_cbranch_execz .LBB630_26
.LBB630_21:                             ;   Parent Loop BB630_5 Depth=1
                                        ; =>  This Inner Loop Header: Depth=2
	s_and_saveexec_b32 s51, s1
	s_cbranch_execz .LBB630_20
; %bb.22:                               ;   in Loop: Header=BB630_21 Depth=2
	v_dual_add_nc_u32 v6, s50, v32 :: v_dual_add_nc_u32 v7, s50, v26
	v_dual_add_nc_u32 v8, s50, v27 :: v_dual_add_nc_u32 v9, s50, v28
	;; [unrolled: 1-line block ×3, first 2 shown]
	s_clause 0x3
	global_load_u16 v11, v6, s[40:41] scale_offset
	global_load_u16 v13, v7, s[40:41] scale_offset
	;; [unrolled: 1-line block ×4, first 2 shown]
	v_dual_add_nc_u32 v16, s42, v41 :: v_dual_add_nc_u32 v14, s42, v40
	s_clause 0x3
	global_load_u16 v45, v10, s[28:29] scale_offset
	global_load_u16 v46, v12, s[28:29] scale_offset
	;; [unrolled: 1-line block ×4, first 2 shown]
	s_wait_loadcnt 0x6
	s_wait_xcnt 0x4
	v_dual_lshlrev_b32 v8, 16, v11 :: v_dual_lshlrev_b32 v9, 16, v13
	s_wait_loadcnt 0x4
	v_dual_lshlrev_b32 v6, 16, v15 :: v_dual_lshlrev_b32 v7, 16, v17
	s_wait_xcnt 0x0
	s_and_saveexec_b32 s52, s2
	s_cbranch_execz .LBB630_19
; %bb.23:                               ;   in Loop: Header=BB630_21 Depth=2
	v_dual_ashrrev_i32 v11, 31, v10 :: v_dual_ashrrev_i32 v13, 31, v12
	v_dual_ashrrev_i32 v17, 31, v16 :: v_dual_ashrrev_i32 v15, 31, v14
	s_delay_alu instid0(VALU_DEP_2) | instskip(NEXT) | instid1(VALU_DEP_3)
	v_lshl_add_u64 v[18:19], v[10:11], 1, s[28:29]
	v_lshl_add_u64 v[20:21], v[12:13], 1, s[28:29]
	s_delay_alu instid0(VALU_DEP_3) | instskip(NEXT) | instid1(VALU_DEP_4)
	v_lshl_add_u64 v[10:11], v[16:17], 1, s[28:29]
	v_lshl_add_u64 v[12:13], v[14:15], 1, s[28:29]
	s_clause 0x3
	global_load_u16 v16, v[18:19], off offset:128
	global_load_u16 v17, v[20:21], off offset:128
	;; [unrolled: 1-line block ×4, first 2 shown]
	s_wait_xcnt 0x0
	s_and_saveexec_b32 s53, s3
	s_cbranch_execz .LBB630_18
; %bb.24:                               ;   in Loop: Header=BB630_21 Depth=2
	s_clause 0x3
	global_load_u16 v49, v[18:19], off offset:256
	global_load_u16 v50, v[20:21], off offset:256
	;; [unrolled: 1-line block ×4, first 2 shown]
	s_wait_xcnt 0x0
	s_and_saveexec_b32 s54, s4
	s_cbranch_execz .LBB630_17
; %bb.25:                               ;   in Loop: Header=BB630_21 Depth=2
	s_clause 0x3
	global_load_u16 v20, v[20:21], off offset:384
	global_load_u16 v18, v[18:19], off offset:384
	;; [unrolled: 1-line block ×4, first 2 shown]
	s_wait_loadcnt 0x2
	s_wait_xcnt 0x0
	v_dual_lshlrev_b32 v11, 16, v20 :: v_dual_lshlrev_b32 v10, 16, v18
	s_delay_alu instid0(VALU_DEP_1) | instskip(SKIP_1) | instid1(VALU_DEP_1)
	v_pk_mul_f32 v[10:11], v[8:9], v[10:11]
	s_wait_loadcnt 0x1
	v_dual_add_f32 v10, v37, v10 :: v_dual_lshlrev_b32 v13, 16, v12
	s_delay_alu instid0(VALU_DEP_1) | instskip(SKIP_2) | instid1(VALU_DEP_1)
	v_add_f32_e32 v18, v10, v11
	s_wait_loadcnt 0x0
	v_lshlrev_b32_e32 v12, 16, v19
	v_pk_mul_f32 v[10:11], v[6:7], v[12:13]
	s_delay_alu instid0(VALU_DEP_1) | instskip(NEXT) | instid1(VALU_DEP_1)
	v_add_f32_e32 v10, v18, v10
	v_add_f32_e32 v37, v10, v11
	s_branch .LBB630_17
.LBB630_26:                             ;   in Loop: Header=BB630_5 Depth=1
	s_or_b32 exec_lo, exec_lo, s49
.LBB630_27:                             ;   in Loop: Header=BB630_5 Depth=1
	s_delay_alu instid0(SALU_CYCLE_1) | instskip(NEXT) | instid1(SALU_CYCLE_1)
	s_or_b32 exec_lo, exec_lo, s7
	s_and_not1_b32 vcc_lo, exec_lo, s44
	s_cbranch_vccnz .LBB630_45
; %bb.28:                               ;   in Loop: Header=BB630_5 Depth=1
	v_dual_mov_b32 v6, 0 :: v_dual_bitop2_b32 v10, 1, v38 bitop3:0x54
	v_cmp_gt_i32_e32 vcc_lo, s37, v38
	s_delay_alu instid0(VALU_DEP_2)
	v_dual_mov_b32 v7, v6 :: v_dual_mov_b32 v8, v6
	v_mov_b32_e32 v9, v6
	s_and_saveexec_b32 s49, vcc_lo
	s_cbranch_execz .LBB630_36
; %bb.29:                               ;   in Loop: Header=BB630_5 Depth=1
	v_mul_lo_u32 v6, v38, s30
	v_dual_mov_b32 v9, 0 :: v_dual_mov_b32 v7, 0
	s_mov_b32 s50, exec_lo
	global_load_u16 v8, v6, s[40:41] scale_offset
	s_wait_xcnt 0x0
	v_mov_b32_e32 v6, 0
	v_cmpx_gt_i32_e64 s37, v10
	s_cbranch_execz .LBB630_35
; %bb.30:                               ;   in Loop: Header=BB630_5 Depth=1
	v_mul_lo_u32 v6, v10, s30
	v_dual_mov_b32 v7, 0 :: v_dual_bitop2_b32 v11, 2, v38 bitop3:0x54
	s_mov_b32 s51, exec_lo
	global_load_u16 v9, v6, s[40:41] scale_offset
	s_wait_xcnt 0x0
	v_mov_b32_e32 v6, 0
	v_cmpx_gt_i32_e64 s37, v11
	s_cbranch_execz .LBB630_34
; %bb.31:                               ;   in Loop: Header=BB630_5 Depth=1
	v_mul_lo_u32 v6, v11, s30
	v_dual_mov_b32 v7, 0 :: v_dual_bitop2_b32 v11, 3, v38 bitop3:0x54
	s_mov_b32 s52, exec_lo
	global_load_u16 v6, v6, s[40:41] scale_offset
	s_wait_xcnt 0x0
	v_cmpx_gt_i32_e64 s37, v11
	s_cbranch_execz .LBB630_33
; %bb.32:                               ;   in Loop: Header=BB630_5 Depth=1
	v_mul_lo_u32 v7, v11, s30
	global_load_u16 v7, v7, s[40:41] scale_offset
	s_wait_loadcnt 0x0
	s_wait_xcnt 0x0
	v_lshlrev_b32_e32 v7, 16, v7
.LBB630_33:                             ;   in Loop: Header=BB630_5 Depth=1
	s_or_b32 exec_lo, exec_lo, s52
	s_wait_loadcnt 0x0
	v_lshlrev_b32_e32 v6, 16, v6
.LBB630_34:                             ;   in Loop: Header=BB630_5 Depth=1
	s_or_b32 exec_lo, exec_lo, s51
	s_wait_loadcnt 0x0
	v_lshlrev_b32_e32 v9, 16, v9
.LBB630_35:                             ;   in Loop: Header=BB630_5 Depth=1
	s_or_b32 exec_lo, exec_lo, s50
	s_wait_loadcnt 0x0
	v_lshlrev_b32_e32 v8, 16, v8
.LBB630_36:                             ;   in Loop: Header=BB630_5 Depth=1
	s_or_b32 exec_lo, exec_lo, s49
	s_and_saveexec_b32 s40, s1
	s_cbranch_execz .LBB630_44
; %bb.37:                               ;   in Loop: Header=BB630_5 Depth=1
	v_mul_lo_u32 v13, v10, s33
	v_cmp_gt_i32_e64 s7, s37, v10
	v_or_b32_e32 v11, 2, v38
	v_or_b32_e32 v12, 3, v38
	v_mul_lo_u32 v16, v38, s33
	s_delay_alu instid0(VALU_DEP_2) | instskip(SKIP_3) | instid1(VALU_DEP_1)
	v_mul_lo_u32 v15, v12, s33
	v_cndmask_b32_e64 v10, 0, v13, s7
	v_mul_lo_u32 v14, v11, s33
	v_cmp_gt_i32_e64 s7, s37, v11
	v_cndmask_b32_e64 v11, 0, v14, s7
	v_cmp_gt_i32_e64 s7, s37, v12
	s_delay_alu instid0(VALU_DEP_1) | instskip(NEXT) | instid1(VALU_DEP_3)
	v_dual_cndmask_b32 v13, 0, v15, s7 :: v_dual_cndmask_b32 v15, 0, v16, vcc_lo
	v_dual_add_nc_u32 v12, v10, v22 :: v_dual_add_nc_u32 v14, v11, v22
	s_delay_alu instid0(VALU_DEP_2)
	v_dual_add_nc_u32 v16, v13, v22 :: v_dual_add_nc_u32 v10, v15, v22
	s_clause 0x3
	global_load_u16 v20, v12, s[28:29] scale_offset
	global_load_u16 v18, v14, s[28:29] scale_offset
	;; [unrolled: 1-line block ×4, first 2 shown]
	s_wait_xcnt 0x0
	s_and_saveexec_b32 s7, s2
	s_cbranch_execz .LBB630_43
; %bb.38:                               ;   in Loop: Header=BB630_5 Depth=1
	v_dual_ashrrev_i32 v11, 31, v10 :: v_dual_ashrrev_i32 v13, 31, v12
	v_dual_ashrrev_i32 v15, 31, v14 :: v_dual_ashrrev_i32 v17, 31, v16
	s_delay_alu instid0(VALU_DEP_2) | instskip(NEXT) | instid1(VALU_DEP_3)
	v_lshl_add_u64 v[10:11], v[10:11], 1, s[28:29]
	v_lshl_add_u64 v[12:13], v[12:13], 1, s[28:29]
	s_delay_alu instid0(VALU_DEP_3) | instskip(NEXT) | instid1(VALU_DEP_4)
	v_lshl_add_u64 v[14:15], v[14:15], 1, s[28:29]
	v_lshl_add_u64 v[16:17], v[16:17], 1, s[28:29]
	s_clause 0x3
	global_load_u16 v40, v[10:11], off offset:128
	global_load_u16 v41, v[12:13], off offset:128
	;; [unrolled: 1-line block ×4, first 2 shown]
	s_wait_xcnt 0x0
	s_and_saveexec_b32 s28, s3
	s_cbranch_execz .LBB630_42
; %bb.39:                               ;   in Loop: Header=BB630_5 Depth=1
	s_clause 0x3
	global_load_u16 v44, v[10:11], off offset:256
	global_load_u16 v45, v[12:13], off offset:256
	global_load_u16 v42, v[14:15], off offset:256
	global_load_u16 v43, v[16:17], off offset:256
	s_wait_xcnt 0x0
	s_and_saveexec_b32 s29, s4
	s_cbranch_execz .LBB630_41
; %bb.40:                               ;   in Loop: Header=BB630_5 Depth=1
	s_clause 0x3
	global_load_u16 v46, v[12:13], off offset:384
	global_load_u16 v47, v[10:11], off offset:384
	;; [unrolled: 1-line block ×4, first 2 shown]
	s_wait_loadcnt 0x2
	s_wait_xcnt 0x2
	v_dual_lshlrev_b32 v11, 16, v46 :: v_dual_lshlrev_b32 v10, 16, v47
	s_delay_alu instid0(VALU_DEP_1) | instskip(SKIP_1) | instid1(VALU_DEP_1)
	v_pk_mul_f32 v[10:11], v[8:9], v[10:11]
	s_wait_loadcnt 0x1
	v_dual_add_f32 v10, v37, v10 :: v_dual_lshlrev_b32 v13, 16, v48
	s_wait_loadcnt 0x0
	s_wait_xcnt 0x0
	s_delay_alu instid0(VALU_DEP_1) | instskip(NEXT) | instid1(VALU_DEP_1)
	v_dual_lshlrev_b32 v12, 16, v49 :: v_dual_add_f32 v14, v10, v11
	v_pk_mul_f32 v[10:11], v[6:7], v[12:13]
	s_delay_alu instid0(VALU_DEP_1) | instskip(NEXT) | instid1(VALU_DEP_1)
	v_add_f32_e32 v10, v14, v10
	v_add_f32_e32 v37, v10, v11
.LBB630_41:                             ;   in Loop: Header=BB630_5 Depth=1
	s_or_b32 exec_lo, exec_lo, s29
	s_wait_loadcnt 0x2
	v_dual_lshlrev_b32 v11, 16, v45 :: v_dual_lshlrev_b32 v10, 16, v44
	s_delay_alu instid0(VALU_DEP_1) | instskip(SKIP_1) | instid1(VALU_DEP_1)
	v_pk_mul_f32 v[10:11], v[8:9], v[10:11]
	s_wait_loadcnt 0x0
	v_dual_add_f32 v10, v36, v10 :: v_dual_lshlrev_b32 v13, 16, v43
	s_delay_alu instid0(VALU_DEP_1) | instskip(NEXT) | instid1(VALU_DEP_1)
	v_dual_lshlrev_b32 v12, 16, v42 :: v_dual_add_f32 v14, v10, v11
	v_pk_mul_f32 v[10:11], v[6:7], v[12:13]
	s_delay_alu instid0(VALU_DEP_1) | instskip(NEXT) | instid1(VALU_DEP_1)
	v_add_f32_e32 v10, v14, v10
	v_add_f32_e32 v36, v10, v11
.LBB630_42:                             ;   in Loop: Header=BB630_5 Depth=1
	s_or_b32 exec_lo, exec_lo, s28
	s_wait_loadcnt 0x2
	v_dual_lshlrev_b32 v11, 16, v41 :: v_dual_lshlrev_b32 v10, 16, v40
	s_delay_alu instid0(VALU_DEP_1) | instskip(SKIP_1) | instid1(VALU_DEP_1)
	v_pk_mul_f32 v[10:11], v[8:9], v[10:11]
	s_wait_loadcnt 0x0
	v_dual_add_f32 v10, v35, v10 :: v_dual_lshlrev_b32 v13, 16, v39
	s_delay_alu instid0(VALU_DEP_1) | instskip(NEXT) | instid1(VALU_DEP_1)
	v_dual_lshlrev_b32 v12, 16, v38 :: v_dual_add_f32 v14, v10, v11
	v_pk_mul_f32 v[10:11], v[6:7], v[12:13]
	s_delay_alu instid0(VALU_DEP_1) | instskip(NEXT) | instid1(VALU_DEP_1)
	v_add_f32_e32 v10, v14, v10
	v_add_f32_e32 v35, v10, v11
.LBB630_43:                             ;   in Loop: Header=BB630_5 Depth=1
	s_or_b32 exec_lo, exec_lo, s7
	s_wait_loadcnt 0x0
	v_dual_lshlrev_b32 v11, 16, v20 :: v_dual_lshlrev_b32 v10, 16, v21
	s_delay_alu instid0(VALU_DEP_1) | instskip(NEXT) | instid1(VALU_DEP_1)
	v_pk_mul_f32 v[8:9], v[8:9], v[10:11]
	v_dual_add_f32 v8, v34, v8 :: v_dual_lshlrev_b32 v11, 16, v19
	s_delay_alu instid0(VALU_DEP_1) | instskip(NEXT) | instid1(VALU_DEP_1)
	v_dual_lshlrev_b32 v10, 16, v18 :: v_dual_add_f32 v8, v8, v9
	v_pk_mul_f32 v[6:7], v[6:7], v[10:11]
	s_delay_alu instid0(VALU_DEP_1) | instskip(NEXT) | instid1(VALU_DEP_1)
	v_add_f32_e32 v6, v8, v6
	v_add_f32_e32 v34, v6, v7
.LBB630_44:                             ;   in Loop: Header=BB630_5 Depth=1
	s_or_b32 exec_lo, exec_lo, s40
.LBB630_45:                             ;   in Loop: Header=BB630_5 Depth=1
	ds_store_2addr_stride64_b32 v23, v34, v35 offset1:1
	ds_store_2addr_stride64_b32 v23, v36, v37 offset0:2 offset1:3
	s_wait_dscnt 0x0
	s_barrier_signal -1
	s_barrier_wait -1
                                        ; implicit-def: $vgpr8
	s_and_saveexec_b32 s7, s5
	s_cbranch_execz .LBB630_51
; %bb.46:                               ;   in Loop: Header=BB630_5 Depth=1
	ds_load_2addr_stride64_b32 v[6:7], v29 offset1:4
	ds_load_2addr_stride64_b32 v[8:9], v29 offset0:8 offset1:12
	s_mov_b32 s29, s47
	s_wait_dscnt 0x1
	v_add_f32_e32 v6, v6, v7
	s_wait_dscnt 0x0
	s_delay_alu instid0(VALU_DEP_1) | instskip(NEXT) | instid1(VALU_DEP_1)
	v_add_f32_e32 v6, v8, v6
                                        ; implicit-def: $vgpr8
	v_add_f32_e32 v6, v9, v6
	ds_store_b32 v29, v6
	s_and_saveexec_b32 s28, s6
	s_cbranch_execz .LBB630_50
; %bb.47:                               ;   in Loop: Header=BB630_5 Depth=1
	v_mul_f32_e32 v8, v33, v6
	s_cmp_eq_f32 s48, 0
	s_cbranch_scc1 .LBB630_49
; %bb.48:                               ;   in Loop: Header=BB630_5 Depth=1
	v_lshl_add_u64 v[6:7], v[4:5], 2, s[26:27]
	global_load_b32 v6, v[6:7], off
	s_wait_loadcnt 0x0
	v_fmac_f32_e32 v8, s48, v6
.LBB630_49:                             ;   in Loop: Header=BB630_5 Depth=1
	s_or_b32 s29, s47, exec_lo
.LBB630_50:                             ;   in Loop: Header=BB630_5 Depth=1
	s_wait_xcnt 0x0
	s_or_b32 exec_lo, exec_lo, s28
	s_delay_alu instid0(SALU_CYCLE_1) | instskip(SKIP_1) | instid1(SALU_CYCLE_1)
	s_and_not1_b32 s28, s47, exec_lo
	s_and_b32 s29, s29, exec_lo
	s_or_b32 s47, s28, s29
.LBB630_51:                             ;   in Loop: Header=BB630_5 Depth=1
	s_or_b32 exec_lo, exec_lo, s7
	v_mov_b64_e32 v[6:7], v[4:5]
	s_and_saveexec_b32 s7, s47
	s_cbranch_execz .LBB630_3
.LBB630_52:                             ;   in Loop: Header=BB630_5 Depth=1
	s_delay_alu instid0(VALU_DEP_1)
	v_lshl_add_u64 v[6:7], v[6:7], 2, s[26:27]
	global_store_b32 v[6:7], v8, off
	s_branch .LBB630_3
.LBB630_53:
	s_endpgm
	.section	.rodata,"a",@progbits
	.p2align	6, 0x0
	.amdhsa_kernel _ZL20rocblas_gemvn_kernelILi64ELi4Ei16rocblas_bfloat16PKffEviiT3_lPKT2_lT1_lS6_lS7_lS3_lPT4_lS7_li
		.amdhsa_group_segment_fixed_size 4096
		.amdhsa_private_segment_fixed_size 0
		.amdhsa_kernarg_size 400
		.amdhsa_user_sgpr_count 2
		.amdhsa_user_sgpr_dispatch_ptr 0
		.amdhsa_user_sgpr_queue_ptr 0
		.amdhsa_user_sgpr_kernarg_segment_ptr 1
		.amdhsa_user_sgpr_dispatch_id 0
		.amdhsa_user_sgpr_kernarg_preload_length 0
		.amdhsa_user_sgpr_kernarg_preload_offset 0
		.amdhsa_user_sgpr_private_segment_size 0
		.amdhsa_wavefront_size32 1
		.amdhsa_uses_dynamic_stack 0
		.amdhsa_enable_private_segment 0
		.amdhsa_system_sgpr_workgroup_id_x 1
		.amdhsa_system_sgpr_workgroup_id_y 0
		.amdhsa_system_sgpr_workgroup_id_z 1
		.amdhsa_system_sgpr_workgroup_info 0
		.amdhsa_system_vgpr_workitem_id 1
		.amdhsa_next_free_vgpr 51
		.amdhsa_next_free_sgpr 55
		.amdhsa_named_barrier_count 0
		.amdhsa_reserve_vcc 1
		.amdhsa_float_round_mode_32 0
		.amdhsa_float_round_mode_16_64 0
		.amdhsa_float_denorm_mode_32 3
		.amdhsa_float_denorm_mode_16_64 3
		.amdhsa_fp16_overflow 0
		.amdhsa_memory_ordered 1
		.amdhsa_forward_progress 1
		.amdhsa_inst_pref_size 25
		.amdhsa_round_robin_scheduling 0
		.amdhsa_exception_fp_ieee_invalid_op 0
		.amdhsa_exception_fp_denorm_src 0
		.amdhsa_exception_fp_ieee_div_zero 0
		.amdhsa_exception_fp_ieee_overflow 0
		.amdhsa_exception_fp_ieee_underflow 0
		.amdhsa_exception_fp_ieee_inexact 0
		.amdhsa_exception_int_div_zero 0
	.end_amdhsa_kernel
	.section	.text._ZL20rocblas_gemvn_kernelILi64ELi4Ei16rocblas_bfloat16PKffEviiT3_lPKT2_lT1_lS6_lS7_lS3_lPT4_lS7_li,"axG",@progbits,_ZL20rocblas_gemvn_kernelILi64ELi4Ei16rocblas_bfloat16PKffEviiT3_lPKT2_lT1_lS6_lS7_lS3_lPT4_lS7_li,comdat
.Lfunc_end630:
	.size	_ZL20rocblas_gemvn_kernelILi64ELi4Ei16rocblas_bfloat16PKffEviiT3_lPKT2_lT1_lS6_lS7_lS3_lPT4_lS7_li, .Lfunc_end630-_ZL20rocblas_gemvn_kernelILi64ELi4Ei16rocblas_bfloat16PKffEviiT3_lPKT2_lT1_lS6_lS7_lS3_lPT4_lS7_li
                                        ; -- End function
	.set _ZL20rocblas_gemvn_kernelILi64ELi4Ei16rocblas_bfloat16PKffEviiT3_lPKT2_lT1_lS6_lS7_lS3_lPT4_lS7_li.num_vgpr, 51
	.set _ZL20rocblas_gemvn_kernelILi64ELi4Ei16rocblas_bfloat16PKffEviiT3_lPKT2_lT1_lS6_lS7_lS3_lPT4_lS7_li.num_agpr, 0
	.set _ZL20rocblas_gemvn_kernelILi64ELi4Ei16rocblas_bfloat16PKffEviiT3_lPKT2_lT1_lS6_lS7_lS3_lPT4_lS7_li.numbered_sgpr, 55
	.set _ZL20rocblas_gemvn_kernelILi64ELi4Ei16rocblas_bfloat16PKffEviiT3_lPKT2_lT1_lS6_lS7_lS3_lPT4_lS7_li.num_named_barrier, 0
	.set _ZL20rocblas_gemvn_kernelILi64ELi4Ei16rocblas_bfloat16PKffEviiT3_lPKT2_lT1_lS6_lS7_lS3_lPT4_lS7_li.private_seg_size, 0
	.set _ZL20rocblas_gemvn_kernelILi64ELi4Ei16rocblas_bfloat16PKffEviiT3_lPKT2_lT1_lS6_lS7_lS3_lPT4_lS7_li.uses_vcc, 1
	.set _ZL20rocblas_gemvn_kernelILi64ELi4Ei16rocblas_bfloat16PKffEviiT3_lPKT2_lT1_lS6_lS7_lS3_lPT4_lS7_li.uses_flat_scratch, 0
	.set _ZL20rocblas_gemvn_kernelILi64ELi4Ei16rocblas_bfloat16PKffEviiT3_lPKT2_lT1_lS6_lS7_lS3_lPT4_lS7_li.has_dyn_sized_stack, 0
	.set _ZL20rocblas_gemvn_kernelILi64ELi4Ei16rocblas_bfloat16PKffEviiT3_lPKT2_lT1_lS6_lS7_lS3_lPT4_lS7_li.has_recursion, 0
	.set _ZL20rocblas_gemvn_kernelILi64ELi4Ei16rocblas_bfloat16PKffEviiT3_lPKT2_lT1_lS6_lS7_lS3_lPT4_lS7_li.has_indirect_call, 0
	.section	.AMDGPU.csdata,"",@progbits
; Kernel info:
; codeLenInByte = 3108
; TotalNumSgprs: 57
; NumVgprs: 51
; ScratchSize: 0
; MemoryBound: 0
; FloatMode: 240
; IeeeMode: 1
; LDSByteSize: 4096 bytes/workgroup (compile time only)
; SGPRBlocks: 0
; VGPRBlocks: 3
; NumSGPRsForWavesPerEU: 57
; NumVGPRsForWavesPerEU: 51
; NamedBarCnt: 0
; Occupancy: 16
; WaveLimiterHint : 1
; COMPUTE_PGM_RSRC2:SCRATCH_EN: 0
; COMPUTE_PGM_RSRC2:USER_SGPR: 2
; COMPUTE_PGM_RSRC2:TRAP_HANDLER: 0
; COMPUTE_PGM_RSRC2:TGID_X_EN: 1
; COMPUTE_PGM_RSRC2:TGID_Y_EN: 0
; COMPUTE_PGM_RSRC2:TGID_Z_EN: 1
; COMPUTE_PGM_RSRC2:TIDIG_COMP_CNT: 1
	.section	.text._ZL20rocblas_gemvn_kernelILi64ELi4El16rocblas_bfloat16PKffEviiT3_lPKT2_lT1_lS6_lS7_lS3_lPT4_lS7_li,"axG",@progbits,_ZL20rocblas_gemvn_kernelILi64ELi4El16rocblas_bfloat16PKffEviiT3_lPKT2_lT1_lS6_lS7_lS3_lPT4_lS7_li,comdat
	.globl	_ZL20rocblas_gemvn_kernelILi64ELi4El16rocblas_bfloat16PKffEviiT3_lPKT2_lT1_lS6_lS7_lS3_lPT4_lS7_li ; -- Begin function _ZL20rocblas_gemvn_kernelILi64ELi4El16rocblas_bfloat16PKffEviiT3_lPKT2_lT1_lS6_lS7_lS3_lPT4_lS7_li
	.p2align	8
	.type	_ZL20rocblas_gemvn_kernelILi64ELi4El16rocblas_bfloat16PKffEviiT3_lPKT2_lT1_lS6_lS7_lS3_lPT4_lS7_li,@function
_ZL20rocblas_gemvn_kernelILi64ELi4El16rocblas_bfloat16PKffEviiT3_lPKT2_lT1_lS6_lS7_lS3_lPT4_lS7_li: ; @_ZL20rocblas_gemvn_kernelILi64ELi4El16rocblas_bfloat16PKffEviiT3_lPKT2_lT1_lS6_lS7_lS3_lPT4_lS7_li
; %bb.0:
	s_load_b64 s[2:3], s[0:1], 0x9c
	s_wait_kmcnt 0x0
	s_lshr_b32 s4, s2, 16
	s_and_b32 s2, s2, 0xffff
	s_and_b32 s3, s3, 0xffff
	s_mul_i32 s2, s4, s2
	s_delay_alu instid0(SALU_CYCLE_1) | instskip(NEXT) | instid1(SALU_CYCLE_1)
	s_mul_i32 s2, s2, s3
	s_cmp_lg_u32 s2, 0x100
	s_cbranch_scc1 .LBB631_53
; %bb.1:
	s_load_b32 s33, s[0:1], 0x88
	s_bfe_u32 s2, ttmp6, 0x40014
	s_lshr_b32 s3, ttmp7, 16
	s_add_co_i32 s2, s2, 1
	s_bfe_u32 s5, ttmp6, 0x40008
	s_mul_i32 s4, s3, s2
	s_getreg_b32 s2, hwreg(HW_REG_IB_STS2, 6, 4)
	s_add_co_i32 s5, s5, s4
	s_cmp_eq_u32 s2, 0
	s_mov_b32 s11, 0
	s_cselect_b32 s10, s3, s5
	s_wait_kmcnt 0x0
	s_cmp_ge_u32 s10, s33
	s_cbranch_scc1 .LBB631_53
; %bb.2:
	s_clause 0x2
	s_load_b512 s[12:27], s[0:1], 0x8
	s_load_b512 s[36:51], s[0:1], 0x48
	s_load_b64 s[28:29], s[0:1], 0x0
	s_wait_xcnt 0x0
	s_bfe_u32 s0, ttmp6, 0x4000c
	v_and_b32_e32 v24, 0x3ff, v0
	s_add_co_i32 s0, s0, 1
	v_bfe_u32 v4, v0, 10, 10
	s_and_b32 s1, ttmp6, 15
	s_mul_i32 s0, ttmp9, s0
	v_dual_mov_b32 v1, 0 :: v_dual_lshlrev_b32 v2, 2, v24
	s_add_co_i32 s1, s1, s0
	v_lshl_add_u32 v6, v4, 6, v24
	s_delay_alu instid0(VALU_DEP_2) | instskip(NEXT) | instid1(VALU_DEP_3)
	v_dual_mov_b32 v5, v1 :: v_dual_lshlrev_b32 v52, 2, v4
	v_lshl_add_u32 v53, v4, 10, v2
	v_lshl_add_u32 v54, v4, 8, v2
	s_wait_kmcnt 0x0
	s_lshl_b64 s[4:5], s[18:19], 1
	s_lshl_b64 s[18:19], s[26:27], 1
	;; [unrolled: 1-line block ×3, first 2 shown]
	s_cmp_eq_u32 s2, 0
	s_mov_b32 s2, s28
	s_cselect_b32 s0, ttmp9, s1
	s_ashr_i32 s3, s28, 31
	s_lshl_b32 s1, s0, 8
	v_cmp_gt_u32_e64 s0, 0x100, v6
	v_dual_add_nc_u32 v0, s1, v6 :: v_dual_bitop2_b32 v6, s1, v6 bitop3:0x54
	v_mul_u64_e32 v[10:11], s[36:37], v[4:5]
	v_mul_u64_e32 v[12:13], s[20:21], v[4:5]
	v_mad_nc_u64_u32 v[8:9], s36, v52, s[36:37]
	s_delay_alu instid0(VALU_DEP_4)
	v_cmp_gt_i64_e32 vcc_lo, s[2:3], v[0:1]
	v_mul_u64_e32 v[2:3], s[48:49], v[0:1]
	v_dual_ashrrev_i32 v7, 31, v6 :: v_dual_bitop2_b32 v0, 3, v52 bitop3:0x54
	v_mad_nc_u64_u32 v[22:23], s20, v52, s[20:21]
	s_ashr_i32 s2, s29, 31
	v_or_b32_e32 v24, s1, v24
	s_delay_alu instid0(VALU_DEP_3)
	v_mul_u64_e32 v[14:15], s[20:21], v[0:1]
	v_mul_u64_e32 v[16:17], s[36:37], v[0:1]
	v_or_b32_e32 v0, 2, v52
	v_mul_u64_e32 v[4:5], s[48:49], v[6:7]
	v_mad_u32 v9, s37, v52, v9
	s_lshr_b32 s2, s2, 28
	v_ashrrev_i32_e32 v25, 31, v24
	v_mul_u64_e32 v[18:19], s[20:21], v[0:1]
	v_mul_u64_e32 v[20:21], s[36:37], v[0:1]
	v_mad_u32 v23, s21, v52, v23
	s_add_co_i32 s2, s29, s2
	v_add_nc_u32_e32 v7, 0x80, v24
	s_and_b32 s52, s2, -16
	v_add_nc_u32_e32 v0, 64, v24
	v_add_nc_u32_e32 v26, 0xc0, v24
	s_sub_co_i32 s3, s29, s52
	s_add_nc_u64 s[16:17], s[16:17], s[4:5]
	s_cmp_gt_i32 s3, 0
	v_cmp_gt_i32_e64 s3, s28, v6
	v_cmp_gt_i32_e64 s5, s28, v7
	v_lshlrev_b64_e32 v[6:7], 1, v[24:25]
	s_add_nc_u64 s[30:31], s[44:45], s[6:7]
	v_cmp_gt_i32_e64 s1, s52, v52
	v_cmp_gt_i32_e64 s2, s28, v24
	;; [unrolled: 1-line block ×4, first 2 shown]
	v_lshl_add_u64 v[8:9], v[8:9], 1, s[24:25]
	v_lshl_add_u64 v[10:11], v[10:11], 3, s[24:25]
	v_lshl_add_u64 v[12:13], v[12:13], 3, s[16:17]
	v_lshl_add_u64 v[22:23], v[22:23], 1, s[16:17]
	s_add_nc_u64 s[26:27], s[24:25], s[18:19]
	s_cselect_b32 s53, -1, 0
	v_lshl_add_u64 v[14:15], v[14:15], 1, s[16:17]
	v_lshl_add_u64 v[16:17], v[16:17], 1, s[24:25]
	s_lshl_b64 s[34:35], s[38:39], 1
	s_and_b32 s28, s0, vcc_lo
	s_lshl_b64 s[44:45], s[22:23], 1
	s_lshl_b64 s[46:47], s[20:21], 5
	v_lshl_add_u64 v[18:19], v[18:19], 1, s[16:17]
	v_lshl_add_u64 v[20:21], v[20:21], 1, s[24:25]
	s_lshl_b64 s[24:25], s[36:37], 5
	s_branch .LBB631_5
.LBB631_3:                              ;   in Loop: Header=BB631_5 Depth=1
	s_wait_xcnt 0x0
	s_or_b32 exec_lo, exec_lo, s7
.LBB631_4:                              ;   in Loop: Header=BB631_5 Depth=1
	s_add_co_i32 s10, s10, 0x10000
	s_delay_alu instid0(SALU_CYCLE_1)
	s_cmp_lt_u32 s10, s33
	s_cbranch_scc0 .LBB631_53
.LBB631_5:                              ; =>This Loop Header: Depth=1
                                        ;     Child Loop BB631_21 Depth 2
	s_wait_xcnt 0x1
	s_mul_u64 s[8:9], s[14:15], s[10:11]
	s_wait_xcnt 0x0
	s_mul_u64 s[48:49], s[42:43], s[10:11]
	s_lshl_b64 s[8:9], s[8:9], 2
	s_lshl_b64 s[48:49], s[48:49], 2
	s_add_nc_u64 s[8:9], s[12:13], s[8:9]
	s_add_nc_u64 s[48:49], s[40:41], s[48:49]
	s_clause 0x1
	global_load_b32 v55, v1, s[8:9]
	global_load_b32 v0, v1, s[48:49]
	s_wait_loadcnt 0x1
	v_cmp_eq_f32_e32 vcc_lo, 0, v55
	s_wait_loadcnt 0x0
	v_cmp_eq_f32_e64 s7, 1.0, v0
	v_readfirstlane_b32 s55, v0
	s_and_b32 s7, vcc_lo, s7
	s_delay_alu instid0(SALU_CYCLE_1)
	s_and_b32 vcc_lo, exec_lo, s7
	s_cbranch_vccnz .LBB631_4
; %bb.6:                                ;   in Loop: Header=BB631_5 Depth=1
	v_cmp_neq_f32_e32 vcc_lo, 0, v55
	s_wait_xcnt 0x1
	s_mul_u64 s[8:9], s[50:51], s[10:11]
	s_delay_alu instid0(SALU_CYCLE_1)
	s_lshl_b64 s[8:9], s[8:9], 2
	s_wait_xcnt 0x0
	s_add_nc_u64 s[48:49], s[30:31], s[8:9]
	s_cbranch_vccnz .LBB631_10
; %bb.7:                                ;   in Loop: Header=BB631_5 Depth=1
	s_mov_b32 s7, 0
	s_mov_b32 s54, 0
                                        ; implicit-def: $vgpr0
	s_and_saveexec_b32 s8, s28
	s_cbranch_execz .LBB631_11
; %bb.8:                                ;   in Loop: Header=BB631_5 Depth=1
	s_cmp_eq_f32 s55, 0
	s_cbranch_scc1 .LBB631_13
; %bb.9:                                ;   in Loop: Header=BB631_5 Depth=1
	v_lshl_add_u64 v[24:25], v[2:3], 2, s[48:49]
	global_load_b32 v0, v[24:25], off
	s_wait_loadcnt 0x0
	v_mul_f32_e32 v0, s55, v0
	s_branch .LBB631_14
.LBB631_10:                             ;   in Loop: Header=BB631_5 Depth=1
	s_mov_b32 s54, 0
                                        ; implicit-def: $vgpr0
	s_cbranch_execz .LBB631_12
	s_branch .LBB631_15
.LBB631_11:                             ;   in Loop: Header=BB631_5 Depth=1
	s_or_b32 exec_lo, exec_lo, s8
	s_delay_alu instid0(SALU_CYCLE_1)
	s_and_b32 vcc_lo, exec_lo, s7
	s_cbranch_vccnz .LBB631_15
.LBB631_12:                             ;   in Loop: Header=BB631_5 Depth=1
	v_mov_b64_e32 v[24:25], v[2:3]
	s_and_saveexec_b32 s7, s54
	s_cbranch_execz .LBB631_3
	s_branch .LBB631_52
.LBB631_13:                             ;   in Loop: Header=BB631_5 Depth=1
	v_mov_b32_e32 v0, 0
.LBB631_14:                             ;   in Loop: Header=BB631_5 Depth=1
	s_mov_b32 s54, exec_lo
	s_wait_xcnt 0x0
	s_or_b32 exec_lo, exec_lo, s8
	s_delay_alu instid0(SALU_CYCLE_1)
	s_and_b32 vcc_lo, exec_lo, s7
	s_cbranch_vccz .LBB631_12
.LBB631_15:                             ;   in Loop: Header=BB631_5 Depth=1
	v_dual_mov_b32 v56, 0 :: v_dual_mov_b32 v0, v52
	v_dual_mov_b32 v57, 0 :: v_dual_mov_b32 v58, 0
	v_mov_b32_e32 v59, 0
	s_and_saveexec_b32 s7, s1
	s_cbranch_execz .LBB631_27
; %bb.16:                               ;   in Loop: Header=BB631_5 Depth=1
	s_mul_u64 s[8:9], s[34:35], s[10:11]
	s_mul_u64 s[56:57], s[44:45], s[10:11]
	v_add_nc_u64_e32 v[24:25], s[8:9], v[10:11]
	v_add_nc_u64_e32 v[26:27], s[56:57], v[14:15]
	;; [unrolled: 1-line block ×8, first 2 shown]
	v_dual_mov_b32 v56, 0 :: v_dual_mov_b32 v0, v52
	v_dual_mov_b32 v57, 0 :: v_dual_mov_b32 v58, 0
	v_mov_b32_e32 v59, 0
	s_mov_b32 s8, 0
	s_branch .LBB631_21
.LBB631_17:                             ;   in Loop: Header=BB631_21 Depth=2
	s_or_b32 exec_lo, exec_lo, s58
	s_wait_loadcnt 0x2
	v_dual_lshlrev_b32 v45, 16, v71 :: v_dual_lshlrev_b32 v44, 16, v70
	s_delay_alu instid0(VALU_DEP_1) | instskip(SKIP_1) | instid1(VALU_DEP_1)
	v_pk_mul_f32 v[44:45], v[42:43], v[44:45]
	s_wait_loadcnt 0x0
	v_dual_add_f32 v44, v58, v44 :: v_dual_lshlrev_b32 v47, 16, v69
	s_delay_alu instid0(VALU_DEP_1) | instskip(NEXT) | instid1(VALU_DEP_1)
	v_dual_lshlrev_b32 v46, 16, v68 :: v_dual_add_f32 v48, v44, v45
	v_pk_mul_f32 v[44:45], v[40:41], v[46:47]
	s_delay_alu instid0(VALU_DEP_1) | instskip(NEXT) | instid1(VALU_DEP_1)
	v_add_f32_e32 v44, v48, v44
	v_add_f32_e32 v58, v44, v45
.LBB631_18:                             ;   in Loop: Header=BB631_21 Depth=2
	s_or_b32 exec_lo, exec_lo, s57
	s_wait_loadcnt 0x2
	v_dual_lshlrev_b32 v45, 16, v67 :: v_dual_lshlrev_b32 v44, 16, v66
	s_delay_alu instid0(VALU_DEP_1) | instskip(SKIP_1) | instid1(VALU_DEP_1)
	v_pk_mul_f32 v[44:45], v[42:43], v[44:45]
	s_wait_loadcnt 0x0
	v_dual_add_f32 v44, v57, v44 :: v_dual_lshlrev_b32 v47, 16, v65
	s_delay_alu instid0(VALU_DEP_1) | instskip(NEXT) | instid1(VALU_DEP_1)
	v_dual_lshlrev_b32 v46, 16, v64 :: v_dual_add_f32 v48, v44, v45
	v_pk_mul_f32 v[44:45], v[40:41], v[46:47]
	s_delay_alu instid0(VALU_DEP_1) | instskip(NEXT) | instid1(VALU_DEP_1)
	v_add_f32_e32 v44, v48, v44
	v_add_f32_e32 v57, v44, v45
.LBB631_19:                             ;   in Loop: Header=BB631_21 Depth=2
	s_or_b32 exec_lo, exec_lo, s56
	s_wait_loadcnt 0x2
	v_dual_lshlrev_b32 v45, 16, v63 :: v_dual_lshlrev_b32 v44, 16, v62
	s_delay_alu instid0(VALU_DEP_1) | instskip(SKIP_1) | instid1(VALU_DEP_1)
	v_pk_mul_f32 v[42:43], v[42:43], v[44:45]
	s_wait_loadcnt 0x0
	v_dual_add_f32 v42, v56, v42 :: v_dual_lshlrev_b32 v45, 16, v61
	s_delay_alu instid0(VALU_DEP_1) | instskip(NEXT) | instid1(VALU_DEP_1)
	v_dual_lshlrev_b32 v44, 16, v60 :: v_dual_add_f32 v42, v42, v43
	v_pk_mul_f32 v[40:41], v[40:41], v[44:45]
	s_delay_alu instid0(VALU_DEP_1) | instskip(NEXT) | instid1(VALU_DEP_1)
	v_add_f32_e32 v40, v42, v40
	v_add_f32_e32 v56, v40, v41
.LBB631_20:                             ;   in Loop: Header=BB631_21 Depth=2
	s_or_b32 exec_lo, exec_lo, s9
	v_add_nc_u32_e32 v0, 16, v0
	v_add_nc_u64_e32 v[24:25], s[24:25], v[24:25]
	v_add_nc_u64_e32 v[26:27], s[46:47], v[26:27]
	;; [unrolled: 1-line block ×7, first 2 shown]
	v_cmp_le_i32_e32 vcc_lo, s52, v0
	v_add_nc_u64_e32 v[38:39], s[46:47], v[38:39]
	s_or_b32 s8, vcc_lo, s8
	s_delay_alu instid0(SALU_CYCLE_1)
	s_and_not1_b32 exec_lo, exec_lo, s8
	s_cbranch_execz .LBB631_26
.LBB631_21:                             ;   Parent Loop BB631_5 Depth=1
                                        ; =>  This Inner Loop Header: Depth=2
	s_and_saveexec_b32 s9, s2
	s_cbranch_execz .LBB631_20
; %bb.22:                               ;   in Loop: Header=BB631_21 Depth=2
	v_add_nc_u64_e32 v[40:41], s[18:19], v[24:25]
	v_add_nc_u64_e32 v[42:43], s[18:19], v[36:37]
	;; [unrolled: 1-line block ×7, first 2 shown]
	global_load_u16 v40, v[40:41], off
	global_load_u16 v41, v[42:43], off
	v_add_nc_u64_e32 v[46:47], v[26:27], v[6:7]
	global_load_u16 v64, v[62:63], off
	global_load_u16 v65, v[60:61], off
	;; [unrolled: 1-line block ×6, first 2 shown]
	s_wait_loadcnt 0x6
	v_dual_lshlrev_b32 v42, 16, v40 :: v_dual_lshlrev_b32 v43, 16, v41
	s_wait_loadcnt 0x4
	v_dual_lshlrev_b32 v41, 16, v64 :: v_dual_lshlrev_b32 v40, 16, v65
	s_wait_xcnt 0x0
	s_and_saveexec_b32 s56, s4
	s_cbranch_execz .LBB631_19
; %bb.23:                               ;   in Loop: Header=BB631_21 Depth=2
	global_load_u16 v66, v[48:49], off offset:128
	global_load_u16 v67, v[50:51], off offset:128
	global_load_u16 v64, v[44:45], off offset:128
	global_load_u16 v65, v[46:47], off offset:128
	s_wait_xcnt 0x0
	s_and_saveexec_b32 s57, s5
	s_cbranch_execz .LBB631_18
; %bb.24:                               ;   in Loop: Header=BB631_21 Depth=2
	global_load_u16 v70, v[48:49], off offset:256
	global_load_u16 v71, v[50:51], off offset:256
	global_load_u16 v68, v[44:45], off offset:256
	global_load_u16 v69, v[46:47], off offset:256
	;; [unrolled: 8-line block ×3, first 2 shown]
	s_wait_loadcnt 0x2
	s_wait_xcnt 0x0
	v_dual_lshlrev_b32 v45, 16, v50 :: v_dual_lshlrev_b32 v44, 16, v48
	s_delay_alu instid0(VALU_DEP_1) | instskip(SKIP_1) | instid1(VALU_DEP_1)
	v_pk_mul_f32 v[44:45], v[42:43], v[44:45]
	s_wait_loadcnt 0x1
	v_dual_add_f32 v44, v59, v44 :: v_dual_lshlrev_b32 v47, 16, v46
	s_delay_alu instid0(VALU_DEP_1) | instskip(SKIP_2) | instid1(VALU_DEP_1)
	v_add_f32_e32 v48, v44, v45
	s_wait_loadcnt 0x0
	v_lshlrev_b32_e32 v46, 16, v49
	v_pk_mul_f32 v[44:45], v[40:41], v[46:47]
	s_delay_alu instid0(VALU_DEP_1) | instskip(NEXT) | instid1(VALU_DEP_1)
	v_add_f32_e32 v44, v48, v44
	v_add_f32_e32 v59, v44, v45
	s_branch .LBB631_17
.LBB631_26:                             ;   in Loop: Header=BB631_5 Depth=1
	s_or_b32 exec_lo, exec_lo, s8
.LBB631_27:                             ;   in Loop: Header=BB631_5 Depth=1
	s_delay_alu instid0(SALU_CYCLE_1) | instskip(NEXT) | instid1(SALU_CYCLE_1)
	s_or_b32 exec_lo, exec_lo, s7
	s_and_not1_b32 vcc_lo, exec_lo, s53
	s_cbranch_vccnz .LBB631_45
; %bb.28:                               ;   in Loop: Header=BB631_5 Depth=1
	v_dual_mov_b32 v24, 0 :: v_dual_bitop2_b32 v28, 1, v0 bitop3:0x54
	v_cmp_gt_i32_e32 vcc_lo, s29, v0
	s_delay_alu instid0(VALU_DEP_2)
	v_dual_mov_b32 v25, v24 :: v_dual_mov_b32 v26, v24
	v_mov_b32_e32 v27, v24
	s_and_saveexec_b32 s56, vcc_lo
	s_cbranch_execz .LBB631_36
; %bb.29:                               ;   in Loop: Header=BB631_5 Depth=1
	v_mul_u64_e32 v[24:25], s[36:37], v[0:1]
	s_mul_u64 s[8:9], s[38:39], s[10:11]
	v_mov_b32_e32 v27, 0
	s_lshl_b64 s[8:9], s[8:9], 1
	s_mov_b32 s57, exec_lo
	s_add_nc_u64 s[8:9], s[26:27], s[8:9]
	s_delay_alu instid0(VALU_DEP_2) | instid1(SALU_CYCLE_1)
	v_lshl_add_u64 v[24:25], v[24:25], 1, s[8:9]
	global_load_u16 v30, v[24:25], off
	s_wait_xcnt 0x0
	v_dual_mov_b32 v25, 0 :: v_dual_mov_b32 v24, 0
	v_cmpx_gt_i32_e64 s29, v28
	s_cbranch_execz .LBB631_35
; %bb.30:                               ;   in Loop: Header=BB631_5 Depth=1
	v_dual_mov_b32 v29, v1 :: v_dual_bitop2_b32 v26, 2, v0 bitop3:0x54
	s_mov_b32 s58, exec_lo
	s_delay_alu instid0(VALU_DEP_1) | instskip(NEXT) | instid1(VALU_DEP_1)
	v_mul_u64_e32 v[24:25], s[36:37], v[28:29]
	v_lshl_add_u64 v[24:25], v[24:25], 1, s[8:9]
	global_load_u16 v29, v[24:25], off
	s_wait_xcnt 0x0
	v_dual_mov_b32 v25, 0 :: v_dual_mov_b32 v24, 0
	v_cmpx_gt_i32_e64 s29, v26
	s_cbranch_execz .LBB631_34
; %bb.31:                               ;   in Loop: Header=BB631_5 Depth=1
	v_mov_b32_e32 v27, v1
	s_mov_b32 s59, exec_lo
	s_delay_alu instid0(VALU_DEP_1) | instskip(NEXT) | instid1(VALU_DEP_1)
	v_mul_u64_e32 v[24:25], s[36:37], v[26:27]
	v_lshl_add_u64 v[24:25], v[24:25], 1, s[8:9]
	global_load_u16 v26, v[24:25], off
	s_wait_xcnt 0x0
	v_dual_mov_b32 v25, 0 :: v_dual_bitop2_b32 v24, 3, v0 bitop3:0x54
	s_delay_alu instid0(VALU_DEP_1)
	v_cmpx_gt_i32_e64 s29, v24
	s_cbranch_execz .LBB631_33
; %bb.32:                               ;   in Loop: Header=BB631_5 Depth=1
	v_mov_b32_e32 v25, v1
	s_delay_alu instid0(VALU_DEP_1) | instskip(NEXT) | instid1(VALU_DEP_1)
	v_mul_u64_e32 v[24:25], s[36:37], v[24:25]
	v_lshl_add_u64 v[24:25], v[24:25], 1, s[8:9]
	global_load_u16 v24, v[24:25], off
	s_wait_loadcnt 0x0
	s_wait_xcnt 0x0
	v_lshlrev_b32_e32 v25, 16, v24
.LBB631_33:                             ;   in Loop: Header=BB631_5 Depth=1
	s_or_b32 exec_lo, exec_lo, s59
	s_wait_loadcnt 0x0
	v_lshlrev_b32_e32 v24, 16, v26
.LBB631_34:                             ;   in Loop: Header=BB631_5 Depth=1
	s_or_b32 exec_lo, exec_lo, s58
	s_wait_loadcnt 0x0
	v_lshlrev_b32_e32 v27, 16, v29
.LBB631_35:                             ;   in Loop: Header=BB631_5 Depth=1
	s_or_b32 exec_lo, exec_lo, s57
	s_wait_loadcnt 0x0
	v_lshlrev_b32_e32 v26, 16, v30
.LBB631_36:                             ;   in Loop: Header=BB631_5 Depth=1
	s_or_b32 exec_lo, exec_lo, s56
	s_and_saveexec_b32 s56, s2
	s_cbranch_execz .LBB631_44
; %bb.37:                               ;   in Loop: Header=BB631_5 Depth=1
	v_dual_mov_b32 v29, v1 :: v_dual_bitop2_b32 v30, 2, v0 bitop3:0x54
	v_mov_b32_e32 v31, v1
	v_mul_u64_e32 v[32:33], s[20:21], v[0:1]
	v_or_b32_e32 v0, 3, v0
	s_delay_alu instid0(VALU_DEP_4)
	v_mul_u64_e32 v[34:35], s[20:21], v[28:29]
	s_mul_u64 s[8:9], s[22:23], s[10:11]
	v_mul_u64_e32 v[36:37], s[20:21], v[30:31]
	v_cmp_gt_i32_e64 s7, s29, v28
	v_mul_u64_e32 v[38:39], s[20:21], v[0:1]
	s_lshl_b64 s[58:59], s[8:9], 1
	v_cmp_gt_i32_e64 s8, s29, v30
	v_cmp_gt_i32_e64 s9, s29, v0
	v_dual_cndmask_b32 v29, 0, v33 :: v_dual_cndmask_b32 v28, 0, v32
	v_dual_cndmask_b32 v31, 0, v35, s7 :: v_dual_cndmask_b32 v30, 0, v34, s7
	s_delay_alu instid0(VALU_DEP_4) | instskip(NEXT) | instid1(VALU_DEP_4)
	v_dual_cndmask_b32 v33, 0, v37, s8 :: v_dual_cndmask_b32 v32, 0, v36, s8
	v_dual_cndmask_b32 v35, 0, v39, s9 :: v_dual_cndmask_b32 v34, 0, v38, s9
	s_add_nc_u64 s[8:9], s[16:17], s[58:59]
	s_delay_alu instid0(VALU_DEP_3) | instid1(SALU_CYCLE_1)
	v_lshl_add_u64 v[30:31], v[30:31], 1, s[8:9]
	s_delay_alu instid0(VALU_DEP_3) | instskip(NEXT) | instid1(VALU_DEP_3)
	v_lshl_add_u64 v[36:37], v[32:33], 1, s[8:9]
	v_lshl_add_u64 v[34:35], v[34:35], 1, s[8:9]
	;; [unrolled: 1-line block ×3, first 2 shown]
	s_delay_alu instid0(VALU_DEP_4) | instskip(NEXT) | instid1(VALU_DEP_4)
	v_add_nc_u64_e32 v[32:33], v[30:31], v[6:7]
	v_add_nc_u64_e32 v[28:29], v[36:37], v[6:7]
	s_delay_alu instid0(VALU_DEP_4) | instskip(NEXT) | instid1(VALU_DEP_4)
	v_add_nc_u64_e32 v[30:31], v[34:35], v[6:7]
	v_add_nc_u64_e32 v[34:35], v[38:39], v[6:7]
	s_clause 0x3
	global_load_u16 v37, v[32:33], off
	global_load_u16 v0, v[28:29], off
	;; [unrolled: 1-line block ×4, first 2 shown]
	s_wait_xcnt 0x0
	s_and_saveexec_b32 s7, s4
	s_cbranch_execz .LBB631_43
; %bb.38:                               ;   in Loop: Header=BB631_5 Depth=1
	s_clause 0x3
	global_load_u16 v41, v[34:35], off offset:128
	global_load_u16 v42, v[32:33], off offset:128
	global_load_u16 v39, v[28:29], off offset:128
	global_load_u16 v40, v[30:31], off offset:128
	s_wait_xcnt 0x0
	s_and_saveexec_b32 s8, s5
	s_cbranch_execz .LBB631_42
; %bb.39:                               ;   in Loop: Header=BB631_5 Depth=1
	s_clause 0x3
	global_load_u16 v45, v[34:35], off offset:256
	global_load_u16 v46, v[32:33], off offset:256
	global_load_u16 v43, v[28:29], off offset:256
	global_load_u16 v44, v[30:31], off offset:256
	;; [unrolled: 9-line block ×3, first 2 shown]
	s_wait_loadcnt 0x2
	s_wait_xcnt 0x0
	v_dual_lshlrev_b32 v29, 16, v32 :: v_dual_lshlrev_b32 v28, 16, v33
	s_delay_alu instid0(VALU_DEP_1) | instskip(SKIP_1) | instid1(VALU_DEP_1)
	v_pk_mul_f32 v[28:29], v[26:27], v[28:29]
	s_wait_loadcnt 0x1
	v_dual_add_f32 v28, v59, v28 :: v_dual_lshlrev_b32 v31, 16, v30
	s_wait_loadcnt 0x0
	s_delay_alu instid0(VALU_DEP_1) | instskip(NEXT) | instid1(VALU_DEP_1)
	v_dual_lshlrev_b32 v30, 16, v34 :: v_dual_add_f32 v32, v28, v29
	v_pk_mul_f32 v[28:29], v[24:25], v[30:31]
	s_delay_alu instid0(VALU_DEP_1) | instskip(NEXT) | instid1(VALU_DEP_1)
	v_add_f32_e32 v28, v32, v28
	v_add_f32_e32 v59, v28, v29
.LBB631_41:                             ;   in Loop: Header=BB631_5 Depth=1
	s_or_b32 exec_lo, exec_lo, s9
	s_wait_loadcnt 0x2
	v_dual_lshlrev_b32 v29, 16, v46 :: v_dual_lshlrev_b32 v28, 16, v45
	s_wait_loadcnt 0x0
	v_dual_lshlrev_b32 v31, 16, v44 :: v_dual_lshlrev_b32 v30, 16, v43
	s_delay_alu instid0(VALU_DEP_2) | instskip(NEXT) | instid1(VALU_DEP_1)
	v_pk_mul_f32 v[28:29], v[26:27], v[28:29]
	v_add_f32_e32 v28, v58, v28
	s_delay_alu instid0(VALU_DEP_1) | instskip(NEXT) | instid1(VALU_DEP_4)
	v_add_f32_e32 v32, v28, v29
	v_pk_mul_f32 v[28:29], v[24:25], v[30:31]
	s_delay_alu instid0(VALU_DEP_1) | instskip(NEXT) | instid1(VALU_DEP_1)
	v_add_f32_e32 v28, v32, v28
	v_add_f32_e32 v58, v28, v29
.LBB631_42:                             ;   in Loop: Header=BB631_5 Depth=1
	s_or_b32 exec_lo, exec_lo, s8
	s_wait_loadcnt 0x2
	v_dual_lshlrev_b32 v29, 16, v42 :: v_dual_lshlrev_b32 v28, 16, v41
	s_wait_loadcnt 0x0
	v_dual_lshlrev_b32 v31, 16, v40 :: v_dual_lshlrev_b32 v30, 16, v39
	s_delay_alu instid0(VALU_DEP_2) | instskip(NEXT) | instid1(VALU_DEP_1)
	v_pk_mul_f32 v[28:29], v[26:27], v[28:29]
	v_add_f32_e32 v28, v57, v28
	s_delay_alu instid0(VALU_DEP_1) | instskip(NEXT) | instid1(VALU_DEP_4)
	v_add_f32_e32 v32, v28, v29
	v_pk_mul_f32 v[28:29], v[24:25], v[30:31]
	s_delay_alu instid0(VALU_DEP_1) | instskip(NEXT) | instid1(VALU_DEP_1)
	v_add_f32_e32 v28, v32, v28
	v_add_f32_e32 v57, v28, v29
.LBB631_43:                             ;   in Loop: Header=BB631_5 Depth=1
	s_or_b32 exec_lo, exec_lo, s7
	s_wait_loadcnt 0x0
	v_dual_lshlrev_b32 v29, 16, v37 :: v_dual_lshlrev_b32 v28, 16, v38
	s_delay_alu instid0(VALU_DEP_1) | instskip(NEXT) | instid1(VALU_DEP_1)
	v_pk_mul_f32 v[26:27], v[26:27], v[28:29]
	v_dual_add_f32 v26, v56, v26 :: v_dual_lshlrev_b32 v29, 16, v36
	s_delay_alu instid0(VALU_DEP_1) | instskip(NEXT) | instid1(VALU_DEP_1)
	v_dual_lshlrev_b32 v28, 16, v0 :: v_dual_add_f32 v0, v26, v27
	v_pk_mul_f32 v[24:25], v[24:25], v[28:29]
	s_delay_alu instid0(VALU_DEP_1) | instskip(NEXT) | instid1(VALU_DEP_1)
	v_add_f32_e32 v0, v0, v24
	v_add_f32_e32 v56, v0, v25
.LBB631_44:                             ;   in Loop: Header=BB631_5 Depth=1
	s_or_b32 exec_lo, exec_lo, s56
.LBB631_45:                             ;   in Loop: Header=BB631_5 Depth=1
	ds_store_2addr_stride64_b32 v53, v56, v57 offset1:1
	ds_store_2addr_stride64_b32 v53, v58, v59 offset0:2 offset1:3
	s_wait_dscnt 0x0
	s_barrier_signal -1
	s_barrier_wait -1
                                        ; implicit-def: $vgpr0
	s_and_saveexec_b32 s7, s0
	s_cbranch_execz .LBB631_51
; %bb.46:                               ;   in Loop: Header=BB631_5 Depth=1
	ds_load_2addr_stride64_b32 v[24:25], v54 offset1:4
	ds_load_2addr_stride64_b32 v[26:27], v54 offset0:8 offset1:12
	s_mov_b32 s9, s54
	s_wait_dscnt 0x1
	v_add_f32_e32 v0, v24, v25
	s_wait_dscnt 0x0
	s_delay_alu instid0(VALU_DEP_1) | instskip(NEXT) | instid1(VALU_DEP_1)
	v_add_f32_e32 v0, v26, v0
	v_add_f32_e32 v24, v27, v0
                                        ; implicit-def: $vgpr0
	ds_store_b32 v54, v24
	s_and_saveexec_b32 s8, s3
	s_cbranch_execz .LBB631_50
; %bb.47:                               ;   in Loop: Header=BB631_5 Depth=1
	v_mul_f32_e32 v0, v55, v24
	s_cmp_eq_f32 s55, 0
	s_cbranch_scc1 .LBB631_49
; %bb.48:                               ;   in Loop: Header=BB631_5 Depth=1
	v_lshl_add_u64 v[24:25], v[4:5], 2, s[48:49]
	global_load_b32 v24, v[24:25], off
	s_wait_loadcnt 0x0
	v_fmac_f32_e32 v0, s55, v24
.LBB631_49:                             ;   in Loop: Header=BB631_5 Depth=1
	s_or_b32 s9, s54, exec_lo
.LBB631_50:                             ;   in Loop: Header=BB631_5 Depth=1
	s_wait_xcnt 0x0
	s_or_b32 exec_lo, exec_lo, s8
	s_delay_alu instid0(SALU_CYCLE_1) | instskip(SKIP_1) | instid1(SALU_CYCLE_1)
	s_and_not1_b32 s8, s54, exec_lo
	s_and_b32 s9, s9, exec_lo
	s_or_b32 s54, s8, s9
.LBB631_51:                             ;   in Loop: Header=BB631_5 Depth=1
	s_or_b32 exec_lo, exec_lo, s7
	v_mov_b64_e32 v[24:25], v[4:5]
	s_and_saveexec_b32 s7, s54
	s_cbranch_execz .LBB631_3
.LBB631_52:                             ;   in Loop: Header=BB631_5 Depth=1
	s_delay_alu instid0(VALU_DEP_1)
	v_lshl_add_u64 v[24:25], v[24:25], 2, s[48:49]
	global_store_b32 v[24:25], v0, off
	s_branch .LBB631_3
.LBB631_53:
	s_sendmsg sendmsg(MSG_DEALLOC_VGPRS)
	s_endpgm
	.section	.rodata,"a",@progbits
	.p2align	6, 0x0
	.amdhsa_kernel _ZL20rocblas_gemvn_kernelILi64ELi4El16rocblas_bfloat16PKffEviiT3_lPKT2_lT1_lS6_lS7_lS3_lPT4_lS7_li
		.amdhsa_group_segment_fixed_size 4096
		.amdhsa_private_segment_fixed_size 0
		.amdhsa_kernarg_size 400
		.amdhsa_user_sgpr_count 2
		.amdhsa_user_sgpr_dispatch_ptr 0
		.amdhsa_user_sgpr_queue_ptr 0
		.amdhsa_user_sgpr_kernarg_segment_ptr 1
		.amdhsa_user_sgpr_dispatch_id 0
		.amdhsa_user_sgpr_kernarg_preload_length 0
		.amdhsa_user_sgpr_kernarg_preload_offset 0
		.amdhsa_user_sgpr_private_segment_size 0
		.amdhsa_wavefront_size32 1
		.amdhsa_uses_dynamic_stack 0
		.amdhsa_enable_private_segment 0
		.amdhsa_system_sgpr_workgroup_id_x 1
		.amdhsa_system_sgpr_workgroup_id_y 0
		.amdhsa_system_sgpr_workgroup_id_z 1
		.amdhsa_system_sgpr_workgroup_info 0
		.amdhsa_system_vgpr_workitem_id 1
		.amdhsa_next_free_vgpr 72
		.amdhsa_next_free_sgpr 60
		.amdhsa_named_barrier_count 0
		.amdhsa_reserve_vcc 1
		.amdhsa_float_round_mode_32 0
		.amdhsa_float_round_mode_16_64 0
		.amdhsa_float_denorm_mode_32 3
		.amdhsa_float_denorm_mode_16_64 3
		.amdhsa_fp16_overflow 0
		.amdhsa_memory_ordered 1
		.amdhsa_forward_progress 1
		.amdhsa_inst_pref_size 24
		.amdhsa_round_robin_scheduling 0
		.amdhsa_exception_fp_ieee_invalid_op 0
		.amdhsa_exception_fp_denorm_src 0
		.amdhsa_exception_fp_ieee_div_zero 0
		.amdhsa_exception_fp_ieee_overflow 0
		.amdhsa_exception_fp_ieee_underflow 0
		.amdhsa_exception_fp_ieee_inexact 0
		.amdhsa_exception_int_div_zero 0
	.end_amdhsa_kernel
	.section	.text._ZL20rocblas_gemvn_kernelILi64ELi4El16rocblas_bfloat16PKffEviiT3_lPKT2_lT1_lS6_lS7_lS3_lPT4_lS7_li,"axG",@progbits,_ZL20rocblas_gemvn_kernelILi64ELi4El16rocblas_bfloat16PKffEviiT3_lPKT2_lT1_lS6_lS7_lS3_lPT4_lS7_li,comdat
.Lfunc_end631:
	.size	_ZL20rocblas_gemvn_kernelILi64ELi4El16rocblas_bfloat16PKffEviiT3_lPKT2_lT1_lS6_lS7_lS3_lPT4_lS7_li, .Lfunc_end631-_ZL20rocblas_gemvn_kernelILi64ELi4El16rocblas_bfloat16PKffEviiT3_lPKT2_lT1_lS6_lS7_lS3_lPT4_lS7_li
                                        ; -- End function
	.set _ZL20rocblas_gemvn_kernelILi64ELi4El16rocblas_bfloat16PKffEviiT3_lPKT2_lT1_lS6_lS7_lS3_lPT4_lS7_li.num_vgpr, 72
	.set _ZL20rocblas_gemvn_kernelILi64ELi4El16rocblas_bfloat16PKffEviiT3_lPKT2_lT1_lS6_lS7_lS3_lPT4_lS7_li.num_agpr, 0
	.set _ZL20rocblas_gemvn_kernelILi64ELi4El16rocblas_bfloat16PKffEviiT3_lPKT2_lT1_lS6_lS7_lS3_lPT4_lS7_li.numbered_sgpr, 60
	.set _ZL20rocblas_gemvn_kernelILi64ELi4El16rocblas_bfloat16PKffEviiT3_lPKT2_lT1_lS6_lS7_lS3_lPT4_lS7_li.num_named_barrier, 0
	.set _ZL20rocblas_gemvn_kernelILi64ELi4El16rocblas_bfloat16PKffEviiT3_lPKT2_lT1_lS6_lS7_lS3_lPT4_lS7_li.private_seg_size, 0
	.set _ZL20rocblas_gemvn_kernelILi64ELi4El16rocblas_bfloat16PKffEviiT3_lPKT2_lT1_lS6_lS7_lS3_lPT4_lS7_li.uses_vcc, 1
	.set _ZL20rocblas_gemvn_kernelILi64ELi4El16rocblas_bfloat16PKffEviiT3_lPKT2_lT1_lS6_lS7_lS3_lPT4_lS7_li.uses_flat_scratch, 0
	.set _ZL20rocblas_gemvn_kernelILi64ELi4El16rocblas_bfloat16PKffEviiT3_lPKT2_lT1_lS6_lS7_lS3_lPT4_lS7_li.has_dyn_sized_stack, 0
	.set _ZL20rocblas_gemvn_kernelILi64ELi4El16rocblas_bfloat16PKffEviiT3_lPKT2_lT1_lS6_lS7_lS3_lPT4_lS7_li.has_recursion, 0
	.set _ZL20rocblas_gemvn_kernelILi64ELi4El16rocblas_bfloat16PKffEviiT3_lPKT2_lT1_lS6_lS7_lS3_lPT4_lS7_li.has_indirect_call, 0
	.section	.AMDGPU.csdata,"",@progbits
; Kernel info:
; codeLenInByte = 3056
; TotalNumSgprs: 62
; NumVgprs: 72
; ScratchSize: 0
; MemoryBound: 0
; FloatMode: 240
; IeeeMode: 1
; LDSByteSize: 4096 bytes/workgroup (compile time only)
; SGPRBlocks: 0
; VGPRBlocks: 4
; NumSGPRsForWavesPerEU: 62
; NumVGPRsForWavesPerEU: 72
; NamedBarCnt: 0
; Occupancy: 12
; WaveLimiterHint : 1
; COMPUTE_PGM_RSRC2:SCRATCH_EN: 0
; COMPUTE_PGM_RSRC2:USER_SGPR: 2
; COMPUTE_PGM_RSRC2:TRAP_HANDLER: 0
; COMPUTE_PGM_RSRC2:TGID_X_EN: 1
; COMPUTE_PGM_RSRC2:TGID_Y_EN: 0
; COMPUTE_PGM_RSRC2:TGID_Z_EN: 1
; COMPUTE_PGM_RSRC2:TIDIG_COMP_CNT: 1
	.section	.text._ZL20rocblas_gemvn_kernelILi64ELi4Ei16rocblas_bfloat16ffEviiT3_lPKT2_lT1_lS4_lS5_lS1_lPT4_lS5_li,"axG",@progbits,_ZL20rocblas_gemvn_kernelILi64ELi4Ei16rocblas_bfloat16ffEviiT3_lPKT2_lT1_lS4_lS5_lS1_lPT4_lS5_li,comdat
	.globl	_ZL20rocblas_gemvn_kernelILi64ELi4Ei16rocblas_bfloat16ffEviiT3_lPKT2_lT1_lS4_lS5_lS1_lPT4_lS5_li ; -- Begin function _ZL20rocblas_gemvn_kernelILi64ELi4Ei16rocblas_bfloat16ffEviiT3_lPKT2_lT1_lS4_lS5_lS1_lPT4_lS5_li
	.p2align	8
	.type	_ZL20rocblas_gemvn_kernelILi64ELi4Ei16rocblas_bfloat16ffEviiT3_lPKT2_lT1_lS4_lS5_lS1_lPT4_lS5_li,@function
_ZL20rocblas_gemvn_kernelILi64ELi4Ei16rocblas_bfloat16ffEviiT3_lPKT2_lT1_lS4_lS5_lS1_lPT4_lS5_li: ; @_ZL20rocblas_gemvn_kernelILi64ELi4Ei16rocblas_bfloat16ffEviiT3_lPKT2_lT1_lS4_lS5_lS1_lPT4_lS5_li
; %bb.0:
	s_load_b64 s[2:3], s[0:1], 0x9c
	s_wait_kmcnt 0x0
	s_lshr_b32 s4, s2, 16
	s_and_b32 s2, s2, 0xffff
	s_and_b32 s3, s3, 0xffff
	s_mul_i32 s2, s4, s2
	s_delay_alu instid0(SALU_CYCLE_1) | instskip(NEXT) | instid1(SALU_CYCLE_1)
	s_mul_i32 s2, s2, s3
	s_cmp_lg_u32 s2, 0x100
	s_cbranch_scc1 .LBB632_53
; %bb.1:
	s_load_b32 s19, s[0:1], 0x88
	s_bfe_u32 s2, ttmp6, 0x40014
	s_lshr_b32 s3, ttmp7, 16
	s_add_co_i32 s2, s2, 1
	s_bfe_u32 s5, ttmp6, 0x40008
	s_mul_i32 s4, s3, s2
	s_getreg_b32 s2, hwreg(HW_REG_IB_STS2, 6, 4)
	s_add_co_i32 s5, s5, s4
	s_cmp_eq_u32 s2, 0
	s_mov_b32 s29, 0
	s_cselect_b32 s28, s3, s5
	s_wait_kmcnt 0x0
	s_cmp_ge_u32 s28, s19
	s_cbranch_scc1 .LBB632_53
; %bb.2:
	s_clause 0x7
	s_load_b128 s[4:7], s[0:1], 0x18
	s_load_b96 s[16:18], s[0:1], 0x40
	s_load_b128 s[12:15], s[0:1], 0x68
	s_load_b32 s30, s[0:1], 0x78
	s_load_b96 s[20:22], s[0:1], 0x0
	s_load_b96 s[24:26], s[0:1], 0x50
	s_load_b32 s23, s[0:1], 0x28
	s_load_b128 s[8:11], s[0:1], 0x30
	v_and_b32_e32 v4, 0x3ff, v0
	v_bfe_u32 v3, v0, 10, 10
	s_delay_alu instid0(VALU_DEP_1) | instskip(NEXT) | instid1(VALU_DEP_3)
	v_dual_mov_b32 v1, 0 :: v_dual_lshlrev_b32 v18, 2, v3
	v_lshl_add_u32 v5, v3, 6, v4
	s_wait_kmcnt 0x0
	s_lshl_b64 s[6:7], s[6:7], 1
	s_lshl_b64 s[34:35], s[16:17], 1
	;; [unrolled: 1-line block ×3, first 2 shown]
	s_ashr_i32 s31, s30, 31
	s_cmp_eq_f32 s22, 0
	s_load_b64 s[14:15], s[0:1], 0x80
	s_add_nc_u64 s[16:17], s[4:5], s[6:7]
	s_wait_xcnt 0x0
	s_mov_b32 s0, s20
	s_cselect_b32 s27, -1, 0
	s_cmp_neq_f32 s22, 0
	v_mul_lo_u32 v11, v3, s18
	v_mad_u32 v24, s18, v18, s18
	s_add_nc_u64 s[10:11], s[10:11], s[34:35]
	s_cselect_b32 s1, -1, 0
	s_cmp_neq_f32 s26, 1.0
	s_add_nc_u64 s[12:13], s[12:13], s[36:37]
	s_cselect_b32 s3, -1, 0
	s_bfe_u32 s4, ttmp6, 0x4000c
	s_and_b32 s5, ttmp6, 15
	s_add_co_i32 s4, s4, 1
	s_or_b32 s33, s1, s3
	s_mul_i32 s4, ttmp9, s4
	v_lshlrev_b32_e32 v29, 2, v11
	s_add_co_i32 s5, s5, s4
	s_cmp_eq_u32 s2, 0
	s_cselect_b32 s2, ttmp9, s5
	s_ashr_i32 s1, s20, 31
	s_lshl_b32 s38, s2, 8
	s_delay_alu instid0(SALU_CYCLE_1) | instskip(SKIP_3) | instid1(VALU_DEP_3)
	v_dual_lshlrev_b32 v6, 2, v4 :: v_dual_add_nc_u32 v0, s38, v5
	v_or_b32_e32 v7, s38, v5
	s_cmp_neq_f32 s26, 0
	v_cmp_gt_u32_e64 s5, 0x100, v5
	v_lshl_add_u32 v20, v3, 10, v6
	v_cmp_gt_i64_e32 vcc_lo, s[0:1], v[0:1]
	v_mul_u64_e32 v[0:1], s[30:31], v[0:1]
	v_mul_lo_u32 v2, s30, v7
	v_or_b32_e32 v19, s38, v4
	s_cselect_b32 s39, -1, 0
	s_ashr_i32 s2, s21, 31
	v_lshl_add_u32 v21, v3, 8, v6
	s_lshr_b32 s1, s2, 28
	v_add_nc_u32_e32 v10, 0xc0, v19
	s_add_co_i32 s1, s21, s1
	v_mul_lo_u32 v5, s23, v18
	s_and_b32 s40, s1, -16
	s_delay_alu instid0(VALU_DEP_2)
	v_cmp_gt_i32_e64 s3, s20, v10
	v_mul_lo_u32 v10, v3, s23
	v_dual_ashrrev_i32 v3, 31, v2 :: v_dual_add_nc_u32 v8, 64, v19
	v_add_nc_u32_e32 v9, 0x80, v19
	s_sub_co_i32 s4, s21, s40
	v_cmp_gt_i32_e64 s0, s20, v19
	s_cmp_gt_i32 s4, 0
	v_cmp_gt_i32_e64 s1, s20, v8
	v_cmp_gt_i32_e64 s2, s20, v9
	v_or_b32_e32 v8, 2, v18
	v_or_b32_e32 v9, 3, v18
	v_cmp_gt_i32_e64 s4, s40, v18
	v_cmp_gt_i32_e64 s6, s20, v7
	v_add3_u32 v27, v5, s23, v4
	v_mad_u32 v22, s23, v8, v4
	v_mad_u32 v23, s23, v9, v4
	v_mul_lo_u32 v25, s18, v8
	v_mul_lo_u32 v26, s18, v9
	v_lshl_add_u32 v28, v10, 2, v4
	s_cselect_b32 s41, -1, 0
	s_and_b32 s20, s5, vcc_lo
	s_lshl_b32 s42, s23, 4
	s_lshl_b32 s43, s18, 4
	s_branch .LBB632_5
.LBB632_3:                              ;   in Loop: Header=BB632_5 Depth=1
	s_wait_xcnt 0x0
	s_or_b32 exec_lo, exec_lo, s7
.LBB632_4:                              ;   in Loop: Header=BB632_5 Depth=1
	s_add_co_i32 s28, s28, 0x10000
	s_delay_alu instid0(SALU_CYCLE_1)
	s_cmp_lt_u32 s28, s19
	s_cbranch_scc0 .LBB632_53
.LBB632_5:                              ; =>This Loop Header: Depth=1
                                        ;     Child Loop BB632_21 Depth 2
	s_and_not1_b32 vcc_lo, exec_lo, s33
	s_cbranch_vccnz .LBB632_4
; %bb.6:                                ;   in Loop: Header=BB632_5 Depth=1
	s_wait_kmcnt 0x0
	s_mul_u64 s[30:31], s[14:15], s[28:29]
	s_and_not1_b32 vcc_lo, exec_lo, s27
	s_lshl_b64 s[30:31], s[30:31], 2
	s_delay_alu instid0(SALU_CYCLE_1)
	s_add_nc_u64 s[30:31], s[12:13], s[30:31]
	s_cbranch_vccnz .LBB632_10
; %bb.7:                                ;   in Loop: Header=BB632_5 Depth=1
	s_mov_b32 s7, 0
	s_mov_b32 s44, 0
                                        ; implicit-def: $vgpr6
	s_and_saveexec_b32 s34, s20
	s_cbranch_execz .LBB632_11
; %bb.8:                                ;   in Loop: Header=BB632_5 Depth=1
	s_and_not1_b32 vcc_lo, exec_lo, s39
	s_cbranch_vccnz .LBB632_13
; %bb.9:                                ;   in Loop: Header=BB632_5 Depth=1
	v_lshl_add_u64 v[4:5], v[0:1], 2, s[30:31]
	global_load_b32 v4, v[4:5], off
	s_wait_loadcnt 0x0
	v_mul_f32_e32 v6, s26, v4
	s_branch .LBB632_14
.LBB632_10:                             ;   in Loop: Header=BB632_5 Depth=1
	s_mov_b32 s44, 0
                                        ; implicit-def: $vgpr6
	s_cbranch_execz .LBB632_12
	s_branch .LBB632_15
.LBB632_11:                             ;   in Loop: Header=BB632_5 Depth=1
	s_or_b32 exec_lo, exec_lo, s34
	s_delay_alu instid0(SALU_CYCLE_1)
	s_and_b32 vcc_lo, exec_lo, s7
	s_cbranch_vccnz .LBB632_15
.LBB632_12:                             ;   in Loop: Header=BB632_5 Depth=1
	v_mov_b64_e32 v[4:5], v[0:1]
	s_and_saveexec_b32 s7, s44
	s_cbranch_execz .LBB632_3
	s_branch .LBB632_52
.LBB632_13:                             ;   in Loop: Header=BB632_5 Depth=1
	v_mov_b32_e32 v6, 0
.LBB632_14:                             ;   in Loop: Header=BB632_5 Depth=1
	s_mov_b32 s44, exec_lo
	s_wait_xcnt 0x0
	s_or_b32 exec_lo, exec_lo, s34
	s_delay_alu instid0(SALU_CYCLE_1)
	s_and_b32 vcc_lo, exec_lo, s7
	s_cbranch_vccz .LBB632_12
.LBB632_15:                             ;   in Loop: Header=BB632_5 Depth=1
	s_mul_u64 s[34:35], s[8:9], s[28:29]
	s_mul_u64 s[36:37], s[24:25], s[28:29]
	v_dual_mov_b32 v30, 0 :: v_dual_mov_b32 v34, v18
	v_dual_mov_b32 v31, 0 :: v_dual_mov_b32 v32, 0
	v_mov_b32_e32 v33, 0
	s_lshl_b64 s[34:35], s[34:35], 1
	s_lshl_b64 s[36:37], s[36:37], 1
	s_add_nc_u64 s[34:35], s[16:17], s[34:35]
	s_add_nc_u64 s[36:37], s[10:11], s[36:37]
	s_and_saveexec_b32 s7, s4
	s_cbranch_execz .LBB632_27
; %bb.16:                               ;   in Loop: Header=BB632_5 Depth=1
	v_dual_mov_b32 v30, 0 :: v_dual_mov_b32 v35, v28
	v_dual_mov_b32 v36, v23 :: v_dual_mov_b32 v37, v22
	;; [unrolled: 1-line block ×4, first 2 shown]
	v_mov_b32_e32 v33, 0
	s_mov_b32 s45, 0
	s_mov_b32 s46, 0
	s_branch .LBB632_21
.LBB632_17:                             ;   in Loop: Header=BB632_21 Depth=2
	s_or_b32 exec_lo, exec_lo, s50
	s_wait_loadcnt 0x2
	v_dual_lshlrev_b32 v9, 16, v48 :: v_dual_lshlrev_b32 v8, 16, v47
	s_delay_alu instid0(VALU_DEP_1) | instskip(SKIP_1) | instid1(VALU_DEP_1)
	v_pk_mul_f32 v[8:9], v[6:7], v[8:9]
	s_wait_loadcnt 0x0
	v_dual_add_f32 v8, v32, v8 :: v_dual_lshlrev_b32 v11, 16, v46
	s_delay_alu instid0(VALU_DEP_1) | instskip(SKIP_1) | instid1(VALU_DEP_1)
	v_add_f32_e32 v12, v8, v9
	v_lshlrev_b32_e32 v10, 16, v45
	v_pk_mul_f32 v[8:9], v[4:5], v[10:11]
	s_delay_alu instid0(VALU_DEP_1) | instskip(NEXT) | instid1(VALU_DEP_1)
	v_add_f32_e32 v8, v12, v8
	v_add_f32_e32 v32, v8, v9
.LBB632_18:                             ;   in Loop: Header=BB632_21 Depth=2
	s_or_b32 exec_lo, exec_lo, s49
	s_wait_loadcnt 0x2
	v_dual_lshlrev_b32 v9, 16, v44 :: v_dual_lshlrev_b32 v8, 16, v43
	s_delay_alu instid0(VALU_DEP_1) | instskip(SKIP_1) | instid1(VALU_DEP_1)
	v_pk_mul_f32 v[8:9], v[6:7], v[8:9]
	s_wait_loadcnt 0x0
	v_dual_add_f32 v8, v31, v8 :: v_dual_lshlrev_b32 v11, 16, v17
	s_delay_alu instid0(VALU_DEP_1) | instskip(NEXT) | instid1(VALU_DEP_1)
	v_dual_lshlrev_b32 v10, 16, v16 :: v_dual_add_f32 v12, v8, v9
	v_pk_mul_f32 v[8:9], v[4:5], v[10:11]
	s_delay_alu instid0(VALU_DEP_1) | instskip(NEXT) | instid1(VALU_DEP_1)
	v_add_f32_e32 v8, v12, v8
	v_add_f32_e32 v31, v8, v9
.LBB632_19:                             ;   in Loop: Header=BB632_21 Depth=2
	s_or_b32 exec_lo, exec_lo, s48
	s_wait_loadcnt 0x2
	v_dual_lshlrev_b32 v9, 16, v42 :: v_dual_lshlrev_b32 v8, 16, v41
	s_delay_alu instid0(VALU_DEP_1) | instskip(SKIP_1) | instid1(VALU_DEP_1)
	v_pk_mul_f32 v[6:7], v[6:7], v[8:9]
	s_wait_loadcnt 0x0
	v_dual_add_f32 v6, v30, v6 :: v_dual_lshlrev_b32 v9, 16, v40
	s_delay_alu instid0(VALU_DEP_1) | instskip(SKIP_1) | instid1(VALU_DEP_1)
	v_add_f32_e32 v6, v6, v7
	v_lshlrev_b32_e32 v8, 16, v39
	v_pk_mul_f32 v[4:5], v[4:5], v[8:9]
	s_delay_alu instid0(VALU_DEP_1) | instskip(NEXT) | instid1(VALU_DEP_1)
	v_add_f32_e32 v4, v6, v4
	v_add_f32_e32 v30, v4, v5
.LBB632_20:                             ;   in Loop: Header=BB632_21 Depth=2
	s_or_b32 exec_lo, exec_lo, s47
	v_dual_add_nc_u32 v34, 16, v34 :: v_dual_add_nc_u32 v37, s42, v37
	v_dual_add_nc_u32 v38, s42, v38 :: v_dual_add_nc_u32 v36, s42, v36
	v_add_nc_u32_e32 v35, s42, v35
	s_delay_alu instid0(VALU_DEP_3) | instskip(SKIP_2) | instid1(SALU_CYCLE_1)
	v_cmp_le_i32_e32 vcc_lo, s40, v34
	s_add_co_i32 s46, s46, s43
	s_or_b32 s45, vcc_lo, s45
	s_and_not1_b32 exec_lo, exec_lo, s45
	s_cbranch_execz .LBB632_26
.LBB632_21:                             ;   Parent Loop BB632_5 Depth=1
                                        ; =>  This Inner Loop Header: Depth=2
	s_and_saveexec_b32 s47, s0
	s_cbranch_execz .LBB632_20
; %bb.22:                               ;   in Loop: Header=BB632_21 Depth=2
	v_dual_add_nc_u32 v4, s46, v29 :: v_dual_add_nc_u32 v5, s46, v24
	v_dual_add_nc_u32 v6, s46, v25 :: v_dual_add_nc_u32 v7, s46, v26
	;; [unrolled: 1-line block ×3, first 2 shown]
	s_clause 0x3
	global_load_u16 v9, v4, s[36:37] scale_offset
	global_load_u16 v11, v5, s[36:37] scale_offset
	;; [unrolled: 1-line block ×4, first 2 shown]
	v_dual_add_nc_u32 v16, s38, v37 :: v_dual_add_nc_u32 v14, s38, v36
	s_clause 0x3
	global_load_u16 v41, v8, s[34:35] scale_offset
	global_load_u16 v42, v10, s[34:35] scale_offset
	;; [unrolled: 1-line block ×4, first 2 shown]
	s_wait_loadcnt 0x6
	s_wait_xcnt 0x4
	v_dual_lshlrev_b32 v6, 16, v9 :: v_dual_lshlrev_b32 v7, 16, v11
	s_wait_loadcnt 0x4
	v_dual_lshlrev_b32 v4, 16, v12 :: v_dual_lshlrev_b32 v5, 16, v13
	s_wait_xcnt 0x0
	s_and_saveexec_b32 s48, s1
	s_cbranch_execz .LBB632_19
; %bb.23:                               ;   in Loop: Header=BB632_21 Depth=2
	v_dual_ashrrev_i32 v9, 31, v8 :: v_dual_ashrrev_i32 v11, 31, v10
	v_dual_ashrrev_i32 v17, 31, v16 :: v_dual_ashrrev_i32 v15, 31, v14
	s_delay_alu instid0(VALU_DEP_2) | instskip(NEXT) | instid1(VALU_DEP_3)
	v_lshl_add_u64 v[12:13], v[8:9], 1, s[34:35]
	v_lshl_add_u64 v[8:9], v[10:11], 1, s[34:35]
	s_delay_alu instid0(VALU_DEP_3) | instskip(NEXT) | instid1(VALU_DEP_4)
	v_lshl_add_u64 v[10:11], v[16:17], 1, s[34:35]
	v_lshl_add_u64 v[14:15], v[14:15], 1, s[34:35]
	s_clause 0x3
	global_load_u16 v43, v[12:13], off offset:128
	global_load_u16 v44, v[8:9], off offset:128
	;; [unrolled: 1-line block ×4, first 2 shown]
	s_wait_xcnt 0x0
	s_and_saveexec_b32 s49, s2
	s_cbranch_execz .LBB632_18
; %bb.24:                               ;   in Loop: Header=BB632_21 Depth=2
	s_clause 0x3
	global_load_u16 v47, v[12:13], off offset:256
	global_load_u16 v48, v[8:9], off offset:256
	;; [unrolled: 1-line block ×4, first 2 shown]
	s_wait_xcnt 0x0
	s_and_saveexec_b32 s50, s3
	s_cbranch_execz .LBB632_17
; %bb.25:                               ;   in Loop: Header=BB632_21 Depth=2
	s_clause 0x3
	global_load_u16 v49, v[8:9], off offset:384
	global_load_u16 v50, v[12:13], off offset:384
	;; [unrolled: 1-line block ×4, first 2 shown]
	s_wait_loadcnt 0x2
	s_wait_xcnt 0x3
	v_dual_lshlrev_b32 v9, 16, v49 :: v_dual_lshlrev_b32 v8, 16, v50
	s_delay_alu instid0(VALU_DEP_1) | instskip(SKIP_2) | instid1(VALU_DEP_1)
	v_pk_mul_f32 v[8:9], v[6:7], v[8:9]
	s_wait_loadcnt 0x1
	s_wait_xcnt 0x0
	v_dual_add_f32 v8, v33, v8 :: v_dual_lshlrev_b32 v11, 16, v51
	s_wait_loadcnt 0x0
	s_delay_alu instid0(VALU_DEP_1) | instskip(NEXT) | instid1(VALU_DEP_1)
	v_dual_lshlrev_b32 v10, 16, v52 :: v_dual_add_f32 v12, v8, v9
	v_pk_mul_f32 v[8:9], v[4:5], v[10:11]
	s_delay_alu instid0(VALU_DEP_1) | instskip(NEXT) | instid1(VALU_DEP_1)
	v_add_f32_e32 v8, v12, v8
	v_add_f32_e32 v33, v8, v9
	s_branch .LBB632_17
.LBB632_26:                             ;   in Loop: Header=BB632_5 Depth=1
	s_or_b32 exec_lo, exec_lo, s45
.LBB632_27:                             ;   in Loop: Header=BB632_5 Depth=1
	s_delay_alu instid0(SALU_CYCLE_1) | instskip(NEXT) | instid1(SALU_CYCLE_1)
	s_or_b32 exec_lo, exec_lo, s7
	s_and_not1_b32 vcc_lo, exec_lo, s41
	s_cbranch_vccnz .LBB632_45
; %bb.28:                               ;   in Loop: Header=BB632_5 Depth=1
	v_dual_mov_b32 v4, 0 :: v_dual_bitop2_b32 v8, 1, v34 bitop3:0x54
	v_cmp_gt_i32_e32 vcc_lo, s21, v34
	s_delay_alu instid0(VALU_DEP_2)
	v_dual_mov_b32 v5, v4 :: v_dual_mov_b32 v6, v4
	v_mov_b32_e32 v7, v4
	s_and_saveexec_b32 s45, vcc_lo
	s_cbranch_execz .LBB632_36
; %bb.29:                               ;   in Loop: Header=BB632_5 Depth=1
	v_mul_lo_u32 v4, v34, s18
	v_dual_mov_b32 v7, 0 :: v_dual_mov_b32 v5, 0
	s_mov_b32 s46, exec_lo
	global_load_u16 v6, v4, s[36:37] scale_offset
	s_wait_xcnt 0x0
	v_mov_b32_e32 v4, 0
	v_cmpx_gt_i32_e64 s21, v8
	s_cbranch_execz .LBB632_35
; %bb.30:                               ;   in Loop: Header=BB632_5 Depth=1
	v_mul_lo_u32 v4, v8, s18
	v_dual_mov_b32 v5, 0 :: v_dual_bitop2_b32 v9, 2, v34 bitop3:0x54
	s_mov_b32 s47, exec_lo
	global_load_u16 v7, v4, s[36:37] scale_offset
	s_wait_xcnt 0x0
	v_mov_b32_e32 v4, 0
	v_cmpx_gt_i32_e64 s21, v9
	s_cbranch_execz .LBB632_34
; %bb.31:                               ;   in Loop: Header=BB632_5 Depth=1
	v_mul_lo_u32 v4, v9, s18
	v_dual_mov_b32 v5, 0 :: v_dual_bitop2_b32 v9, 3, v34 bitop3:0x54
	s_mov_b32 s48, exec_lo
	global_load_u16 v4, v4, s[36:37] scale_offset
	s_wait_xcnt 0x0
	v_cmpx_gt_i32_e64 s21, v9
	s_cbranch_execz .LBB632_33
; %bb.32:                               ;   in Loop: Header=BB632_5 Depth=1
	v_mul_lo_u32 v5, v9, s18
	global_load_u16 v5, v5, s[36:37] scale_offset
	s_wait_loadcnt 0x0
	s_wait_xcnt 0x0
	v_lshlrev_b32_e32 v5, 16, v5
.LBB632_33:                             ;   in Loop: Header=BB632_5 Depth=1
	s_or_b32 exec_lo, exec_lo, s48
	s_wait_loadcnt 0x0
	v_lshlrev_b32_e32 v4, 16, v4
.LBB632_34:                             ;   in Loop: Header=BB632_5 Depth=1
	s_or_b32 exec_lo, exec_lo, s47
	s_wait_loadcnt 0x0
	v_lshlrev_b32_e32 v7, 16, v7
.LBB632_35:                             ;   in Loop: Header=BB632_5 Depth=1
	s_or_b32 exec_lo, exec_lo, s46
	s_wait_loadcnt 0x0
	v_lshlrev_b32_e32 v6, 16, v6
.LBB632_36:                             ;   in Loop: Header=BB632_5 Depth=1
	s_or_b32 exec_lo, exec_lo, s45
	s_and_saveexec_b32 s36, s0
	s_cbranch_execz .LBB632_44
; %bb.37:                               ;   in Loop: Header=BB632_5 Depth=1
	v_mul_lo_u32 v11, v8, s23
	v_cmp_gt_i32_e64 s7, s21, v8
	v_or_b32_e32 v9, 2, v34
	v_mul_lo_u32 v14, v34, s23
	s_delay_alu instid0(VALU_DEP_3) | instskip(NEXT) | instid1(VALU_DEP_3)
	v_cndmask_b32_e64 v8, 0, v11, s7
	v_mul_lo_u32 v12, v9, s23
	v_cmp_gt_i32_e64 s7, s21, v9
	v_or_b32_e32 v10, 3, v34
	s_delay_alu instid0(VALU_DEP_2) | instskip(NEXT) | instid1(VALU_DEP_2)
	v_dual_cndmask_b32 v11, 0, v14, vcc_lo :: v_dual_cndmask_b32 v9, 0, v12, s7
	v_mul_lo_u32 v13, v10, s23
	v_cmp_gt_i32_e64 s7, s21, v10
	s_delay_alu instid0(VALU_DEP_3) | instskip(NEXT) | instid1(VALU_DEP_2)
	v_dual_add_nc_u32 v8, v8, v19 :: v_dual_add_nc_u32 v12, v9, v19
	v_cndmask_b32_e64 v10, 0, v13, s7
	s_delay_alu instid0(VALU_DEP_1)
	v_dual_add_nc_u32 v14, v10, v19 :: v_dual_add_nc_u32 v10, v11, v19
	s_clause 0x3
	global_load_u16 v34, v8, s[34:35] scale_offset
	global_load_u16 v16, v12, s[34:35] scale_offset
	;; [unrolled: 1-line block ×4, first 2 shown]
	s_wait_xcnt 0x0
	s_and_saveexec_b32 s7, s1
	s_cbranch_execz .LBB632_43
; %bb.38:                               ;   in Loop: Header=BB632_5 Depth=1
	v_dual_ashrrev_i32 v11, 31, v10 :: v_dual_ashrrev_i32 v9, 31, v8
	v_dual_ashrrev_i32 v13, 31, v12 :: v_dual_ashrrev_i32 v15, 31, v14
	s_delay_alu instid0(VALU_DEP_2) | instskip(NEXT) | instid1(VALU_DEP_3)
	v_lshl_add_u64 v[10:11], v[10:11], 1, s[34:35]
	v_lshl_add_u64 v[8:9], v[8:9], 1, s[34:35]
	s_delay_alu instid0(VALU_DEP_3) | instskip(NEXT) | instid1(VALU_DEP_4)
	v_lshl_add_u64 v[12:13], v[12:13], 1, s[34:35]
	v_lshl_add_u64 v[14:15], v[14:15], 1, s[34:35]
	s_clause 0x3
	global_load_u16 v38, v[10:11], off offset:128
	global_load_u16 v39, v[8:9], off offset:128
	global_load_u16 v36, v[12:13], off offset:128
	global_load_u16 v37, v[14:15], off offset:128
	s_wait_xcnt 0x0
	s_and_saveexec_b32 s34, s2
	s_cbranch_execz .LBB632_42
; %bb.39:                               ;   in Loop: Header=BB632_5 Depth=1
	s_clause 0x3
	global_load_u16 v42, v[10:11], off offset:256
	global_load_u16 v43, v[8:9], off offset:256
	;; [unrolled: 1-line block ×4, first 2 shown]
	s_wait_xcnt 0x0
	s_and_saveexec_b32 s35, s3
	s_cbranch_execz .LBB632_41
; %bb.40:                               ;   in Loop: Header=BB632_5 Depth=1
	s_clause 0x3
	global_load_u16 v44, v[8:9], off offset:384
	global_load_u16 v45, v[10:11], off offset:384
	;; [unrolled: 1-line block ×4, first 2 shown]
	s_wait_loadcnt 0x2
	s_wait_xcnt 0x3
	v_dual_lshlrev_b32 v9, 16, v44 :: v_dual_lshlrev_b32 v8, 16, v45
	s_delay_alu instid0(VALU_DEP_1) | instskip(SKIP_2) | instid1(VALU_DEP_1)
	v_pk_mul_f32 v[8:9], v[6:7], v[8:9]
	s_wait_loadcnt 0x1
	s_wait_xcnt 0x2
	v_dual_add_f32 v8, v33, v8 :: v_dual_lshlrev_b32 v11, 16, v46
	s_wait_loadcnt 0x0
	s_wait_xcnt 0x0
	s_delay_alu instid0(VALU_DEP_1) | instskip(NEXT) | instid1(VALU_DEP_1)
	v_dual_lshlrev_b32 v10, 16, v47 :: v_dual_add_f32 v12, v8, v9
	v_pk_mul_f32 v[8:9], v[4:5], v[10:11]
	s_delay_alu instid0(VALU_DEP_1) | instskip(NEXT) | instid1(VALU_DEP_1)
	v_add_f32_e32 v8, v12, v8
	v_add_f32_e32 v33, v8, v9
.LBB632_41:                             ;   in Loop: Header=BB632_5 Depth=1
	s_or_b32 exec_lo, exec_lo, s35
	s_wait_loadcnt 0x2
	v_dual_lshlrev_b32 v9, 16, v43 :: v_dual_lshlrev_b32 v8, 16, v42
	s_delay_alu instid0(VALU_DEP_1) | instskip(SKIP_1) | instid1(VALU_DEP_1)
	v_pk_mul_f32 v[8:9], v[6:7], v[8:9]
	s_wait_loadcnt 0x0
	v_dual_add_f32 v8, v32, v8 :: v_dual_lshlrev_b32 v11, 16, v41
	s_delay_alu instid0(VALU_DEP_1) | instskip(NEXT) | instid1(VALU_DEP_1)
	v_dual_lshlrev_b32 v10, 16, v40 :: v_dual_add_f32 v12, v8, v9
	v_pk_mul_f32 v[8:9], v[4:5], v[10:11]
	s_delay_alu instid0(VALU_DEP_1) | instskip(NEXT) | instid1(VALU_DEP_1)
	v_add_f32_e32 v8, v12, v8
	v_add_f32_e32 v32, v8, v9
.LBB632_42:                             ;   in Loop: Header=BB632_5 Depth=1
	s_or_b32 exec_lo, exec_lo, s34
	s_wait_loadcnt 0x2
	v_dual_lshlrev_b32 v9, 16, v39 :: v_dual_lshlrev_b32 v8, 16, v38
	s_delay_alu instid0(VALU_DEP_1) | instskip(SKIP_1) | instid1(VALU_DEP_1)
	v_pk_mul_f32 v[8:9], v[6:7], v[8:9]
	s_wait_loadcnt 0x0
	v_dual_add_f32 v8, v31, v8 :: v_dual_lshlrev_b32 v11, 16, v37
	s_delay_alu instid0(VALU_DEP_1) | instskip(NEXT) | instid1(VALU_DEP_1)
	v_dual_lshlrev_b32 v10, 16, v36 :: v_dual_add_f32 v12, v8, v9
	v_pk_mul_f32 v[8:9], v[4:5], v[10:11]
	s_delay_alu instid0(VALU_DEP_1) | instskip(NEXT) | instid1(VALU_DEP_1)
	v_add_f32_e32 v8, v12, v8
	v_add_f32_e32 v31, v8, v9
.LBB632_43:                             ;   in Loop: Header=BB632_5 Depth=1
	s_or_b32 exec_lo, exec_lo, s7
	s_wait_loadcnt 0x0
	v_dual_lshlrev_b32 v9, 16, v34 :: v_dual_lshlrev_b32 v8, 16, v35
	s_delay_alu instid0(VALU_DEP_1) | instskip(NEXT) | instid1(VALU_DEP_1)
	v_pk_mul_f32 v[6:7], v[6:7], v[8:9]
	v_dual_add_f32 v6, v30, v6 :: v_dual_lshlrev_b32 v9, 16, v17
	s_delay_alu instid0(VALU_DEP_1) | instskip(NEXT) | instid1(VALU_DEP_1)
	v_dual_lshlrev_b32 v8, 16, v16 :: v_dual_add_f32 v6, v6, v7
	v_pk_mul_f32 v[4:5], v[4:5], v[8:9]
	s_delay_alu instid0(VALU_DEP_1) | instskip(NEXT) | instid1(VALU_DEP_1)
	v_add_f32_e32 v4, v6, v4
	v_add_f32_e32 v30, v4, v5
.LBB632_44:                             ;   in Loop: Header=BB632_5 Depth=1
	s_or_b32 exec_lo, exec_lo, s36
.LBB632_45:                             ;   in Loop: Header=BB632_5 Depth=1
	ds_store_2addr_stride64_b32 v20, v30, v31 offset1:1
	ds_store_2addr_stride64_b32 v20, v32, v33 offset0:2 offset1:3
	s_wait_dscnt 0x0
	s_barrier_signal -1
	s_barrier_wait -1
                                        ; implicit-def: $vgpr6
	s_and_saveexec_b32 s7, s5
	s_cbranch_execz .LBB632_51
; %bb.46:                               ;   in Loop: Header=BB632_5 Depth=1
	ds_load_2addr_stride64_b32 v[4:5], v21 offset1:4
	ds_load_2addr_stride64_b32 v[6:7], v21 offset0:8 offset1:12
	s_mov_b32 s35, s44
	s_wait_dscnt 0x1
	v_add_f32_e32 v4, v4, v5
	s_wait_dscnt 0x0
	s_delay_alu instid0(VALU_DEP_1) | instskip(NEXT) | instid1(VALU_DEP_1)
	v_add_f32_e32 v4, v6, v4
                                        ; implicit-def: $vgpr6
	v_add_f32_e32 v4, v7, v4
	ds_store_b32 v21, v4
	s_and_saveexec_b32 s34, s6
	s_cbranch_execz .LBB632_50
; %bb.47:                               ;   in Loop: Header=BB632_5 Depth=1
	v_mul_f32_e32 v6, s22, v4
	s_and_not1_b32 vcc_lo, exec_lo, s39
	s_cbranch_vccnz .LBB632_49
; %bb.48:                               ;   in Loop: Header=BB632_5 Depth=1
	v_lshl_add_u64 v[4:5], v[2:3], 2, s[30:31]
	global_load_b32 v4, v[4:5], off
	s_wait_loadcnt 0x0
	v_fmac_f32_e32 v6, s26, v4
.LBB632_49:                             ;   in Loop: Header=BB632_5 Depth=1
	s_or_b32 s35, s44, exec_lo
.LBB632_50:                             ;   in Loop: Header=BB632_5 Depth=1
	s_wait_xcnt 0x0
	s_or_b32 exec_lo, exec_lo, s34
	s_delay_alu instid0(SALU_CYCLE_1) | instskip(SKIP_1) | instid1(SALU_CYCLE_1)
	s_and_not1_b32 s34, s44, exec_lo
	s_and_b32 s35, s35, exec_lo
	s_or_b32 s44, s34, s35
.LBB632_51:                             ;   in Loop: Header=BB632_5 Depth=1
	s_or_b32 exec_lo, exec_lo, s7
	v_mov_b64_e32 v[4:5], v[2:3]
	s_and_saveexec_b32 s7, s44
	s_cbranch_execz .LBB632_3
.LBB632_52:                             ;   in Loop: Header=BB632_5 Depth=1
	s_delay_alu instid0(VALU_DEP_1)
	v_lshl_add_u64 v[4:5], v[4:5], 2, s[30:31]
	global_store_b32 v[4:5], v6, off
	s_branch .LBB632_3
.LBB632_53:
	s_endpgm
	.section	.rodata,"a",@progbits
	.p2align	6, 0x0
	.amdhsa_kernel _ZL20rocblas_gemvn_kernelILi64ELi4Ei16rocblas_bfloat16ffEviiT3_lPKT2_lT1_lS4_lS5_lS1_lPT4_lS5_li
		.amdhsa_group_segment_fixed_size 4096
		.amdhsa_private_segment_fixed_size 0
		.amdhsa_kernarg_size 400
		.amdhsa_user_sgpr_count 2
		.amdhsa_user_sgpr_dispatch_ptr 0
		.amdhsa_user_sgpr_queue_ptr 0
		.amdhsa_user_sgpr_kernarg_segment_ptr 1
		.amdhsa_user_sgpr_dispatch_id 0
		.amdhsa_user_sgpr_kernarg_preload_length 0
		.amdhsa_user_sgpr_kernarg_preload_offset 0
		.amdhsa_user_sgpr_private_segment_size 0
		.amdhsa_wavefront_size32 1
		.amdhsa_uses_dynamic_stack 0
		.amdhsa_enable_private_segment 0
		.amdhsa_system_sgpr_workgroup_id_x 1
		.amdhsa_system_sgpr_workgroup_id_y 0
		.amdhsa_system_sgpr_workgroup_id_z 1
		.amdhsa_system_sgpr_workgroup_info 0
		.amdhsa_system_vgpr_workitem_id 1
		.amdhsa_next_free_vgpr 53
		.amdhsa_next_free_sgpr 51
		.amdhsa_named_barrier_count 0
		.amdhsa_reserve_vcc 1
		.amdhsa_float_round_mode_32 0
		.amdhsa_float_round_mode_16_64 0
		.amdhsa_float_denorm_mode_32 3
		.amdhsa_float_denorm_mode_16_64 3
		.amdhsa_fp16_overflow 0
		.amdhsa_memory_ordered 1
		.amdhsa_forward_progress 1
		.amdhsa_inst_pref_size 24
		.amdhsa_round_robin_scheduling 0
		.amdhsa_exception_fp_ieee_invalid_op 0
		.amdhsa_exception_fp_denorm_src 0
		.amdhsa_exception_fp_ieee_div_zero 0
		.amdhsa_exception_fp_ieee_overflow 0
		.amdhsa_exception_fp_ieee_underflow 0
		.amdhsa_exception_fp_ieee_inexact 0
		.amdhsa_exception_int_div_zero 0
	.end_amdhsa_kernel
	.section	.text._ZL20rocblas_gemvn_kernelILi64ELi4Ei16rocblas_bfloat16ffEviiT3_lPKT2_lT1_lS4_lS5_lS1_lPT4_lS5_li,"axG",@progbits,_ZL20rocblas_gemvn_kernelILi64ELi4Ei16rocblas_bfloat16ffEviiT3_lPKT2_lT1_lS4_lS5_lS1_lPT4_lS5_li,comdat
.Lfunc_end632:
	.size	_ZL20rocblas_gemvn_kernelILi64ELi4Ei16rocblas_bfloat16ffEviiT3_lPKT2_lT1_lS4_lS5_lS1_lPT4_lS5_li, .Lfunc_end632-_ZL20rocblas_gemvn_kernelILi64ELi4Ei16rocblas_bfloat16ffEviiT3_lPKT2_lT1_lS4_lS5_lS1_lPT4_lS5_li
                                        ; -- End function
	.set _ZL20rocblas_gemvn_kernelILi64ELi4Ei16rocblas_bfloat16ffEviiT3_lPKT2_lT1_lS4_lS5_lS1_lPT4_lS5_li.num_vgpr, 53
	.set _ZL20rocblas_gemvn_kernelILi64ELi4Ei16rocblas_bfloat16ffEviiT3_lPKT2_lT1_lS4_lS5_lS1_lPT4_lS5_li.num_agpr, 0
	.set _ZL20rocblas_gemvn_kernelILi64ELi4Ei16rocblas_bfloat16ffEviiT3_lPKT2_lT1_lS4_lS5_lS1_lPT4_lS5_li.numbered_sgpr, 51
	.set _ZL20rocblas_gemvn_kernelILi64ELi4Ei16rocblas_bfloat16ffEviiT3_lPKT2_lT1_lS4_lS5_lS1_lPT4_lS5_li.num_named_barrier, 0
	.set _ZL20rocblas_gemvn_kernelILi64ELi4Ei16rocblas_bfloat16ffEviiT3_lPKT2_lT1_lS4_lS5_lS1_lPT4_lS5_li.private_seg_size, 0
	.set _ZL20rocblas_gemvn_kernelILi64ELi4Ei16rocblas_bfloat16ffEviiT3_lPKT2_lT1_lS4_lS5_lS1_lPT4_lS5_li.uses_vcc, 1
	.set _ZL20rocblas_gemvn_kernelILi64ELi4Ei16rocblas_bfloat16ffEviiT3_lPKT2_lT1_lS4_lS5_lS1_lPT4_lS5_li.uses_flat_scratch, 0
	.set _ZL20rocblas_gemvn_kernelILi64ELi4Ei16rocblas_bfloat16ffEviiT3_lPKT2_lT1_lS4_lS5_lS1_lPT4_lS5_li.has_dyn_sized_stack, 0
	.set _ZL20rocblas_gemvn_kernelILi64ELi4Ei16rocblas_bfloat16ffEviiT3_lPKT2_lT1_lS4_lS5_lS1_lPT4_lS5_li.has_recursion, 0
	.set _ZL20rocblas_gemvn_kernelILi64ELi4Ei16rocblas_bfloat16ffEviiT3_lPKT2_lT1_lS4_lS5_lS1_lPT4_lS5_li.has_indirect_call, 0
	.section	.AMDGPU.csdata,"",@progbits
; Kernel info:
; codeLenInByte = 3056
; TotalNumSgprs: 53
; NumVgprs: 53
; ScratchSize: 0
; MemoryBound: 0
; FloatMode: 240
; IeeeMode: 1
; LDSByteSize: 4096 bytes/workgroup (compile time only)
; SGPRBlocks: 0
; VGPRBlocks: 3
; NumSGPRsForWavesPerEU: 53
; NumVGPRsForWavesPerEU: 53
; NamedBarCnt: 0
; Occupancy: 16
; WaveLimiterHint : 1
; COMPUTE_PGM_RSRC2:SCRATCH_EN: 0
; COMPUTE_PGM_RSRC2:USER_SGPR: 2
; COMPUTE_PGM_RSRC2:TRAP_HANDLER: 0
; COMPUTE_PGM_RSRC2:TGID_X_EN: 1
; COMPUTE_PGM_RSRC2:TGID_Y_EN: 0
; COMPUTE_PGM_RSRC2:TGID_Z_EN: 1
; COMPUTE_PGM_RSRC2:TIDIG_COMP_CNT: 1
	.section	.text._ZL20rocblas_gemvn_kernelILi64ELi4El16rocblas_bfloat16ffEviiT3_lPKT2_lT1_lS4_lS5_lS1_lPT4_lS5_li,"axG",@progbits,_ZL20rocblas_gemvn_kernelILi64ELi4El16rocblas_bfloat16ffEviiT3_lPKT2_lT1_lS4_lS5_lS1_lPT4_lS5_li,comdat
	.globl	_ZL20rocblas_gemvn_kernelILi64ELi4El16rocblas_bfloat16ffEviiT3_lPKT2_lT1_lS4_lS5_lS1_lPT4_lS5_li ; -- Begin function _ZL20rocblas_gemvn_kernelILi64ELi4El16rocblas_bfloat16ffEviiT3_lPKT2_lT1_lS4_lS5_lS1_lPT4_lS5_li
	.p2align	8
	.type	_ZL20rocblas_gemvn_kernelILi64ELi4El16rocblas_bfloat16ffEviiT3_lPKT2_lT1_lS4_lS5_lS1_lPT4_lS5_li,@function
_ZL20rocblas_gemvn_kernelILi64ELi4El16rocblas_bfloat16ffEviiT3_lPKT2_lT1_lS4_lS5_lS1_lPT4_lS5_li: ; @_ZL20rocblas_gemvn_kernelILi64ELi4El16rocblas_bfloat16ffEviiT3_lPKT2_lT1_lS4_lS5_lS1_lPT4_lS5_li
; %bb.0:
	s_load_b64 s[2:3], s[0:1], 0x9c
	s_wait_kmcnt 0x0
	s_lshr_b32 s4, s2, 16
	s_and_b32 s2, s2, 0xffff
	s_and_b32 s3, s3, 0xffff
	s_mul_i32 s2, s4, s2
	s_delay_alu instid0(SALU_CYCLE_1) | instskip(NEXT) | instid1(SALU_CYCLE_1)
	s_mul_i32 s2, s2, s3
	s_cmp_lg_u32 s2, 0x100
	s_cbranch_scc1 .LBB633_53
; %bb.1:
	s_load_b32 s33, s[0:1], 0x88
	s_bfe_u32 s2, ttmp6, 0x40014
	s_lshr_b32 s3, ttmp7, 16
	s_add_co_i32 s2, s2, 1
	s_bfe_u32 s4, ttmp6, 0x40008
	s_mul_i32 s2, s3, s2
	s_getreg_b32 s6, hwreg(HW_REG_IB_STS2, 6, 4)
	s_add_co_i32 s4, s4, s2
	s_cmp_eq_u32 s6, 0
	s_mov_b32 s35, 0
	s_cselect_b32 s34, s3, s4
	s_wait_kmcnt 0x0
	s_cmp_ge_u32 s34, s33
	s_cbranch_scc1 .LBB633_53
; %bb.2:
	s_clause 0x3
	s_load_b512 s[8:23], s[0:1], 0x18
	s_load_b256 s[24:31], s[0:1], 0x68
	s_load_b96 s[36:38], s[0:1], 0x0
	s_load_b32 s39, s[0:1], 0x58
	v_and_b32_e32 v6, 0x3ff, v0
	v_bfe_u32 v2, v0, 10, 10
	s_delay_alu instid0(VALU_DEP_2) | instskip(NEXT) | instid1(VALU_DEP_2)
	v_dual_mov_b32 v1, 0 :: v_dual_lshlrev_b32 v0, 2, v6
	v_lshl_add_u32 v7, v2, 6, v6
	s_delay_alu instid0(VALU_DEP_2) | instskip(NEXT) | instid1(VALU_DEP_3)
	v_dual_mov_b32 v3, v1 :: v_dual_lshlrev_b32 v52, 2, v2
	v_lshl_add_u32 v53, v2, 10, v0
	v_lshl_add_u32 v54, v2, 8, v0
	s_wait_xcnt 0x0
	v_cmp_gt_u32_e64 s0, 0x100, v7
	s_wait_kmcnt 0x0
	s_lshl_b64 s[4:5], s[10:11], 1
	s_lshl_b64 s[10:11], s[18:19], 1
	;; [unrolled: 1-line block ×3, first 2 shown]
	s_cmp_eq_f32 s38, 0
	v_mul_u64_e32 v[10:11], s[20:21], v[2:3]
	v_mul_u64_e32 v[12:13], s[12:13], v[2:3]
	v_mad_nc_u64_u32 v[4:5], s20, v52, s[20:21]
	s_cselect_b32 s46, -1, 0
	s_cmp_neq_f32 s38, 0
	v_mad_nc_u64_u32 v[8:9], s12, v52, s[12:13]
	s_add_nc_u64 s[24:25], s[24:25], s[2:3]
	s_add_nc_u64 s[26:27], s[16:17], s[10:11]
	s_cselect_b32 s1, -1, 0
	s_cmp_neq_f32 s39, 1.0
	s_cselect_b32 s7, -1, 0
	s_bfe_u32 s18, ttmp6, 0x4000c
	s_and_b32 s19, ttmp6, 15
	s_add_co_i32 s18, s18, 1
	s_or_b32 s47, s1, s7
	s_mul_i32 s18, ttmp9, s18
	v_mad_u32 v5, s21, v52, v5
	s_add_co_i32 s19, s19, s18
	s_cmp_eq_u32 s6, 0
	s_mov_b32 s6, s36
	s_cselect_b32 s1, ttmp9, s19
	s_ashr_i32 s7, s36, 31
	s_lshl_b32 s1, s1, 8
	s_cmp_neq_f32 s39, 0
	v_dual_add_nc_u32 v0, s1, v7 :: v_dual_bitop2_b32 v14, s1, v7 bitop3:0x54
	v_or_b32_e32 v24, s1, v6
	v_mad_u32 v9, s13, v52, v9
	s_cselect_b32 s48, -1, 0
	s_delay_alu instid0(VALU_DEP_3)
	v_cmp_gt_i64_e32 vcc_lo, s[6:7], v[0:1]
	v_mul_u64_e32 v[2:3], s[28:29], v[0:1]
	v_dual_ashrrev_i32 v15, 31, v14 :: v_dual_bitop2_b32 v0, 3, v52 bitop3:0x54
	s_ashr_i32 s1, s37, 31
	v_ashrrev_i32_e32 v25, 31, v24
	s_lshr_b32 s3, s1, 28
	s_delay_alu instid0(VALU_DEP_2)
	v_mul_u64_e32 v[16:17], s[12:13], v[0:1]
	v_mul_u64_e32 v[18:19], s[20:21], v[0:1]
	v_or_b32_e32 v0, 2, v52
	v_mul_u64_e32 v[6:7], s[28:29], v[14:15]
	v_add_nc_u32_e32 v15, 0x80, v24
	s_add_co_i32 s3, s37, s3
	v_add_nc_u32_e32 v26, 0xc0, v24
	v_mul_u64_e32 v[20:21], s[12:13], v[0:1]
	v_mul_u64_e32 v[22:23], s[20:21], v[0:1]
	v_add_nc_u32_e32 v0, 64, v24
	s_and_b32 s49, s3, -16
	s_add_nc_u64 s[18:19], s[8:9], s[4:5]
	v_cmp_gt_i32_e64 s2, s36, v14
	v_cmp_gt_i32_e64 s4, s36, v15
	s_sub_co_i32 s6, s37, s49
	v_lshlrev_b64_e32 v[14:15], 1, v[24:25]
	v_lshl_add_u64 v[4:5], v[4:5], 1, s[16:17]
	v_lshl_add_u64 v[8:9], v[8:9], 1, s[18:19]
	v_cmp_gt_i32_e64 s1, s36, v24
	v_lshl_add_u64 v[10:11], v[10:11], 3, s[16:17]
	v_lshl_add_u64 v[12:13], v[12:13], 3, s[18:19]
	v_cmp_gt_i32_e64 s3, s36, v0
	v_cmp_gt_i32_e64 s5, s36, v26
	s_cmp_gt_i32 s6, 0
	v_cmp_gt_i32_e64 s6, s49, v52
	s_cselect_b32 s36, -1, 0
	s_and_b32 s50, s0, vcc_lo
	s_lshl_b64 s[28:29], s[22:23], 1
	s_lshl_b64 s[40:41], s[14:15], 1
	;; [unrolled: 1-line block ×3, first 2 shown]
	v_lshl_add_u64 v[16:17], v[16:17], 1, s[18:19]
	v_lshl_add_u64 v[18:19], v[18:19], 1, s[16:17]
	;; [unrolled: 1-line block ×4, first 2 shown]
	s_lshl_b64 s[16:17], s[20:21], 5
	s_branch .LBB633_5
.LBB633_3:                              ;   in Loop: Header=BB633_5 Depth=1
	s_wait_xcnt 0x0
	s_or_b32 exec_lo, exec_lo, s7
.LBB633_4:                              ;   in Loop: Header=BB633_5 Depth=1
	s_add_co_i32 s34, s34, 0x10000
	s_delay_alu instid0(SALU_CYCLE_1)
	s_cmp_lt_u32 s34, s33
	s_cbranch_scc0 .LBB633_53
.LBB633_5:                              ; =>This Loop Header: Depth=1
                                        ;     Child Loop BB633_21 Depth 2
	s_and_not1_b32 vcc_lo, exec_lo, s47
	s_cbranch_vccnz .LBB633_4
; %bb.6:                                ;   in Loop: Header=BB633_5 Depth=1
	s_mul_u64 s[8:9], s[30:31], s[34:35]
	s_and_not1_b32 vcc_lo, exec_lo, s46
	s_lshl_b64 s[8:9], s[8:9], 2
	s_delay_alu instid0(SALU_CYCLE_1)
	s_add_nc_u64 s[44:45], s[24:25], s[8:9]
	s_cbranch_vccnz .LBB633_10
; %bb.7:                                ;   in Loop: Header=BB633_5 Depth=1
	s_mov_b32 s7, 0
	s_mov_b32 s51, 0
                                        ; implicit-def: $vgpr0
	s_and_saveexec_b32 s8, s50
	s_cbranch_execz .LBB633_11
; %bb.8:                                ;   in Loop: Header=BB633_5 Depth=1
	s_and_not1_b32 vcc_lo, exec_lo, s48
	s_cbranch_vccnz .LBB633_13
; %bb.9:                                ;   in Loop: Header=BB633_5 Depth=1
	v_lshl_add_u64 v[24:25], v[2:3], 2, s[44:45]
	global_load_b32 v0, v[24:25], off
	s_wait_loadcnt 0x0
	v_mul_f32_e32 v0, s39, v0
	s_branch .LBB633_14
.LBB633_10:                             ;   in Loop: Header=BB633_5 Depth=1
	s_mov_b32 s51, 0
                                        ; implicit-def: $vgpr0
	s_cbranch_execz .LBB633_12
	s_branch .LBB633_15
.LBB633_11:                             ;   in Loop: Header=BB633_5 Depth=1
	s_or_b32 exec_lo, exec_lo, s8
	s_delay_alu instid0(SALU_CYCLE_1)
	s_and_b32 vcc_lo, exec_lo, s7
	s_cbranch_vccnz .LBB633_15
.LBB633_12:                             ;   in Loop: Header=BB633_5 Depth=1
	v_mov_b64_e32 v[24:25], v[2:3]
	s_and_saveexec_b32 s7, s51
	s_cbranch_execz .LBB633_3
	s_branch .LBB633_52
.LBB633_13:                             ;   in Loop: Header=BB633_5 Depth=1
	v_mov_b32_e32 v0, 0
.LBB633_14:                             ;   in Loop: Header=BB633_5 Depth=1
	s_mov_b32 s51, exec_lo
	s_wait_xcnt 0x0
	s_or_b32 exec_lo, exec_lo, s8
	s_delay_alu instid0(SALU_CYCLE_1)
	s_and_b32 vcc_lo, exec_lo, s7
	s_cbranch_vccz .LBB633_12
.LBB633_15:                             ;   in Loop: Header=BB633_5 Depth=1
	v_dual_mov_b32 v55, 0 :: v_dual_mov_b32 v0, v52
	v_dual_mov_b32 v56, 0 :: v_dual_mov_b32 v57, 0
	v_mov_b32_e32 v58, 0
	s_and_saveexec_b32 s7, s6
	s_cbranch_execz .LBB633_27
; %bb.16:                               ;   in Loop: Header=BB633_5 Depth=1
	s_mul_u64 s[8:9], s[28:29], s[34:35]
	s_mul_u64 s[52:53], s[40:41], s[34:35]
	v_add_nc_u64_e32 v[24:25], s[8:9], v[10:11]
	v_add_nc_u64_e32 v[26:27], s[52:53], v[16:17]
	;; [unrolled: 1-line block ×8, first 2 shown]
	v_dual_mov_b32 v55, 0 :: v_dual_mov_b32 v0, v52
	v_dual_mov_b32 v56, 0 :: v_dual_mov_b32 v57, 0
	v_mov_b32_e32 v58, 0
	s_mov_b32 s8, 0
	s_branch .LBB633_21
.LBB633_17:                             ;   in Loop: Header=BB633_21 Depth=2
	s_or_b32 exec_lo, exec_lo, s54
	s_wait_loadcnt 0x2
	v_dual_lshlrev_b32 v45, 16, v70 :: v_dual_lshlrev_b32 v44, 16, v69
	s_wait_loadcnt 0x0
	v_dual_lshlrev_b32 v47, 16, v68 :: v_dual_lshlrev_b32 v46, 16, v67
	s_delay_alu instid0(VALU_DEP_2) | instskip(NEXT) | instid1(VALU_DEP_1)
	v_pk_mul_f32 v[44:45], v[42:43], v[44:45]
	v_add_f32_e32 v44, v57, v44
	s_delay_alu instid0(VALU_DEP_1) | instskip(NEXT) | instid1(VALU_DEP_4)
	v_add_f32_e32 v48, v44, v45
	v_pk_mul_f32 v[44:45], v[40:41], v[46:47]
	s_delay_alu instid0(VALU_DEP_1) | instskip(NEXT) | instid1(VALU_DEP_1)
	v_add_f32_e32 v44, v48, v44
	v_add_f32_e32 v57, v44, v45
.LBB633_18:                             ;   in Loop: Header=BB633_21 Depth=2
	s_or_b32 exec_lo, exec_lo, s53
	s_wait_loadcnt 0x2
	v_dual_lshlrev_b32 v45, 16, v66 :: v_dual_lshlrev_b32 v44, 16, v65
	s_wait_loadcnt 0x0
	v_dual_lshlrev_b32 v47, 16, v64 :: v_dual_lshlrev_b32 v46, 16, v63
	s_delay_alu instid0(VALU_DEP_2) | instskip(NEXT) | instid1(VALU_DEP_1)
	v_pk_mul_f32 v[44:45], v[42:43], v[44:45]
	v_add_f32_e32 v44, v56, v44
	s_delay_alu instid0(VALU_DEP_1) | instskip(NEXT) | instid1(VALU_DEP_4)
	v_add_f32_e32 v48, v44, v45
	v_pk_mul_f32 v[44:45], v[40:41], v[46:47]
	s_delay_alu instid0(VALU_DEP_1) | instskip(NEXT) | instid1(VALU_DEP_1)
	v_add_f32_e32 v44, v48, v44
	v_add_f32_e32 v56, v44, v45
.LBB633_19:                             ;   in Loop: Header=BB633_21 Depth=2
	s_or_b32 exec_lo, exec_lo, s52
	s_wait_loadcnt 0x2
	v_dual_lshlrev_b32 v45, 16, v62 :: v_dual_lshlrev_b32 v44, 16, v61
	s_delay_alu instid0(VALU_DEP_1) | instskip(SKIP_1) | instid1(VALU_DEP_1)
	v_pk_mul_f32 v[42:43], v[42:43], v[44:45]
	s_wait_loadcnt 0x0
	v_dual_add_f32 v42, v55, v42 :: v_dual_lshlrev_b32 v45, 16, v60
	s_delay_alu instid0(VALU_DEP_1) | instskip(SKIP_1) | instid1(VALU_DEP_1)
	v_add_f32_e32 v42, v42, v43
	v_lshlrev_b32_e32 v44, 16, v59
	v_pk_mul_f32 v[40:41], v[40:41], v[44:45]
	s_delay_alu instid0(VALU_DEP_1) | instskip(NEXT) | instid1(VALU_DEP_1)
	v_add_f32_e32 v40, v42, v40
	v_add_f32_e32 v55, v40, v41
.LBB633_20:                             ;   in Loop: Header=BB633_21 Depth=2
	s_or_b32 exec_lo, exec_lo, s9
	v_add_nc_u32_e32 v0, 16, v0
	v_add_nc_u64_e32 v[24:25], s[16:17], v[24:25]
	v_add_nc_u64_e32 v[26:27], s[42:43], v[26:27]
	;; [unrolled: 1-line block ×7, first 2 shown]
	v_cmp_le_i32_e32 vcc_lo, s49, v0
	v_add_nc_u64_e32 v[38:39], s[42:43], v[38:39]
	s_or_b32 s8, vcc_lo, s8
	s_delay_alu instid0(SALU_CYCLE_1)
	s_and_not1_b32 exec_lo, exec_lo, s8
	s_cbranch_execz .LBB633_26
.LBB633_21:                             ;   Parent Loop BB633_5 Depth=1
                                        ; =>  This Inner Loop Header: Depth=2
	s_and_saveexec_b32 s9, s1
	s_cbranch_execz .LBB633_20
; %bb.22:                               ;   in Loop: Header=BB633_21 Depth=2
	v_add_nc_u64_e32 v[40:41], s[10:11], v[24:25]
	v_add_nc_u64_e32 v[42:43], s[10:11], v[36:37]
	;; [unrolled: 1-line block ×7, first 2 shown]
	global_load_u16 v63, v[40:41], off
	global_load_u16 v68, v[42:43], off
	v_add_nc_u64_e32 v[48:49], v[26:27], v[14:15]
	global_load_u16 v40, v[66:67], off
	global_load_u16 v69, v[64:65], off
	;; [unrolled: 1-line block ×6, first 2 shown]
	s_wait_loadcnt 0x4
	v_dual_lshlrev_b32 v41, 16, v40 :: v_dual_lshlrev_b32 v40, 16, v69
	s_wait_xcnt 0x6
	v_dual_lshlrev_b32 v43, 16, v68 :: v_dual_lshlrev_b32 v42, 16, v63
	s_wait_xcnt 0x0
	s_and_saveexec_b32 s52, s3
	s_cbranch_execz .LBB633_19
; %bb.23:                               ;   in Loop: Header=BB633_21 Depth=2
	global_load_u16 v65, v[46:47], off offset:128
	global_load_u16 v66, v[50:51], off offset:128
	global_load_u16 v63, v[44:45], off offset:128
	global_load_u16 v64, v[48:49], off offset:128
	s_wait_xcnt 0x0
	s_and_saveexec_b32 s53, s4
	s_cbranch_execz .LBB633_18
; %bb.24:                               ;   in Loop: Header=BB633_21 Depth=2
	global_load_u16 v69, v[46:47], off offset:256
	global_load_u16 v70, v[50:51], off offset:256
	global_load_u16 v67, v[44:45], off offset:256
	global_load_u16 v68, v[48:49], off offset:256
	;; [unrolled: 8-line block ×3, first 2 shown]
	s_wait_loadcnt 0x3
	s_wait_xcnt 0x0
	v_lshlrev_b32_e32 v45, 16, v50
	s_wait_loadcnt 0x1
	v_dual_lshlrev_b32 v44, 16, v46 :: v_dual_lshlrev_b32 v47, 16, v47
	s_wait_loadcnt 0x0
	v_lshlrev_b32_e32 v46, 16, v48
	s_delay_alu instid0(VALU_DEP_2) | instskip(NEXT) | instid1(VALU_DEP_1)
	v_pk_mul_f32 v[44:45], v[42:43], v[44:45]
	v_add_f32_e32 v44, v58, v44
	s_delay_alu instid0(VALU_DEP_1) | instskip(NEXT) | instid1(VALU_DEP_4)
	v_add_f32_e32 v48, v44, v45
	v_pk_mul_f32 v[44:45], v[40:41], v[46:47]
	s_delay_alu instid0(VALU_DEP_1) | instskip(NEXT) | instid1(VALU_DEP_1)
	v_add_f32_e32 v44, v48, v44
	v_add_f32_e32 v58, v44, v45
	s_branch .LBB633_17
.LBB633_26:                             ;   in Loop: Header=BB633_5 Depth=1
	s_or_b32 exec_lo, exec_lo, s8
.LBB633_27:                             ;   in Loop: Header=BB633_5 Depth=1
	s_delay_alu instid0(SALU_CYCLE_1) | instskip(NEXT) | instid1(SALU_CYCLE_1)
	s_or_b32 exec_lo, exec_lo, s7
	s_and_not1_b32 vcc_lo, exec_lo, s36
	s_cbranch_vccnz .LBB633_45
; %bb.28:                               ;   in Loop: Header=BB633_5 Depth=1
	v_dual_mov_b32 v24, 0 :: v_dual_bitop2_b32 v28, 1, v0 bitop3:0x54
	v_cmp_gt_i32_e32 vcc_lo, s37, v0
	s_delay_alu instid0(VALU_DEP_2)
	v_dual_mov_b32 v25, v24 :: v_dual_mov_b32 v26, v24
	v_mov_b32_e32 v27, v24
	s_and_saveexec_b32 s52, vcc_lo
	s_cbranch_execz .LBB633_36
; %bb.29:                               ;   in Loop: Header=BB633_5 Depth=1
	v_mul_u64_e32 v[24:25], s[20:21], v[0:1]
	s_mul_u64 s[8:9], s[22:23], s[34:35]
	v_mov_b32_e32 v27, 0
	s_lshl_b64 s[8:9], s[8:9], 1
	s_mov_b32 s53, exec_lo
	s_add_nc_u64 s[8:9], s[26:27], s[8:9]
	s_delay_alu instid0(VALU_DEP_2) | instid1(SALU_CYCLE_1)
	v_lshl_add_u64 v[24:25], v[24:25], 1, s[8:9]
	global_load_u16 v30, v[24:25], off
	s_wait_xcnt 0x0
	v_dual_mov_b32 v25, 0 :: v_dual_mov_b32 v24, 0
	v_cmpx_gt_i32_e64 s37, v28
	s_cbranch_execz .LBB633_35
; %bb.30:                               ;   in Loop: Header=BB633_5 Depth=1
	v_dual_mov_b32 v29, v1 :: v_dual_bitop2_b32 v26, 2, v0 bitop3:0x54
	s_mov_b32 s54, exec_lo
	s_delay_alu instid0(VALU_DEP_1) | instskip(NEXT) | instid1(VALU_DEP_1)
	v_mul_u64_e32 v[24:25], s[20:21], v[28:29]
	v_lshl_add_u64 v[24:25], v[24:25], 1, s[8:9]
	global_load_u16 v29, v[24:25], off
	s_wait_xcnt 0x0
	v_dual_mov_b32 v25, 0 :: v_dual_mov_b32 v24, 0
	v_cmpx_gt_i32_e64 s37, v26
	s_cbranch_execz .LBB633_34
; %bb.31:                               ;   in Loop: Header=BB633_5 Depth=1
	v_mov_b32_e32 v27, v1
	s_mov_b32 s55, exec_lo
	s_delay_alu instid0(VALU_DEP_1) | instskip(NEXT) | instid1(VALU_DEP_1)
	v_mul_u64_e32 v[24:25], s[20:21], v[26:27]
	v_lshl_add_u64 v[24:25], v[24:25], 1, s[8:9]
	global_load_u16 v26, v[24:25], off
	s_wait_xcnt 0x0
	v_dual_mov_b32 v25, 0 :: v_dual_bitop2_b32 v24, 3, v0 bitop3:0x54
	s_delay_alu instid0(VALU_DEP_1)
	v_cmpx_gt_i32_e64 s37, v24
	s_cbranch_execz .LBB633_33
; %bb.32:                               ;   in Loop: Header=BB633_5 Depth=1
	v_mov_b32_e32 v25, v1
	s_delay_alu instid0(VALU_DEP_1) | instskip(NEXT) | instid1(VALU_DEP_1)
	v_mul_u64_e32 v[24:25], s[20:21], v[24:25]
	v_lshl_add_u64 v[24:25], v[24:25], 1, s[8:9]
	global_load_u16 v24, v[24:25], off
	s_wait_loadcnt 0x0
	s_wait_xcnt 0x0
	v_lshlrev_b32_e32 v25, 16, v24
.LBB633_33:                             ;   in Loop: Header=BB633_5 Depth=1
	s_or_b32 exec_lo, exec_lo, s55
	s_wait_loadcnt 0x0
	v_lshlrev_b32_e32 v24, 16, v26
.LBB633_34:                             ;   in Loop: Header=BB633_5 Depth=1
	s_or_b32 exec_lo, exec_lo, s54
	s_wait_loadcnt 0x0
	v_lshlrev_b32_e32 v27, 16, v29
.LBB633_35:                             ;   in Loop: Header=BB633_5 Depth=1
	s_or_b32 exec_lo, exec_lo, s53
	s_wait_loadcnt 0x0
	v_lshlrev_b32_e32 v26, 16, v30
.LBB633_36:                             ;   in Loop: Header=BB633_5 Depth=1
	s_or_b32 exec_lo, exec_lo, s52
	s_and_saveexec_b32 s52, s1
	s_cbranch_execz .LBB633_44
; %bb.37:                               ;   in Loop: Header=BB633_5 Depth=1
	v_dual_mov_b32 v29, v1 :: v_dual_bitop2_b32 v30, 2, v0 bitop3:0x54
	v_mov_b32_e32 v31, v1
	v_mul_u64_e32 v[32:33], s[12:13], v[0:1]
	v_or_b32_e32 v0, 3, v0
	s_delay_alu instid0(VALU_DEP_4)
	v_mul_u64_e32 v[34:35], s[12:13], v[28:29]
	s_mul_u64 s[8:9], s[14:15], s[34:35]
	v_mul_u64_e32 v[36:37], s[12:13], v[30:31]
	v_cmp_gt_i32_e64 s7, s37, v28
	v_mul_u64_e32 v[38:39], s[12:13], v[0:1]
	s_lshl_b64 s[54:55], s[8:9], 1
	v_cmp_gt_i32_e64 s8, s37, v30
	v_cmp_gt_i32_e64 s9, s37, v0
	v_dual_cndmask_b32 v29, 0, v33 :: v_dual_cndmask_b32 v28, 0, v32
	v_dual_cndmask_b32 v31, 0, v35, s7 :: v_dual_cndmask_b32 v30, 0, v34, s7
	s_delay_alu instid0(VALU_DEP_4) | instskip(NEXT) | instid1(VALU_DEP_4)
	v_dual_cndmask_b32 v33, 0, v37, s8 :: v_dual_cndmask_b32 v32, 0, v36, s8
	v_dual_cndmask_b32 v35, 0, v39, s9 :: v_dual_cndmask_b32 v34, 0, v38, s9
	s_add_nc_u64 s[8:9], s[18:19], s[54:55]
	s_delay_alu instid0(VALU_DEP_3) | instid1(SALU_CYCLE_1)
	v_lshl_add_u64 v[30:31], v[30:31], 1, s[8:9]
	s_delay_alu instid0(VALU_DEP_3) | instskip(NEXT) | instid1(VALU_DEP_3)
	v_lshl_add_u64 v[32:33], v[32:33], 1, s[8:9]
	v_lshl_add_u64 v[34:35], v[34:35], 1, s[8:9]
	;; [unrolled: 1-line block ×3, first 2 shown]
	s_delay_alu instid0(VALU_DEP_4) | instskip(NEXT) | instid1(VALU_DEP_4)
	v_add_nc_u64_e32 v[28:29], v[30:31], v[14:15]
	v_add_nc_u64_e32 v[30:31], v[32:33], v[14:15]
	s_delay_alu instid0(VALU_DEP_4) | instskip(NEXT) | instid1(VALU_DEP_4)
	v_add_nc_u64_e32 v[32:33], v[34:35], v[14:15]
	v_add_nc_u64_e32 v[34:35], v[36:37], v[14:15]
	s_clause 0x3
	global_load_u16 v37, v[28:29], off
	global_load_u16 v0, v[30:31], off
	global_load_u16 v36, v[32:33], off
	global_load_u16 v38, v[34:35], off
	s_wait_xcnt 0x0
	s_and_saveexec_b32 s7, s3
	s_cbranch_execz .LBB633_43
; %bb.38:                               ;   in Loop: Header=BB633_5 Depth=1
	s_clause 0x3
	global_load_u16 v41, v[34:35], off offset:128
	global_load_u16 v42, v[28:29], off offset:128
	global_load_u16 v39, v[30:31], off offset:128
	global_load_u16 v40, v[32:33], off offset:128
	s_wait_xcnt 0x0
	s_and_saveexec_b32 s8, s4
	s_cbranch_execz .LBB633_42
; %bb.39:                               ;   in Loop: Header=BB633_5 Depth=1
	s_clause 0x3
	global_load_u16 v45, v[34:35], off offset:256
	global_load_u16 v46, v[28:29], off offset:256
	global_load_u16 v43, v[30:31], off offset:256
	global_load_u16 v44, v[32:33], off offset:256
	;; [unrolled: 9-line block ×3, first 2 shown]
	s_wait_loadcnt 0x2
	s_wait_xcnt 0x3
	v_dual_lshlrev_b32 v29, 16, v47 :: v_dual_lshlrev_b32 v28, 16, v48
	s_delay_alu instid0(VALU_DEP_1) | instskip(SKIP_2) | instid1(VALU_DEP_1)
	v_pk_mul_f32 v[28:29], v[26:27], v[28:29]
	s_wait_loadcnt 0x1
	s_wait_xcnt 0x0
	v_dual_add_f32 v28, v58, v28 :: v_dual_lshlrev_b32 v31, 16, v49
	s_wait_loadcnt 0x0
	s_delay_alu instid0(VALU_DEP_1) | instskip(NEXT) | instid1(VALU_DEP_1)
	v_dual_lshlrev_b32 v30, 16, v50 :: v_dual_add_f32 v32, v28, v29
	v_pk_mul_f32 v[28:29], v[24:25], v[30:31]
	s_delay_alu instid0(VALU_DEP_1) | instskip(NEXT) | instid1(VALU_DEP_1)
	v_add_f32_e32 v28, v32, v28
	v_add_f32_e32 v58, v28, v29
.LBB633_41:                             ;   in Loop: Header=BB633_5 Depth=1
	s_or_b32 exec_lo, exec_lo, s9
	s_wait_loadcnt 0x2
	v_dual_lshlrev_b32 v29, 16, v46 :: v_dual_lshlrev_b32 v28, 16, v45
	s_wait_loadcnt 0x0
	v_dual_lshlrev_b32 v31, 16, v44 :: v_dual_lshlrev_b32 v30, 16, v43
	s_delay_alu instid0(VALU_DEP_2) | instskip(NEXT) | instid1(VALU_DEP_1)
	v_pk_mul_f32 v[28:29], v[26:27], v[28:29]
	v_add_f32_e32 v28, v57, v28
	s_delay_alu instid0(VALU_DEP_1) | instskip(NEXT) | instid1(VALU_DEP_4)
	v_add_f32_e32 v32, v28, v29
	v_pk_mul_f32 v[28:29], v[24:25], v[30:31]
	s_delay_alu instid0(VALU_DEP_1) | instskip(NEXT) | instid1(VALU_DEP_1)
	v_add_f32_e32 v28, v32, v28
	v_add_f32_e32 v57, v28, v29
.LBB633_42:                             ;   in Loop: Header=BB633_5 Depth=1
	s_or_b32 exec_lo, exec_lo, s8
	s_wait_loadcnt 0x2
	v_dual_lshlrev_b32 v29, 16, v42 :: v_dual_lshlrev_b32 v28, 16, v41
	s_wait_loadcnt 0x0
	v_dual_lshlrev_b32 v31, 16, v40 :: v_dual_lshlrev_b32 v30, 16, v39
	s_delay_alu instid0(VALU_DEP_2) | instskip(NEXT) | instid1(VALU_DEP_1)
	v_pk_mul_f32 v[28:29], v[26:27], v[28:29]
	v_add_f32_e32 v28, v56, v28
	s_delay_alu instid0(VALU_DEP_1) | instskip(NEXT) | instid1(VALU_DEP_4)
	v_add_f32_e32 v32, v28, v29
	v_pk_mul_f32 v[28:29], v[24:25], v[30:31]
	s_delay_alu instid0(VALU_DEP_1) | instskip(NEXT) | instid1(VALU_DEP_1)
	v_add_f32_e32 v28, v32, v28
	v_add_f32_e32 v56, v28, v29
.LBB633_43:                             ;   in Loop: Header=BB633_5 Depth=1
	s_or_b32 exec_lo, exec_lo, s7
	s_wait_loadcnt 0x0
	v_dual_lshlrev_b32 v29, 16, v37 :: v_dual_lshlrev_b32 v28, 16, v38
	s_delay_alu instid0(VALU_DEP_1) | instskip(NEXT) | instid1(VALU_DEP_1)
	v_pk_mul_f32 v[26:27], v[26:27], v[28:29]
	v_dual_add_f32 v26, v55, v26 :: v_dual_lshlrev_b32 v29, 16, v36
	s_delay_alu instid0(VALU_DEP_1) | instskip(NEXT) | instid1(VALU_DEP_1)
	v_dual_lshlrev_b32 v28, 16, v0 :: v_dual_add_f32 v0, v26, v27
	v_pk_mul_f32 v[24:25], v[24:25], v[28:29]
	s_delay_alu instid0(VALU_DEP_1) | instskip(NEXT) | instid1(VALU_DEP_1)
	v_add_f32_e32 v0, v0, v24
	v_add_f32_e32 v55, v0, v25
.LBB633_44:                             ;   in Loop: Header=BB633_5 Depth=1
	s_or_b32 exec_lo, exec_lo, s52
.LBB633_45:                             ;   in Loop: Header=BB633_5 Depth=1
	ds_store_2addr_stride64_b32 v53, v55, v56 offset1:1
	ds_store_2addr_stride64_b32 v53, v57, v58 offset0:2 offset1:3
	s_wait_dscnt 0x0
	s_barrier_signal -1
	s_barrier_wait -1
                                        ; implicit-def: $vgpr0
	s_and_saveexec_b32 s7, s0
	s_cbranch_execz .LBB633_51
; %bb.46:                               ;   in Loop: Header=BB633_5 Depth=1
	ds_load_2addr_stride64_b32 v[24:25], v54 offset1:4
	ds_load_2addr_stride64_b32 v[26:27], v54 offset0:8 offset1:12
	s_mov_b32 s9, s51
	s_wait_dscnt 0x1
	v_add_f32_e32 v0, v24, v25
	s_wait_dscnt 0x0
	s_delay_alu instid0(VALU_DEP_1) | instskip(NEXT) | instid1(VALU_DEP_1)
	v_add_f32_e32 v0, v26, v0
	v_add_f32_e32 v24, v27, v0
                                        ; implicit-def: $vgpr0
	ds_store_b32 v54, v24
	s_and_saveexec_b32 s8, s2
	s_cbranch_execz .LBB633_50
; %bb.47:                               ;   in Loop: Header=BB633_5 Depth=1
	v_mul_f32_e32 v0, s38, v24
	s_and_not1_b32 vcc_lo, exec_lo, s48
	s_cbranch_vccnz .LBB633_49
; %bb.48:                               ;   in Loop: Header=BB633_5 Depth=1
	v_lshl_add_u64 v[24:25], v[6:7], 2, s[44:45]
	global_load_b32 v24, v[24:25], off
	s_wait_loadcnt 0x0
	v_fmac_f32_e32 v0, s39, v24
.LBB633_49:                             ;   in Loop: Header=BB633_5 Depth=1
	s_or_b32 s9, s51, exec_lo
.LBB633_50:                             ;   in Loop: Header=BB633_5 Depth=1
	s_wait_xcnt 0x0
	s_or_b32 exec_lo, exec_lo, s8
	s_delay_alu instid0(SALU_CYCLE_1) | instskip(SKIP_1) | instid1(SALU_CYCLE_1)
	s_and_not1_b32 s8, s51, exec_lo
	s_and_b32 s9, s9, exec_lo
	s_or_b32 s51, s8, s9
.LBB633_51:                             ;   in Loop: Header=BB633_5 Depth=1
	s_or_b32 exec_lo, exec_lo, s7
	v_mov_b64_e32 v[24:25], v[6:7]
	s_and_saveexec_b32 s7, s51
	s_cbranch_execz .LBB633_3
.LBB633_52:                             ;   in Loop: Header=BB633_5 Depth=1
	s_delay_alu instid0(VALU_DEP_1)
	v_lshl_add_u64 v[24:25], v[24:25], 2, s[44:45]
	global_store_b32 v[24:25], v0, off
	s_branch .LBB633_3
.LBB633_53:
	s_sendmsg sendmsg(MSG_DEALLOC_VGPRS)
	s_endpgm
	.section	.rodata,"a",@progbits
	.p2align	6, 0x0
	.amdhsa_kernel _ZL20rocblas_gemvn_kernelILi64ELi4El16rocblas_bfloat16ffEviiT3_lPKT2_lT1_lS4_lS5_lS1_lPT4_lS5_li
		.amdhsa_group_segment_fixed_size 4096
		.amdhsa_private_segment_fixed_size 0
		.amdhsa_kernarg_size 400
		.amdhsa_user_sgpr_count 2
		.amdhsa_user_sgpr_dispatch_ptr 0
		.amdhsa_user_sgpr_queue_ptr 0
		.amdhsa_user_sgpr_kernarg_segment_ptr 1
		.amdhsa_user_sgpr_dispatch_id 0
		.amdhsa_user_sgpr_kernarg_preload_length 0
		.amdhsa_user_sgpr_kernarg_preload_offset 0
		.amdhsa_user_sgpr_private_segment_size 0
		.amdhsa_wavefront_size32 1
		.amdhsa_uses_dynamic_stack 0
		.amdhsa_enable_private_segment 0
		.amdhsa_system_sgpr_workgroup_id_x 1
		.amdhsa_system_sgpr_workgroup_id_y 0
		.amdhsa_system_sgpr_workgroup_id_z 1
		.amdhsa_system_sgpr_workgroup_info 0
		.amdhsa_system_vgpr_workitem_id 1
		.amdhsa_next_free_vgpr 71
		.amdhsa_next_free_sgpr 56
		.amdhsa_named_barrier_count 0
		.amdhsa_reserve_vcc 1
		.amdhsa_float_round_mode_32 0
		.amdhsa_float_round_mode_16_64 0
		.amdhsa_float_denorm_mode_32 3
		.amdhsa_float_denorm_mode_16_64 3
		.amdhsa_fp16_overflow 0
		.amdhsa_memory_ordered 1
		.amdhsa_forward_progress 1
		.amdhsa_inst_pref_size 24
		.amdhsa_round_robin_scheduling 0
		.amdhsa_exception_fp_ieee_invalid_op 0
		.amdhsa_exception_fp_denorm_src 0
		.amdhsa_exception_fp_ieee_div_zero 0
		.amdhsa_exception_fp_ieee_overflow 0
		.amdhsa_exception_fp_ieee_underflow 0
		.amdhsa_exception_fp_ieee_inexact 0
		.amdhsa_exception_int_div_zero 0
	.end_amdhsa_kernel
	.section	.text._ZL20rocblas_gemvn_kernelILi64ELi4El16rocblas_bfloat16ffEviiT3_lPKT2_lT1_lS4_lS5_lS1_lPT4_lS5_li,"axG",@progbits,_ZL20rocblas_gemvn_kernelILi64ELi4El16rocblas_bfloat16ffEviiT3_lPKT2_lT1_lS4_lS5_lS1_lPT4_lS5_li,comdat
.Lfunc_end633:
	.size	_ZL20rocblas_gemvn_kernelILi64ELi4El16rocblas_bfloat16ffEviiT3_lPKT2_lT1_lS4_lS5_lS1_lPT4_lS5_li, .Lfunc_end633-_ZL20rocblas_gemvn_kernelILi64ELi4El16rocblas_bfloat16ffEviiT3_lPKT2_lT1_lS4_lS5_lS1_lPT4_lS5_li
                                        ; -- End function
	.set _ZL20rocblas_gemvn_kernelILi64ELi4El16rocblas_bfloat16ffEviiT3_lPKT2_lT1_lS4_lS5_lS1_lPT4_lS5_li.num_vgpr, 71
	.set _ZL20rocblas_gemvn_kernelILi64ELi4El16rocblas_bfloat16ffEviiT3_lPKT2_lT1_lS4_lS5_lS1_lPT4_lS5_li.num_agpr, 0
	.set _ZL20rocblas_gemvn_kernelILi64ELi4El16rocblas_bfloat16ffEviiT3_lPKT2_lT1_lS4_lS5_lS1_lPT4_lS5_li.numbered_sgpr, 56
	.set _ZL20rocblas_gemvn_kernelILi64ELi4El16rocblas_bfloat16ffEviiT3_lPKT2_lT1_lS4_lS5_lS1_lPT4_lS5_li.num_named_barrier, 0
	.set _ZL20rocblas_gemvn_kernelILi64ELi4El16rocblas_bfloat16ffEviiT3_lPKT2_lT1_lS4_lS5_lS1_lPT4_lS5_li.private_seg_size, 0
	.set _ZL20rocblas_gemvn_kernelILi64ELi4El16rocblas_bfloat16ffEviiT3_lPKT2_lT1_lS4_lS5_lS1_lPT4_lS5_li.uses_vcc, 1
	.set _ZL20rocblas_gemvn_kernelILi64ELi4El16rocblas_bfloat16ffEviiT3_lPKT2_lT1_lS4_lS5_lS1_lPT4_lS5_li.uses_flat_scratch, 0
	.set _ZL20rocblas_gemvn_kernelILi64ELi4El16rocblas_bfloat16ffEviiT3_lPKT2_lT1_lS4_lS5_lS1_lPT4_lS5_li.has_dyn_sized_stack, 0
	.set _ZL20rocblas_gemvn_kernelILi64ELi4El16rocblas_bfloat16ffEviiT3_lPKT2_lT1_lS4_lS5_lS1_lPT4_lS5_li.has_recursion, 0
	.set _ZL20rocblas_gemvn_kernelILi64ELi4El16rocblas_bfloat16ffEviiT3_lPKT2_lT1_lS4_lS5_lS1_lPT4_lS5_li.has_indirect_call, 0
	.section	.AMDGPU.csdata,"",@progbits
; Kernel info:
; codeLenInByte = 2996
; TotalNumSgprs: 58
; NumVgprs: 71
; ScratchSize: 0
; MemoryBound: 0
; FloatMode: 240
; IeeeMode: 1
; LDSByteSize: 4096 bytes/workgroup (compile time only)
; SGPRBlocks: 0
; VGPRBlocks: 4
; NumSGPRsForWavesPerEU: 58
; NumVGPRsForWavesPerEU: 71
; NamedBarCnt: 0
; Occupancy: 12
; WaveLimiterHint : 1
; COMPUTE_PGM_RSRC2:SCRATCH_EN: 0
; COMPUTE_PGM_RSRC2:USER_SGPR: 2
; COMPUTE_PGM_RSRC2:TRAP_HANDLER: 0
; COMPUTE_PGM_RSRC2:TGID_X_EN: 1
; COMPUTE_PGM_RSRC2:TGID_Y_EN: 0
; COMPUTE_PGM_RSRC2:TGID_Z_EN: 1
; COMPUTE_PGM_RSRC2:TIDIG_COMP_CNT: 1
	.section	.text._ZL20rocblas_gemvn_kernelILi32ELi16Ei16rocblas_bfloat16PKffEviiT3_lPKT2_lT1_lS6_lS7_lS3_lPT4_lS7_li,"axG",@progbits,_ZL20rocblas_gemvn_kernelILi32ELi16Ei16rocblas_bfloat16PKffEviiT3_lPKT2_lT1_lS6_lS7_lS3_lPT4_lS7_li,comdat
	.globl	_ZL20rocblas_gemvn_kernelILi32ELi16Ei16rocblas_bfloat16PKffEviiT3_lPKT2_lT1_lS6_lS7_lS3_lPT4_lS7_li ; -- Begin function _ZL20rocblas_gemvn_kernelILi32ELi16Ei16rocblas_bfloat16PKffEviiT3_lPKT2_lT1_lS6_lS7_lS3_lPT4_lS7_li
	.p2align	8
	.type	_ZL20rocblas_gemvn_kernelILi32ELi16Ei16rocblas_bfloat16PKffEviiT3_lPKT2_lT1_lS6_lS7_lS3_lPT4_lS7_li,@function
_ZL20rocblas_gemvn_kernelILi32ELi16Ei16rocblas_bfloat16PKffEviiT3_lPKT2_lT1_lS6_lS7_lS3_lPT4_lS7_li: ; @_ZL20rocblas_gemvn_kernelILi32ELi16Ei16rocblas_bfloat16PKffEviiT3_lPKT2_lT1_lS6_lS7_lS3_lPT4_lS7_li
; %bb.0:
	s_load_b64 s[2:3], s[0:1], 0x9c
	s_wait_kmcnt 0x0
	s_lshr_b32 s4, s2, 16
	s_and_b32 s2, s2, 0xffff
	s_and_b32 s3, s3, 0xffff
	s_mul_i32 s2, s4, s2
	s_delay_alu instid0(SALU_CYCLE_1) | instskip(NEXT) | instid1(SALU_CYCLE_1)
	s_mul_i32 s2, s2, s3
	s_cmp_lg_u32 s2, 0x200
	s_cbranch_scc1 .LBB634_53
; %bb.1:
	s_load_b32 s31, s[0:1], 0x88
	s_bfe_u32 s2, ttmp6, 0x40014
	s_lshr_b32 s3, ttmp7, 16
	s_add_co_i32 s2, s2, 1
	s_bfe_u32 s5, ttmp6, 0x40008
	s_mul_i32 s4, s3, s2
	s_getreg_b32 s2, hwreg(HW_REG_IB_STS2, 6, 4)
	s_add_co_i32 s5, s5, s4
	s_cmp_eq_u32 s2, 0
	s_mov_b32 s35, 0
	s_cselect_b32 s34, s3, s5
	s_wait_kmcnt 0x0
	s_cmp_ge_u32 s34, s31
	s_cbranch_scc1 .LBB634_53
; %bb.2:
	s_clause 0x7
	s_load_b256 s[8:15], s[0:1], 0x8
	s_load_b96 s[28:30], s[0:1], 0x40
	s_load_b96 s[4:6], s[0:1], 0x70
	s_load_b64 s[36:37], s[0:1], 0x0
	s_load_b32 s33, s[0:1], 0x28
	s_load_b128 s[24:27], s[0:1], 0x30
	s_load_b256 s[16:23], s[0:1], 0x50
	s_load_b64 s[38:39], s[0:1], 0x80
	s_wait_xcnt 0x0
	s_bfe_u32 s0, ttmp6, 0x4000c
	v_and_b32_e32 v6, 0x3ff, v0
	s_add_co_i32 s0, s0, 1
	v_bfe_u32 v5, v0, 10, 10
	s_and_b32 s1, ttmp6, 15
	s_mul_i32 s0, ttmp9, s0
	s_delay_alu instid0(SALU_CYCLE_1) | instskip(NEXT) | instid1(VALU_DEP_1)
	s_add_co_i32 s7, s1, s0
	v_lshl_add_u32 v4, v5, 5, v6
	s_wait_kmcnt 0x0
	s_lshl_b64 s[0:1], s[14:15], 1
	s_lshl_b64 s[14:15], s[28:29], 1
	;; [unrolled: 1-line block ×3, first 2 shown]
	s_ashr_i32 s3, s6, 31
	s_cmp_eq_u32 s2, 0
	s_mov_b32 s2, s6
	s_cselect_b32 s7, ttmp9, s7
	s_mov_b32 s28, s36
	s_lshl_b32 s42, s7, 7
	s_delay_alu instid0(SALU_CYCLE_1)
	v_dual_mov_b32 v1, 0 :: v_dual_add_nc_u32 v0, s42, v4
	v_add_nc_u32_e32 v22, s42, v6
	s_ashr_i32 s29, s36, 31
	s_add_nc_u64 s[12:13], s[12:13], s[0:1]
	s_ashr_i32 s0, s37, 31
	v_mul_u64_e32 v[2:3], s[2:3], v[0:1]
	v_cmp_gt_i64_e32 vcc_lo, s[28:29], v[0:1]
	v_dual_lshlrev_b32 v0, 2, v5 :: v_dual_add_nc_u32 v7, 32, v22
	v_add_nc_u32_e32 v8, 64, v22
	s_lshr_b32 s0, s0, 26
	v_mul_lo_u32 v13, v5, s30
	s_add_co_i32 s43, s37, s0
	v_cmp_gt_i32_e64 s2, s36, v7
	v_add_nc_u32_e32 v7, 0x60, v22
	v_cmp_gt_i32_e64 s3, s36, v8
	v_dual_lshlrev_b32 v8, 2, v6 :: v_dual_bitop2_b32 v9, s42, v4 bitop3:0x54
	s_and_not1_b32 s43, s43, 63
	s_add_nc_u64 s[22:23], s[22:23], s[4:5]
	s_sub_co_i32 s4, s37, s43
	v_cmp_gt_u32_e64 s5, 0x80, v4
	s_cmp_gt_i32 s4, 0
	v_cmp_gt_i32_e64 s4, s36, v7
	v_mul_lo_u32 v4, s6, v9
	v_dual_lshlrev_b32 v32, 2, v13 :: v_dual_bitop2_b32 v7, 2, v0 bitop3:0x54
	v_or_b32_e32 v10, 3, v0
	v_mul_lo_u32 v11, s33, v0
	v_mul_lo_u32 v12, v5, s33
	s_delay_alu instid0(VALU_DEP_4)
	v_mad_u32 v24, s33, v7, v6
	v_mad_u32 v26, s30, v0, s30
	;; [unrolled: 1-line block ×3, first 2 shown]
	v_mul_lo_u32 v27, s30, v7
	v_mul_lo_u32 v28, s30, v10
	v_cmp_gt_i32_e64 s0, s43, v0
	v_cmp_gt_i32_e64 s1, s36, v22
	v_lshl_add_u32 v23, v5, 9, v8
	v_lshl_add_u32 v29, v5, 7, v8
	v_cmp_gt_i32_e64 s6, s36, v9
	v_ashrrev_i32_e32 v5, 31, v4
	v_add3_u32 v30, v11, s33, v6
	v_lshl_add_u32 v31, v12, 2, v6
	s_add_nc_u64 s[14:15], s[26:27], s[14:15]
	s_cselect_b32 s44, -1, 0
	s_and_b32 s36, s5, vcc_lo
	s_lshl_b32 s45, s33, 6
	s_lshl_b32 s46, s30, 6
	s_branch .LBB634_5
.LBB634_3:                              ;   in Loop: Header=BB634_5 Depth=1
	s_wait_xcnt 0x0
	s_or_b32 exec_lo, exec_lo, s7
.LBB634_4:                              ;   in Loop: Header=BB634_5 Depth=1
	s_add_co_i32 s34, s34, 0x10000
	s_delay_alu instid0(SALU_CYCLE_1)
	s_cmp_lt_u32 s34, s31
	s_cbranch_scc0 .LBB634_53
.LBB634_5:                              ; =>This Loop Header: Depth=1
                                        ;     Child Loop BB634_21 Depth 2
	s_wait_xcnt 0x1
	s_mul_u64 s[26:27], s[10:11], s[34:35]
	s_wait_xcnt 0x0
	s_mul_u64 s[28:29], s[20:21], s[34:35]
	s_lshl_b64 s[26:27], s[26:27], 2
	s_lshl_b64 s[28:29], s[28:29], 2
	s_add_nc_u64 s[26:27], s[8:9], s[26:27]
	s_add_nc_u64 s[28:29], s[18:19], s[28:29]
	s_clause 0x1
	global_load_b32 v33, v1, s[26:27]
	global_load_b32 v6, v1, s[28:29]
	s_wait_loadcnt 0x1
	v_cmp_eq_f32_e32 vcc_lo, 0, v33
	s_wait_loadcnt 0x0
	v_cmp_eq_f32_e64 s7, 1.0, v6
	v_readfirstlane_b32 s48, v6
	s_and_b32 s7, vcc_lo, s7
	s_delay_alu instid0(SALU_CYCLE_1)
	s_and_b32 vcc_lo, exec_lo, s7
	s_cbranch_vccnz .LBB634_4
; %bb.6:                                ;   in Loop: Header=BB634_5 Depth=1
	v_cmp_neq_f32_e32 vcc_lo, 0, v33
	s_wait_xcnt 0x1
	s_mul_u64 s[26:27], s[38:39], s[34:35]
	s_delay_alu instid0(SALU_CYCLE_1) | instskip(NEXT) | instid1(SALU_CYCLE_1)
	s_lshl_b64 s[26:27], s[26:27], 2
	s_add_nc_u64 s[26:27], s[22:23], s[26:27]
	s_cbranch_vccnz .LBB634_10
; %bb.7:                                ;   in Loop: Header=BB634_5 Depth=1
	s_mov_b32 s7, 0
	s_mov_b32 s47, 0
                                        ; implicit-def: $vgpr8
	s_wait_xcnt 0x0
	s_and_saveexec_b32 s28, s36
	s_cbranch_execz .LBB634_11
; %bb.8:                                ;   in Loop: Header=BB634_5 Depth=1
	s_cmp_eq_f32 s48, 0
	s_cbranch_scc1 .LBB634_13
; %bb.9:                                ;   in Loop: Header=BB634_5 Depth=1
	v_lshl_add_u64 v[6:7], v[2:3], 2, s[26:27]
	global_load_b32 v6, v[6:7], off
	s_wait_loadcnt 0x0
	v_mul_f32_e32 v8, s48, v6
	s_branch .LBB634_14
.LBB634_10:                             ;   in Loop: Header=BB634_5 Depth=1
	s_mov_b32 s47, 0
                                        ; implicit-def: $vgpr8
	s_cbranch_execz .LBB634_12
	s_branch .LBB634_15
.LBB634_11:                             ;   in Loop: Header=BB634_5 Depth=1
	s_or_b32 exec_lo, exec_lo, s28
	s_delay_alu instid0(SALU_CYCLE_1)
	s_and_b32 vcc_lo, exec_lo, s7
	s_cbranch_vccnz .LBB634_15
.LBB634_12:                             ;   in Loop: Header=BB634_5 Depth=1
	v_mov_b64_e32 v[6:7], v[2:3]
	s_wait_xcnt 0x0
	s_and_saveexec_b32 s7, s47
	s_cbranch_execz .LBB634_3
	s_branch .LBB634_52
.LBB634_13:                             ;   in Loop: Header=BB634_5 Depth=1
	v_mov_b32_e32 v8, 0
.LBB634_14:                             ;   in Loop: Header=BB634_5 Depth=1
	s_mov_b32 s47, exec_lo
	s_wait_xcnt 0x0
	s_or_b32 exec_lo, exec_lo, s28
	s_delay_alu instid0(SALU_CYCLE_1)
	s_and_b32 vcc_lo, exec_lo, s7
	s_cbranch_vccz .LBB634_12
.LBB634_15:                             ;   in Loop: Header=BB634_5 Depth=1
	s_wait_xcnt 0x0
	s_mul_u64 s[28:29], s[24:25], s[34:35]
	s_mul_u64 s[40:41], s[16:17], s[34:35]
	v_dual_mov_b32 v34, 0 :: v_dual_mov_b32 v38, v0
	v_dual_mov_b32 v35, 0 :: v_dual_mov_b32 v36, 0
	v_mov_b32_e32 v37, 0
	s_lshl_b64 s[28:29], s[28:29], 1
	s_lshl_b64 s[40:41], s[40:41], 1
	s_add_nc_u64 s[28:29], s[12:13], s[28:29]
	s_add_nc_u64 s[40:41], s[14:15], s[40:41]
	s_and_saveexec_b32 s7, s0
	s_cbranch_execz .LBB634_27
; %bb.16:                               ;   in Loop: Header=BB634_5 Depth=1
	v_dual_mov_b32 v34, 0 :: v_dual_mov_b32 v39, v31
	v_dual_mov_b32 v40, v25 :: v_dual_mov_b32 v41, v24
	v_dual_mov_b32 v42, v30 :: v_dual_mov_b32 v38, v0
	v_dual_mov_b32 v35, 0 :: v_dual_mov_b32 v36, 0
	v_mov_b32_e32 v37, 0
	s_mov_b32 s49, 0
	s_mov_b32 s50, 0
	s_branch .LBB634_21
.LBB634_17:                             ;   in Loop: Header=BB634_21 Depth=2
	s_or_b32 exec_lo, exec_lo, s54
	s_wait_loadcnt 0x2
	v_dual_lshlrev_b32 v11, 16, v50 :: v_dual_lshlrev_b32 v10, 16, v49
	s_delay_alu instid0(VALU_DEP_1) | instskip(SKIP_1) | instid1(VALU_DEP_1)
	v_pk_mul_f32 v[10:11], v[8:9], v[10:11]
	s_wait_loadcnt 0x0
	v_dual_add_f32 v10, v36, v10 :: v_dual_lshlrev_b32 v13, 16, v48
	s_delay_alu instid0(VALU_DEP_1) | instskip(SKIP_1) | instid1(VALU_DEP_1)
	v_add_f32_e32 v18, v10, v11
	v_lshlrev_b32_e32 v12, 16, v47
	v_pk_mul_f32 v[10:11], v[6:7], v[12:13]
	s_delay_alu instid0(VALU_DEP_1) | instskip(NEXT) | instid1(VALU_DEP_1)
	v_add_f32_e32 v10, v18, v10
	v_add_f32_e32 v36, v10, v11
.LBB634_18:                             ;   in Loop: Header=BB634_21 Depth=2
	s_or_b32 exec_lo, exec_lo, s53
	s_wait_loadcnt 0x2
	v_dual_lshlrev_b32 v11, 16, v17 :: v_dual_lshlrev_b32 v10, 16, v16
	s_delay_alu instid0(VALU_DEP_1) | instskip(SKIP_1) | instid1(VALU_DEP_1)
	v_pk_mul_f32 v[10:11], v[8:9], v[10:11]
	s_wait_loadcnt 0x0
	v_dual_add_f32 v10, v35, v10 :: v_dual_lshlrev_b32 v13, 16, v15
	s_delay_alu instid0(VALU_DEP_1) | instskip(NEXT) | instid1(VALU_DEP_1)
	v_dual_lshlrev_b32 v12, 16, v14 :: v_dual_add_f32 v14, v10, v11
	v_pk_mul_f32 v[10:11], v[6:7], v[12:13]
	s_delay_alu instid0(VALU_DEP_1) | instskip(NEXT) | instid1(VALU_DEP_1)
	v_add_f32_e32 v10, v14, v10
	v_add_f32_e32 v35, v10, v11
.LBB634_19:                             ;   in Loop: Header=BB634_21 Depth=2
	s_or_b32 exec_lo, exec_lo, s52
	s_wait_loadcnt 0x2
	v_dual_lshlrev_b32 v11, 16, v46 :: v_dual_lshlrev_b32 v10, 16, v45
	s_delay_alu instid0(VALU_DEP_1) | instskip(SKIP_2) | instid1(VALU_DEP_2)
	v_pk_mul_f32 v[8:9], v[8:9], v[10:11]
	s_wait_loadcnt 0x0
	v_dual_lshlrev_b32 v11, 16, v44 :: v_dual_lshlrev_b32 v10, 16, v43
	v_add_f32_e32 v8, v34, v8
	s_delay_alu instid0(VALU_DEP_2) | instskip(NEXT) | instid1(VALU_DEP_2)
	v_pk_mul_f32 v[6:7], v[6:7], v[10:11]
	v_add_f32_e32 v8, v8, v9
	s_delay_alu instid0(VALU_DEP_1) | instskip(NEXT) | instid1(VALU_DEP_1)
	v_add_f32_e32 v6, v8, v6
	v_add_f32_e32 v34, v6, v7
.LBB634_20:                             ;   in Loop: Header=BB634_21 Depth=2
	s_or_b32 exec_lo, exec_lo, s51
	v_dual_add_nc_u32 v38, 64, v38 :: v_dual_add_nc_u32 v41, s45, v41
	v_dual_add_nc_u32 v42, s45, v42 :: v_dual_add_nc_u32 v40, s45, v40
	v_add_nc_u32_e32 v39, s45, v39
	s_delay_alu instid0(VALU_DEP_3) | instskip(SKIP_2) | instid1(SALU_CYCLE_1)
	v_cmp_le_i32_e32 vcc_lo, s43, v38
	s_add_co_i32 s50, s50, s46
	s_or_b32 s49, vcc_lo, s49
	s_and_not1_b32 exec_lo, exec_lo, s49
	s_cbranch_execz .LBB634_26
.LBB634_21:                             ;   Parent Loop BB634_5 Depth=1
                                        ; =>  This Inner Loop Header: Depth=2
	s_and_saveexec_b32 s51, s1
	s_cbranch_execz .LBB634_20
; %bb.22:                               ;   in Loop: Header=BB634_21 Depth=2
	v_dual_add_nc_u32 v6, s50, v32 :: v_dual_add_nc_u32 v7, s50, v26
	v_dual_add_nc_u32 v8, s50, v27 :: v_dual_add_nc_u32 v9, s50, v28
	;; [unrolled: 1-line block ×3, first 2 shown]
	s_clause 0x3
	global_load_u16 v11, v6, s[40:41] scale_offset
	global_load_u16 v13, v7, s[40:41] scale_offset
	;; [unrolled: 1-line block ×4, first 2 shown]
	v_dual_add_nc_u32 v16, s42, v41 :: v_dual_add_nc_u32 v14, s42, v40
	s_clause 0x3
	global_load_u16 v45, v10, s[28:29] scale_offset
	global_load_u16 v46, v12, s[28:29] scale_offset
	;; [unrolled: 1-line block ×4, first 2 shown]
	s_wait_loadcnt 0x6
	s_wait_xcnt 0x4
	v_dual_lshlrev_b32 v8, 16, v11 :: v_dual_lshlrev_b32 v9, 16, v13
	s_wait_loadcnt 0x4
	v_dual_lshlrev_b32 v6, 16, v15 :: v_dual_lshlrev_b32 v7, 16, v17
	s_wait_xcnt 0x0
	s_and_saveexec_b32 s52, s2
	s_cbranch_execz .LBB634_19
; %bb.23:                               ;   in Loop: Header=BB634_21 Depth=2
	v_dual_ashrrev_i32 v11, 31, v10 :: v_dual_ashrrev_i32 v13, 31, v12
	v_dual_ashrrev_i32 v17, 31, v16 :: v_dual_ashrrev_i32 v15, 31, v14
	s_delay_alu instid0(VALU_DEP_2) | instskip(NEXT) | instid1(VALU_DEP_3)
	v_lshl_add_u64 v[18:19], v[10:11], 1, s[28:29]
	v_lshl_add_u64 v[20:21], v[12:13], 1, s[28:29]
	s_delay_alu instid0(VALU_DEP_3) | instskip(NEXT) | instid1(VALU_DEP_4)
	v_lshl_add_u64 v[10:11], v[16:17], 1, s[28:29]
	v_lshl_add_u64 v[12:13], v[14:15], 1, s[28:29]
	s_clause 0x3
	global_load_u16 v16, v[18:19], off offset:64
	global_load_u16 v17, v[20:21], off offset:64
	;; [unrolled: 1-line block ×4, first 2 shown]
	s_wait_xcnt 0x0
	s_and_saveexec_b32 s53, s3
	s_cbranch_execz .LBB634_18
; %bb.24:                               ;   in Loop: Header=BB634_21 Depth=2
	s_clause 0x3
	global_load_u16 v49, v[18:19], off offset:128
	global_load_u16 v50, v[20:21], off offset:128
	;; [unrolled: 1-line block ×4, first 2 shown]
	s_wait_xcnt 0x0
	s_and_saveexec_b32 s54, s4
	s_cbranch_execz .LBB634_17
; %bb.25:                               ;   in Loop: Header=BB634_21 Depth=2
	s_clause 0x3
	global_load_u16 v20, v[20:21], off offset:192
	global_load_u16 v18, v[18:19], off offset:192
	;; [unrolled: 1-line block ×4, first 2 shown]
	s_wait_loadcnt 0x2
	s_wait_xcnt 0x0
	v_dual_lshlrev_b32 v11, 16, v20 :: v_dual_lshlrev_b32 v10, 16, v18
	s_delay_alu instid0(VALU_DEP_1) | instskip(SKIP_1) | instid1(VALU_DEP_1)
	v_pk_mul_f32 v[10:11], v[8:9], v[10:11]
	s_wait_loadcnt 0x1
	v_dual_add_f32 v10, v37, v10 :: v_dual_lshlrev_b32 v13, 16, v12
	s_delay_alu instid0(VALU_DEP_1) | instskip(SKIP_2) | instid1(VALU_DEP_1)
	v_add_f32_e32 v18, v10, v11
	s_wait_loadcnt 0x0
	v_lshlrev_b32_e32 v12, 16, v19
	v_pk_mul_f32 v[10:11], v[6:7], v[12:13]
	s_delay_alu instid0(VALU_DEP_1) | instskip(NEXT) | instid1(VALU_DEP_1)
	v_add_f32_e32 v10, v18, v10
	v_add_f32_e32 v37, v10, v11
	s_branch .LBB634_17
.LBB634_26:                             ;   in Loop: Header=BB634_5 Depth=1
	s_or_b32 exec_lo, exec_lo, s49
.LBB634_27:                             ;   in Loop: Header=BB634_5 Depth=1
	s_delay_alu instid0(SALU_CYCLE_1) | instskip(NEXT) | instid1(SALU_CYCLE_1)
	s_or_b32 exec_lo, exec_lo, s7
	s_and_not1_b32 vcc_lo, exec_lo, s44
	s_cbranch_vccnz .LBB634_45
; %bb.28:                               ;   in Loop: Header=BB634_5 Depth=1
	v_dual_mov_b32 v6, 0 :: v_dual_bitop2_b32 v10, 1, v38 bitop3:0x54
	v_cmp_gt_i32_e32 vcc_lo, s37, v38
	s_delay_alu instid0(VALU_DEP_2)
	v_dual_mov_b32 v7, v6 :: v_dual_mov_b32 v8, v6
	v_mov_b32_e32 v9, v6
	s_and_saveexec_b32 s49, vcc_lo
	s_cbranch_execz .LBB634_36
; %bb.29:                               ;   in Loop: Header=BB634_5 Depth=1
	v_mul_lo_u32 v6, v38, s30
	v_dual_mov_b32 v9, 0 :: v_dual_mov_b32 v7, 0
	s_mov_b32 s50, exec_lo
	global_load_u16 v8, v6, s[40:41] scale_offset
	s_wait_xcnt 0x0
	v_mov_b32_e32 v6, 0
	v_cmpx_gt_i32_e64 s37, v10
	s_cbranch_execz .LBB634_35
; %bb.30:                               ;   in Loop: Header=BB634_5 Depth=1
	v_mul_lo_u32 v6, v10, s30
	v_dual_mov_b32 v7, 0 :: v_dual_bitop2_b32 v11, 2, v38 bitop3:0x54
	s_mov_b32 s51, exec_lo
	global_load_u16 v9, v6, s[40:41] scale_offset
	s_wait_xcnt 0x0
	v_mov_b32_e32 v6, 0
	v_cmpx_gt_i32_e64 s37, v11
	s_cbranch_execz .LBB634_34
; %bb.31:                               ;   in Loop: Header=BB634_5 Depth=1
	v_mul_lo_u32 v6, v11, s30
	v_dual_mov_b32 v7, 0 :: v_dual_bitop2_b32 v11, 3, v38 bitop3:0x54
	s_mov_b32 s52, exec_lo
	global_load_u16 v6, v6, s[40:41] scale_offset
	s_wait_xcnt 0x0
	v_cmpx_gt_i32_e64 s37, v11
	s_cbranch_execz .LBB634_33
; %bb.32:                               ;   in Loop: Header=BB634_5 Depth=1
	v_mul_lo_u32 v7, v11, s30
	global_load_u16 v7, v7, s[40:41] scale_offset
	s_wait_loadcnt 0x0
	s_wait_xcnt 0x0
	v_lshlrev_b32_e32 v7, 16, v7
.LBB634_33:                             ;   in Loop: Header=BB634_5 Depth=1
	s_or_b32 exec_lo, exec_lo, s52
	s_wait_loadcnt 0x0
	v_lshlrev_b32_e32 v6, 16, v6
.LBB634_34:                             ;   in Loop: Header=BB634_5 Depth=1
	s_or_b32 exec_lo, exec_lo, s51
	s_wait_loadcnt 0x0
	v_lshlrev_b32_e32 v9, 16, v9
.LBB634_35:                             ;   in Loop: Header=BB634_5 Depth=1
	s_or_b32 exec_lo, exec_lo, s50
	s_wait_loadcnt 0x0
	v_lshlrev_b32_e32 v8, 16, v8
.LBB634_36:                             ;   in Loop: Header=BB634_5 Depth=1
	s_or_b32 exec_lo, exec_lo, s49
	s_and_saveexec_b32 s40, s1
	s_cbranch_execz .LBB634_44
; %bb.37:                               ;   in Loop: Header=BB634_5 Depth=1
	v_mul_lo_u32 v13, v10, s33
	v_cmp_gt_i32_e64 s7, s37, v10
	v_or_b32_e32 v11, 2, v38
	v_or_b32_e32 v12, 3, v38
	v_mul_lo_u32 v16, v38, s33
	s_delay_alu instid0(VALU_DEP_2) | instskip(SKIP_3) | instid1(VALU_DEP_1)
	v_mul_lo_u32 v15, v12, s33
	v_cndmask_b32_e64 v10, 0, v13, s7
	v_mul_lo_u32 v14, v11, s33
	v_cmp_gt_i32_e64 s7, s37, v11
	v_cndmask_b32_e64 v11, 0, v14, s7
	v_cmp_gt_i32_e64 s7, s37, v12
	s_delay_alu instid0(VALU_DEP_1) | instskip(NEXT) | instid1(VALU_DEP_3)
	v_dual_cndmask_b32 v13, 0, v15, s7 :: v_dual_cndmask_b32 v15, 0, v16, vcc_lo
	v_dual_add_nc_u32 v12, v10, v22 :: v_dual_add_nc_u32 v14, v11, v22
	s_delay_alu instid0(VALU_DEP_2)
	v_dual_add_nc_u32 v16, v13, v22 :: v_dual_add_nc_u32 v10, v15, v22
	s_clause 0x3
	global_load_u16 v20, v12, s[28:29] scale_offset
	global_load_u16 v18, v14, s[28:29] scale_offset
	;; [unrolled: 1-line block ×4, first 2 shown]
	s_wait_xcnt 0x0
	s_and_saveexec_b32 s7, s2
	s_cbranch_execz .LBB634_43
; %bb.38:                               ;   in Loop: Header=BB634_5 Depth=1
	v_dual_ashrrev_i32 v11, 31, v10 :: v_dual_ashrrev_i32 v13, 31, v12
	v_dual_ashrrev_i32 v15, 31, v14 :: v_dual_ashrrev_i32 v17, 31, v16
	s_delay_alu instid0(VALU_DEP_2) | instskip(NEXT) | instid1(VALU_DEP_3)
	v_lshl_add_u64 v[10:11], v[10:11], 1, s[28:29]
	v_lshl_add_u64 v[12:13], v[12:13], 1, s[28:29]
	s_delay_alu instid0(VALU_DEP_3) | instskip(NEXT) | instid1(VALU_DEP_4)
	v_lshl_add_u64 v[14:15], v[14:15], 1, s[28:29]
	v_lshl_add_u64 v[16:17], v[16:17], 1, s[28:29]
	s_clause 0x3
	global_load_u16 v40, v[10:11], off offset:64
	global_load_u16 v41, v[12:13], off offset:64
	;; [unrolled: 1-line block ×4, first 2 shown]
	s_wait_xcnt 0x0
	s_and_saveexec_b32 s28, s3
	s_cbranch_execz .LBB634_42
; %bb.39:                               ;   in Loop: Header=BB634_5 Depth=1
	s_clause 0x3
	global_load_u16 v44, v[10:11], off offset:128
	global_load_u16 v45, v[12:13], off offset:128
	;; [unrolled: 1-line block ×4, first 2 shown]
	s_wait_xcnt 0x0
	s_and_saveexec_b32 s29, s4
	s_cbranch_execz .LBB634_41
; %bb.40:                               ;   in Loop: Header=BB634_5 Depth=1
	s_clause 0x3
	global_load_u16 v46, v[12:13], off offset:192
	global_load_u16 v47, v[10:11], off offset:192
	;; [unrolled: 1-line block ×4, first 2 shown]
	s_wait_loadcnt 0x2
	s_wait_xcnt 0x2
	v_dual_lshlrev_b32 v11, 16, v46 :: v_dual_lshlrev_b32 v10, 16, v47
	s_delay_alu instid0(VALU_DEP_1) | instskip(SKIP_1) | instid1(VALU_DEP_1)
	v_pk_mul_f32 v[10:11], v[8:9], v[10:11]
	s_wait_loadcnt 0x1
	v_dual_add_f32 v10, v37, v10 :: v_dual_lshlrev_b32 v13, 16, v48
	s_wait_loadcnt 0x0
	s_wait_xcnt 0x0
	s_delay_alu instid0(VALU_DEP_1) | instskip(NEXT) | instid1(VALU_DEP_1)
	v_dual_lshlrev_b32 v12, 16, v49 :: v_dual_add_f32 v14, v10, v11
	v_pk_mul_f32 v[10:11], v[6:7], v[12:13]
	s_delay_alu instid0(VALU_DEP_1) | instskip(NEXT) | instid1(VALU_DEP_1)
	v_add_f32_e32 v10, v14, v10
	v_add_f32_e32 v37, v10, v11
.LBB634_41:                             ;   in Loop: Header=BB634_5 Depth=1
	s_or_b32 exec_lo, exec_lo, s29
	s_wait_loadcnt 0x2
	v_dual_lshlrev_b32 v11, 16, v45 :: v_dual_lshlrev_b32 v10, 16, v44
	s_delay_alu instid0(VALU_DEP_1) | instskip(SKIP_1) | instid1(VALU_DEP_1)
	v_pk_mul_f32 v[10:11], v[8:9], v[10:11]
	s_wait_loadcnt 0x0
	v_dual_add_f32 v10, v36, v10 :: v_dual_lshlrev_b32 v13, 16, v43
	s_delay_alu instid0(VALU_DEP_1) | instskip(NEXT) | instid1(VALU_DEP_1)
	v_dual_lshlrev_b32 v12, 16, v42 :: v_dual_add_f32 v14, v10, v11
	v_pk_mul_f32 v[10:11], v[6:7], v[12:13]
	s_delay_alu instid0(VALU_DEP_1) | instskip(NEXT) | instid1(VALU_DEP_1)
	v_add_f32_e32 v10, v14, v10
	v_add_f32_e32 v36, v10, v11
.LBB634_42:                             ;   in Loop: Header=BB634_5 Depth=1
	s_or_b32 exec_lo, exec_lo, s28
	s_wait_loadcnt 0x2
	v_dual_lshlrev_b32 v11, 16, v41 :: v_dual_lshlrev_b32 v10, 16, v40
	s_delay_alu instid0(VALU_DEP_1) | instskip(SKIP_1) | instid1(VALU_DEP_1)
	v_pk_mul_f32 v[10:11], v[8:9], v[10:11]
	s_wait_loadcnt 0x0
	v_dual_add_f32 v10, v35, v10 :: v_dual_lshlrev_b32 v13, 16, v39
	s_delay_alu instid0(VALU_DEP_1) | instskip(NEXT) | instid1(VALU_DEP_1)
	v_dual_lshlrev_b32 v12, 16, v38 :: v_dual_add_f32 v14, v10, v11
	v_pk_mul_f32 v[10:11], v[6:7], v[12:13]
	s_delay_alu instid0(VALU_DEP_1) | instskip(NEXT) | instid1(VALU_DEP_1)
	v_add_f32_e32 v10, v14, v10
	v_add_f32_e32 v35, v10, v11
.LBB634_43:                             ;   in Loop: Header=BB634_5 Depth=1
	s_or_b32 exec_lo, exec_lo, s7
	s_wait_loadcnt 0x0
	v_dual_lshlrev_b32 v11, 16, v20 :: v_dual_lshlrev_b32 v10, 16, v21
	s_delay_alu instid0(VALU_DEP_1) | instskip(NEXT) | instid1(VALU_DEP_1)
	v_pk_mul_f32 v[8:9], v[8:9], v[10:11]
	v_dual_add_f32 v8, v34, v8 :: v_dual_lshlrev_b32 v11, 16, v19
	s_delay_alu instid0(VALU_DEP_1) | instskip(NEXT) | instid1(VALU_DEP_1)
	v_dual_lshlrev_b32 v10, 16, v18 :: v_dual_add_f32 v8, v8, v9
	v_pk_mul_f32 v[6:7], v[6:7], v[10:11]
	s_delay_alu instid0(VALU_DEP_1) | instskip(NEXT) | instid1(VALU_DEP_1)
	v_add_f32_e32 v6, v8, v6
	v_add_f32_e32 v34, v6, v7
.LBB634_44:                             ;   in Loop: Header=BB634_5 Depth=1
	s_or_b32 exec_lo, exec_lo, s40
.LBB634_45:                             ;   in Loop: Header=BB634_5 Depth=1
	ds_store_2addr_b32 v23, v34, v35 offset1:32
	ds_store_2addr_b32 v23, v36, v37 offset0:64 offset1:96
	s_wait_dscnt 0x0
	s_barrier_signal -1
	s_barrier_wait -1
                                        ; implicit-def: $vgpr8
	s_and_saveexec_b32 s7, s5
	s_cbranch_execz .LBB634_51
; %bb.46:                               ;   in Loop: Header=BB634_5 Depth=1
	ds_load_2addr_stride64_b32 v[6:7], v29 offset1:2
	ds_load_2addr_stride64_b32 v[8:9], v29 offset0:4 offset1:6
	ds_load_2addr_stride64_b32 v[10:11], v29 offset0:8 offset1:10
	s_mov_b32 s29, s47
	s_wait_dscnt 0x2
	v_add_f32_e32 v12, v6, v7
	ds_load_2addr_stride64_b32 v[6:7], v29 offset0:12 offset1:14
	s_wait_dscnt 0x2
	v_add_f32_e32 v8, v8, v12
	s_delay_alu instid0(VALU_DEP_1) | instskip(SKIP_3) | instid1(VALU_DEP_1)
	v_add_f32_e32 v12, v9, v8
	ds_load_2addr_stride64_b32 v[8:9], v29 offset0:16 offset1:18
	s_wait_dscnt 0x2
	v_add_f32_e32 v10, v10, v12
	v_add_f32_e32 v12, v11, v10
	ds_load_2addr_stride64_b32 v[10:11], v29 offset0:20 offset1:22
	s_wait_dscnt 0x2
	v_add_f32_e32 v6, v6, v12
	s_delay_alu instid0(VALU_DEP_1) | instskip(SKIP_1) | instid1(VALU_DEP_1)
	v_add_f32_e32 v6, v7, v6
	s_wait_dscnt 0x1
	v_add_f32_e32 v8, v8, v6
	ds_load_2addr_stride64_b32 v[6:7], v29 offset0:24 offset1:26
	v_add_f32_e32 v8, v9, v8
	s_wait_dscnt 0x1
	s_delay_alu instid0(VALU_DEP_1) | instskip(SKIP_3) | instid1(VALU_DEP_1)
	v_add_f32_e32 v10, v10, v8
	ds_load_2addr_stride64_b32 v[8:9], v29 offset0:28 offset1:30
	v_add_f32_e32 v10, v11, v10
	s_wait_dscnt 0x1
	v_add_f32_e32 v6, v6, v10
	s_delay_alu instid0(VALU_DEP_1) | instskip(SKIP_1) | instid1(VALU_DEP_1)
	v_add_f32_e32 v6, v7, v6
	s_wait_dscnt 0x0
	v_add_f32_e32 v6, v8, v6
                                        ; implicit-def: $vgpr8
	s_delay_alu instid0(VALU_DEP_1)
	v_add_f32_e32 v6, v9, v6
	ds_store_b32 v29, v6
	s_and_saveexec_b32 s28, s6
	s_cbranch_execz .LBB634_50
; %bb.47:                               ;   in Loop: Header=BB634_5 Depth=1
	v_mul_f32_e32 v8, v33, v6
	s_cmp_eq_f32 s48, 0
	s_cbranch_scc1 .LBB634_49
; %bb.48:                               ;   in Loop: Header=BB634_5 Depth=1
	v_lshl_add_u64 v[6:7], v[4:5], 2, s[26:27]
	global_load_b32 v6, v[6:7], off
	s_wait_loadcnt 0x0
	v_fmac_f32_e32 v8, s48, v6
.LBB634_49:                             ;   in Loop: Header=BB634_5 Depth=1
	s_or_b32 s29, s47, exec_lo
.LBB634_50:                             ;   in Loop: Header=BB634_5 Depth=1
	s_wait_xcnt 0x0
	s_or_b32 exec_lo, exec_lo, s28
	s_delay_alu instid0(SALU_CYCLE_1) | instskip(SKIP_1) | instid1(SALU_CYCLE_1)
	s_and_not1_b32 s28, s47, exec_lo
	s_and_b32 s29, s29, exec_lo
	s_or_b32 s47, s28, s29
.LBB634_51:                             ;   in Loop: Header=BB634_5 Depth=1
	s_or_b32 exec_lo, exec_lo, s7
	v_mov_b64_e32 v[6:7], v[4:5]
	s_and_saveexec_b32 s7, s47
	s_cbranch_execz .LBB634_3
.LBB634_52:                             ;   in Loop: Header=BB634_5 Depth=1
	s_delay_alu instid0(VALU_DEP_1)
	v_lshl_add_u64 v[6:7], v[6:7], 2, s[26:27]
	global_store_b32 v[6:7], v8, off
	s_branch .LBB634_3
.LBB634_53:
	s_endpgm
	.section	.rodata,"a",@progbits
	.p2align	6, 0x0
	.amdhsa_kernel _ZL20rocblas_gemvn_kernelILi32ELi16Ei16rocblas_bfloat16PKffEviiT3_lPKT2_lT1_lS6_lS7_lS3_lPT4_lS7_li
		.amdhsa_group_segment_fixed_size 8192
		.amdhsa_private_segment_fixed_size 0
		.amdhsa_kernarg_size 400
		.amdhsa_user_sgpr_count 2
		.amdhsa_user_sgpr_dispatch_ptr 0
		.amdhsa_user_sgpr_queue_ptr 0
		.amdhsa_user_sgpr_kernarg_segment_ptr 1
		.amdhsa_user_sgpr_dispatch_id 0
		.amdhsa_user_sgpr_kernarg_preload_length 0
		.amdhsa_user_sgpr_kernarg_preload_offset 0
		.amdhsa_user_sgpr_private_segment_size 0
		.amdhsa_wavefront_size32 1
		.amdhsa_uses_dynamic_stack 0
		.amdhsa_enable_private_segment 0
		.amdhsa_system_sgpr_workgroup_id_x 1
		.amdhsa_system_sgpr_workgroup_id_y 0
		.amdhsa_system_sgpr_workgroup_id_z 1
		.amdhsa_system_sgpr_workgroup_info 0
		.amdhsa_system_vgpr_workitem_id 1
		.amdhsa_next_free_vgpr 51
		.amdhsa_next_free_sgpr 55
		.amdhsa_named_barrier_count 0
		.amdhsa_reserve_vcc 1
		.amdhsa_float_round_mode_32 0
		.amdhsa_float_round_mode_16_64 0
		.amdhsa_float_denorm_mode_32 3
		.amdhsa_float_denorm_mode_16_64 3
		.amdhsa_fp16_overflow 0
		.amdhsa_memory_ordered 1
		.amdhsa_forward_progress 1
		.amdhsa_inst_pref_size 26
		.amdhsa_round_robin_scheduling 0
		.amdhsa_exception_fp_ieee_invalid_op 0
		.amdhsa_exception_fp_denorm_src 0
		.amdhsa_exception_fp_ieee_div_zero 0
		.amdhsa_exception_fp_ieee_overflow 0
		.amdhsa_exception_fp_ieee_underflow 0
		.amdhsa_exception_fp_ieee_inexact 0
		.amdhsa_exception_int_div_zero 0
	.end_amdhsa_kernel
	.section	.text._ZL20rocblas_gemvn_kernelILi32ELi16Ei16rocblas_bfloat16PKffEviiT3_lPKT2_lT1_lS6_lS7_lS3_lPT4_lS7_li,"axG",@progbits,_ZL20rocblas_gemvn_kernelILi32ELi16Ei16rocblas_bfloat16PKffEviiT3_lPKT2_lT1_lS6_lS7_lS3_lPT4_lS7_li,comdat
.Lfunc_end634:
	.size	_ZL20rocblas_gemvn_kernelILi32ELi16Ei16rocblas_bfloat16PKffEviiT3_lPKT2_lT1_lS6_lS7_lS3_lPT4_lS7_li, .Lfunc_end634-_ZL20rocblas_gemvn_kernelILi32ELi16Ei16rocblas_bfloat16PKffEviiT3_lPKT2_lT1_lS6_lS7_lS3_lPT4_lS7_li
                                        ; -- End function
	.set _ZL20rocblas_gemvn_kernelILi32ELi16Ei16rocblas_bfloat16PKffEviiT3_lPKT2_lT1_lS6_lS7_lS3_lPT4_lS7_li.num_vgpr, 51
	.set _ZL20rocblas_gemvn_kernelILi32ELi16Ei16rocblas_bfloat16PKffEviiT3_lPKT2_lT1_lS6_lS7_lS3_lPT4_lS7_li.num_agpr, 0
	.set _ZL20rocblas_gemvn_kernelILi32ELi16Ei16rocblas_bfloat16PKffEviiT3_lPKT2_lT1_lS6_lS7_lS3_lPT4_lS7_li.numbered_sgpr, 55
	.set _ZL20rocblas_gemvn_kernelILi32ELi16Ei16rocblas_bfloat16PKffEviiT3_lPKT2_lT1_lS6_lS7_lS3_lPT4_lS7_li.num_named_barrier, 0
	.set _ZL20rocblas_gemvn_kernelILi32ELi16Ei16rocblas_bfloat16PKffEviiT3_lPKT2_lT1_lS6_lS7_lS3_lPT4_lS7_li.private_seg_size, 0
	.set _ZL20rocblas_gemvn_kernelILi32ELi16Ei16rocblas_bfloat16PKffEviiT3_lPKT2_lT1_lS6_lS7_lS3_lPT4_lS7_li.uses_vcc, 1
	.set _ZL20rocblas_gemvn_kernelILi32ELi16Ei16rocblas_bfloat16PKffEviiT3_lPKT2_lT1_lS6_lS7_lS3_lPT4_lS7_li.uses_flat_scratch, 0
	.set _ZL20rocblas_gemvn_kernelILi32ELi16Ei16rocblas_bfloat16PKffEviiT3_lPKT2_lT1_lS6_lS7_lS3_lPT4_lS7_li.has_dyn_sized_stack, 0
	.set _ZL20rocblas_gemvn_kernelILi32ELi16Ei16rocblas_bfloat16PKffEviiT3_lPKT2_lT1_lS6_lS7_lS3_lPT4_lS7_li.has_recursion, 0
	.set _ZL20rocblas_gemvn_kernelILi32ELi16Ei16rocblas_bfloat16PKffEviiT3_lPKT2_lT1_lS6_lS7_lS3_lPT4_lS7_li.has_indirect_call, 0
	.section	.AMDGPU.csdata,"",@progbits
; Kernel info:
; codeLenInByte = 3244
; TotalNumSgprs: 57
; NumVgprs: 51
; ScratchSize: 0
; MemoryBound: 0
; FloatMode: 240
; IeeeMode: 1
; LDSByteSize: 8192 bytes/workgroup (compile time only)
; SGPRBlocks: 0
; VGPRBlocks: 3
; NumSGPRsForWavesPerEU: 57
; NumVGPRsForWavesPerEU: 51
; NamedBarCnt: 0
; Occupancy: 16
; WaveLimiterHint : 1
; COMPUTE_PGM_RSRC2:SCRATCH_EN: 0
; COMPUTE_PGM_RSRC2:USER_SGPR: 2
; COMPUTE_PGM_RSRC2:TRAP_HANDLER: 0
; COMPUTE_PGM_RSRC2:TGID_X_EN: 1
; COMPUTE_PGM_RSRC2:TGID_Y_EN: 0
; COMPUTE_PGM_RSRC2:TGID_Z_EN: 1
; COMPUTE_PGM_RSRC2:TIDIG_COMP_CNT: 1
	.section	.text._ZL20rocblas_gemvn_kernelILi32ELi16El16rocblas_bfloat16PKffEviiT3_lPKT2_lT1_lS6_lS7_lS3_lPT4_lS7_li,"axG",@progbits,_ZL20rocblas_gemvn_kernelILi32ELi16El16rocblas_bfloat16PKffEviiT3_lPKT2_lT1_lS6_lS7_lS3_lPT4_lS7_li,comdat
	.globl	_ZL20rocblas_gemvn_kernelILi32ELi16El16rocblas_bfloat16PKffEviiT3_lPKT2_lT1_lS6_lS7_lS3_lPT4_lS7_li ; -- Begin function _ZL20rocblas_gemvn_kernelILi32ELi16El16rocblas_bfloat16PKffEviiT3_lPKT2_lT1_lS6_lS7_lS3_lPT4_lS7_li
	.p2align	8
	.type	_ZL20rocblas_gemvn_kernelILi32ELi16El16rocblas_bfloat16PKffEviiT3_lPKT2_lT1_lS6_lS7_lS3_lPT4_lS7_li,@function
_ZL20rocblas_gemvn_kernelILi32ELi16El16rocblas_bfloat16PKffEviiT3_lPKT2_lT1_lS6_lS7_lS3_lPT4_lS7_li: ; @_ZL20rocblas_gemvn_kernelILi32ELi16El16rocblas_bfloat16PKffEviiT3_lPKT2_lT1_lS6_lS7_lS3_lPT4_lS7_li
; %bb.0:
	s_load_b64 s[2:3], s[0:1], 0x9c
	s_wait_kmcnt 0x0
	s_lshr_b32 s4, s2, 16
	s_and_b32 s2, s2, 0xffff
	s_and_b32 s3, s3, 0xffff
	s_mul_i32 s2, s4, s2
	s_delay_alu instid0(SALU_CYCLE_1) | instskip(NEXT) | instid1(SALU_CYCLE_1)
	s_mul_i32 s2, s2, s3
	s_cmp_lg_u32 s2, 0x200
	s_cbranch_scc1 .LBB635_53
; %bb.1:
	s_load_b32 s33, s[0:1], 0x88
	s_bfe_u32 s2, ttmp6, 0x40014
	s_lshr_b32 s3, ttmp7, 16
	s_add_co_i32 s2, s2, 1
	s_bfe_u32 s5, ttmp6, 0x40008
	s_mul_i32 s4, s3, s2
	s_getreg_b32 s2, hwreg(HW_REG_IB_STS2, 6, 4)
	s_add_co_i32 s5, s5, s4
	s_cmp_eq_u32 s2, 0
	s_mov_b32 s11, 0
	s_cselect_b32 s10, s3, s5
	s_wait_kmcnt 0x0
	s_cmp_ge_u32 s10, s33
	s_cbranch_scc1 .LBB635_53
; %bb.2:
	s_clause 0x2
	s_load_b512 s[12:27], s[0:1], 0x8
	s_load_b512 s[36:51], s[0:1], 0x48
	s_load_b64 s[28:29], s[0:1], 0x0
	s_wait_xcnt 0x0
	s_bfe_u32 s0, ttmp6, 0x4000c
	v_and_b32_e32 v24, 0x3ff, v0
	s_add_co_i32 s0, s0, 1
	v_bfe_u32 v4, v0, 10, 10
	s_and_b32 s1, ttmp6, 15
	s_mul_i32 s0, ttmp9, s0
	v_dual_mov_b32 v1, 0 :: v_dual_lshlrev_b32 v2, 2, v24
	s_add_co_i32 s1, s1, s0
	v_lshl_add_u32 v6, v4, 5, v24
	s_delay_alu instid0(VALU_DEP_2) | instskip(NEXT) | instid1(VALU_DEP_3)
	v_dual_mov_b32 v5, v1 :: v_dual_lshlrev_b32 v52, 2, v4
	v_lshl_add_u32 v53, v4, 9, v2
	v_lshl_add_u32 v54, v4, 7, v2
	s_wait_kmcnt 0x0
	s_lshl_b64 s[4:5], s[18:19], 1
	s_lshl_b64 s[18:19], s[26:27], 1
	;; [unrolled: 1-line block ×3, first 2 shown]
	s_cmp_eq_u32 s2, 0
	s_mov_b32 s2, s28
	s_cselect_b32 s0, ttmp9, s1
	s_ashr_i32 s3, s28, 31
	s_lshl_b32 s1, s0, 7
	v_cmp_gt_u32_e64 s0, 0x80, v6
	v_dual_add_nc_u32 v0, s1, v6 :: v_dual_bitop2_b32 v6, s1, v6 bitop3:0x54
	v_mul_u64_e32 v[10:11], s[36:37], v[4:5]
	v_mul_u64_e32 v[12:13], s[20:21], v[4:5]
	v_mad_nc_u64_u32 v[8:9], s36, v52, s[36:37]
	s_delay_alu instid0(VALU_DEP_4)
	v_cmp_gt_i64_e32 vcc_lo, s[2:3], v[0:1]
	v_mul_u64_e32 v[2:3], s[48:49], v[0:1]
	v_dual_ashrrev_i32 v7, 31, v6 :: v_dual_bitop2_b32 v0, 3, v52 bitop3:0x54
	v_mad_nc_u64_u32 v[22:23], s20, v52, s[20:21]
	s_ashr_i32 s2, s29, 31
	v_add_nc_u32_e32 v24, s1, v24
	s_delay_alu instid0(VALU_DEP_3)
	v_mul_u64_e32 v[14:15], s[20:21], v[0:1]
	v_mul_u64_e32 v[16:17], s[36:37], v[0:1]
	v_or_b32_e32 v0, 2, v52
	v_mul_u64_e32 v[4:5], s[48:49], v[6:7]
	v_mad_u32 v9, s37, v52, v9
	s_lshr_b32 s2, s2, 26
	v_ashrrev_i32_e32 v25, 31, v24
	v_mul_u64_e32 v[18:19], s[20:21], v[0:1]
	v_mul_u64_e32 v[20:21], s[36:37], v[0:1]
	v_mad_u32 v23, s21, v52, v23
	s_add_co_i32 s52, s29, s2
	v_add_nc_u32_e32 v7, 64, v24
	s_and_not1_b32 s52, s52, 63
	v_add_nc_u32_e32 v0, 32, v24
	v_add_nc_u32_e32 v26, 0x60, v24
	s_sub_co_i32 s3, s29, s52
	s_add_nc_u64 s[16:17], s[16:17], s[4:5]
	s_cmp_gt_i32 s3, 0
	v_cmp_gt_i32_e64 s3, s28, v6
	v_cmp_gt_i32_e64 s5, s28, v7
	v_lshlrev_b64_e32 v[6:7], 1, v[24:25]
	s_add_nc_u64 s[30:31], s[44:45], s[6:7]
	v_cmp_gt_i32_e64 s1, s52, v52
	v_cmp_gt_i32_e64 s2, s28, v24
	;; [unrolled: 1-line block ×4, first 2 shown]
	v_lshl_add_u64 v[8:9], v[8:9], 1, s[24:25]
	v_lshl_add_u64 v[10:11], v[10:11], 3, s[24:25]
	;; [unrolled: 1-line block ×4, first 2 shown]
	s_add_nc_u64 s[26:27], s[24:25], s[18:19]
	s_cselect_b32 s53, -1, 0
	v_lshl_add_u64 v[14:15], v[14:15], 1, s[16:17]
	v_lshl_add_u64 v[16:17], v[16:17], 1, s[24:25]
	s_lshl_b64 s[34:35], s[38:39], 1
	s_and_b32 s28, s0, vcc_lo
	s_lshl_b64 s[44:45], s[22:23], 1
	s_lshl_b64 s[46:47], s[20:21], 7
	v_lshl_add_u64 v[18:19], v[18:19], 1, s[16:17]
	v_lshl_add_u64 v[20:21], v[20:21], 1, s[24:25]
	s_lshl_b64 s[24:25], s[36:37], 7
	s_branch .LBB635_5
.LBB635_3:                              ;   in Loop: Header=BB635_5 Depth=1
	s_wait_xcnt 0x0
	s_or_b32 exec_lo, exec_lo, s7
.LBB635_4:                              ;   in Loop: Header=BB635_5 Depth=1
	s_add_co_i32 s10, s10, 0x10000
	s_delay_alu instid0(SALU_CYCLE_1)
	s_cmp_lt_u32 s10, s33
	s_cbranch_scc0 .LBB635_53
.LBB635_5:                              ; =>This Loop Header: Depth=1
                                        ;     Child Loop BB635_21 Depth 2
	s_wait_xcnt 0x1
	s_mul_u64 s[8:9], s[14:15], s[10:11]
	s_wait_xcnt 0x0
	s_mul_u64 s[48:49], s[42:43], s[10:11]
	s_lshl_b64 s[8:9], s[8:9], 2
	s_lshl_b64 s[48:49], s[48:49], 2
	s_add_nc_u64 s[8:9], s[12:13], s[8:9]
	s_add_nc_u64 s[48:49], s[40:41], s[48:49]
	s_clause 0x1
	global_load_b32 v55, v1, s[8:9]
	global_load_b32 v0, v1, s[48:49]
	s_wait_loadcnt 0x1
	v_cmp_eq_f32_e32 vcc_lo, 0, v55
	s_wait_loadcnt 0x0
	v_cmp_eq_f32_e64 s7, 1.0, v0
	v_readfirstlane_b32 s55, v0
	s_and_b32 s7, vcc_lo, s7
	s_delay_alu instid0(SALU_CYCLE_1)
	s_and_b32 vcc_lo, exec_lo, s7
	s_cbranch_vccnz .LBB635_4
; %bb.6:                                ;   in Loop: Header=BB635_5 Depth=1
	v_cmp_neq_f32_e32 vcc_lo, 0, v55
	s_wait_xcnt 0x1
	s_mul_u64 s[8:9], s[50:51], s[10:11]
	s_delay_alu instid0(SALU_CYCLE_1)
	s_lshl_b64 s[8:9], s[8:9], 2
	s_wait_xcnt 0x0
	s_add_nc_u64 s[48:49], s[30:31], s[8:9]
	s_cbranch_vccnz .LBB635_10
; %bb.7:                                ;   in Loop: Header=BB635_5 Depth=1
	s_mov_b32 s7, 0
	s_mov_b32 s54, 0
                                        ; implicit-def: $vgpr0
	s_and_saveexec_b32 s8, s28
	s_cbranch_execz .LBB635_11
; %bb.8:                                ;   in Loop: Header=BB635_5 Depth=1
	s_cmp_eq_f32 s55, 0
	s_cbranch_scc1 .LBB635_13
; %bb.9:                                ;   in Loop: Header=BB635_5 Depth=1
	v_lshl_add_u64 v[24:25], v[2:3], 2, s[48:49]
	global_load_b32 v0, v[24:25], off
	s_wait_loadcnt 0x0
	v_mul_f32_e32 v0, s55, v0
	s_branch .LBB635_14
.LBB635_10:                             ;   in Loop: Header=BB635_5 Depth=1
	s_mov_b32 s54, 0
                                        ; implicit-def: $vgpr0
	s_cbranch_execz .LBB635_12
	s_branch .LBB635_15
.LBB635_11:                             ;   in Loop: Header=BB635_5 Depth=1
	s_or_b32 exec_lo, exec_lo, s8
	s_delay_alu instid0(SALU_CYCLE_1)
	s_and_b32 vcc_lo, exec_lo, s7
	s_cbranch_vccnz .LBB635_15
.LBB635_12:                             ;   in Loop: Header=BB635_5 Depth=1
	v_mov_b64_e32 v[24:25], v[2:3]
	s_and_saveexec_b32 s7, s54
	s_cbranch_execz .LBB635_3
	s_branch .LBB635_52
.LBB635_13:                             ;   in Loop: Header=BB635_5 Depth=1
	v_mov_b32_e32 v0, 0
.LBB635_14:                             ;   in Loop: Header=BB635_5 Depth=1
	s_mov_b32 s54, exec_lo
	s_wait_xcnt 0x0
	s_or_b32 exec_lo, exec_lo, s8
	s_delay_alu instid0(SALU_CYCLE_1)
	s_and_b32 vcc_lo, exec_lo, s7
	s_cbranch_vccz .LBB635_12
.LBB635_15:                             ;   in Loop: Header=BB635_5 Depth=1
	v_dual_mov_b32 v56, 0 :: v_dual_mov_b32 v0, v52
	v_dual_mov_b32 v57, 0 :: v_dual_mov_b32 v58, 0
	v_mov_b32_e32 v59, 0
	s_and_saveexec_b32 s7, s1
	s_cbranch_execz .LBB635_27
; %bb.16:                               ;   in Loop: Header=BB635_5 Depth=1
	s_mul_u64 s[8:9], s[34:35], s[10:11]
	s_mul_u64 s[56:57], s[44:45], s[10:11]
	v_add_nc_u64_e32 v[24:25], s[8:9], v[10:11]
	v_add_nc_u64_e32 v[26:27], s[56:57], v[14:15]
	;; [unrolled: 1-line block ×8, first 2 shown]
	v_dual_mov_b32 v56, 0 :: v_dual_mov_b32 v0, v52
	v_dual_mov_b32 v57, 0 :: v_dual_mov_b32 v58, 0
	v_mov_b32_e32 v59, 0
	s_mov_b32 s8, 0
	s_branch .LBB635_21
.LBB635_17:                             ;   in Loop: Header=BB635_21 Depth=2
	s_or_b32 exec_lo, exec_lo, s58
	s_wait_loadcnt 0x2
	v_dual_lshlrev_b32 v45, 16, v71 :: v_dual_lshlrev_b32 v44, 16, v70
	s_delay_alu instid0(VALU_DEP_1) | instskip(SKIP_1) | instid1(VALU_DEP_1)
	v_pk_mul_f32 v[44:45], v[42:43], v[44:45]
	s_wait_loadcnt 0x0
	v_dual_add_f32 v44, v58, v44 :: v_dual_lshlrev_b32 v47, 16, v69
	s_delay_alu instid0(VALU_DEP_1) | instskip(NEXT) | instid1(VALU_DEP_1)
	v_dual_lshlrev_b32 v46, 16, v68 :: v_dual_add_f32 v48, v44, v45
	v_pk_mul_f32 v[44:45], v[40:41], v[46:47]
	s_delay_alu instid0(VALU_DEP_1) | instskip(NEXT) | instid1(VALU_DEP_1)
	v_add_f32_e32 v44, v48, v44
	v_add_f32_e32 v58, v44, v45
.LBB635_18:                             ;   in Loop: Header=BB635_21 Depth=2
	s_or_b32 exec_lo, exec_lo, s57
	s_wait_loadcnt 0x2
	v_dual_lshlrev_b32 v45, 16, v67 :: v_dual_lshlrev_b32 v44, 16, v66
	s_delay_alu instid0(VALU_DEP_1) | instskip(SKIP_1) | instid1(VALU_DEP_1)
	v_pk_mul_f32 v[44:45], v[42:43], v[44:45]
	s_wait_loadcnt 0x0
	v_dual_add_f32 v44, v57, v44 :: v_dual_lshlrev_b32 v47, 16, v65
	s_delay_alu instid0(VALU_DEP_1) | instskip(NEXT) | instid1(VALU_DEP_1)
	v_dual_lshlrev_b32 v46, 16, v64 :: v_dual_add_f32 v48, v44, v45
	v_pk_mul_f32 v[44:45], v[40:41], v[46:47]
	s_delay_alu instid0(VALU_DEP_1) | instskip(NEXT) | instid1(VALU_DEP_1)
	v_add_f32_e32 v44, v48, v44
	v_add_f32_e32 v57, v44, v45
.LBB635_19:                             ;   in Loop: Header=BB635_21 Depth=2
	s_or_b32 exec_lo, exec_lo, s56
	s_wait_loadcnt 0x2
	v_dual_lshlrev_b32 v45, 16, v63 :: v_dual_lshlrev_b32 v44, 16, v62
	s_delay_alu instid0(VALU_DEP_1) | instskip(SKIP_1) | instid1(VALU_DEP_1)
	v_pk_mul_f32 v[42:43], v[42:43], v[44:45]
	s_wait_loadcnt 0x0
	v_dual_add_f32 v42, v56, v42 :: v_dual_lshlrev_b32 v45, 16, v61
	s_delay_alu instid0(VALU_DEP_1) | instskip(NEXT) | instid1(VALU_DEP_1)
	v_dual_lshlrev_b32 v44, 16, v60 :: v_dual_add_f32 v42, v42, v43
	v_pk_mul_f32 v[40:41], v[40:41], v[44:45]
	s_delay_alu instid0(VALU_DEP_1) | instskip(NEXT) | instid1(VALU_DEP_1)
	v_add_f32_e32 v40, v42, v40
	v_add_f32_e32 v56, v40, v41
.LBB635_20:                             ;   in Loop: Header=BB635_21 Depth=2
	s_or_b32 exec_lo, exec_lo, s9
	v_add_nc_u32_e32 v0, 64, v0
	v_add_nc_u64_e32 v[24:25], s[24:25], v[24:25]
	v_add_nc_u64_e32 v[26:27], s[46:47], v[26:27]
	;; [unrolled: 1-line block ×7, first 2 shown]
	v_cmp_le_i32_e32 vcc_lo, s52, v0
	v_add_nc_u64_e32 v[38:39], s[46:47], v[38:39]
	s_or_b32 s8, vcc_lo, s8
	s_delay_alu instid0(SALU_CYCLE_1)
	s_and_not1_b32 exec_lo, exec_lo, s8
	s_cbranch_execz .LBB635_26
.LBB635_21:                             ;   Parent Loop BB635_5 Depth=1
                                        ; =>  This Inner Loop Header: Depth=2
	s_and_saveexec_b32 s9, s2
	s_cbranch_execz .LBB635_20
; %bb.22:                               ;   in Loop: Header=BB635_21 Depth=2
	v_add_nc_u64_e32 v[40:41], s[18:19], v[24:25]
	v_add_nc_u64_e32 v[42:43], s[18:19], v[36:37]
	;; [unrolled: 1-line block ×7, first 2 shown]
	global_load_u16 v40, v[40:41], off
	global_load_u16 v41, v[42:43], off
	v_add_nc_u64_e32 v[46:47], v[26:27], v[6:7]
	global_load_u16 v64, v[62:63], off
	global_load_u16 v65, v[60:61], off
	;; [unrolled: 1-line block ×6, first 2 shown]
	s_wait_loadcnt 0x6
	v_dual_lshlrev_b32 v42, 16, v40 :: v_dual_lshlrev_b32 v43, 16, v41
	s_wait_loadcnt 0x4
	v_dual_lshlrev_b32 v41, 16, v64 :: v_dual_lshlrev_b32 v40, 16, v65
	s_wait_xcnt 0x0
	s_and_saveexec_b32 s56, s4
	s_cbranch_execz .LBB635_19
; %bb.23:                               ;   in Loop: Header=BB635_21 Depth=2
	global_load_u16 v66, v[48:49], off offset:64
	global_load_u16 v67, v[50:51], off offset:64
	global_load_u16 v64, v[44:45], off offset:64
	global_load_u16 v65, v[46:47], off offset:64
	s_wait_xcnt 0x0
	s_and_saveexec_b32 s57, s5
	s_cbranch_execz .LBB635_18
; %bb.24:                               ;   in Loop: Header=BB635_21 Depth=2
	global_load_u16 v70, v[48:49], off offset:128
	global_load_u16 v71, v[50:51], off offset:128
	global_load_u16 v68, v[44:45], off offset:128
	global_load_u16 v69, v[46:47], off offset:128
	;; [unrolled: 8-line block ×3, first 2 shown]
	s_wait_loadcnt 0x2
	s_wait_xcnt 0x0
	v_dual_lshlrev_b32 v45, 16, v50 :: v_dual_lshlrev_b32 v44, 16, v48
	s_delay_alu instid0(VALU_DEP_1) | instskip(SKIP_1) | instid1(VALU_DEP_1)
	v_pk_mul_f32 v[44:45], v[42:43], v[44:45]
	s_wait_loadcnt 0x1
	v_dual_add_f32 v44, v59, v44 :: v_dual_lshlrev_b32 v47, 16, v46
	s_delay_alu instid0(VALU_DEP_1) | instskip(SKIP_2) | instid1(VALU_DEP_1)
	v_add_f32_e32 v48, v44, v45
	s_wait_loadcnt 0x0
	v_lshlrev_b32_e32 v46, 16, v49
	v_pk_mul_f32 v[44:45], v[40:41], v[46:47]
	s_delay_alu instid0(VALU_DEP_1) | instskip(NEXT) | instid1(VALU_DEP_1)
	v_add_f32_e32 v44, v48, v44
	v_add_f32_e32 v59, v44, v45
	s_branch .LBB635_17
.LBB635_26:                             ;   in Loop: Header=BB635_5 Depth=1
	s_or_b32 exec_lo, exec_lo, s8
.LBB635_27:                             ;   in Loop: Header=BB635_5 Depth=1
	s_delay_alu instid0(SALU_CYCLE_1) | instskip(NEXT) | instid1(SALU_CYCLE_1)
	s_or_b32 exec_lo, exec_lo, s7
	s_and_not1_b32 vcc_lo, exec_lo, s53
	s_cbranch_vccnz .LBB635_45
; %bb.28:                               ;   in Loop: Header=BB635_5 Depth=1
	v_dual_mov_b32 v24, 0 :: v_dual_bitop2_b32 v28, 1, v0 bitop3:0x54
	v_cmp_gt_i32_e32 vcc_lo, s29, v0
	s_delay_alu instid0(VALU_DEP_2)
	v_dual_mov_b32 v25, v24 :: v_dual_mov_b32 v26, v24
	v_mov_b32_e32 v27, v24
	s_and_saveexec_b32 s56, vcc_lo
	s_cbranch_execz .LBB635_36
; %bb.29:                               ;   in Loop: Header=BB635_5 Depth=1
	v_mul_u64_e32 v[24:25], s[36:37], v[0:1]
	s_mul_u64 s[8:9], s[38:39], s[10:11]
	v_mov_b32_e32 v27, 0
	s_lshl_b64 s[8:9], s[8:9], 1
	s_mov_b32 s57, exec_lo
	s_add_nc_u64 s[8:9], s[26:27], s[8:9]
	s_delay_alu instid0(VALU_DEP_2) | instid1(SALU_CYCLE_1)
	v_lshl_add_u64 v[24:25], v[24:25], 1, s[8:9]
	global_load_u16 v30, v[24:25], off
	s_wait_xcnt 0x0
	v_dual_mov_b32 v25, 0 :: v_dual_mov_b32 v24, 0
	v_cmpx_gt_i32_e64 s29, v28
	s_cbranch_execz .LBB635_35
; %bb.30:                               ;   in Loop: Header=BB635_5 Depth=1
	v_dual_mov_b32 v29, v1 :: v_dual_bitop2_b32 v26, 2, v0 bitop3:0x54
	s_mov_b32 s58, exec_lo
	s_delay_alu instid0(VALU_DEP_1) | instskip(NEXT) | instid1(VALU_DEP_1)
	v_mul_u64_e32 v[24:25], s[36:37], v[28:29]
	v_lshl_add_u64 v[24:25], v[24:25], 1, s[8:9]
	global_load_u16 v29, v[24:25], off
	s_wait_xcnt 0x0
	v_dual_mov_b32 v25, 0 :: v_dual_mov_b32 v24, 0
	v_cmpx_gt_i32_e64 s29, v26
	s_cbranch_execz .LBB635_34
; %bb.31:                               ;   in Loop: Header=BB635_5 Depth=1
	v_mov_b32_e32 v27, v1
	s_mov_b32 s59, exec_lo
	s_delay_alu instid0(VALU_DEP_1) | instskip(NEXT) | instid1(VALU_DEP_1)
	v_mul_u64_e32 v[24:25], s[36:37], v[26:27]
	v_lshl_add_u64 v[24:25], v[24:25], 1, s[8:9]
	global_load_u16 v26, v[24:25], off
	s_wait_xcnt 0x0
	v_dual_mov_b32 v25, 0 :: v_dual_bitop2_b32 v24, 3, v0 bitop3:0x54
	s_delay_alu instid0(VALU_DEP_1)
	v_cmpx_gt_i32_e64 s29, v24
	s_cbranch_execz .LBB635_33
; %bb.32:                               ;   in Loop: Header=BB635_5 Depth=1
	v_mov_b32_e32 v25, v1
	s_delay_alu instid0(VALU_DEP_1) | instskip(NEXT) | instid1(VALU_DEP_1)
	v_mul_u64_e32 v[24:25], s[36:37], v[24:25]
	v_lshl_add_u64 v[24:25], v[24:25], 1, s[8:9]
	global_load_u16 v24, v[24:25], off
	s_wait_loadcnt 0x0
	s_wait_xcnt 0x0
	v_lshlrev_b32_e32 v25, 16, v24
.LBB635_33:                             ;   in Loop: Header=BB635_5 Depth=1
	s_or_b32 exec_lo, exec_lo, s59
	s_wait_loadcnt 0x0
	v_lshlrev_b32_e32 v24, 16, v26
.LBB635_34:                             ;   in Loop: Header=BB635_5 Depth=1
	s_or_b32 exec_lo, exec_lo, s58
	s_wait_loadcnt 0x0
	v_lshlrev_b32_e32 v27, 16, v29
.LBB635_35:                             ;   in Loop: Header=BB635_5 Depth=1
	s_or_b32 exec_lo, exec_lo, s57
	s_wait_loadcnt 0x0
	v_lshlrev_b32_e32 v26, 16, v30
.LBB635_36:                             ;   in Loop: Header=BB635_5 Depth=1
	s_or_b32 exec_lo, exec_lo, s56
	s_and_saveexec_b32 s56, s2
	s_cbranch_execz .LBB635_44
; %bb.37:                               ;   in Loop: Header=BB635_5 Depth=1
	v_dual_mov_b32 v29, v1 :: v_dual_bitop2_b32 v30, 2, v0 bitop3:0x54
	v_mov_b32_e32 v31, v1
	v_mul_u64_e32 v[32:33], s[20:21], v[0:1]
	v_or_b32_e32 v0, 3, v0
	s_delay_alu instid0(VALU_DEP_4)
	v_mul_u64_e32 v[34:35], s[20:21], v[28:29]
	s_mul_u64 s[8:9], s[22:23], s[10:11]
	v_mul_u64_e32 v[36:37], s[20:21], v[30:31]
	v_cmp_gt_i32_e64 s7, s29, v28
	v_mul_u64_e32 v[38:39], s[20:21], v[0:1]
	s_lshl_b64 s[58:59], s[8:9], 1
	v_cmp_gt_i32_e64 s8, s29, v30
	v_cmp_gt_i32_e64 s9, s29, v0
	v_dual_cndmask_b32 v29, 0, v33 :: v_dual_cndmask_b32 v28, 0, v32
	v_dual_cndmask_b32 v31, 0, v35, s7 :: v_dual_cndmask_b32 v30, 0, v34, s7
	s_delay_alu instid0(VALU_DEP_4) | instskip(NEXT) | instid1(VALU_DEP_4)
	v_dual_cndmask_b32 v33, 0, v37, s8 :: v_dual_cndmask_b32 v32, 0, v36, s8
	v_dual_cndmask_b32 v35, 0, v39, s9 :: v_dual_cndmask_b32 v34, 0, v38, s9
	s_add_nc_u64 s[8:9], s[16:17], s[58:59]
	s_delay_alu instid0(VALU_DEP_3) | instid1(SALU_CYCLE_1)
	v_lshl_add_u64 v[30:31], v[30:31], 1, s[8:9]
	s_delay_alu instid0(VALU_DEP_3) | instskip(NEXT) | instid1(VALU_DEP_3)
	v_lshl_add_u64 v[36:37], v[32:33], 1, s[8:9]
	v_lshl_add_u64 v[34:35], v[34:35], 1, s[8:9]
	;; [unrolled: 1-line block ×3, first 2 shown]
	s_delay_alu instid0(VALU_DEP_4) | instskip(NEXT) | instid1(VALU_DEP_4)
	v_add_nc_u64_e32 v[32:33], v[30:31], v[6:7]
	v_add_nc_u64_e32 v[28:29], v[36:37], v[6:7]
	s_delay_alu instid0(VALU_DEP_4) | instskip(NEXT) | instid1(VALU_DEP_4)
	v_add_nc_u64_e32 v[30:31], v[34:35], v[6:7]
	v_add_nc_u64_e32 v[34:35], v[38:39], v[6:7]
	s_clause 0x3
	global_load_u16 v37, v[32:33], off
	global_load_u16 v0, v[28:29], off
	global_load_u16 v36, v[30:31], off
	global_load_u16 v38, v[34:35], off
	s_wait_xcnt 0x0
	s_and_saveexec_b32 s7, s4
	s_cbranch_execz .LBB635_43
; %bb.38:                               ;   in Loop: Header=BB635_5 Depth=1
	s_clause 0x3
	global_load_u16 v41, v[34:35], off offset:64
	global_load_u16 v42, v[32:33], off offset:64
	global_load_u16 v39, v[28:29], off offset:64
	global_load_u16 v40, v[30:31], off offset:64
	s_wait_xcnt 0x0
	s_and_saveexec_b32 s8, s5
	s_cbranch_execz .LBB635_42
; %bb.39:                               ;   in Loop: Header=BB635_5 Depth=1
	s_clause 0x3
	global_load_u16 v45, v[34:35], off offset:128
	global_load_u16 v46, v[32:33], off offset:128
	global_load_u16 v43, v[28:29], off offset:128
	global_load_u16 v44, v[30:31], off offset:128
	;; [unrolled: 9-line block ×3, first 2 shown]
	s_wait_loadcnt 0x2
	s_wait_xcnt 0x0
	v_dual_lshlrev_b32 v29, 16, v32 :: v_dual_lshlrev_b32 v28, 16, v33
	s_delay_alu instid0(VALU_DEP_1) | instskip(SKIP_1) | instid1(VALU_DEP_1)
	v_pk_mul_f32 v[28:29], v[26:27], v[28:29]
	s_wait_loadcnt 0x1
	v_dual_add_f32 v28, v59, v28 :: v_dual_lshlrev_b32 v31, 16, v30
	s_wait_loadcnt 0x0
	s_delay_alu instid0(VALU_DEP_1) | instskip(NEXT) | instid1(VALU_DEP_1)
	v_dual_lshlrev_b32 v30, 16, v34 :: v_dual_add_f32 v32, v28, v29
	v_pk_mul_f32 v[28:29], v[24:25], v[30:31]
	s_delay_alu instid0(VALU_DEP_1) | instskip(NEXT) | instid1(VALU_DEP_1)
	v_add_f32_e32 v28, v32, v28
	v_add_f32_e32 v59, v28, v29
.LBB635_41:                             ;   in Loop: Header=BB635_5 Depth=1
	s_or_b32 exec_lo, exec_lo, s9
	s_wait_loadcnt 0x2
	v_dual_lshlrev_b32 v29, 16, v46 :: v_dual_lshlrev_b32 v28, 16, v45
	s_wait_loadcnt 0x0
	v_dual_lshlrev_b32 v31, 16, v44 :: v_dual_lshlrev_b32 v30, 16, v43
	s_delay_alu instid0(VALU_DEP_2) | instskip(NEXT) | instid1(VALU_DEP_1)
	v_pk_mul_f32 v[28:29], v[26:27], v[28:29]
	v_add_f32_e32 v28, v58, v28
	s_delay_alu instid0(VALU_DEP_1) | instskip(NEXT) | instid1(VALU_DEP_4)
	v_add_f32_e32 v32, v28, v29
	v_pk_mul_f32 v[28:29], v[24:25], v[30:31]
	s_delay_alu instid0(VALU_DEP_1) | instskip(NEXT) | instid1(VALU_DEP_1)
	v_add_f32_e32 v28, v32, v28
	v_add_f32_e32 v58, v28, v29
.LBB635_42:                             ;   in Loop: Header=BB635_5 Depth=1
	s_or_b32 exec_lo, exec_lo, s8
	s_wait_loadcnt 0x2
	v_dual_lshlrev_b32 v29, 16, v42 :: v_dual_lshlrev_b32 v28, 16, v41
	s_wait_loadcnt 0x0
	v_dual_lshlrev_b32 v31, 16, v40 :: v_dual_lshlrev_b32 v30, 16, v39
	s_delay_alu instid0(VALU_DEP_2) | instskip(NEXT) | instid1(VALU_DEP_1)
	v_pk_mul_f32 v[28:29], v[26:27], v[28:29]
	v_add_f32_e32 v28, v57, v28
	s_delay_alu instid0(VALU_DEP_1) | instskip(NEXT) | instid1(VALU_DEP_4)
	v_add_f32_e32 v32, v28, v29
	v_pk_mul_f32 v[28:29], v[24:25], v[30:31]
	s_delay_alu instid0(VALU_DEP_1) | instskip(NEXT) | instid1(VALU_DEP_1)
	v_add_f32_e32 v28, v32, v28
	v_add_f32_e32 v57, v28, v29
.LBB635_43:                             ;   in Loop: Header=BB635_5 Depth=1
	s_or_b32 exec_lo, exec_lo, s7
	s_wait_loadcnt 0x0
	v_dual_lshlrev_b32 v29, 16, v37 :: v_dual_lshlrev_b32 v28, 16, v38
	s_delay_alu instid0(VALU_DEP_1) | instskip(NEXT) | instid1(VALU_DEP_1)
	v_pk_mul_f32 v[26:27], v[26:27], v[28:29]
	v_dual_add_f32 v26, v56, v26 :: v_dual_lshlrev_b32 v29, 16, v36
	s_delay_alu instid0(VALU_DEP_1) | instskip(NEXT) | instid1(VALU_DEP_1)
	v_dual_lshlrev_b32 v28, 16, v0 :: v_dual_add_f32 v0, v26, v27
	v_pk_mul_f32 v[24:25], v[24:25], v[28:29]
	s_delay_alu instid0(VALU_DEP_1) | instskip(NEXT) | instid1(VALU_DEP_1)
	v_add_f32_e32 v0, v0, v24
	v_add_f32_e32 v56, v0, v25
.LBB635_44:                             ;   in Loop: Header=BB635_5 Depth=1
	s_or_b32 exec_lo, exec_lo, s56
.LBB635_45:                             ;   in Loop: Header=BB635_5 Depth=1
	ds_store_2addr_b32 v53, v56, v57 offset1:32
	ds_store_2addr_b32 v53, v58, v59 offset0:64 offset1:96
	s_wait_dscnt 0x0
	s_barrier_signal -1
	s_barrier_wait -1
                                        ; implicit-def: $vgpr0
	s_and_saveexec_b32 s7, s0
	s_cbranch_execz .LBB635_51
; %bb.46:                               ;   in Loop: Header=BB635_5 Depth=1
	ds_load_2addr_stride64_b32 v[24:25], v54 offset1:2
	ds_load_2addr_stride64_b32 v[26:27], v54 offset0:4 offset1:6
	ds_load_2addr_stride64_b32 v[28:29], v54 offset0:8 offset1:10
	s_mov_b32 s9, s54
	s_wait_dscnt 0x2
	v_add_f32_e32 v0, v24, v25
	ds_load_2addr_stride64_b32 v[24:25], v54 offset0:12 offset1:14
	s_wait_dscnt 0x2
	v_add_f32_e32 v0, v26, v0
	s_delay_alu instid0(VALU_DEP_1) | instskip(SKIP_3) | instid1(VALU_DEP_1)
	v_add_f32_e32 v0, v27, v0
	ds_load_2addr_stride64_b32 v[26:27], v54 offset0:16 offset1:18
	s_wait_dscnt 0x2
	v_add_f32_e32 v0, v28, v0
	v_add_f32_e32 v0, v29, v0
	ds_load_2addr_stride64_b32 v[28:29], v54 offset0:20 offset1:22
	s_wait_dscnt 0x2
	v_add_f32_e32 v0, v24, v0
	s_delay_alu instid0(VALU_DEP_1) | instskip(SKIP_3) | instid1(VALU_DEP_1)
	v_add_f32_e32 v0, v25, v0
	ds_load_2addr_stride64_b32 v[24:25], v54 offset0:24 offset1:26
	s_wait_dscnt 0x2
	v_add_f32_e32 v0, v26, v0
	v_add_f32_e32 v0, v27, v0
	ds_load_2addr_stride64_b32 v[26:27], v54 offset0:28 offset1:30
	s_wait_dscnt 0x2
	v_add_f32_e32 v0, v28, v0
	s_delay_alu instid0(VALU_DEP_1) | instskip(SKIP_1) | instid1(VALU_DEP_1)
	v_add_f32_e32 v0, v29, v0
	s_wait_dscnt 0x1
	v_add_f32_e32 v0, v24, v0
	s_delay_alu instid0(VALU_DEP_1) | instskip(SKIP_1) | instid1(VALU_DEP_1)
	v_add_f32_e32 v0, v25, v0
	s_wait_dscnt 0x0
	v_add_f32_e32 v0, v26, v0
	s_delay_alu instid0(VALU_DEP_1)
	v_add_f32_e32 v24, v27, v0
                                        ; implicit-def: $vgpr0
	ds_store_b32 v54, v24
	s_and_saveexec_b32 s8, s3
	s_cbranch_execz .LBB635_50
; %bb.47:                               ;   in Loop: Header=BB635_5 Depth=1
	v_mul_f32_e32 v0, v55, v24
	s_cmp_eq_f32 s55, 0
	s_cbranch_scc1 .LBB635_49
; %bb.48:                               ;   in Loop: Header=BB635_5 Depth=1
	v_lshl_add_u64 v[24:25], v[4:5], 2, s[48:49]
	global_load_b32 v24, v[24:25], off
	s_wait_loadcnt 0x0
	v_fmac_f32_e32 v0, s55, v24
.LBB635_49:                             ;   in Loop: Header=BB635_5 Depth=1
	s_or_b32 s9, s54, exec_lo
.LBB635_50:                             ;   in Loop: Header=BB635_5 Depth=1
	s_wait_xcnt 0x0
	s_or_b32 exec_lo, exec_lo, s8
	s_delay_alu instid0(SALU_CYCLE_1) | instskip(SKIP_1) | instid1(SALU_CYCLE_1)
	s_and_not1_b32 s8, s54, exec_lo
	s_and_b32 s9, s9, exec_lo
	s_or_b32 s54, s8, s9
.LBB635_51:                             ;   in Loop: Header=BB635_5 Depth=1
	s_or_b32 exec_lo, exec_lo, s7
	v_mov_b64_e32 v[24:25], v[4:5]
	s_and_saveexec_b32 s7, s54
	s_cbranch_execz .LBB635_3
.LBB635_52:                             ;   in Loop: Header=BB635_5 Depth=1
	s_delay_alu instid0(VALU_DEP_1)
	v_lshl_add_u64 v[24:25], v[24:25], 2, s[48:49]
	global_store_b32 v[24:25], v0, off
	s_branch .LBB635_3
.LBB635_53:
	s_sendmsg sendmsg(MSG_DEALLOC_VGPRS)
	s_endpgm
	.section	.rodata,"a",@progbits
	.p2align	6, 0x0
	.amdhsa_kernel _ZL20rocblas_gemvn_kernelILi32ELi16El16rocblas_bfloat16PKffEviiT3_lPKT2_lT1_lS6_lS7_lS3_lPT4_lS7_li
		.amdhsa_group_segment_fixed_size 8192
		.amdhsa_private_segment_fixed_size 0
		.amdhsa_kernarg_size 400
		.amdhsa_user_sgpr_count 2
		.amdhsa_user_sgpr_dispatch_ptr 0
		.amdhsa_user_sgpr_queue_ptr 0
		.amdhsa_user_sgpr_kernarg_segment_ptr 1
		.amdhsa_user_sgpr_dispatch_id 0
		.amdhsa_user_sgpr_kernarg_preload_length 0
		.amdhsa_user_sgpr_kernarg_preload_offset 0
		.amdhsa_user_sgpr_private_segment_size 0
		.amdhsa_wavefront_size32 1
		.amdhsa_uses_dynamic_stack 0
		.amdhsa_enable_private_segment 0
		.amdhsa_system_sgpr_workgroup_id_x 1
		.amdhsa_system_sgpr_workgroup_id_y 0
		.amdhsa_system_sgpr_workgroup_id_z 1
		.amdhsa_system_sgpr_workgroup_info 0
		.amdhsa_system_vgpr_workitem_id 1
		.amdhsa_next_free_vgpr 72
		.amdhsa_next_free_sgpr 60
		.amdhsa_named_barrier_count 0
		.amdhsa_reserve_vcc 1
		.amdhsa_float_round_mode_32 0
		.amdhsa_float_round_mode_16_64 0
		.amdhsa_float_denorm_mode_32 3
		.amdhsa_float_denorm_mode_16_64 3
		.amdhsa_fp16_overflow 0
		.amdhsa_memory_ordered 1
		.amdhsa_forward_progress 1
		.amdhsa_inst_pref_size 25
		.amdhsa_round_robin_scheduling 0
		.amdhsa_exception_fp_ieee_invalid_op 0
		.amdhsa_exception_fp_denorm_src 0
		.amdhsa_exception_fp_ieee_div_zero 0
		.amdhsa_exception_fp_ieee_overflow 0
		.amdhsa_exception_fp_ieee_underflow 0
		.amdhsa_exception_fp_ieee_inexact 0
		.amdhsa_exception_int_div_zero 0
	.end_amdhsa_kernel
	.section	.text._ZL20rocblas_gemvn_kernelILi32ELi16El16rocblas_bfloat16PKffEviiT3_lPKT2_lT1_lS6_lS7_lS3_lPT4_lS7_li,"axG",@progbits,_ZL20rocblas_gemvn_kernelILi32ELi16El16rocblas_bfloat16PKffEviiT3_lPKT2_lT1_lS6_lS7_lS3_lPT4_lS7_li,comdat
.Lfunc_end635:
	.size	_ZL20rocblas_gemvn_kernelILi32ELi16El16rocblas_bfloat16PKffEviiT3_lPKT2_lT1_lS6_lS7_lS3_lPT4_lS7_li, .Lfunc_end635-_ZL20rocblas_gemvn_kernelILi32ELi16El16rocblas_bfloat16PKffEviiT3_lPKT2_lT1_lS6_lS7_lS3_lPT4_lS7_li
                                        ; -- End function
	.set _ZL20rocblas_gemvn_kernelILi32ELi16El16rocblas_bfloat16PKffEviiT3_lPKT2_lT1_lS6_lS7_lS3_lPT4_lS7_li.num_vgpr, 72
	.set _ZL20rocblas_gemvn_kernelILi32ELi16El16rocblas_bfloat16PKffEviiT3_lPKT2_lT1_lS6_lS7_lS3_lPT4_lS7_li.num_agpr, 0
	.set _ZL20rocblas_gemvn_kernelILi32ELi16El16rocblas_bfloat16PKffEviiT3_lPKT2_lT1_lS6_lS7_lS3_lPT4_lS7_li.numbered_sgpr, 60
	.set _ZL20rocblas_gemvn_kernelILi32ELi16El16rocblas_bfloat16PKffEviiT3_lPKT2_lT1_lS6_lS7_lS3_lPT4_lS7_li.num_named_barrier, 0
	.set _ZL20rocblas_gemvn_kernelILi32ELi16El16rocblas_bfloat16PKffEviiT3_lPKT2_lT1_lS6_lS7_lS3_lPT4_lS7_li.private_seg_size, 0
	.set _ZL20rocblas_gemvn_kernelILi32ELi16El16rocblas_bfloat16PKffEviiT3_lPKT2_lT1_lS6_lS7_lS3_lPT4_lS7_li.uses_vcc, 1
	.set _ZL20rocblas_gemvn_kernelILi32ELi16El16rocblas_bfloat16PKffEviiT3_lPKT2_lT1_lS6_lS7_lS3_lPT4_lS7_li.uses_flat_scratch, 0
	.set _ZL20rocblas_gemvn_kernelILi32ELi16El16rocblas_bfloat16PKffEviiT3_lPKT2_lT1_lS6_lS7_lS3_lPT4_lS7_li.has_dyn_sized_stack, 0
	.set _ZL20rocblas_gemvn_kernelILi32ELi16El16rocblas_bfloat16PKffEviiT3_lPKT2_lT1_lS6_lS7_lS3_lPT4_lS7_li.has_recursion, 0
	.set _ZL20rocblas_gemvn_kernelILi32ELi16El16rocblas_bfloat16PKffEviiT3_lPKT2_lT1_lS6_lS7_lS3_lPT4_lS7_li.has_indirect_call, 0
	.section	.AMDGPU.csdata,"",@progbits
; Kernel info:
; codeLenInByte = 3188
; TotalNumSgprs: 62
; NumVgprs: 72
; ScratchSize: 0
; MemoryBound: 0
; FloatMode: 240
; IeeeMode: 1
; LDSByteSize: 8192 bytes/workgroup (compile time only)
; SGPRBlocks: 0
; VGPRBlocks: 4
; NumSGPRsForWavesPerEU: 62
; NumVGPRsForWavesPerEU: 72
; NamedBarCnt: 0
; Occupancy: 12
; WaveLimiterHint : 1
; COMPUTE_PGM_RSRC2:SCRATCH_EN: 0
; COMPUTE_PGM_RSRC2:USER_SGPR: 2
; COMPUTE_PGM_RSRC2:TRAP_HANDLER: 0
; COMPUTE_PGM_RSRC2:TGID_X_EN: 1
; COMPUTE_PGM_RSRC2:TGID_Y_EN: 0
; COMPUTE_PGM_RSRC2:TGID_Z_EN: 1
; COMPUTE_PGM_RSRC2:TIDIG_COMP_CNT: 1
	.section	.text._ZL20rocblas_gemvn_kernelILi32ELi16Ei16rocblas_bfloat16ffEviiT3_lPKT2_lT1_lS4_lS5_lS1_lPT4_lS5_li,"axG",@progbits,_ZL20rocblas_gemvn_kernelILi32ELi16Ei16rocblas_bfloat16ffEviiT3_lPKT2_lT1_lS4_lS5_lS1_lPT4_lS5_li,comdat
	.globl	_ZL20rocblas_gemvn_kernelILi32ELi16Ei16rocblas_bfloat16ffEviiT3_lPKT2_lT1_lS4_lS5_lS1_lPT4_lS5_li ; -- Begin function _ZL20rocblas_gemvn_kernelILi32ELi16Ei16rocblas_bfloat16ffEviiT3_lPKT2_lT1_lS4_lS5_lS1_lPT4_lS5_li
	.p2align	8
	.type	_ZL20rocblas_gemvn_kernelILi32ELi16Ei16rocblas_bfloat16ffEviiT3_lPKT2_lT1_lS4_lS5_lS1_lPT4_lS5_li,@function
_ZL20rocblas_gemvn_kernelILi32ELi16Ei16rocblas_bfloat16ffEviiT3_lPKT2_lT1_lS4_lS5_lS1_lPT4_lS5_li: ; @_ZL20rocblas_gemvn_kernelILi32ELi16Ei16rocblas_bfloat16ffEviiT3_lPKT2_lT1_lS4_lS5_lS1_lPT4_lS5_li
; %bb.0:
	s_load_b64 s[2:3], s[0:1], 0x9c
	s_wait_kmcnt 0x0
	s_lshr_b32 s4, s2, 16
	s_and_b32 s2, s2, 0xffff
	s_and_b32 s3, s3, 0xffff
	s_mul_i32 s2, s4, s2
	s_delay_alu instid0(SALU_CYCLE_1) | instskip(NEXT) | instid1(SALU_CYCLE_1)
	s_mul_i32 s2, s2, s3
	s_cmp_lg_u32 s2, 0x200
	s_cbranch_scc1 .LBB636_53
; %bb.1:
	s_load_b32 s19, s[0:1], 0x88
	s_bfe_u32 s2, ttmp6, 0x40014
	s_lshr_b32 s3, ttmp7, 16
	s_add_co_i32 s2, s2, 1
	s_bfe_u32 s5, ttmp6, 0x40008
	s_mul_i32 s4, s3, s2
	s_getreg_b32 s2, hwreg(HW_REG_IB_STS2, 6, 4)
	s_add_co_i32 s5, s5, s4
	s_cmp_eq_u32 s2, 0
	s_mov_b32 s29, 0
	s_cselect_b32 s28, s3, s5
	s_wait_kmcnt 0x0
	s_cmp_ge_u32 s28, s19
	s_cbranch_scc1 .LBB636_53
; %bb.2:
	s_clause 0x7
	s_load_b128 s[4:7], s[0:1], 0x18
	s_load_b96 s[16:18], s[0:1], 0x40
	s_load_b128 s[12:15], s[0:1], 0x68
	s_load_b32 s30, s[0:1], 0x78
	s_load_b96 s[20:22], s[0:1], 0x0
	s_load_b96 s[24:26], s[0:1], 0x50
	s_load_b32 s23, s[0:1], 0x28
	s_load_b128 s[8:11], s[0:1], 0x30
	v_and_b32_e32 v4, 0x3ff, v0
	v_bfe_u32 v3, v0, 10, 10
	s_delay_alu instid0(VALU_DEP_1) | instskip(NEXT) | instid1(VALU_DEP_3)
	v_dual_mov_b32 v1, 0 :: v_dual_lshlrev_b32 v18, 2, v3
	v_lshl_add_u32 v5, v3, 5, v4
	s_wait_kmcnt 0x0
	s_lshl_b64 s[6:7], s[6:7], 1
	s_lshl_b64 s[34:35], s[16:17], 1
	;; [unrolled: 1-line block ×3, first 2 shown]
	s_ashr_i32 s31, s30, 31
	s_cmp_eq_f32 s22, 0
	s_load_b64 s[14:15], s[0:1], 0x80
	s_add_nc_u64 s[16:17], s[4:5], s[6:7]
	s_wait_xcnt 0x0
	s_mov_b32 s0, s20
	s_cselect_b32 s27, -1, 0
	s_cmp_neq_f32 s22, 0
	v_mul_lo_u32 v11, v3, s18
	v_mad_u32 v24, s18, v18, s18
	s_add_nc_u64 s[10:11], s[10:11], s[34:35]
	s_cselect_b32 s1, -1, 0
	s_cmp_neq_f32 s26, 1.0
	s_add_nc_u64 s[12:13], s[12:13], s[36:37]
	s_cselect_b32 s3, -1, 0
	s_bfe_u32 s4, ttmp6, 0x4000c
	s_and_b32 s5, ttmp6, 15
	s_add_co_i32 s4, s4, 1
	s_or_b32 s33, s1, s3
	s_mul_i32 s4, ttmp9, s4
	v_lshlrev_b32_e32 v29, 2, v11
	s_add_co_i32 s5, s5, s4
	s_cmp_eq_u32 s2, 0
	s_cselect_b32 s2, ttmp9, s5
	s_ashr_i32 s1, s20, 31
	s_lshl_b32 s38, s2, 7
	s_delay_alu instid0(SALU_CYCLE_1) | instskip(SKIP_3) | instid1(VALU_DEP_3)
	v_dual_lshlrev_b32 v6, 2, v4 :: v_dual_add_nc_u32 v0, s38, v5
	v_dual_add_nc_u32 v19, s38, v4 :: v_dual_bitop2_b32 v7, s38, v5 bitop3:0x54
	s_cmp_neq_f32 s26, 0
	v_cmp_gt_u32_e64 s5, 0x80, v5
	v_cmp_gt_i64_e32 vcc_lo, s[0:1], v[0:1]
	v_mul_u64_e32 v[0:1], s[30:31], v[0:1]
	v_dual_add_nc_u32 v8, 32, v19 :: v_dual_add_nc_u32 v9, 64, v19
	v_add_nc_u32_e32 v10, 0x60, v19
	s_cselect_b32 s39, -1, 0
	s_ashr_i32 s2, s21, 31
	v_mul_lo_u32 v2, s30, v7
	s_lshr_b32 s1, s2, 26
	v_cmp_gt_i32_e64 s2, s20, v9
	s_add_co_i32 s40, s21, s1
	v_cmp_gt_i32_e64 s1, s20, v8
	v_cmp_gt_i32_e64 s3, s20, v10
	v_mul_lo_u32 v5, s23, v18
	v_or_b32_e32 v8, 2, v18
	v_or_b32_e32 v9, 3, v18
	v_mul_lo_u32 v10, v3, s23
	s_and_not1_b32 s40, s40, 63
	v_cmp_gt_i32_e64 s0, s20, v19
	v_mad_u32 v22, s23, v8, v4
	v_mad_u32 v23, s23, v9, v4
	v_mul_lo_u32 v25, s18, v8
	v_mul_lo_u32 v26, s18, v9
	s_sub_co_i32 s4, s21, s40
	v_lshl_add_u32 v20, v3, 9, v6
	s_cmp_gt_i32 s4, 0
	v_cmp_gt_i32_e64 s4, s40, v18
	v_lshl_add_u32 v21, v3, 7, v6
	v_cmp_gt_i32_e64 s6, s20, v7
	v_ashrrev_i32_e32 v3, 31, v2
	v_add3_u32 v27, v5, s23, v4
	v_lshl_add_u32 v28, v10, 2, v4
	s_cselect_b32 s41, -1, 0
	s_and_b32 s20, s5, vcc_lo
	s_lshl_b32 s42, s23, 6
	s_lshl_b32 s43, s18, 6
	s_branch .LBB636_5
.LBB636_3:                              ;   in Loop: Header=BB636_5 Depth=1
	s_wait_xcnt 0x0
	s_or_b32 exec_lo, exec_lo, s7
.LBB636_4:                              ;   in Loop: Header=BB636_5 Depth=1
	s_add_co_i32 s28, s28, 0x10000
	s_delay_alu instid0(SALU_CYCLE_1)
	s_cmp_lt_u32 s28, s19
	s_cbranch_scc0 .LBB636_53
.LBB636_5:                              ; =>This Loop Header: Depth=1
                                        ;     Child Loop BB636_21 Depth 2
	s_and_not1_b32 vcc_lo, exec_lo, s33
	s_cbranch_vccnz .LBB636_4
; %bb.6:                                ;   in Loop: Header=BB636_5 Depth=1
	s_wait_kmcnt 0x0
	s_mul_u64 s[30:31], s[14:15], s[28:29]
	s_and_not1_b32 vcc_lo, exec_lo, s27
	s_lshl_b64 s[30:31], s[30:31], 2
	s_delay_alu instid0(SALU_CYCLE_1)
	s_add_nc_u64 s[30:31], s[12:13], s[30:31]
	s_cbranch_vccnz .LBB636_10
; %bb.7:                                ;   in Loop: Header=BB636_5 Depth=1
	s_mov_b32 s7, 0
	s_mov_b32 s44, 0
                                        ; implicit-def: $vgpr6
	s_and_saveexec_b32 s34, s20
	s_cbranch_execz .LBB636_11
; %bb.8:                                ;   in Loop: Header=BB636_5 Depth=1
	s_and_not1_b32 vcc_lo, exec_lo, s39
	s_cbranch_vccnz .LBB636_13
; %bb.9:                                ;   in Loop: Header=BB636_5 Depth=1
	v_lshl_add_u64 v[4:5], v[0:1], 2, s[30:31]
	global_load_b32 v4, v[4:5], off
	s_wait_loadcnt 0x0
	v_mul_f32_e32 v6, s26, v4
	s_branch .LBB636_14
.LBB636_10:                             ;   in Loop: Header=BB636_5 Depth=1
	s_mov_b32 s44, 0
                                        ; implicit-def: $vgpr6
	s_cbranch_execz .LBB636_12
	s_branch .LBB636_15
.LBB636_11:                             ;   in Loop: Header=BB636_5 Depth=1
	s_or_b32 exec_lo, exec_lo, s34
	s_delay_alu instid0(SALU_CYCLE_1)
	s_and_b32 vcc_lo, exec_lo, s7
	s_cbranch_vccnz .LBB636_15
.LBB636_12:                             ;   in Loop: Header=BB636_5 Depth=1
	v_mov_b64_e32 v[4:5], v[0:1]
	s_and_saveexec_b32 s7, s44
	s_cbranch_execz .LBB636_3
	s_branch .LBB636_52
.LBB636_13:                             ;   in Loop: Header=BB636_5 Depth=1
	v_mov_b32_e32 v6, 0
.LBB636_14:                             ;   in Loop: Header=BB636_5 Depth=1
	s_mov_b32 s44, exec_lo
	s_wait_xcnt 0x0
	s_or_b32 exec_lo, exec_lo, s34
	s_delay_alu instid0(SALU_CYCLE_1)
	s_and_b32 vcc_lo, exec_lo, s7
	s_cbranch_vccz .LBB636_12
.LBB636_15:                             ;   in Loop: Header=BB636_5 Depth=1
	s_mul_u64 s[34:35], s[8:9], s[28:29]
	s_mul_u64 s[36:37], s[24:25], s[28:29]
	v_dual_mov_b32 v30, 0 :: v_dual_mov_b32 v34, v18
	v_dual_mov_b32 v31, 0 :: v_dual_mov_b32 v32, 0
	v_mov_b32_e32 v33, 0
	s_lshl_b64 s[34:35], s[34:35], 1
	s_lshl_b64 s[36:37], s[36:37], 1
	s_add_nc_u64 s[34:35], s[16:17], s[34:35]
	s_add_nc_u64 s[36:37], s[10:11], s[36:37]
	s_and_saveexec_b32 s7, s4
	s_cbranch_execz .LBB636_27
; %bb.16:                               ;   in Loop: Header=BB636_5 Depth=1
	v_dual_mov_b32 v30, 0 :: v_dual_mov_b32 v35, v28
	v_dual_mov_b32 v36, v23 :: v_dual_mov_b32 v37, v22
	;; [unrolled: 1-line block ×4, first 2 shown]
	v_mov_b32_e32 v33, 0
	s_mov_b32 s45, 0
	s_mov_b32 s46, 0
	s_branch .LBB636_21
.LBB636_17:                             ;   in Loop: Header=BB636_21 Depth=2
	s_or_b32 exec_lo, exec_lo, s50
	s_wait_loadcnt 0x2
	v_dual_lshlrev_b32 v9, 16, v48 :: v_dual_lshlrev_b32 v8, 16, v47
	s_delay_alu instid0(VALU_DEP_1) | instskip(SKIP_1) | instid1(VALU_DEP_1)
	v_pk_mul_f32 v[8:9], v[6:7], v[8:9]
	s_wait_loadcnt 0x0
	v_dual_add_f32 v8, v32, v8 :: v_dual_lshlrev_b32 v11, 16, v46
	s_delay_alu instid0(VALU_DEP_1) | instskip(SKIP_1) | instid1(VALU_DEP_1)
	v_add_f32_e32 v12, v8, v9
	v_lshlrev_b32_e32 v10, 16, v45
	v_pk_mul_f32 v[8:9], v[4:5], v[10:11]
	s_delay_alu instid0(VALU_DEP_1) | instskip(NEXT) | instid1(VALU_DEP_1)
	v_add_f32_e32 v8, v12, v8
	v_add_f32_e32 v32, v8, v9
.LBB636_18:                             ;   in Loop: Header=BB636_21 Depth=2
	s_or_b32 exec_lo, exec_lo, s49
	s_wait_loadcnt 0x2
	v_dual_lshlrev_b32 v9, 16, v44 :: v_dual_lshlrev_b32 v8, 16, v43
	s_delay_alu instid0(VALU_DEP_1) | instskip(SKIP_1) | instid1(VALU_DEP_1)
	v_pk_mul_f32 v[8:9], v[6:7], v[8:9]
	s_wait_loadcnt 0x0
	v_dual_add_f32 v8, v31, v8 :: v_dual_lshlrev_b32 v11, 16, v17
	s_delay_alu instid0(VALU_DEP_1) | instskip(NEXT) | instid1(VALU_DEP_1)
	v_dual_lshlrev_b32 v10, 16, v16 :: v_dual_add_f32 v12, v8, v9
	v_pk_mul_f32 v[8:9], v[4:5], v[10:11]
	s_delay_alu instid0(VALU_DEP_1) | instskip(NEXT) | instid1(VALU_DEP_1)
	v_add_f32_e32 v8, v12, v8
	v_add_f32_e32 v31, v8, v9
.LBB636_19:                             ;   in Loop: Header=BB636_21 Depth=2
	s_or_b32 exec_lo, exec_lo, s48
	s_wait_loadcnt 0x2
	v_dual_lshlrev_b32 v9, 16, v42 :: v_dual_lshlrev_b32 v8, 16, v41
	s_delay_alu instid0(VALU_DEP_1) | instskip(SKIP_1) | instid1(VALU_DEP_1)
	v_pk_mul_f32 v[6:7], v[6:7], v[8:9]
	s_wait_loadcnt 0x0
	v_dual_add_f32 v6, v30, v6 :: v_dual_lshlrev_b32 v9, 16, v40
	s_delay_alu instid0(VALU_DEP_1) | instskip(SKIP_1) | instid1(VALU_DEP_1)
	v_add_f32_e32 v6, v6, v7
	v_lshlrev_b32_e32 v8, 16, v39
	v_pk_mul_f32 v[4:5], v[4:5], v[8:9]
	s_delay_alu instid0(VALU_DEP_1) | instskip(NEXT) | instid1(VALU_DEP_1)
	v_add_f32_e32 v4, v6, v4
	v_add_f32_e32 v30, v4, v5
.LBB636_20:                             ;   in Loop: Header=BB636_21 Depth=2
	s_or_b32 exec_lo, exec_lo, s47
	v_dual_add_nc_u32 v34, 64, v34 :: v_dual_add_nc_u32 v37, s42, v37
	v_dual_add_nc_u32 v38, s42, v38 :: v_dual_add_nc_u32 v36, s42, v36
	v_add_nc_u32_e32 v35, s42, v35
	s_delay_alu instid0(VALU_DEP_3) | instskip(SKIP_2) | instid1(SALU_CYCLE_1)
	v_cmp_le_i32_e32 vcc_lo, s40, v34
	s_add_co_i32 s46, s46, s43
	s_or_b32 s45, vcc_lo, s45
	s_and_not1_b32 exec_lo, exec_lo, s45
	s_cbranch_execz .LBB636_26
.LBB636_21:                             ;   Parent Loop BB636_5 Depth=1
                                        ; =>  This Inner Loop Header: Depth=2
	s_and_saveexec_b32 s47, s0
	s_cbranch_execz .LBB636_20
; %bb.22:                               ;   in Loop: Header=BB636_21 Depth=2
	v_dual_add_nc_u32 v4, s46, v29 :: v_dual_add_nc_u32 v5, s46, v24
	v_dual_add_nc_u32 v6, s46, v25 :: v_dual_add_nc_u32 v7, s46, v26
	;; [unrolled: 1-line block ×3, first 2 shown]
	s_clause 0x3
	global_load_u16 v9, v4, s[36:37] scale_offset
	global_load_u16 v11, v5, s[36:37] scale_offset
	global_load_u16 v12, v6, s[36:37] scale_offset
	global_load_u16 v13, v7, s[36:37] scale_offset
	v_dual_add_nc_u32 v16, s38, v37 :: v_dual_add_nc_u32 v14, s38, v36
	s_clause 0x3
	global_load_u16 v41, v8, s[34:35] scale_offset
	global_load_u16 v42, v10, s[34:35] scale_offset
	;; [unrolled: 1-line block ×4, first 2 shown]
	s_wait_loadcnt 0x6
	s_wait_xcnt 0x4
	v_dual_lshlrev_b32 v6, 16, v9 :: v_dual_lshlrev_b32 v7, 16, v11
	s_wait_loadcnt 0x4
	v_dual_lshlrev_b32 v4, 16, v12 :: v_dual_lshlrev_b32 v5, 16, v13
	s_wait_xcnt 0x0
	s_and_saveexec_b32 s48, s1
	s_cbranch_execz .LBB636_19
; %bb.23:                               ;   in Loop: Header=BB636_21 Depth=2
	v_dual_ashrrev_i32 v9, 31, v8 :: v_dual_ashrrev_i32 v11, 31, v10
	v_dual_ashrrev_i32 v17, 31, v16 :: v_dual_ashrrev_i32 v15, 31, v14
	s_delay_alu instid0(VALU_DEP_2) | instskip(NEXT) | instid1(VALU_DEP_3)
	v_lshl_add_u64 v[12:13], v[8:9], 1, s[34:35]
	v_lshl_add_u64 v[8:9], v[10:11], 1, s[34:35]
	s_delay_alu instid0(VALU_DEP_3) | instskip(NEXT) | instid1(VALU_DEP_4)
	v_lshl_add_u64 v[10:11], v[16:17], 1, s[34:35]
	v_lshl_add_u64 v[14:15], v[14:15], 1, s[34:35]
	s_clause 0x3
	global_load_u16 v43, v[12:13], off offset:64
	global_load_u16 v44, v[8:9], off offset:64
	;; [unrolled: 1-line block ×4, first 2 shown]
	s_wait_xcnt 0x0
	s_and_saveexec_b32 s49, s2
	s_cbranch_execz .LBB636_18
; %bb.24:                               ;   in Loop: Header=BB636_21 Depth=2
	s_clause 0x3
	global_load_u16 v47, v[12:13], off offset:128
	global_load_u16 v48, v[8:9], off offset:128
	;; [unrolled: 1-line block ×4, first 2 shown]
	s_wait_xcnt 0x0
	s_and_saveexec_b32 s50, s3
	s_cbranch_execz .LBB636_17
; %bb.25:                               ;   in Loop: Header=BB636_21 Depth=2
	s_clause 0x3
	global_load_u16 v49, v[8:9], off offset:192
	global_load_u16 v50, v[12:13], off offset:192
	;; [unrolled: 1-line block ×4, first 2 shown]
	s_wait_loadcnt 0x2
	s_wait_xcnt 0x3
	v_dual_lshlrev_b32 v9, 16, v49 :: v_dual_lshlrev_b32 v8, 16, v50
	s_delay_alu instid0(VALU_DEP_1) | instskip(SKIP_2) | instid1(VALU_DEP_1)
	v_pk_mul_f32 v[8:9], v[6:7], v[8:9]
	s_wait_loadcnt 0x1
	s_wait_xcnt 0x0
	v_dual_add_f32 v8, v33, v8 :: v_dual_lshlrev_b32 v11, 16, v51
	s_wait_loadcnt 0x0
	s_delay_alu instid0(VALU_DEP_1) | instskip(NEXT) | instid1(VALU_DEP_1)
	v_dual_lshlrev_b32 v10, 16, v52 :: v_dual_add_f32 v12, v8, v9
	v_pk_mul_f32 v[8:9], v[4:5], v[10:11]
	s_delay_alu instid0(VALU_DEP_1) | instskip(NEXT) | instid1(VALU_DEP_1)
	v_add_f32_e32 v8, v12, v8
	v_add_f32_e32 v33, v8, v9
	s_branch .LBB636_17
.LBB636_26:                             ;   in Loop: Header=BB636_5 Depth=1
	s_or_b32 exec_lo, exec_lo, s45
.LBB636_27:                             ;   in Loop: Header=BB636_5 Depth=1
	s_delay_alu instid0(SALU_CYCLE_1) | instskip(NEXT) | instid1(SALU_CYCLE_1)
	s_or_b32 exec_lo, exec_lo, s7
	s_and_not1_b32 vcc_lo, exec_lo, s41
	s_cbranch_vccnz .LBB636_45
; %bb.28:                               ;   in Loop: Header=BB636_5 Depth=1
	v_dual_mov_b32 v4, 0 :: v_dual_bitop2_b32 v8, 1, v34 bitop3:0x54
	v_cmp_gt_i32_e32 vcc_lo, s21, v34
	s_delay_alu instid0(VALU_DEP_2)
	v_dual_mov_b32 v5, v4 :: v_dual_mov_b32 v6, v4
	v_mov_b32_e32 v7, v4
	s_and_saveexec_b32 s45, vcc_lo
	s_cbranch_execz .LBB636_36
; %bb.29:                               ;   in Loop: Header=BB636_5 Depth=1
	v_mul_lo_u32 v4, v34, s18
	v_dual_mov_b32 v7, 0 :: v_dual_mov_b32 v5, 0
	s_mov_b32 s46, exec_lo
	global_load_u16 v6, v4, s[36:37] scale_offset
	s_wait_xcnt 0x0
	v_mov_b32_e32 v4, 0
	v_cmpx_gt_i32_e64 s21, v8
	s_cbranch_execz .LBB636_35
; %bb.30:                               ;   in Loop: Header=BB636_5 Depth=1
	v_mul_lo_u32 v4, v8, s18
	v_dual_mov_b32 v5, 0 :: v_dual_bitop2_b32 v9, 2, v34 bitop3:0x54
	s_mov_b32 s47, exec_lo
	global_load_u16 v7, v4, s[36:37] scale_offset
	s_wait_xcnt 0x0
	v_mov_b32_e32 v4, 0
	v_cmpx_gt_i32_e64 s21, v9
	s_cbranch_execz .LBB636_34
; %bb.31:                               ;   in Loop: Header=BB636_5 Depth=1
	v_mul_lo_u32 v4, v9, s18
	v_dual_mov_b32 v5, 0 :: v_dual_bitop2_b32 v9, 3, v34 bitop3:0x54
	s_mov_b32 s48, exec_lo
	global_load_u16 v4, v4, s[36:37] scale_offset
	s_wait_xcnt 0x0
	v_cmpx_gt_i32_e64 s21, v9
	s_cbranch_execz .LBB636_33
; %bb.32:                               ;   in Loop: Header=BB636_5 Depth=1
	v_mul_lo_u32 v5, v9, s18
	global_load_u16 v5, v5, s[36:37] scale_offset
	s_wait_loadcnt 0x0
	s_wait_xcnt 0x0
	v_lshlrev_b32_e32 v5, 16, v5
.LBB636_33:                             ;   in Loop: Header=BB636_5 Depth=1
	s_or_b32 exec_lo, exec_lo, s48
	s_wait_loadcnt 0x0
	v_lshlrev_b32_e32 v4, 16, v4
.LBB636_34:                             ;   in Loop: Header=BB636_5 Depth=1
	s_or_b32 exec_lo, exec_lo, s47
	s_wait_loadcnt 0x0
	v_lshlrev_b32_e32 v7, 16, v7
.LBB636_35:                             ;   in Loop: Header=BB636_5 Depth=1
	s_or_b32 exec_lo, exec_lo, s46
	s_wait_loadcnt 0x0
	v_lshlrev_b32_e32 v6, 16, v6
.LBB636_36:                             ;   in Loop: Header=BB636_5 Depth=1
	s_or_b32 exec_lo, exec_lo, s45
	s_and_saveexec_b32 s36, s0
	s_cbranch_execz .LBB636_44
; %bb.37:                               ;   in Loop: Header=BB636_5 Depth=1
	v_mul_lo_u32 v11, v8, s23
	v_cmp_gt_i32_e64 s7, s21, v8
	v_or_b32_e32 v9, 2, v34
	v_mul_lo_u32 v14, v34, s23
	s_delay_alu instid0(VALU_DEP_3) | instskip(NEXT) | instid1(VALU_DEP_3)
	v_cndmask_b32_e64 v8, 0, v11, s7
	v_mul_lo_u32 v12, v9, s23
	v_cmp_gt_i32_e64 s7, s21, v9
	v_or_b32_e32 v10, 3, v34
	s_delay_alu instid0(VALU_DEP_2) | instskip(NEXT) | instid1(VALU_DEP_2)
	v_dual_cndmask_b32 v11, 0, v14, vcc_lo :: v_dual_cndmask_b32 v9, 0, v12, s7
	v_mul_lo_u32 v13, v10, s23
	v_cmp_gt_i32_e64 s7, s21, v10
	s_delay_alu instid0(VALU_DEP_3) | instskip(NEXT) | instid1(VALU_DEP_2)
	v_dual_add_nc_u32 v8, v8, v19 :: v_dual_add_nc_u32 v12, v9, v19
	v_cndmask_b32_e64 v10, 0, v13, s7
	s_delay_alu instid0(VALU_DEP_1)
	v_dual_add_nc_u32 v14, v10, v19 :: v_dual_add_nc_u32 v10, v11, v19
	s_clause 0x3
	global_load_u16 v34, v8, s[34:35] scale_offset
	global_load_u16 v16, v12, s[34:35] scale_offset
	;; [unrolled: 1-line block ×4, first 2 shown]
	s_wait_xcnt 0x0
	s_and_saveexec_b32 s7, s1
	s_cbranch_execz .LBB636_43
; %bb.38:                               ;   in Loop: Header=BB636_5 Depth=1
	v_dual_ashrrev_i32 v11, 31, v10 :: v_dual_ashrrev_i32 v9, 31, v8
	v_dual_ashrrev_i32 v13, 31, v12 :: v_dual_ashrrev_i32 v15, 31, v14
	s_delay_alu instid0(VALU_DEP_2) | instskip(NEXT) | instid1(VALU_DEP_3)
	v_lshl_add_u64 v[10:11], v[10:11], 1, s[34:35]
	v_lshl_add_u64 v[8:9], v[8:9], 1, s[34:35]
	s_delay_alu instid0(VALU_DEP_3) | instskip(NEXT) | instid1(VALU_DEP_4)
	v_lshl_add_u64 v[12:13], v[12:13], 1, s[34:35]
	v_lshl_add_u64 v[14:15], v[14:15], 1, s[34:35]
	s_clause 0x3
	global_load_u16 v38, v[10:11], off offset:64
	global_load_u16 v39, v[8:9], off offset:64
	;; [unrolled: 1-line block ×4, first 2 shown]
	s_wait_xcnt 0x0
	s_and_saveexec_b32 s34, s2
	s_cbranch_execz .LBB636_42
; %bb.39:                               ;   in Loop: Header=BB636_5 Depth=1
	s_clause 0x3
	global_load_u16 v42, v[10:11], off offset:128
	global_load_u16 v43, v[8:9], off offset:128
	;; [unrolled: 1-line block ×4, first 2 shown]
	s_wait_xcnt 0x0
	s_and_saveexec_b32 s35, s3
	s_cbranch_execz .LBB636_41
; %bb.40:                               ;   in Loop: Header=BB636_5 Depth=1
	s_clause 0x3
	global_load_u16 v44, v[8:9], off offset:192
	global_load_u16 v45, v[10:11], off offset:192
	global_load_u16 v46, v[14:15], off offset:192
	global_load_u16 v47, v[12:13], off offset:192
	s_wait_loadcnt 0x2
	s_wait_xcnt 0x3
	v_dual_lshlrev_b32 v9, 16, v44 :: v_dual_lshlrev_b32 v8, 16, v45
	s_delay_alu instid0(VALU_DEP_1) | instskip(SKIP_2) | instid1(VALU_DEP_1)
	v_pk_mul_f32 v[8:9], v[6:7], v[8:9]
	s_wait_loadcnt 0x1
	s_wait_xcnt 0x2
	v_dual_add_f32 v8, v33, v8 :: v_dual_lshlrev_b32 v11, 16, v46
	s_wait_loadcnt 0x0
	s_wait_xcnt 0x0
	s_delay_alu instid0(VALU_DEP_1) | instskip(NEXT) | instid1(VALU_DEP_1)
	v_dual_lshlrev_b32 v10, 16, v47 :: v_dual_add_f32 v12, v8, v9
	v_pk_mul_f32 v[8:9], v[4:5], v[10:11]
	s_delay_alu instid0(VALU_DEP_1) | instskip(NEXT) | instid1(VALU_DEP_1)
	v_add_f32_e32 v8, v12, v8
	v_add_f32_e32 v33, v8, v9
.LBB636_41:                             ;   in Loop: Header=BB636_5 Depth=1
	s_or_b32 exec_lo, exec_lo, s35
	s_wait_loadcnt 0x2
	v_dual_lshlrev_b32 v9, 16, v43 :: v_dual_lshlrev_b32 v8, 16, v42
	s_delay_alu instid0(VALU_DEP_1) | instskip(SKIP_1) | instid1(VALU_DEP_1)
	v_pk_mul_f32 v[8:9], v[6:7], v[8:9]
	s_wait_loadcnt 0x0
	v_dual_add_f32 v8, v32, v8 :: v_dual_lshlrev_b32 v11, 16, v41
	s_delay_alu instid0(VALU_DEP_1) | instskip(NEXT) | instid1(VALU_DEP_1)
	v_dual_lshlrev_b32 v10, 16, v40 :: v_dual_add_f32 v12, v8, v9
	v_pk_mul_f32 v[8:9], v[4:5], v[10:11]
	s_delay_alu instid0(VALU_DEP_1) | instskip(NEXT) | instid1(VALU_DEP_1)
	v_add_f32_e32 v8, v12, v8
	v_add_f32_e32 v32, v8, v9
.LBB636_42:                             ;   in Loop: Header=BB636_5 Depth=1
	s_or_b32 exec_lo, exec_lo, s34
	s_wait_loadcnt 0x2
	v_dual_lshlrev_b32 v9, 16, v39 :: v_dual_lshlrev_b32 v8, 16, v38
	s_delay_alu instid0(VALU_DEP_1) | instskip(SKIP_1) | instid1(VALU_DEP_1)
	v_pk_mul_f32 v[8:9], v[6:7], v[8:9]
	s_wait_loadcnt 0x0
	v_dual_add_f32 v8, v31, v8 :: v_dual_lshlrev_b32 v11, 16, v37
	s_delay_alu instid0(VALU_DEP_1) | instskip(NEXT) | instid1(VALU_DEP_1)
	v_dual_lshlrev_b32 v10, 16, v36 :: v_dual_add_f32 v12, v8, v9
	v_pk_mul_f32 v[8:9], v[4:5], v[10:11]
	s_delay_alu instid0(VALU_DEP_1) | instskip(NEXT) | instid1(VALU_DEP_1)
	v_add_f32_e32 v8, v12, v8
	v_add_f32_e32 v31, v8, v9
.LBB636_43:                             ;   in Loop: Header=BB636_5 Depth=1
	s_or_b32 exec_lo, exec_lo, s7
	s_wait_loadcnt 0x0
	v_dual_lshlrev_b32 v9, 16, v34 :: v_dual_lshlrev_b32 v8, 16, v35
	s_delay_alu instid0(VALU_DEP_1) | instskip(NEXT) | instid1(VALU_DEP_1)
	v_pk_mul_f32 v[6:7], v[6:7], v[8:9]
	v_dual_add_f32 v6, v30, v6 :: v_dual_lshlrev_b32 v9, 16, v17
	s_delay_alu instid0(VALU_DEP_1) | instskip(NEXT) | instid1(VALU_DEP_1)
	v_dual_lshlrev_b32 v8, 16, v16 :: v_dual_add_f32 v6, v6, v7
	v_pk_mul_f32 v[4:5], v[4:5], v[8:9]
	s_delay_alu instid0(VALU_DEP_1) | instskip(NEXT) | instid1(VALU_DEP_1)
	v_add_f32_e32 v4, v6, v4
	v_add_f32_e32 v30, v4, v5
.LBB636_44:                             ;   in Loop: Header=BB636_5 Depth=1
	s_or_b32 exec_lo, exec_lo, s36
.LBB636_45:                             ;   in Loop: Header=BB636_5 Depth=1
	ds_store_2addr_b32 v20, v30, v31 offset1:32
	ds_store_2addr_b32 v20, v32, v33 offset0:64 offset1:96
	s_wait_dscnt 0x0
	s_barrier_signal -1
	s_barrier_wait -1
                                        ; implicit-def: $vgpr6
	s_and_saveexec_b32 s7, s5
	s_cbranch_execz .LBB636_51
; %bb.46:                               ;   in Loop: Header=BB636_5 Depth=1
	ds_load_2addr_stride64_b32 v[4:5], v21 offset1:2
	ds_load_2addr_stride64_b32 v[6:7], v21 offset0:4 offset1:6
	ds_load_2addr_stride64_b32 v[8:9], v21 offset0:8 offset1:10
	s_mov_b32 s35, s44
	s_wait_dscnt 0x2
	v_add_f32_e32 v10, v4, v5
	ds_load_2addr_stride64_b32 v[4:5], v21 offset0:12 offset1:14
	s_wait_dscnt 0x2
	v_add_f32_e32 v6, v6, v10
	s_delay_alu instid0(VALU_DEP_1) | instskip(SKIP_3) | instid1(VALU_DEP_1)
	v_add_f32_e32 v10, v7, v6
	ds_load_2addr_stride64_b32 v[6:7], v21 offset0:16 offset1:18
	s_wait_dscnt 0x2
	v_add_f32_e32 v8, v8, v10
	v_add_f32_e32 v10, v9, v8
	ds_load_2addr_stride64_b32 v[8:9], v21 offset0:20 offset1:22
	s_wait_dscnt 0x2
	v_add_f32_e32 v4, v4, v10
	s_delay_alu instid0(VALU_DEP_1) | instskip(SKIP_1) | instid1(VALU_DEP_1)
	v_add_f32_e32 v4, v5, v4
	s_wait_dscnt 0x1
	v_add_f32_e32 v6, v6, v4
	ds_load_2addr_stride64_b32 v[4:5], v21 offset0:24 offset1:26
	v_add_f32_e32 v6, v7, v6
	s_wait_dscnt 0x1
	s_delay_alu instid0(VALU_DEP_1) | instskip(SKIP_3) | instid1(VALU_DEP_1)
	v_add_f32_e32 v8, v8, v6
	ds_load_2addr_stride64_b32 v[6:7], v21 offset0:28 offset1:30
	v_add_f32_e32 v8, v9, v8
	s_wait_dscnt 0x1
	v_add_f32_e32 v4, v4, v8
	s_delay_alu instid0(VALU_DEP_1) | instskip(SKIP_1) | instid1(VALU_DEP_1)
	v_add_f32_e32 v4, v5, v4
	s_wait_dscnt 0x0
	v_add_f32_e32 v4, v6, v4
                                        ; implicit-def: $vgpr6
	s_delay_alu instid0(VALU_DEP_1)
	v_add_f32_e32 v4, v7, v4
	ds_store_b32 v21, v4
	s_and_saveexec_b32 s34, s6
	s_cbranch_execz .LBB636_50
; %bb.47:                               ;   in Loop: Header=BB636_5 Depth=1
	v_mul_f32_e32 v6, s22, v4
	s_and_not1_b32 vcc_lo, exec_lo, s39
	s_cbranch_vccnz .LBB636_49
; %bb.48:                               ;   in Loop: Header=BB636_5 Depth=1
	v_lshl_add_u64 v[4:5], v[2:3], 2, s[30:31]
	global_load_b32 v4, v[4:5], off
	s_wait_loadcnt 0x0
	v_fmac_f32_e32 v6, s26, v4
.LBB636_49:                             ;   in Loop: Header=BB636_5 Depth=1
	s_or_b32 s35, s44, exec_lo
.LBB636_50:                             ;   in Loop: Header=BB636_5 Depth=1
	s_wait_xcnt 0x0
	s_or_b32 exec_lo, exec_lo, s34
	s_delay_alu instid0(SALU_CYCLE_1) | instskip(SKIP_1) | instid1(SALU_CYCLE_1)
	s_and_not1_b32 s34, s44, exec_lo
	s_and_b32 s35, s35, exec_lo
	s_or_b32 s44, s34, s35
.LBB636_51:                             ;   in Loop: Header=BB636_5 Depth=1
	s_or_b32 exec_lo, exec_lo, s7
	v_mov_b64_e32 v[4:5], v[2:3]
	s_and_saveexec_b32 s7, s44
	s_cbranch_execz .LBB636_3
.LBB636_52:                             ;   in Loop: Header=BB636_5 Depth=1
	s_delay_alu instid0(VALU_DEP_1)
	v_lshl_add_u64 v[4:5], v[4:5], 2, s[30:31]
	global_store_b32 v[4:5], v6, off
	s_branch .LBB636_3
.LBB636_53:
	s_endpgm
	.section	.rodata,"a",@progbits
	.p2align	6, 0x0
	.amdhsa_kernel _ZL20rocblas_gemvn_kernelILi32ELi16Ei16rocblas_bfloat16ffEviiT3_lPKT2_lT1_lS4_lS5_lS1_lPT4_lS5_li
		.amdhsa_group_segment_fixed_size 8192
		.amdhsa_private_segment_fixed_size 0
		.amdhsa_kernarg_size 400
		.amdhsa_user_sgpr_count 2
		.amdhsa_user_sgpr_dispatch_ptr 0
		.amdhsa_user_sgpr_queue_ptr 0
		.amdhsa_user_sgpr_kernarg_segment_ptr 1
		.amdhsa_user_sgpr_dispatch_id 0
		.amdhsa_user_sgpr_kernarg_preload_length 0
		.amdhsa_user_sgpr_kernarg_preload_offset 0
		.amdhsa_user_sgpr_private_segment_size 0
		.amdhsa_wavefront_size32 1
		.amdhsa_uses_dynamic_stack 0
		.amdhsa_enable_private_segment 0
		.amdhsa_system_sgpr_workgroup_id_x 1
		.amdhsa_system_sgpr_workgroup_id_y 0
		.amdhsa_system_sgpr_workgroup_id_z 1
		.amdhsa_system_sgpr_workgroup_info 0
		.amdhsa_system_vgpr_workitem_id 1
		.amdhsa_next_free_vgpr 53
		.amdhsa_next_free_sgpr 51
		.amdhsa_named_barrier_count 0
		.amdhsa_reserve_vcc 1
		.amdhsa_float_round_mode_32 0
		.amdhsa_float_round_mode_16_64 0
		.amdhsa_float_denorm_mode_32 3
		.amdhsa_float_denorm_mode_16_64 3
		.amdhsa_fp16_overflow 0
		.amdhsa_memory_ordered 1
		.amdhsa_forward_progress 1
		.amdhsa_inst_pref_size 25
		.amdhsa_round_robin_scheduling 0
		.amdhsa_exception_fp_ieee_invalid_op 0
		.amdhsa_exception_fp_denorm_src 0
		.amdhsa_exception_fp_ieee_div_zero 0
		.amdhsa_exception_fp_ieee_overflow 0
		.amdhsa_exception_fp_ieee_underflow 0
		.amdhsa_exception_fp_ieee_inexact 0
		.amdhsa_exception_int_div_zero 0
	.end_amdhsa_kernel
	.section	.text._ZL20rocblas_gemvn_kernelILi32ELi16Ei16rocblas_bfloat16ffEviiT3_lPKT2_lT1_lS4_lS5_lS1_lPT4_lS5_li,"axG",@progbits,_ZL20rocblas_gemvn_kernelILi32ELi16Ei16rocblas_bfloat16ffEviiT3_lPKT2_lT1_lS4_lS5_lS1_lPT4_lS5_li,comdat
.Lfunc_end636:
	.size	_ZL20rocblas_gemvn_kernelILi32ELi16Ei16rocblas_bfloat16ffEviiT3_lPKT2_lT1_lS4_lS5_lS1_lPT4_lS5_li, .Lfunc_end636-_ZL20rocblas_gemvn_kernelILi32ELi16Ei16rocblas_bfloat16ffEviiT3_lPKT2_lT1_lS4_lS5_lS1_lPT4_lS5_li
                                        ; -- End function
	.set _ZL20rocblas_gemvn_kernelILi32ELi16Ei16rocblas_bfloat16ffEviiT3_lPKT2_lT1_lS4_lS5_lS1_lPT4_lS5_li.num_vgpr, 53
	.set _ZL20rocblas_gemvn_kernelILi32ELi16Ei16rocblas_bfloat16ffEviiT3_lPKT2_lT1_lS4_lS5_lS1_lPT4_lS5_li.num_agpr, 0
	.set _ZL20rocblas_gemvn_kernelILi32ELi16Ei16rocblas_bfloat16ffEviiT3_lPKT2_lT1_lS4_lS5_lS1_lPT4_lS5_li.numbered_sgpr, 51
	.set _ZL20rocblas_gemvn_kernelILi32ELi16Ei16rocblas_bfloat16ffEviiT3_lPKT2_lT1_lS4_lS5_lS1_lPT4_lS5_li.num_named_barrier, 0
	.set _ZL20rocblas_gemvn_kernelILi32ELi16Ei16rocblas_bfloat16ffEviiT3_lPKT2_lT1_lS4_lS5_lS1_lPT4_lS5_li.private_seg_size, 0
	.set _ZL20rocblas_gemvn_kernelILi32ELi16Ei16rocblas_bfloat16ffEviiT3_lPKT2_lT1_lS4_lS5_lS1_lPT4_lS5_li.uses_vcc, 1
	.set _ZL20rocblas_gemvn_kernelILi32ELi16Ei16rocblas_bfloat16ffEviiT3_lPKT2_lT1_lS4_lS5_lS1_lPT4_lS5_li.uses_flat_scratch, 0
	.set _ZL20rocblas_gemvn_kernelILi32ELi16Ei16rocblas_bfloat16ffEviiT3_lPKT2_lT1_lS4_lS5_lS1_lPT4_lS5_li.has_dyn_sized_stack, 0
	.set _ZL20rocblas_gemvn_kernelILi32ELi16Ei16rocblas_bfloat16ffEviiT3_lPKT2_lT1_lS4_lS5_lS1_lPT4_lS5_li.has_recursion, 0
	.set _ZL20rocblas_gemvn_kernelILi32ELi16Ei16rocblas_bfloat16ffEviiT3_lPKT2_lT1_lS4_lS5_lS1_lPT4_lS5_li.has_indirect_call, 0
	.section	.AMDGPU.csdata,"",@progbits
; Kernel info:
; codeLenInByte = 3188
; TotalNumSgprs: 53
; NumVgprs: 53
; ScratchSize: 0
; MemoryBound: 0
; FloatMode: 240
; IeeeMode: 1
; LDSByteSize: 8192 bytes/workgroup (compile time only)
; SGPRBlocks: 0
; VGPRBlocks: 3
; NumSGPRsForWavesPerEU: 53
; NumVGPRsForWavesPerEU: 53
; NamedBarCnt: 0
; Occupancy: 16
; WaveLimiterHint : 1
; COMPUTE_PGM_RSRC2:SCRATCH_EN: 0
; COMPUTE_PGM_RSRC2:USER_SGPR: 2
; COMPUTE_PGM_RSRC2:TRAP_HANDLER: 0
; COMPUTE_PGM_RSRC2:TGID_X_EN: 1
; COMPUTE_PGM_RSRC2:TGID_Y_EN: 0
; COMPUTE_PGM_RSRC2:TGID_Z_EN: 1
; COMPUTE_PGM_RSRC2:TIDIG_COMP_CNT: 1
	.section	.text._ZL20rocblas_gemvn_kernelILi32ELi16El16rocblas_bfloat16ffEviiT3_lPKT2_lT1_lS4_lS5_lS1_lPT4_lS5_li,"axG",@progbits,_ZL20rocblas_gemvn_kernelILi32ELi16El16rocblas_bfloat16ffEviiT3_lPKT2_lT1_lS4_lS5_lS1_lPT4_lS5_li,comdat
	.globl	_ZL20rocblas_gemvn_kernelILi32ELi16El16rocblas_bfloat16ffEviiT3_lPKT2_lT1_lS4_lS5_lS1_lPT4_lS5_li ; -- Begin function _ZL20rocblas_gemvn_kernelILi32ELi16El16rocblas_bfloat16ffEviiT3_lPKT2_lT1_lS4_lS5_lS1_lPT4_lS5_li
	.p2align	8
	.type	_ZL20rocblas_gemvn_kernelILi32ELi16El16rocblas_bfloat16ffEviiT3_lPKT2_lT1_lS4_lS5_lS1_lPT4_lS5_li,@function
_ZL20rocblas_gemvn_kernelILi32ELi16El16rocblas_bfloat16ffEviiT3_lPKT2_lT1_lS4_lS5_lS1_lPT4_lS5_li: ; @_ZL20rocblas_gemvn_kernelILi32ELi16El16rocblas_bfloat16ffEviiT3_lPKT2_lT1_lS4_lS5_lS1_lPT4_lS5_li
; %bb.0:
	s_load_b64 s[2:3], s[0:1], 0x9c
	s_wait_kmcnt 0x0
	s_lshr_b32 s4, s2, 16
	s_and_b32 s2, s2, 0xffff
	s_and_b32 s3, s3, 0xffff
	s_mul_i32 s2, s4, s2
	s_delay_alu instid0(SALU_CYCLE_1) | instskip(NEXT) | instid1(SALU_CYCLE_1)
	s_mul_i32 s2, s2, s3
	s_cmp_lg_u32 s2, 0x200
	s_cbranch_scc1 .LBB637_53
; %bb.1:
	s_load_b32 s33, s[0:1], 0x88
	s_bfe_u32 s2, ttmp6, 0x40014
	s_lshr_b32 s3, ttmp7, 16
	s_add_co_i32 s2, s2, 1
	s_bfe_u32 s4, ttmp6, 0x40008
	s_mul_i32 s2, s3, s2
	s_getreg_b32 s6, hwreg(HW_REG_IB_STS2, 6, 4)
	s_add_co_i32 s4, s4, s2
	s_cmp_eq_u32 s6, 0
	s_mov_b32 s35, 0
	s_cselect_b32 s34, s3, s4
	s_wait_kmcnt 0x0
	s_cmp_ge_u32 s34, s33
	s_cbranch_scc1 .LBB637_53
; %bb.2:
	s_clause 0x3
	s_load_b512 s[8:23], s[0:1], 0x18
	s_load_b256 s[24:31], s[0:1], 0x68
	s_load_b96 s[36:38], s[0:1], 0x0
	s_load_b32 s39, s[0:1], 0x58
	v_and_b32_e32 v6, 0x3ff, v0
	v_bfe_u32 v2, v0, 10, 10
	s_delay_alu instid0(VALU_DEP_2) | instskip(NEXT) | instid1(VALU_DEP_2)
	v_dual_mov_b32 v1, 0 :: v_dual_lshlrev_b32 v0, 2, v6
	v_lshl_add_u32 v7, v2, 5, v6
	s_delay_alu instid0(VALU_DEP_2) | instskip(NEXT) | instid1(VALU_DEP_3)
	v_dual_mov_b32 v3, v1 :: v_dual_lshlrev_b32 v52, 2, v2
	v_lshl_add_u32 v53, v2, 9, v0
	v_lshl_add_u32 v54, v2, 7, v0
	s_wait_xcnt 0x0
	v_cmp_gt_u32_e64 s0, 0x80, v7
	s_wait_kmcnt 0x0
	s_lshl_b64 s[4:5], s[10:11], 1
	s_lshl_b64 s[10:11], s[18:19], 1
	;; [unrolled: 1-line block ×3, first 2 shown]
	s_cmp_eq_f32 s38, 0
	v_mul_u64_e32 v[10:11], s[20:21], v[2:3]
	v_mul_u64_e32 v[12:13], s[12:13], v[2:3]
	v_mad_nc_u64_u32 v[4:5], s20, v52, s[20:21]
	s_cselect_b32 s46, -1, 0
	s_cmp_neq_f32 s38, 0
	v_mad_nc_u64_u32 v[8:9], s12, v52, s[12:13]
	s_add_nc_u64 s[24:25], s[24:25], s[2:3]
	s_add_nc_u64 s[26:27], s[16:17], s[10:11]
	s_cselect_b32 s1, -1, 0
	s_cmp_neq_f32 s39, 1.0
	s_cselect_b32 s7, -1, 0
	s_bfe_u32 s18, ttmp6, 0x4000c
	s_and_b32 s19, ttmp6, 15
	s_add_co_i32 s18, s18, 1
	s_or_b32 s47, s1, s7
	s_mul_i32 s18, ttmp9, s18
	v_mad_u32 v5, s21, v52, v5
	s_add_co_i32 s19, s19, s18
	s_cmp_eq_u32 s6, 0
	s_mov_b32 s6, s36
	s_cselect_b32 s1, ttmp9, s19
	s_ashr_i32 s7, s36, 31
	s_lshl_b32 s1, s1, 7
	s_cmp_neq_f32 s39, 0
	v_dual_add_nc_u32 v0, s1, v7 :: v_dual_bitop2_b32 v14, s1, v7 bitop3:0x54
	v_mad_u32 v9, s13, v52, v9
	s_cselect_b32 s48, -1, 0
	s_add_nc_u64 s[18:19], s[8:9], s[4:5]
	s_delay_alu instid0(VALU_DEP_2)
	v_cmp_gt_i64_e32 vcc_lo, s[6:7], v[0:1]
	v_mul_u64_e32 v[2:3], s[28:29], v[0:1]
	v_dual_ashrrev_i32 v15, 31, v14 :: v_dual_bitop2_b32 v0, 3, v52 bitop3:0x54
	v_add_nc_u32_e32 v24, s1, v6
	s_ashr_i32 s1, s37, 31
	v_cmp_gt_i32_e64 s2, s36, v14
	s_delay_alu instid0(VALU_DEP_3)
	v_mul_u64_e32 v[16:17], s[12:13], v[0:1]
	v_mul_u64_e32 v[18:19], s[20:21], v[0:1]
	v_or_b32_e32 v0, 2, v52
	v_mul_u64_e32 v[6:7], s[28:29], v[14:15]
	s_lshr_b32 s3, s1, 26
	v_dual_ashrrev_i32 v25, 31, v24 :: v_dual_add_nc_u32 v15, 64, v24
	s_delay_alu instid0(VALU_DEP_3)
	v_mul_u64_e32 v[20:21], s[12:13], v[0:1]
	v_mul_u64_e32 v[22:23], s[20:21], v[0:1]
	s_add_co_i32 s49, s37, s3
	v_add_nc_u32_e32 v0, 32, v24
	v_add_nc_u32_e32 v26, 0x60, v24
	s_and_not1_b32 s49, s49, 63
	v_cmp_gt_i32_e64 s4, s36, v15
	s_sub_co_i32 s6, s37, s49
	v_lshlrev_b64_e32 v[14:15], 1, v[24:25]
	v_lshl_add_u64 v[4:5], v[4:5], 1, s[16:17]
	v_lshl_add_u64 v[8:9], v[8:9], 1, s[18:19]
	v_cmp_gt_i32_e64 s1, s36, v24
	v_lshl_add_u64 v[10:11], v[10:11], 3, s[16:17]
	v_lshl_add_u64 v[12:13], v[12:13], 3, s[18:19]
	v_cmp_gt_i32_e64 s3, s36, v0
	v_cmp_gt_i32_e64 s5, s36, v26
	s_cmp_gt_i32 s6, 0
	v_cmp_gt_i32_e64 s6, s49, v52
	s_cselect_b32 s36, -1, 0
	s_and_b32 s50, s0, vcc_lo
	s_lshl_b64 s[28:29], s[22:23], 1
	s_lshl_b64 s[40:41], s[14:15], 1
	;; [unrolled: 1-line block ×3, first 2 shown]
	v_lshl_add_u64 v[16:17], v[16:17], 1, s[18:19]
	v_lshl_add_u64 v[18:19], v[18:19], 1, s[16:17]
	;; [unrolled: 1-line block ×4, first 2 shown]
	s_lshl_b64 s[16:17], s[20:21], 7
	s_branch .LBB637_5
.LBB637_3:                              ;   in Loop: Header=BB637_5 Depth=1
	s_wait_xcnt 0x0
	s_or_b32 exec_lo, exec_lo, s7
.LBB637_4:                              ;   in Loop: Header=BB637_5 Depth=1
	s_add_co_i32 s34, s34, 0x10000
	s_delay_alu instid0(SALU_CYCLE_1)
	s_cmp_lt_u32 s34, s33
	s_cbranch_scc0 .LBB637_53
.LBB637_5:                              ; =>This Loop Header: Depth=1
                                        ;     Child Loop BB637_21 Depth 2
	s_and_not1_b32 vcc_lo, exec_lo, s47
	s_cbranch_vccnz .LBB637_4
; %bb.6:                                ;   in Loop: Header=BB637_5 Depth=1
	s_mul_u64 s[8:9], s[30:31], s[34:35]
	s_and_not1_b32 vcc_lo, exec_lo, s46
	s_lshl_b64 s[8:9], s[8:9], 2
	s_delay_alu instid0(SALU_CYCLE_1)
	s_add_nc_u64 s[44:45], s[24:25], s[8:9]
	s_cbranch_vccnz .LBB637_10
; %bb.7:                                ;   in Loop: Header=BB637_5 Depth=1
	s_mov_b32 s7, 0
	s_mov_b32 s51, 0
                                        ; implicit-def: $vgpr0
	s_and_saveexec_b32 s8, s50
	s_cbranch_execz .LBB637_11
; %bb.8:                                ;   in Loop: Header=BB637_5 Depth=1
	s_and_not1_b32 vcc_lo, exec_lo, s48
	s_cbranch_vccnz .LBB637_13
; %bb.9:                                ;   in Loop: Header=BB637_5 Depth=1
	v_lshl_add_u64 v[24:25], v[2:3], 2, s[44:45]
	global_load_b32 v0, v[24:25], off
	s_wait_loadcnt 0x0
	v_mul_f32_e32 v0, s39, v0
	s_branch .LBB637_14
.LBB637_10:                             ;   in Loop: Header=BB637_5 Depth=1
	s_mov_b32 s51, 0
                                        ; implicit-def: $vgpr0
	s_cbranch_execz .LBB637_12
	s_branch .LBB637_15
.LBB637_11:                             ;   in Loop: Header=BB637_5 Depth=1
	s_or_b32 exec_lo, exec_lo, s8
	s_delay_alu instid0(SALU_CYCLE_1)
	s_and_b32 vcc_lo, exec_lo, s7
	s_cbranch_vccnz .LBB637_15
.LBB637_12:                             ;   in Loop: Header=BB637_5 Depth=1
	v_mov_b64_e32 v[24:25], v[2:3]
	s_and_saveexec_b32 s7, s51
	s_cbranch_execz .LBB637_3
	s_branch .LBB637_52
.LBB637_13:                             ;   in Loop: Header=BB637_5 Depth=1
	v_mov_b32_e32 v0, 0
.LBB637_14:                             ;   in Loop: Header=BB637_5 Depth=1
	s_mov_b32 s51, exec_lo
	s_wait_xcnt 0x0
	s_or_b32 exec_lo, exec_lo, s8
	s_delay_alu instid0(SALU_CYCLE_1)
	s_and_b32 vcc_lo, exec_lo, s7
	s_cbranch_vccz .LBB637_12
.LBB637_15:                             ;   in Loop: Header=BB637_5 Depth=1
	v_dual_mov_b32 v55, 0 :: v_dual_mov_b32 v0, v52
	v_dual_mov_b32 v56, 0 :: v_dual_mov_b32 v57, 0
	v_mov_b32_e32 v58, 0
	s_and_saveexec_b32 s7, s6
	s_cbranch_execz .LBB637_27
; %bb.16:                               ;   in Loop: Header=BB637_5 Depth=1
	s_mul_u64 s[8:9], s[28:29], s[34:35]
	s_mul_u64 s[52:53], s[40:41], s[34:35]
	v_add_nc_u64_e32 v[24:25], s[8:9], v[10:11]
	v_add_nc_u64_e32 v[26:27], s[52:53], v[16:17]
	;; [unrolled: 1-line block ×8, first 2 shown]
	v_dual_mov_b32 v55, 0 :: v_dual_mov_b32 v0, v52
	v_dual_mov_b32 v56, 0 :: v_dual_mov_b32 v57, 0
	v_mov_b32_e32 v58, 0
	s_mov_b32 s8, 0
	s_branch .LBB637_21
.LBB637_17:                             ;   in Loop: Header=BB637_21 Depth=2
	s_or_b32 exec_lo, exec_lo, s54
	s_wait_loadcnt 0x2
	v_dual_lshlrev_b32 v45, 16, v70 :: v_dual_lshlrev_b32 v44, 16, v69
	s_wait_loadcnt 0x0
	v_dual_lshlrev_b32 v47, 16, v68 :: v_dual_lshlrev_b32 v46, 16, v67
	s_delay_alu instid0(VALU_DEP_2) | instskip(NEXT) | instid1(VALU_DEP_1)
	v_pk_mul_f32 v[44:45], v[42:43], v[44:45]
	v_add_f32_e32 v44, v57, v44
	s_delay_alu instid0(VALU_DEP_1) | instskip(NEXT) | instid1(VALU_DEP_4)
	v_add_f32_e32 v48, v44, v45
	v_pk_mul_f32 v[44:45], v[40:41], v[46:47]
	s_delay_alu instid0(VALU_DEP_1) | instskip(NEXT) | instid1(VALU_DEP_1)
	v_add_f32_e32 v44, v48, v44
	v_add_f32_e32 v57, v44, v45
.LBB637_18:                             ;   in Loop: Header=BB637_21 Depth=2
	s_or_b32 exec_lo, exec_lo, s53
	s_wait_loadcnt 0x2
	v_dual_lshlrev_b32 v45, 16, v66 :: v_dual_lshlrev_b32 v44, 16, v65
	s_wait_loadcnt 0x0
	v_dual_lshlrev_b32 v47, 16, v64 :: v_dual_lshlrev_b32 v46, 16, v63
	s_delay_alu instid0(VALU_DEP_2) | instskip(NEXT) | instid1(VALU_DEP_1)
	v_pk_mul_f32 v[44:45], v[42:43], v[44:45]
	v_add_f32_e32 v44, v56, v44
	s_delay_alu instid0(VALU_DEP_1) | instskip(NEXT) | instid1(VALU_DEP_4)
	v_add_f32_e32 v48, v44, v45
	v_pk_mul_f32 v[44:45], v[40:41], v[46:47]
	s_delay_alu instid0(VALU_DEP_1) | instskip(NEXT) | instid1(VALU_DEP_1)
	v_add_f32_e32 v44, v48, v44
	v_add_f32_e32 v56, v44, v45
.LBB637_19:                             ;   in Loop: Header=BB637_21 Depth=2
	s_or_b32 exec_lo, exec_lo, s52
	s_wait_loadcnt 0x2
	v_dual_lshlrev_b32 v45, 16, v62 :: v_dual_lshlrev_b32 v44, 16, v61
	s_delay_alu instid0(VALU_DEP_1) | instskip(SKIP_1) | instid1(VALU_DEP_1)
	v_pk_mul_f32 v[42:43], v[42:43], v[44:45]
	s_wait_loadcnt 0x0
	v_dual_add_f32 v42, v55, v42 :: v_dual_lshlrev_b32 v45, 16, v60
	s_delay_alu instid0(VALU_DEP_1) | instskip(SKIP_1) | instid1(VALU_DEP_1)
	v_add_f32_e32 v42, v42, v43
	v_lshlrev_b32_e32 v44, 16, v59
	v_pk_mul_f32 v[40:41], v[40:41], v[44:45]
	s_delay_alu instid0(VALU_DEP_1) | instskip(NEXT) | instid1(VALU_DEP_1)
	v_add_f32_e32 v40, v42, v40
	v_add_f32_e32 v55, v40, v41
.LBB637_20:                             ;   in Loop: Header=BB637_21 Depth=2
	s_or_b32 exec_lo, exec_lo, s9
	v_add_nc_u32_e32 v0, 64, v0
	v_add_nc_u64_e32 v[24:25], s[16:17], v[24:25]
	v_add_nc_u64_e32 v[26:27], s[42:43], v[26:27]
	;; [unrolled: 1-line block ×7, first 2 shown]
	v_cmp_le_i32_e32 vcc_lo, s49, v0
	v_add_nc_u64_e32 v[38:39], s[42:43], v[38:39]
	s_or_b32 s8, vcc_lo, s8
	s_delay_alu instid0(SALU_CYCLE_1)
	s_and_not1_b32 exec_lo, exec_lo, s8
	s_cbranch_execz .LBB637_26
.LBB637_21:                             ;   Parent Loop BB637_5 Depth=1
                                        ; =>  This Inner Loop Header: Depth=2
	s_and_saveexec_b32 s9, s1
	s_cbranch_execz .LBB637_20
; %bb.22:                               ;   in Loop: Header=BB637_21 Depth=2
	v_add_nc_u64_e32 v[40:41], s[10:11], v[24:25]
	v_add_nc_u64_e32 v[42:43], s[10:11], v[36:37]
	;; [unrolled: 1-line block ×7, first 2 shown]
	global_load_u16 v63, v[40:41], off
	global_load_u16 v68, v[42:43], off
	v_add_nc_u64_e32 v[48:49], v[26:27], v[14:15]
	global_load_u16 v40, v[66:67], off
	global_load_u16 v69, v[64:65], off
	;; [unrolled: 1-line block ×6, first 2 shown]
	s_wait_loadcnt 0x4
	v_dual_lshlrev_b32 v41, 16, v40 :: v_dual_lshlrev_b32 v40, 16, v69
	s_wait_xcnt 0x6
	v_dual_lshlrev_b32 v43, 16, v68 :: v_dual_lshlrev_b32 v42, 16, v63
	s_wait_xcnt 0x0
	s_and_saveexec_b32 s52, s3
	s_cbranch_execz .LBB637_19
; %bb.23:                               ;   in Loop: Header=BB637_21 Depth=2
	global_load_u16 v65, v[46:47], off offset:64
	global_load_u16 v66, v[50:51], off offset:64
	global_load_u16 v63, v[44:45], off offset:64
	global_load_u16 v64, v[48:49], off offset:64
	s_wait_xcnt 0x0
	s_and_saveexec_b32 s53, s4
	s_cbranch_execz .LBB637_18
; %bb.24:                               ;   in Loop: Header=BB637_21 Depth=2
	global_load_u16 v69, v[46:47], off offset:128
	global_load_u16 v70, v[50:51], off offset:128
	global_load_u16 v67, v[44:45], off offset:128
	global_load_u16 v68, v[48:49], off offset:128
	;; [unrolled: 8-line block ×3, first 2 shown]
	s_wait_loadcnt 0x3
	s_wait_xcnt 0x0
	v_lshlrev_b32_e32 v45, 16, v50
	s_wait_loadcnt 0x1
	v_dual_lshlrev_b32 v44, 16, v46 :: v_dual_lshlrev_b32 v47, 16, v47
	s_wait_loadcnt 0x0
	v_lshlrev_b32_e32 v46, 16, v48
	s_delay_alu instid0(VALU_DEP_2) | instskip(NEXT) | instid1(VALU_DEP_1)
	v_pk_mul_f32 v[44:45], v[42:43], v[44:45]
	v_add_f32_e32 v44, v58, v44
	s_delay_alu instid0(VALU_DEP_1) | instskip(NEXT) | instid1(VALU_DEP_4)
	v_add_f32_e32 v48, v44, v45
	v_pk_mul_f32 v[44:45], v[40:41], v[46:47]
	s_delay_alu instid0(VALU_DEP_1) | instskip(NEXT) | instid1(VALU_DEP_1)
	v_add_f32_e32 v44, v48, v44
	v_add_f32_e32 v58, v44, v45
	s_branch .LBB637_17
.LBB637_26:                             ;   in Loop: Header=BB637_5 Depth=1
	s_or_b32 exec_lo, exec_lo, s8
.LBB637_27:                             ;   in Loop: Header=BB637_5 Depth=1
	s_delay_alu instid0(SALU_CYCLE_1) | instskip(NEXT) | instid1(SALU_CYCLE_1)
	s_or_b32 exec_lo, exec_lo, s7
	s_and_not1_b32 vcc_lo, exec_lo, s36
	s_cbranch_vccnz .LBB637_45
; %bb.28:                               ;   in Loop: Header=BB637_5 Depth=1
	v_dual_mov_b32 v24, 0 :: v_dual_bitop2_b32 v28, 1, v0 bitop3:0x54
	v_cmp_gt_i32_e32 vcc_lo, s37, v0
	s_delay_alu instid0(VALU_DEP_2)
	v_dual_mov_b32 v25, v24 :: v_dual_mov_b32 v26, v24
	v_mov_b32_e32 v27, v24
	s_and_saveexec_b32 s52, vcc_lo
	s_cbranch_execz .LBB637_36
; %bb.29:                               ;   in Loop: Header=BB637_5 Depth=1
	v_mul_u64_e32 v[24:25], s[20:21], v[0:1]
	s_mul_u64 s[8:9], s[22:23], s[34:35]
	v_mov_b32_e32 v27, 0
	s_lshl_b64 s[8:9], s[8:9], 1
	s_mov_b32 s53, exec_lo
	s_add_nc_u64 s[8:9], s[26:27], s[8:9]
	s_delay_alu instid0(VALU_DEP_2) | instid1(SALU_CYCLE_1)
	v_lshl_add_u64 v[24:25], v[24:25], 1, s[8:9]
	global_load_u16 v30, v[24:25], off
	s_wait_xcnt 0x0
	v_dual_mov_b32 v25, 0 :: v_dual_mov_b32 v24, 0
	v_cmpx_gt_i32_e64 s37, v28
	s_cbranch_execz .LBB637_35
; %bb.30:                               ;   in Loop: Header=BB637_5 Depth=1
	v_dual_mov_b32 v29, v1 :: v_dual_bitop2_b32 v26, 2, v0 bitop3:0x54
	s_mov_b32 s54, exec_lo
	s_delay_alu instid0(VALU_DEP_1) | instskip(NEXT) | instid1(VALU_DEP_1)
	v_mul_u64_e32 v[24:25], s[20:21], v[28:29]
	v_lshl_add_u64 v[24:25], v[24:25], 1, s[8:9]
	global_load_u16 v29, v[24:25], off
	s_wait_xcnt 0x0
	v_dual_mov_b32 v25, 0 :: v_dual_mov_b32 v24, 0
	v_cmpx_gt_i32_e64 s37, v26
	s_cbranch_execz .LBB637_34
; %bb.31:                               ;   in Loop: Header=BB637_5 Depth=1
	v_mov_b32_e32 v27, v1
	s_mov_b32 s55, exec_lo
	s_delay_alu instid0(VALU_DEP_1) | instskip(NEXT) | instid1(VALU_DEP_1)
	v_mul_u64_e32 v[24:25], s[20:21], v[26:27]
	v_lshl_add_u64 v[24:25], v[24:25], 1, s[8:9]
	global_load_u16 v26, v[24:25], off
	s_wait_xcnt 0x0
	v_dual_mov_b32 v25, 0 :: v_dual_bitop2_b32 v24, 3, v0 bitop3:0x54
	s_delay_alu instid0(VALU_DEP_1)
	v_cmpx_gt_i32_e64 s37, v24
	s_cbranch_execz .LBB637_33
; %bb.32:                               ;   in Loop: Header=BB637_5 Depth=1
	v_mov_b32_e32 v25, v1
	s_delay_alu instid0(VALU_DEP_1) | instskip(NEXT) | instid1(VALU_DEP_1)
	v_mul_u64_e32 v[24:25], s[20:21], v[24:25]
	v_lshl_add_u64 v[24:25], v[24:25], 1, s[8:9]
	global_load_u16 v24, v[24:25], off
	s_wait_loadcnt 0x0
	s_wait_xcnt 0x0
	v_lshlrev_b32_e32 v25, 16, v24
.LBB637_33:                             ;   in Loop: Header=BB637_5 Depth=1
	s_or_b32 exec_lo, exec_lo, s55
	s_wait_loadcnt 0x0
	v_lshlrev_b32_e32 v24, 16, v26
.LBB637_34:                             ;   in Loop: Header=BB637_5 Depth=1
	s_or_b32 exec_lo, exec_lo, s54
	s_wait_loadcnt 0x0
	v_lshlrev_b32_e32 v27, 16, v29
.LBB637_35:                             ;   in Loop: Header=BB637_5 Depth=1
	s_or_b32 exec_lo, exec_lo, s53
	s_wait_loadcnt 0x0
	v_lshlrev_b32_e32 v26, 16, v30
.LBB637_36:                             ;   in Loop: Header=BB637_5 Depth=1
	s_or_b32 exec_lo, exec_lo, s52
	s_and_saveexec_b32 s52, s1
	s_cbranch_execz .LBB637_44
; %bb.37:                               ;   in Loop: Header=BB637_5 Depth=1
	v_dual_mov_b32 v29, v1 :: v_dual_bitop2_b32 v30, 2, v0 bitop3:0x54
	v_mov_b32_e32 v31, v1
	v_mul_u64_e32 v[32:33], s[12:13], v[0:1]
	v_or_b32_e32 v0, 3, v0
	s_delay_alu instid0(VALU_DEP_4)
	v_mul_u64_e32 v[34:35], s[12:13], v[28:29]
	s_mul_u64 s[8:9], s[14:15], s[34:35]
	v_mul_u64_e32 v[36:37], s[12:13], v[30:31]
	v_cmp_gt_i32_e64 s7, s37, v28
	v_mul_u64_e32 v[38:39], s[12:13], v[0:1]
	s_lshl_b64 s[54:55], s[8:9], 1
	v_cmp_gt_i32_e64 s8, s37, v30
	v_cmp_gt_i32_e64 s9, s37, v0
	v_dual_cndmask_b32 v29, 0, v33 :: v_dual_cndmask_b32 v28, 0, v32
	v_dual_cndmask_b32 v31, 0, v35, s7 :: v_dual_cndmask_b32 v30, 0, v34, s7
	s_delay_alu instid0(VALU_DEP_4) | instskip(NEXT) | instid1(VALU_DEP_4)
	v_dual_cndmask_b32 v33, 0, v37, s8 :: v_dual_cndmask_b32 v32, 0, v36, s8
	v_dual_cndmask_b32 v35, 0, v39, s9 :: v_dual_cndmask_b32 v34, 0, v38, s9
	s_add_nc_u64 s[8:9], s[18:19], s[54:55]
	s_delay_alu instid0(VALU_DEP_3) | instid1(SALU_CYCLE_1)
	v_lshl_add_u64 v[30:31], v[30:31], 1, s[8:9]
	s_delay_alu instid0(VALU_DEP_3) | instskip(NEXT) | instid1(VALU_DEP_3)
	v_lshl_add_u64 v[32:33], v[32:33], 1, s[8:9]
	v_lshl_add_u64 v[34:35], v[34:35], 1, s[8:9]
	;; [unrolled: 1-line block ×3, first 2 shown]
	s_delay_alu instid0(VALU_DEP_4) | instskip(NEXT) | instid1(VALU_DEP_4)
	v_add_nc_u64_e32 v[28:29], v[30:31], v[14:15]
	v_add_nc_u64_e32 v[30:31], v[32:33], v[14:15]
	s_delay_alu instid0(VALU_DEP_4) | instskip(NEXT) | instid1(VALU_DEP_4)
	v_add_nc_u64_e32 v[32:33], v[34:35], v[14:15]
	v_add_nc_u64_e32 v[34:35], v[36:37], v[14:15]
	s_clause 0x3
	global_load_u16 v37, v[28:29], off
	global_load_u16 v0, v[30:31], off
	;; [unrolled: 1-line block ×4, first 2 shown]
	s_wait_xcnt 0x0
	s_and_saveexec_b32 s7, s3
	s_cbranch_execz .LBB637_43
; %bb.38:                               ;   in Loop: Header=BB637_5 Depth=1
	s_clause 0x3
	global_load_u16 v41, v[34:35], off offset:64
	global_load_u16 v42, v[28:29], off offset:64
	global_load_u16 v39, v[30:31], off offset:64
	global_load_u16 v40, v[32:33], off offset:64
	s_wait_xcnt 0x0
	s_and_saveexec_b32 s8, s4
	s_cbranch_execz .LBB637_42
; %bb.39:                               ;   in Loop: Header=BB637_5 Depth=1
	s_clause 0x3
	global_load_u16 v45, v[34:35], off offset:128
	global_load_u16 v46, v[28:29], off offset:128
	global_load_u16 v43, v[30:31], off offset:128
	global_load_u16 v44, v[32:33], off offset:128
	;; [unrolled: 9-line block ×3, first 2 shown]
	s_wait_loadcnt 0x2
	s_wait_xcnt 0x3
	v_dual_lshlrev_b32 v29, 16, v47 :: v_dual_lshlrev_b32 v28, 16, v48
	s_delay_alu instid0(VALU_DEP_1) | instskip(SKIP_2) | instid1(VALU_DEP_1)
	v_pk_mul_f32 v[28:29], v[26:27], v[28:29]
	s_wait_loadcnt 0x1
	s_wait_xcnt 0x0
	v_dual_add_f32 v28, v58, v28 :: v_dual_lshlrev_b32 v31, 16, v49
	s_wait_loadcnt 0x0
	s_delay_alu instid0(VALU_DEP_1) | instskip(NEXT) | instid1(VALU_DEP_1)
	v_dual_lshlrev_b32 v30, 16, v50 :: v_dual_add_f32 v32, v28, v29
	v_pk_mul_f32 v[28:29], v[24:25], v[30:31]
	s_delay_alu instid0(VALU_DEP_1) | instskip(NEXT) | instid1(VALU_DEP_1)
	v_add_f32_e32 v28, v32, v28
	v_add_f32_e32 v58, v28, v29
.LBB637_41:                             ;   in Loop: Header=BB637_5 Depth=1
	s_or_b32 exec_lo, exec_lo, s9
	s_wait_loadcnt 0x2
	v_dual_lshlrev_b32 v29, 16, v46 :: v_dual_lshlrev_b32 v28, 16, v45
	s_wait_loadcnt 0x0
	v_dual_lshlrev_b32 v31, 16, v44 :: v_dual_lshlrev_b32 v30, 16, v43
	s_delay_alu instid0(VALU_DEP_2) | instskip(NEXT) | instid1(VALU_DEP_1)
	v_pk_mul_f32 v[28:29], v[26:27], v[28:29]
	v_add_f32_e32 v28, v57, v28
	s_delay_alu instid0(VALU_DEP_1) | instskip(NEXT) | instid1(VALU_DEP_4)
	v_add_f32_e32 v32, v28, v29
	v_pk_mul_f32 v[28:29], v[24:25], v[30:31]
	s_delay_alu instid0(VALU_DEP_1) | instskip(NEXT) | instid1(VALU_DEP_1)
	v_add_f32_e32 v28, v32, v28
	v_add_f32_e32 v57, v28, v29
.LBB637_42:                             ;   in Loop: Header=BB637_5 Depth=1
	s_or_b32 exec_lo, exec_lo, s8
	s_wait_loadcnt 0x2
	v_dual_lshlrev_b32 v29, 16, v42 :: v_dual_lshlrev_b32 v28, 16, v41
	s_wait_loadcnt 0x0
	v_dual_lshlrev_b32 v31, 16, v40 :: v_dual_lshlrev_b32 v30, 16, v39
	s_delay_alu instid0(VALU_DEP_2) | instskip(NEXT) | instid1(VALU_DEP_1)
	v_pk_mul_f32 v[28:29], v[26:27], v[28:29]
	v_add_f32_e32 v28, v56, v28
	s_delay_alu instid0(VALU_DEP_1) | instskip(NEXT) | instid1(VALU_DEP_4)
	v_add_f32_e32 v32, v28, v29
	v_pk_mul_f32 v[28:29], v[24:25], v[30:31]
	s_delay_alu instid0(VALU_DEP_1) | instskip(NEXT) | instid1(VALU_DEP_1)
	v_add_f32_e32 v28, v32, v28
	v_add_f32_e32 v56, v28, v29
.LBB637_43:                             ;   in Loop: Header=BB637_5 Depth=1
	s_or_b32 exec_lo, exec_lo, s7
	s_wait_loadcnt 0x0
	v_dual_lshlrev_b32 v29, 16, v37 :: v_dual_lshlrev_b32 v28, 16, v38
	s_delay_alu instid0(VALU_DEP_1) | instskip(NEXT) | instid1(VALU_DEP_1)
	v_pk_mul_f32 v[26:27], v[26:27], v[28:29]
	v_dual_add_f32 v26, v55, v26 :: v_dual_lshlrev_b32 v29, 16, v36
	s_delay_alu instid0(VALU_DEP_1) | instskip(NEXT) | instid1(VALU_DEP_1)
	v_dual_lshlrev_b32 v28, 16, v0 :: v_dual_add_f32 v0, v26, v27
	v_pk_mul_f32 v[24:25], v[24:25], v[28:29]
	s_delay_alu instid0(VALU_DEP_1) | instskip(NEXT) | instid1(VALU_DEP_1)
	v_add_f32_e32 v0, v0, v24
	v_add_f32_e32 v55, v0, v25
.LBB637_44:                             ;   in Loop: Header=BB637_5 Depth=1
	s_or_b32 exec_lo, exec_lo, s52
.LBB637_45:                             ;   in Loop: Header=BB637_5 Depth=1
	ds_store_2addr_b32 v53, v55, v56 offset1:32
	ds_store_2addr_b32 v53, v57, v58 offset0:64 offset1:96
	s_wait_dscnt 0x0
	s_barrier_signal -1
	s_barrier_wait -1
                                        ; implicit-def: $vgpr0
	s_and_saveexec_b32 s7, s0
	s_cbranch_execz .LBB637_51
; %bb.46:                               ;   in Loop: Header=BB637_5 Depth=1
	ds_load_2addr_stride64_b32 v[24:25], v54 offset1:2
	ds_load_2addr_stride64_b32 v[26:27], v54 offset0:4 offset1:6
	ds_load_2addr_stride64_b32 v[28:29], v54 offset0:8 offset1:10
	s_mov_b32 s9, s51
	s_wait_dscnt 0x2
	v_add_f32_e32 v0, v24, v25
	ds_load_2addr_stride64_b32 v[24:25], v54 offset0:12 offset1:14
	s_wait_dscnt 0x2
	v_add_f32_e32 v0, v26, v0
	s_delay_alu instid0(VALU_DEP_1) | instskip(SKIP_3) | instid1(VALU_DEP_1)
	v_add_f32_e32 v0, v27, v0
	ds_load_2addr_stride64_b32 v[26:27], v54 offset0:16 offset1:18
	s_wait_dscnt 0x2
	v_add_f32_e32 v0, v28, v0
	v_add_f32_e32 v0, v29, v0
	ds_load_2addr_stride64_b32 v[28:29], v54 offset0:20 offset1:22
	s_wait_dscnt 0x2
	v_add_f32_e32 v0, v24, v0
	s_delay_alu instid0(VALU_DEP_1) | instskip(SKIP_3) | instid1(VALU_DEP_1)
	v_add_f32_e32 v0, v25, v0
	ds_load_2addr_stride64_b32 v[24:25], v54 offset0:24 offset1:26
	s_wait_dscnt 0x2
	v_add_f32_e32 v0, v26, v0
	v_add_f32_e32 v0, v27, v0
	ds_load_2addr_stride64_b32 v[26:27], v54 offset0:28 offset1:30
	s_wait_dscnt 0x2
	v_add_f32_e32 v0, v28, v0
	s_delay_alu instid0(VALU_DEP_1) | instskip(SKIP_1) | instid1(VALU_DEP_1)
	v_add_f32_e32 v0, v29, v0
	s_wait_dscnt 0x1
	v_add_f32_e32 v0, v24, v0
	s_delay_alu instid0(VALU_DEP_1) | instskip(SKIP_1) | instid1(VALU_DEP_1)
	v_add_f32_e32 v0, v25, v0
	s_wait_dscnt 0x0
	v_add_f32_e32 v0, v26, v0
	s_delay_alu instid0(VALU_DEP_1)
	v_add_f32_e32 v24, v27, v0
                                        ; implicit-def: $vgpr0
	ds_store_b32 v54, v24
	s_and_saveexec_b32 s8, s2
	s_cbranch_execz .LBB637_50
; %bb.47:                               ;   in Loop: Header=BB637_5 Depth=1
	v_mul_f32_e32 v0, s38, v24
	s_and_not1_b32 vcc_lo, exec_lo, s48
	s_cbranch_vccnz .LBB637_49
; %bb.48:                               ;   in Loop: Header=BB637_5 Depth=1
	v_lshl_add_u64 v[24:25], v[6:7], 2, s[44:45]
	global_load_b32 v24, v[24:25], off
	s_wait_loadcnt 0x0
	v_fmac_f32_e32 v0, s39, v24
.LBB637_49:                             ;   in Loop: Header=BB637_5 Depth=1
	s_or_b32 s9, s51, exec_lo
.LBB637_50:                             ;   in Loop: Header=BB637_5 Depth=1
	s_wait_xcnt 0x0
	s_or_b32 exec_lo, exec_lo, s8
	s_delay_alu instid0(SALU_CYCLE_1) | instskip(SKIP_1) | instid1(SALU_CYCLE_1)
	s_and_not1_b32 s8, s51, exec_lo
	s_and_b32 s9, s9, exec_lo
	s_or_b32 s51, s8, s9
.LBB637_51:                             ;   in Loop: Header=BB637_5 Depth=1
	s_or_b32 exec_lo, exec_lo, s7
	v_mov_b64_e32 v[24:25], v[6:7]
	s_and_saveexec_b32 s7, s51
	s_cbranch_execz .LBB637_3
.LBB637_52:                             ;   in Loop: Header=BB637_5 Depth=1
	s_delay_alu instid0(VALU_DEP_1)
	v_lshl_add_u64 v[24:25], v[24:25], 2, s[44:45]
	global_store_b32 v[24:25], v0, off
	s_branch .LBB637_3
.LBB637_53:
	s_sendmsg sendmsg(MSG_DEALLOC_VGPRS)
	s_endpgm
	.section	.rodata,"a",@progbits
	.p2align	6, 0x0
	.amdhsa_kernel _ZL20rocblas_gemvn_kernelILi32ELi16El16rocblas_bfloat16ffEviiT3_lPKT2_lT1_lS4_lS5_lS1_lPT4_lS5_li
		.amdhsa_group_segment_fixed_size 8192
		.amdhsa_private_segment_fixed_size 0
		.amdhsa_kernarg_size 400
		.amdhsa_user_sgpr_count 2
		.amdhsa_user_sgpr_dispatch_ptr 0
		.amdhsa_user_sgpr_queue_ptr 0
		.amdhsa_user_sgpr_kernarg_segment_ptr 1
		.amdhsa_user_sgpr_dispatch_id 0
		.amdhsa_user_sgpr_kernarg_preload_length 0
		.amdhsa_user_sgpr_kernarg_preload_offset 0
		.amdhsa_user_sgpr_private_segment_size 0
		.amdhsa_wavefront_size32 1
		.amdhsa_uses_dynamic_stack 0
		.amdhsa_enable_private_segment 0
		.amdhsa_system_sgpr_workgroup_id_x 1
		.amdhsa_system_sgpr_workgroup_id_y 0
		.amdhsa_system_sgpr_workgroup_id_z 1
		.amdhsa_system_sgpr_workgroup_info 0
		.amdhsa_system_vgpr_workitem_id 1
		.amdhsa_next_free_vgpr 71
		.amdhsa_next_free_sgpr 56
		.amdhsa_named_barrier_count 0
		.amdhsa_reserve_vcc 1
		.amdhsa_float_round_mode_32 0
		.amdhsa_float_round_mode_16_64 0
		.amdhsa_float_denorm_mode_32 3
		.amdhsa_float_denorm_mode_16_64 3
		.amdhsa_fp16_overflow 0
		.amdhsa_memory_ordered 1
		.amdhsa_forward_progress 1
		.amdhsa_inst_pref_size 25
		.amdhsa_round_robin_scheduling 0
		.amdhsa_exception_fp_ieee_invalid_op 0
		.amdhsa_exception_fp_denorm_src 0
		.amdhsa_exception_fp_ieee_div_zero 0
		.amdhsa_exception_fp_ieee_overflow 0
		.amdhsa_exception_fp_ieee_underflow 0
		.amdhsa_exception_fp_ieee_inexact 0
		.amdhsa_exception_int_div_zero 0
	.end_amdhsa_kernel
	.section	.text._ZL20rocblas_gemvn_kernelILi32ELi16El16rocblas_bfloat16ffEviiT3_lPKT2_lT1_lS4_lS5_lS1_lPT4_lS5_li,"axG",@progbits,_ZL20rocblas_gemvn_kernelILi32ELi16El16rocblas_bfloat16ffEviiT3_lPKT2_lT1_lS4_lS5_lS1_lPT4_lS5_li,comdat
.Lfunc_end637:
	.size	_ZL20rocblas_gemvn_kernelILi32ELi16El16rocblas_bfloat16ffEviiT3_lPKT2_lT1_lS4_lS5_lS1_lPT4_lS5_li, .Lfunc_end637-_ZL20rocblas_gemvn_kernelILi32ELi16El16rocblas_bfloat16ffEviiT3_lPKT2_lT1_lS4_lS5_lS1_lPT4_lS5_li
                                        ; -- End function
	.set _ZL20rocblas_gemvn_kernelILi32ELi16El16rocblas_bfloat16ffEviiT3_lPKT2_lT1_lS4_lS5_lS1_lPT4_lS5_li.num_vgpr, 71
	.set _ZL20rocblas_gemvn_kernelILi32ELi16El16rocblas_bfloat16ffEviiT3_lPKT2_lT1_lS4_lS5_lS1_lPT4_lS5_li.num_agpr, 0
	.set _ZL20rocblas_gemvn_kernelILi32ELi16El16rocblas_bfloat16ffEviiT3_lPKT2_lT1_lS4_lS5_lS1_lPT4_lS5_li.numbered_sgpr, 56
	.set _ZL20rocblas_gemvn_kernelILi32ELi16El16rocblas_bfloat16ffEviiT3_lPKT2_lT1_lS4_lS5_lS1_lPT4_lS5_li.num_named_barrier, 0
	.set _ZL20rocblas_gemvn_kernelILi32ELi16El16rocblas_bfloat16ffEviiT3_lPKT2_lT1_lS4_lS5_lS1_lPT4_lS5_li.private_seg_size, 0
	.set _ZL20rocblas_gemvn_kernelILi32ELi16El16rocblas_bfloat16ffEviiT3_lPKT2_lT1_lS4_lS5_lS1_lPT4_lS5_li.uses_vcc, 1
	.set _ZL20rocblas_gemvn_kernelILi32ELi16El16rocblas_bfloat16ffEviiT3_lPKT2_lT1_lS4_lS5_lS1_lPT4_lS5_li.uses_flat_scratch, 0
	.set _ZL20rocblas_gemvn_kernelILi32ELi16El16rocblas_bfloat16ffEviiT3_lPKT2_lT1_lS4_lS5_lS1_lPT4_lS5_li.has_dyn_sized_stack, 0
	.set _ZL20rocblas_gemvn_kernelILi32ELi16El16rocblas_bfloat16ffEviiT3_lPKT2_lT1_lS4_lS5_lS1_lPT4_lS5_li.has_recursion, 0
	.set _ZL20rocblas_gemvn_kernelILi32ELi16El16rocblas_bfloat16ffEviiT3_lPKT2_lT1_lS4_lS5_lS1_lPT4_lS5_li.has_indirect_call, 0
	.section	.AMDGPU.csdata,"",@progbits
; Kernel info:
; codeLenInByte = 3136
; TotalNumSgprs: 58
; NumVgprs: 71
; ScratchSize: 0
; MemoryBound: 0
; FloatMode: 240
; IeeeMode: 1
; LDSByteSize: 8192 bytes/workgroup (compile time only)
; SGPRBlocks: 0
; VGPRBlocks: 4
; NumSGPRsForWavesPerEU: 58
; NumVGPRsForWavesPerEU: 71
; NamedBarCnt: 0
; Occupancy: 12
; WaveLimiterHint : 1
; COMPUTE_PGM_RSRC2:SCRATCH_EN: 0
; COMPUTE_PGM_RSRC2:USER_SGPR: 2
; COMPUTE_PGM_RSRC2:TRAP_HANDLER: 0
; COMPUTE_PGM_RSRC2:TGID_X_EN: 1
; COMPUTE_PGM_RSRC2:TGID_Y_EN: 0
; COMPUTE_PGM_RSRC2:TGID_Z_EN: 1
; COMPUTE_PGM_RSRC2:TIDIG_COMP_CNT: 1
	.section	.text._ZL20rocblas_gemvn_kernelILi64ELi16Ei16rocblas_bfloat16PKffEviiT3_lPKT2_lT1_lS6_lS7_lS3_lPT4_lS7_li,"axG",@progbits,_ZL20rocblas_gemvn_kernelILi64ELi16Ei16rocblas_bfloat16PKffEviiT3_lPKT2_lT1_lS6_lS7_lS3_lPT4_lS7_li,comdat
	.globl	_ZL20rocblas_gemvn_kernelILi64ELi16Ei16rocblas_bfloat16PKffEviiT3_lPKT2_lT1_lS6_lS7_lS3_lPT4_lS7_li ; -- Begin function _ZL20rocblas_gemvn_kernelILi64ELi16Ei16rocblas_bfloat16PKffEviiT3_lPKT2_lT1_lS6_lS7_lS3_lPT4_lS7_li
	.p2align	8
	.type	_ZL20rocblas_gemvn_kernelILi64ELi16Ei16rocblas_bfloat16PKffEviiT3_lPKT2_lT1_lS6_lS7_lS3_lPT4_lS7_li,@function
_ZL20rocblas_gemvn_kernelILi64ELi16Ei16rocblas_bfloat16PKffEviiT3_lPKT2_lT1_lS6_lS7_lS3_lPT4_lS7_li: ; @_ZL20rocblas_gemvn_kernelILi64ELi16Ei16rocblas_bfloat16PKffEviiT3_lPKT2_lT1_lS6_lS7_lS3_lPT4_lS7_li
; %bb.0:
	s_load_b64 s[2:3], s[0:1], 0x9c
	s_wait_kmcnt 0x0
	s_lshr_b32 s4, s2, 16
	s_and_b32 s2, s2, 0xffff
	s_and_b32 s3, s3, 0xffff
	s_mul_i32 s2, s4, s2
	s_delay_alu instid0(SALU_CYCLE_1) | instskip(NEXT) | instid1(SALU_CYCLE_1)
	s_mul_i32 s2, s2, s3
	s_cmp_lg_u32 s2, 0x400
	s_cbranch_scc1 .LBB638_53
; %bb.1:
	s_load_b32 s31, s[0:1], 0x88
	s_bfe_u32 s2, ttmp6, 0x40014
	s_lshr_b32 s3, ttmp7, 16
	s_add_co_i32 s2, s2, 1
	s_bfe_u32 s5, ttmp6, 0x40008
	s_mul_i32 s4, s3, s2
	s_getreg_b32 s2, hwreg(HW_REG_IB_STS2, 6, 4)
	s_add_co_i32 s5, s5, s4
	s_cmp_eq_u32 s2, 0
	s_mov_b32 s35, 0
	s_cselect_b32 s34, s3, s5
	s_wait_kmcnt 0x0
	s_cmp_ge_u32 s34, s31
	s_cbranch_scc1 .LBB638_53
; %bb.2:
	s_clause 0x7
	s_load_b256 s[8:15], s[0:1], 0x8
	s_load_b96 s[28:30], s[0:1], 0x40
	s_load_b96 s[4:6], s[0:1], 0x70
	s_load_b64 s[36:37], s[0:1], 0x0
	s_load_b32 s33, s[0:1], 0x28
	s_load_b128 s[24:27], s[0:1], 0x30
	s_load_b256 s[16:23], s[0:1], 0x50
	s_load_b64 s[38:39], s[0:1], 0x80
	s_wait_xcnt 0x0
	s_bfe_u32 s0, ttmp6, 0x4000c
	v_and_b32_e32 v6, 0x3ff, v0
	s_add_co_i32 s0, s0, 1
	v_bfe_u32 v5, v0, 10, 10
	s_and_b32 s1, ttmp6, 15
	s_mul_i32 s0, ttmp9, s0
	s_delay_alu instid0(SALU_CYCLE_1) | instskip(NEXT) | instid1(VALU_DEP_1)
	s_add_co_i32 s7, s1, s0
	v_lshl_add_u32 v4, v5, 6, v6
	v_dual_lshlrev_b32 v23, 2, v5 :: v_dual_lshlrev_b32 v9, 2, v6
	s_wait_kmcnt 0x0
	s_lshl_b64 s[0:1], s[14:15], 1
	s_lshl_b64 s[14:15], s[28:29], 1
	;; [unrolled: 1-line block ×3, first 2 shown]
	s_ashr_i32 s3, s6, 31
	s_cmp_eq_u32 s2, 0
	s_mov_b32 s2, s6
	s_cselect_b32 s7, ttmp9, s7
	s_add_nc_u64 s[12:13], s[12:13], s[0:1]
	s_lshl_b32 s42, s7, 8
	s_delay_alu instid0(SALU_CYCLE_1)
	v_dual_mov_b32 v1, 0 :: v_dual_add_nc_u32 v0, s42, v4
	v_add_nc_u32_e32 v22, s42, v6
	s_ashr_i32 s0, s37, 31
	s_mov_b32 s28, s36
	s_lshr_b32 s0, s0, 26
	v_mul_u64_e32 v[2:3], s[2:3], v[0:1]
	v_add_nc_u32_e32 v7, 0x80, v22
	s_ashr_i32 s29, s36, 31
	s_add_co_i32 s43, s37, s0
	v_cmp_gt_i64_e32 vcc_lo, s[28:29], v[0:1]
	v_add_nc_u32_e32 v0, 64, v22
	v_cmp_gt_i32_e64 s3, s36, v7
	v_or_b32_e32 v7, s42, v4
	s_and_not1_b32 s43, s43, 63
	s_add_nc_u64 s[22:23], s[22:23], s[4:5]
	s_sub_co_i32 s5, s37, s43
	v_add_nc_u32_e32 v8, 0xc0, v22
	s_cmp_gt_i32 s5, 0
	v_cmp_gt_u32_e64 s5, 0x100, v4
	v_mul_lo_u32 v4, s6, v7
	v_or_b32_e32 v10, 2, v23
	v_cmp_gt_i32_e64 s4, s36, v8
	v_mul_lo_u32 v8, s33, v23
	v_or_b32_e32 v11, 3, v23
	v_mul_lo_u32 v12, v5, s33
	v_mul_lo_u32 v13, v5, s30
	v_cmp_gt_i32_e64 s2, s36, v0
	v_lshl_add_u32 v0, v5, 10, v9
	v_lshl_add_u32 v24, v5, 8, v9
	v_mad_u32 v25, s33, v10, v6
	v_mad_u32 v27, s30, v23, s30
	v_mul_lo_u32 v28, s30, v10
	v_ashrrev_i32_e32 v5, 31, v4
	v_mad_u32 v26, s33, v11, v6
	v_mul_lo_u32 v29, s30, v11
	v_cmp_gt_i32_e64 s0, s43, v23
	v_cmp_gt_i32_e64 s1, s36, v22
	;; [unrolled: 1-line block ×3, first 2 shown]
	v_add3_u32 v30, v8, s33, v6
	v_lshl_add_u32 v31, v12, 2, v6
	v_lshlrev_b32_e32 v32, 2, v13
	s_add_nc_u64 s[14:15], s[26:27], s[14:15]
	s_cselect_b32 s36, -1, 0
	s_and_b32 s44, s5, vcc_lo
	s_lshl_b32 s45, s33, 6
	s_lshl_b32 s46, s30, 6
	s_branch .LBB638_5
.LBB638_3:                              ;   in Loop: Header=BB638_5 Depth=1
	s_wait_xcnt 0x0
	s_or_b32 exec_lo, exec_lo, s7
.LBB638_4:                              ;   in Loop: Header=BB638_5 Depth=1
	s_add_co_i32 s34, s34, 0x10000
	s_delay_alu instid0(SALU_CYCLE_1)
	s_cmp_lt_u32 s34, s31
	s_cbranch_scc0 .LBB638_53
.LBB638_5:                              ; =>This Loop Header: Depth=1
                                        ;     Child Loop BB638_21 Depth 2
	s_wait_xcnt 0x1
	s_mul_u64 s[26:27], s[10:11], s[34:35]
	s_wait_xcnt 0x0
	s_mul_u64 s[28:29], s[20:21], s[34:35]
	s_lshl_b64 s[26:27], s[26:27], 2
	s_lshl_b64 s[28:29], s[28:29], 2
	s_add_nc_u64 s[26:27], s[8:9], s[26:27]
	s_add_nc_u64 s[28:29], s[18:19], s[28:29]
	s_clause 0x1
	global_load_b32 v33, v1, s[26:27]
	global_load_b32 v6, v1, s[28:29]
	s_wait_loadcnt 0x1
	v_cmp_eq_f32_e32 vcc_lo, 0, v33
	s_wait_loadcnt 0x0
	v_cmp_eq_f32_e64 s7, 1.0, v6
	v_readfirstlane_b32 s48, v6
	s_and_b32 s7, vcc_lo, s7
	s_delay_alu instid0(SALU_CYCLE_1)
	s_and_b32 vcc_lo, exec_lo, s7
	s_cbranch_vccnz .LBB638_4
; %bb.6:                                ;   in Loop: Header=BB638_5 Depth=1
	v_cmp_neq_f32_e32 vcc_lo, 0, v33
	s_wait_xcnt 0x1
	s_mul_u64 s[26:27], s[38:39], s[34:35]
	s_delay_alu instid0(SALU_CYCLE_1) | instskip(NEXT) | instid1(SALU_CYCLE_1)
	s_lshl_b64 s[26:27], s[26:27], 2
	s_add_nc_u64 s[26:27], s[22:23], s[26:27]
	s_cbranch_vccnz .LBB638_10
; %bb.7:                                ;   in Loop: Header=BB638_5 Depth=1
	s_mov_b32 s7, 0
	s_mov_b32 s47, 0
                                        ; implicit-def: $vgpr8
	s_wait_xcnt 0x0
	s_and_saveexec_b32 s28, s44
	s_cbranch_execz .LBB638_11
; %bb.8:                                ;   in Loop: Header=BB638_5 Depth=1
	s_cmp_eq_f32 s48, 0
	s_cbranch_scc1 .LBB638_13
; %bb.9:                                ;   in Loop: Header=BB638_5 Depth=1
	v_lshl_add_u64 v[6:7], v[2:3], 2, s[26:27]
	global_load_b32 v6, v[6:7], off
	s_wait_loadcnt 0x0
	v_mul_f32_e32 v8, s48, v6
	s_branch .LBB638_14
.LBB638_10:                             ;   in Loop: Header=BB638_5 Depth=1
	s_mov_b32 s47, 0
                                        ; implicit-def: $vgpr8
	s_cbranch_execz .LBB638_12
	s_branch .LBB638_15
.LBB638_11:                             ;   in Loop: Header=BB638_5 Depth=1
	s_or_b32 exec_lo, exec_lo, s28
	s_delay_alu instid0(SALU_CYCLE_1)
	s_and_b32 vcc_lo, exec_lo, s7
	s_cbranch_vccnz .LBB638_15
.LBB638_12:                             ;   in Loop: Header=BB638_5 Depth=1
	v_mov_b64_e32 v[6:7], v[2:3]
	s_wait_xcnt 0x0
	s_and_saveexec_b32 s7, s47
	s_cbranch_execz .LBB638_3
	s_branch .LBB638_52
.LBB638_13:                             ;   in Loop: Header=BB638_5 Depth=1
	v_mov_b32_e32 v8, 0
.LBB638_14:                             ;   in Loop: Header=BB638_5 Depth=1
	s_mov_b32 s47, exec_lo
	s_wait_xcnt 0x0
	s_or_b32 exec_lo, exec_lo, s28
	s_delay_alu instid0(SALU_CYCLE_1)
	s_and_b32 vcc_lo, exec_lo, s7
	s_cbranch_vccz .LBB638_12
.LBB638_15:                             ;   in Loop: Header=BB638_5 Depth=1
	s_wait_xcnt 0x0
	s_mul_u64 s[28:29], s[24:25], s[34:35]
	s_mul_u64 s[40:41], s[16:17], s[34:35]
	v_dual_mov_b32 v34, 0 :: v_dual_mov_b32 v38, v23
	v_dual_mov_b32 v35, 0 :: v_dual_mov_b32 v36, 0
	v_mov_b32_e32 v37, 0
	s_lshl_b64 s[28:29], s[28:29], 1
	s_lshl_b64 s[40:41], s[40:41], 1
	s_add_nc_u64 s[28:29], s[12:13], s[28:29]
	s_add_nc_u64 s[40:41], s[14:15], s[40:41]
	s_and_saveexec_b32 s7, s0
	s_cbranch_execz .LBB638_27
; %bb.16:                               ;   in Loop: Header=BB638_5 Depth=1
	v_dual_mov_b32 v34, 0 :: v_dual_mov_b32 v39, v31
	v_dual_mov_b32 v40, v26 :: v_dual_mov_b32 v41, v25
	;; [unrolled: 1-line block ×4, first 2 shown]
	v_mov_b32_e32 v37, 0
	s_mov_b32 s49, 0
	s_mov_b32 s50, 0
	s_branch .LBB638_21
.LBB638_17:                             ;   in Loop: Header=BB638_21 Depth=2
	s_or_b32 exec_lo, exec_lo, s54
	s_wait_loadcnt 0x2
	v_dual_lshlrev_b32 v11, 16, v50 :: v_dual_lshlrev_b32 v10, 16, v49
	s_delay_alu instid0(VALU_DEP_1) | instskip(SKIP_1) | instid1(VALU_DEP_1)
	v_pk_mul_f32 v[10:11], v[8:9], v[10:11]
	s_wait_loadcnt 0x0
	v_dual_add_f32 v10, v36, v10 :: v_dual_lshlrev_b32 v13, 16, v48
	s_delay_alu instid0(VALU_DEP_1) | instskip(SKIP_1) | instid1(VALU_DEP_1)
	v_add_f32_e32 v18, v10, v11
	v_lshlrev_b32_e32 v12, 16, v47
	v_pk_mul_f32 v[10:11], v[6:7], v[12:13]
	s_delay_alu instid0(VALU_DEP_1) | instskip(NEXT) | instid1(VALU_DEP_1)
	v_add_f32_e32 v10, v18, v10
	v_add_f32_e32 v36, v10, v11
.LBB638_18:                             ;   in Loop: Header=BB638_21 Depth=2
	s_or_b32 exec_lo, exec_lo, s53
	s_wait_loadcnt 0x2
	v_dual_lshlrev_b32 v11, 16, v17 :: v_dual_lshlrev_b32 v10, 16, v16
	s_delay_alu instid0(VALU_DEP_1) | instskip(SKIP_1) | instid1(VALU_DEP_1)
	v_pk_mul_f32 v[10:11], v[8:9], v[10:11]
	s_wait_loadcnt 0x0
	v_dual_add_f32 v10, v35, v10 :: v_dual_lshlrev_b32 v13, 16, v15
	s_delay_alu instid0(VALU_DEP_1) | instskip(NEXT) | instid1(VALU_DEP_1)
	v_dual_lshlrev_b32 v12, 16, v14 :: v_dual_add_f32 v14, v10, v11
	v_pk_mul_f32 v[10:11], v[6:7], v[12:13]
	s_delay_alu instid0(VALU_DEP_1) | instskip(NEXT) | instid1(VALU_DEP_1)
	v_add_f32_e32 v10, v14, v10
	v_add_f32_e32 v35, v10, v11
.LBB638_19:                             ;   in Loop: Header=BB638_21 Depth=2
	s_or_b32 exec_lo, exec_lo, s52
	s_wait_loadcnt 0x2
	v_dual_lshlrev_b32 v11, 16, v46 :: v_dual_lshlrev_b32 v10, 16, v45
	s_delay_alu instid0(VALU_DEP_1) | instskip(SKIP_2) | instid1(VALU_DEP_2)
	v_pk_mul_f32 v[8:9], v[8:9], v[10:11]
	s_wait_loadcnt 0x0
	v_dual_lshlrev_b32 v11, 16, v44 :: v_dual_lshlrev_b32 v10, 16, v43
	v_add_f32_e32 v8, v34, v8
	s_delay_alu instid0(VALU_DEP_2) | instskip(NEXT) | instid1(VALU_DEP_2)
	v_pk_mul_f32 v[6:7], v[6:7], v[10:11]
	v_add_f32_e32 v8, v8, v9
	s_delay_alu instid0(VALU_DEP_1) | instskip(NEXT) | instid1(VALU_DEP_1)
	v_add_f32_e32 v6, v8, v6
	v_add_f32_e32 v34, v6, v7
.LBB638_20:                             ;   in Loop: Header=BB638_21 Depth=2
	s_or_b32 exec_lo, exec_lo, s51
	v_dual_add_nc_u32 v38, 64, v38 :: v_dual_add_nc_u32 v41, s45, v41
	v_dual_add_nc_u32 v42, s45, v42 :: v_dual_add_nc_u32 v40, s45, v40
	v_add_nc_u32_e32 v39, s45, v39
	s_delay_alu instid0(VALU_DEP_3) | instskip(SKIP_2) | instid1(SALU_CYCLE_1)
	v_cmp_le_i32_e32 vcc_lo, s43, v38
	s_add_co_i32 s50, s50, s46
	s_or_b32 s49, vcc_lo, s49
	s_and_not1_b32 exec_lo, exec_lo, s49
	s_cbranch_execz .LBB638_26
.LBB638_21:                             ;   Parent Loop BB638_5 Depth=1
                                        ; =>  This Inner Loop Header: Depth=2
	s_and_saveexec_b32 s51, s1
	s_cbranch_execz .LBB638_20
; %bb.22:                               ;   in Loop: Header=BB638_21 Depth=2
	v_dual_add_nc_u32 v6, s50, v32 :: v_dual_add_nc_u32 v7, s50, v27
	v_dual_add_nc_u32 v8, s50, v28 :: v_dual_add_nc_u32 v9, s50, v29
	;; [unrolled: 1-line block ×3, first 2 shown]
	s_clause 0x3
	global_load_u16 v11, v6, s[40:41] scale_offset
	global_load_u16 v13, v7, s[40:41] scale_offset
	;; [unrolled: 1-line block ×4, first 2 shown]
	v_dual_add_nc_u32 v16, s42, v41 :: v_dual_add_nc_u32 v14, s42, v40
	s_clause 0x3
	global_load_u16 v45, v10, s[28:29] scale_offset
	global_load_u16 v46, v12, s[28:29] scale_offset
	;; [unrolled: 1-line block ×4, first 2 shown]
	s_wait_loadcnt 0x6
	s_wait_xcnt 0x4
	v_dual_lshlrev_b32 v8, 16, v11 :: v_dual_lshlrev_b32 v9, 16, v13
	s_wait_loadcnt 0x4
	v_dual_lshlrev_b32 v6, 16, v15 :: v_dual_lshlrev_b32 v7, 16, v17
	s_wait_xcnt 0x0
	s_and_saveexec_b32 s52, s2
	s_cbranch_execz .LBB638_19
; %bb.23:                               ;   in Loop: Header=BB638_21 Depth=2
	v_dual_ashrrev_i32 v11, 31, v10 :: v_dual_ashrrev_i32 v13, 31, v12
	v_dual_ashrrev_i32 v17, 31, v16 :: v_dual_ashrrev_i32 v15, 31, v14
	s_delay_alu instid0(VALU_DEP_2) | instskip(NEXT) | instid1(VALU_DEP_3)
	v_lshl_add_u64 v[18:19], v[10:11], 1, s[28:29]
	v_lshl_add_u64 v[20:21], v[12:13], 1, s[28:29]
	s_delay_alu instid0(VALU_DEP_3) | instskip(NEXT) | instid1(VALU_DEP_4)
	v_lshl_add_u64 v[10:11], v[16:17], 1, s[28:29]
	v_lshl_add_u64 v[12:13], v[14:15], 1, s[28:29]
	s_clause 0x3
	global_load_u16 v16, v[18:19], off offset:128
	global_load_u16 v17, v[20:21], off offset:128
	;; [unrolled: 1-line block ×4, first 2 shown]
	s_wait_xcnt 0x0
	s_and_saveexec_b32 s53, s3
	s_cbranch_execz .LBB638_18
; %bb.24:                               ;   in Loop: Header=BB638_21 Depth=2
	s_clause 0x3
	global_load_u16 v49, v[18:19], off offset:256
	global_load_u16 v50, v[20:21], off offset:256
	;; [unrolled: 1-line block ×4, first 2 shown]
	s_wait_xcnt 0x0
	s_and_saveexec_b32 s54, s4
	s_cbranch_execz .LBB638_17
; %bb.25:                               ;   in Loop: Header=BB638_21 Depth=2
	s_clause 0x3
	global_load_u16 v20, v[20:21], off offset:384
	global_load_u16 v18, v[18:19], off offset:384
	;; [unrolled: 1-line block ×4, first 2 shown]
	s_wait_loadcnt 0x2
	s_wait_xcnt 0x0
	v_dual_lshlrev_b32 v11, 16, v20 :: v_dual_lshlrev_b32 v10, 16, v18
	s_delay_alu instid0(VALU_DEP_1) | instskip(SKIP_1) | instid1(VALU_DEP_1)
	v_pk_mul_f32 v[10:11], v[8:9], v[10:11]
	s_wait_loadcnt 0x1
	v_dual_add_f32 v10, v37, v10 :: v_dual_lshlrev_b32 v13, 16, v12
	s_delay_alu instid0(VALU_DEP_1) | instskip(SKIP_2) | instid1(VALU_DEP_1)
	v_add_f32_e32 v18, v10, v11
	s_wait_loadcnt 0x0
	v_lshlrev_b32_e32 v12, 16, v19
	v_pk_mul_f32 v[10:11], v[6:7], v[12:13]
	s_delay_alu instid0(VALU_DEP_1) | instskip(NEXT) | instid1(VALU_DEP_1)
	v_add_f32_e32 v10, v18, v10
	v_add_f32_e32 v37, v10, v11
	s_branch .LBB638_17
.LBB638_26:                             ;   in Loop: Header=BB638_5 Depth=1
	s_or_b32 exec_lo, exec_lo, s49
.LBB638_27:                             ;   in Loop: Header=BB638_5 Depth=1
	s_delay_alu instid0(SALU_CYCLE_1) | instskip(NEXT) | instid1(SALU_CYCLE_1)
	s_or_b32 exec_lo, exec_lo, s7
	s_and_not1_b32 vcc_lo, exec_lo, s36
	s_cbranch_vccnz .LBB638_45
; %bb.28:                               ;   in Loop: Header=BB638_5 Depth=1
	v_dual_mov_b32 v6, 0 :: v_dual_bitop2_b32 v10, 1, v38 bitop3:0x54
	v_cmp_gt_i32_e32 vcc_lo, s37, v38
	s_delay_alu instid0(VALU_DEP_2)
	v_dual_mov_b32 v7, v6 :: v_dual_mov_b32 v8, v6
	v_mov_b32_e32 v9, v6
	s_and_saveexec_b32 s49, vcc_lo
	s_cbranch_execz .LBB638_36
; %bb.29:                               ;   in Loop: Header=BB638_5 Depth=1
	v_mul_lo_u32 v6, v38, s30
	v_dual_mov_b32 v9, 0 :: v_dual_mov_b32 v7, 0
	s_mov_b32 s50, exec_lo
	global_load_u16 v8, v6, s[40:41] scale_offset
	s_wait_xcnt 0x0
	v_mov_b32_e32 v6, 0
	v_cmpx_gt_i32_e64 s37, v10
	s_cbranch_execz .LBB638_35
; %bb.30:                               ;   in Loop: Header=BB638_5 Depth=1
	v_mul_lo_u32 v6, v10, s30
	v_dual_mov_b32 v7, 0 :: v_dual_bitop2_b32 v11, 2, v38 bitop3:0x54
	s_mov_b32 s51, exec_lo
	global_load_u16 v9, v6, s[40:41] scale_offset
	s_wait_xcnt 0x0
	v_mov_b32_e32 v6, 0
	v_cmpx_gt_i32_e64 s37, v11
	s_cbranch_execz .LBB638_34
; %bb.31:                               ;   in Loop: Header=BB638_5 Depth=1
	v_mul_lo_u32 v6, v11, s30
	v_dual_mov_b32 v7, 0 :: v_dual_bitop2_b32 v11, 3, v38 bitop3:0x54
	s_mov_b32 s52, exec_lo
	global_load_u16 v6, v6, s[40:41] scale_offset
	s_wait_xcnt 0x0
	v_cmpx_gt_i32_e64 s37, v11
	s_cbranch_execz .LBB638_33
; %bb.32:                               ;   in Loop: Header=BB638_5 Depth=1
	v_mul_lo_u32 v7, v11, s30
	global_load_u16 v7, v7, s[40:41] scale_offset
	s_wait_loadcnt 0x0
	s_wait_xcnt 0x0
	v_lshlrev_b32_e32 v7, 16, v7
.LBB638_33:                             ;   in Loop: Header=BB638_5 Depth=1
	s_or_b32 exec_lo, exec_lo, s52
	s_wait_loadcnt 0x0
	v_lshlrev_b32_e32 v6, 16, v6
.LBB638_34:                             ;   in Loop: Header=BB638_5 Depth=1
	s_or_b32 exec_lo, exec_lo, s51
	s_wait_loadcnt 0x0
	v_lshlrev_b32_e32 v9, 16, v9
.LBB638_35:                             ;   in Loop: Header=BB638_5 Depth=1
	s_or_b32 exec_lo, exec_lo, s50
	s_wait_loadcnt 0x0
	v_lshlrev_b32_e32 v8, 16, v8
.LBB638_36:                             ;   in Loop: Header=BB638_5 Depth=1
	s_or_b32 exec_lo, exec_lo, s49
	s_and_saveexec_b32 s40, s1
	s_cbranch_execz .LBB638_44
; %bb.37:                               ;   in Loop: Header=BB638_5 Depth=1
	v_mul_lo_u32 v13, v10, s33
	v_cmp_gt_i32_e64 s7, s37, v10
	v_or_b32_e32 v11, 2, v38
	v_or_b32_e32 v12, 3, v38
	v_mul_lo_u32 v16, v38, s33
	s_delay_alu instid0(VALU_DEP_2) | instskip(SKIP_3) | instid1(VALU_DEP_1)
	v_mul_lo_u32 v15, v12, s33
	v_cndmask_b32_e64 v10, 0, v13, s7
	v_mul_lo_u32 v14, v11, s33
	v_cmp_gt_i32_e64 s7, s37, v11
	v_cndmask_b32_e64 v11, 0, v14, s7
	v_cmp_gt_i32_e64 s7, s37, v12
	s_delay_alu instid0(VALU_DEP_1) | instskip(NEXT) | instid1(VALU_DEP_3)
	v_dual_cndmask_b32 v13, 0, v15, s7 :: v_dual_cndmask_b32 v15, 0, v16, vcc_lo
	v_dual_add_nc_u32 v12, v10, v22 :: v_dual_add_nc_u32 v14, v11, v22
	s_delay_alu instid0(VALU_DEP_2)
	v_dual_add_nc_u32 v16, v13, v22 :: v_dual_add_nc_u32 v10, v15, v22
	s_clause 0x3
	global_load_u16 v20, v12, s[28:29] scale_offset
	global_load_u16 v18, v14, s[28:29] scale_offset
	;; [unrolled: 1-line block ×4, first 2 shown]
	s_wait_xcnt 0x0
	s_and_saveexec_b32 s7, s2
	s_cbranch_execz .LBB638_43
; %bb.38:                               ;   in Loop: Header=BB638_5 Depth=1
	v_dual_ashrrev_i32 v11, 31, v10 :: v_dual_ashrrev_i32 v13, 31, v12
	v_dual_ashrrev_i32 v15, 31, v14 :: v_dual_ashrrev_i32 v17, 31, v16
	s_delay_alu instid0(VALU_DEP_2) | instskip(NEXT) | instid1(VALU_DEP_3)
	v_lshl_add_u64 v[10:11], v[10:11], 1, s[28:29]
	v_lshl_add_u64 v[12:13], v[12:13], 1, s[28:29]
	s_delay_alu instid0(VALU_DEP_3) | instskip(NEXT) | instid1(VALU_DEP_4)
	v_lshl_add_u64 v[14:15], v[14:15], 1, s[28:29]
	v_lshl_add_u64 v[16:17], v[16:17], 1, s[28:29]
	s_clause 0x3
	global_load_u16 v40, v[10:11], off offset:128
	global_load_u16 v41, v[12:13], off offset:128
	;; [unrolled: 1-line block ×4, first 2 shown]
	s_wait_xcnt 0x0
	s_and_saveexec_b32 s28, s3
	s_cbranch_execz .LBB638_42
; %bb.39:                               ;   in Loop: Header=BB638_5 Depth=1
	s_clause 0x3
	global_load_u16 v44, v[10:11], off offset:256
	global_load_u16 v45, v[12:13], off offset:256
	global_load_u16 v42, v[14:15], off offset:256
	global_load_u16 v43, v[16:17], off offset:256
	s_wait_xcnt 0x0
	s_and_saveexec_b32 s29, s4
	s_cbranch_execz .LBB638_41
; %bb.40:                               ;   in Loop: Header=BB638_5 Depth=1
	s_clause 0x3
	global_load_u16 v46, v[12:13], off offset:384
	global_load_u16 v47, v[10:11], off offset:384
	;; [unrolled: 1-line block ×4, first 2 shown]
	s_wait_loadcnt 0x2
	s_wait_xcnt 0x2
	v_dual_lshlrev_b32 v11, 16, v46 :: v_dual_lshlrev_b32 v10, 16, v47
	s_delay_alu instid0(VALU_DEP_1) | instskip(SKIP_1) | instid1(VALU_DEP_1)
	v_pk_mul_f32 v[10:11], v[8:9], v[10:11]
	s_wait_loadcnt 0x1
	v_dual_add_f32 v10, v37, v10 :: v_dual_lshlrev_b32 v13, 16, v48
	s_wait_loadcnt 0x0
	s_wait_xcnt 0x0
	s_delay_alu instid0(VALU_DEP_1) | instskip(NEXT) | instid1(VALU_DEP_1)
	v_dual_lshlrev_b32 v12, 16, v49 :: v_dual_add_f32 v14, v10, v11
	v_pk_mul_f32 v[10:11], v[6:7], v[12:13]
	s_delay_alu instid0(VALU_DEP_1) | instskip(NEXT) | instid1(VALU_DEP_1)
	v_add_f32_e32 v10, v14, v10
	v_add_f32_e32 v37, v10, v11
.LBB638_41:                             ;   in Loop: Header=BB638_5 Depth=1
	s_or_b32 exec_lo, exec_lo, s29
	s_wait_loadcnt 0x2
	v_dual_lshlrev_b32 v11, 16, v45 :: v_dual_lshlrev_b32 v10, 16, v44
	s_delay_alu instid0(VALU_DEP_1) | instskip(SKIP_1) | instid1(VALU_DEP_1)
	v_pk_mul_f32 v[10:11], v[8:9], v[10:11]
	s_wait_loadcnt 0x0
	v_dual_add_f32 v10, v36, v10 :: v_dual_lshlrev_b32 v13, 16, v43
	s_delay_alu instid0(VALU_DEP_1) | instskip(NEXT) | instid1(VALU_DEP_1)
	v_dual_lshlrev_b32 v12, 16, v42 :: v_dual_add_f32 v14, v10, v11
	v_pk_mul_f32 v[10:11], v[6:7], v[12:13]
	s_delay_alu instid0(VALU_DEP_1) | instskip(NEXT) | instid1(VALU_DEP_1)
	v_add_f32_e32 v10, v14, v10
	v_add_f32_e32 v36, v10, v11
.LBB638_42:                             ;   in Loop: Header=BB638_5 Depth=1
	s_or_b32 exec_lo, exec_lo, s28
	s_wait_loadcnt 0x2
	v_dual_lshlrev_b32 v11, 16, v41 :: v_dual_lshlrev_b32 v10, 16, v40
	s_delay_alu instid0(VALU_DEP_1) | instskip(SKIP_1) | instid1(VALU_DEP_1)
	v_pk_mul_f32 v[10:11], v[8:9], v[10:11]
	s_wait_loadcnt 0x0
	v_dual_add_f32 v10, v35, v10 :: v_dual_lshlrev_b32 v13, 16, v39
	s_delay_alu instid0(VALU_DEP_1) | instskip(NEXT) | instid1(VALU_DEP_1)
	v_dual_lshlrev_b32 v12, 16, v38 :: v_dual_add_f32 v14, v10, v11
	v_pk_mul_f32 v[10:11], v[6:7], v[12:13]
	s_delay_alu instid0(VALU_DEP_1) | instskip(NEXT) | instid1(VALU_DEP_1)
	v_add_f32_e32 v10, v14, v10
	v_add_f32_e32 v35, v10, v11
.LBB638_43:                             ;   in Loop: Header=BB638_5 Depth=1
	s_or_b32 exec_lo, exec_lo, s7
	s_wait_loadcnt 0x0
	v_dual_lshlrev_b32 v11, 16, v20 :: v_dual_lshlrev_b32 v10, 16, v21
	s_delay_alu instid0(VALU_DEP_1) | instskip(NEXT) | instid1(VALU_DEP_1)
	v_pk_mul_f32 v[8:9], v[8:9], v[10:11]
	v_dual_add_f32 v8, v34, v8 :: v_dual_lshlrev_b32 v11, 16, v19
	s_delay_alu instid0(VALU_DEP_1) | instskip(NEXT) | instid1(VALU_DEP_1)
	v_dual_lshlrev_b32 v10, 16, v18 :: v_dual_add_f32 v8, v8, v9
	v_pk_mul_f32 v[6:7], v[6:7], v[10:11]
	s_delay_alu instid0(VALU_DEP_1) | instskip(NEXT) | instid1(VALU_DEP_1)
	v_add_f32_e32 v6, v8, v6
	v_add_f32_e32 v34, v6, v7
.LBB638_44:                             ;   in Loop: Header=BB638_5 Depth=1
	s_or_b32 exec_lo, exec_lo, s40
.LBB638_45:                             ;   in Loop: Header=BB638_5 Depth=1
	ds_store_2addr_stride64_b32 v0, v34, v35 offset1:1
	ds_store_2addr_stride64_b32 v0, v36, v37 offset0:2 offset1:3
	s_wait_dscnt 0x0
	s_barrier_signal -1
	s_barrier_wait -1
                                        ; implicit-def: $vgpr8
	s_and_saveexec_b32 s7, s5
	s_cbranch_execz .LBB638_51
; %bb.46:                               ;   in Loop: Header=BB638_5 Depth=1
	ds_load_2addr_stride64_b32 v[6:7], v24 offset1:4
	ds_load_2addr_stride64_b32 v[8:9], v24 offset0:8 offset1:12
	ds_load_2addr_stride64_b32 v[10:11], v24 offset0:16 offset1:20
	s_mov_b32 s29, s47
	s_wait_dscnt 0x2
	v_add_f32_e32 v12, v6, v7
	ds_load_2addr_stride64_b32 v[6:7], v24 offset0:24 offset1:28
	s_wait_dscnt 0x2
	v_add_f32_e32 v8, v8, v12
	s_delay_alu instid0(VALU_DEP_1) | instskip(SKIP_3) | instid1(VALU_DEP_1)
	v_add_f32_e32 v12, v9, v8
	ds_load_2addr_stride64_b32 v[8:9], v24 offset0:32 offset1:36
	s_wait_dscnt 0x2
	v_add_f32_e32 v10, v10, v12
	v_add_f32_e32 v12, v11, v10
	ds_load_2addr_stride64_b32 v[10:11], v24 offset0:40 offset1:44
	s_wait_dscnt 0x2
	v_add_f32_e32 v6, v6, v12
	s_delay_alu instid0(VALU_DEP_1) | instskip(SKIP_1) | instid1(VALU_DEP_1)
	v_add_f32_e32 v6, v7, v6
	s_wait_dscnt 0x1
	v_add_f32_e32 v8, v8, v6
	ds_load_2addr_stride64_b32 v[6:7], v24 offset0:48 offset1:52
	v_add_f32_e32 v8, v9, v8
	s_wait_dscnt 0x1
	s_delay_alu instid0(VALU_DEP_1) | instskip(SKIP_3) | instid1(VALU_DEP_1)
	v_add_f32_e32 v10, v10, v8
	ds_load_2addr_stride64_b32 v[8:9], v24 offset0:56 offset1:60
	v_add_f32_e32 v10, v11, v10
	s_wait_dscnt 0x1
	v_add_f32_e32 v6, v6, v10
	s_delay_alu instid0(VALU_DEP_1) | instskip(SKIP_1) | instid1(VALU_DEP_1)
	v_add_f32_e32 v6, v7, v6
	s_wait_dscnt 0x0
	v_add_f32_e32 v6, v8, v6
                                        ; implicit-def: $vgpr8
	s_delay_alu instid0(VALU_DEP_1)
	v_add_f32_e32 v6, v9, v6
	ds_store_b32 v24, v6
	s_and_saveexec_b32 s28, s6
	s_cbranch_execz .LBB638_50
; %bb.47:                               ;   in Loop: Header=BB638_5 Depth=1
	v_mul_f32_e32 v8, v33, v6
	s_cmp_eq_f32 s48, 0
	s_cbranch_scc1 .LBB638_49
; %bb.48:                               ;   in Loop: Header=BB638_5 Depth=1
	v_lshl_add_u64 v[6:7], v[4:5], 2, s[26:27]
	global_load_b32 v6, v[6:7], off
	s_wait_loadcnt 0x0
	v_fmac_f32_e32 v8, s48, v6
.LBB638_49:                             ;   in Loop: Header=BB638_5 Depth=1
	s_or_b32 s29, s47, exec_lo
.LBB638_50:                             ;   in Loop: Header=BB638_5 Depth=1
	s_wait_xcnt 0x0
	s_or_b32 exec_lo, exec_lo, s28
	s_delay_alu instid0(SALU_CYCLE_1) | instskip(SKIP_1) | instid1(SALU_CYCLE_1)
	s_and_not1_b32 s28, s47, exec_lo
	s_and_b32 s29, s29, exec_lo
	s_or_b32 s47, s28, s29
.LBB638_51:                             ;   in Loop: Header=BB638_5 Depth=1
	s_or_b32 exec_lo, exec_lo, s7
	v_mov_b64_e32 v[6:7], v[4:5]
	s_and_saveexec_b32 s7, s47
	s_cbranch_execz .LBB638_3
.LBB638_52:                             ;   in Loop: Header=BB638_5 Depth=1
	s_delay_alu instid0(VALU_DEP_1)
	v_lshl_add_u64 v[6:7], v[6:7], 2, s[26:27]
	global_store_b32 v[6:7], v8, off
	s_branch .LBB638_3
.LBB638_53:
	s_endpgm
	.section	.rodata,"a",@progbits
	.p2align	6, 0x0
	.amdhsa_kernel _ZL20rocblas_gemvn_kernelILi64ELi16Ei16rocblas_bfloat16PKffEviiT3_lPKT2_lT1_lS6_lS7_lS3_lPT4_lS7_li
		.amdhsa_group_segment_fixed_size 16384
		.amdhsa_private_segment_fixed_size 0
		.amdhsa_kernarg_size 400
		.amdhsa_user_sgpr_count 2
		.amdhsa_user_sgpr_dispatch_ptr 0
		.amdhsa_user_sgpr_queue_ptr 0
		.amdhsa_user_sgpr_kernarg_segment_ptr 1
		.amdhsa_user_sgpr_dispatch_id 0
		.amdhsa_user_sgpr_kernarg_preload_length 0
		.amdhsa_user_sgpr_kernarg_preload_offset 0
		.amdhsa_user_sgpr_private_segment_size 0
		.amdhsa_wavefront_size32 1
		.amdhsa_uses_dynamic_stack 0
		.amdhsa_enable_private_segment 0
		.amdhsa_system_sgpr_workgroup_id_x 1
		.amdhsa_system_sgpr_workgroup_id_y 0
		.amdhsa_system_sgpr_workgroup_id_z 1
		.amdhsa_system_sgpr_workgroup_info 0
		.amdhsa_system_vgpr_workitem_id 1
		.amdhsa_next_free_vgpr 51
		.amdhsa_next_free_sgpr 55
		.amdhsa_named_barrier_count 0
		.amdhsa_reserve_vcc 1
		.amdhsa_float_round_mode_32 0
		.amdhsa_float_round_mode_16_64 0
		.amdhsa_float_denorm_mode_32 3
		.amdhsa_float_denorm_mode_16_64 3
		.amdhsa_fp16_overflow 0
		.amdhsa_memory_ordered 1
		.amdhsa_forward_progress 1
		.amdhsa_inst_pref_size 26
		.amdhsa_round_robin_scheduling 0
		.amdhsa_exception_fp_ieee_invalid_op 0
		.amdhsa_exception_fp_denorm_src 0
		.amdhsa_exception_fp_ieee_div_zero 0
		.amdhsa_exception_fp_ieee_overflow 0
		.amdhsa_exception_fp_ieee_underflow 0
		.amdhsa_exception_fp_ieee_inexact 0
		.amdhsa_exception_int_div_zero 0
	.end_amdhsa_kernel
	.section	.text._ZL20rocblas_gemvn_kernelILi64ELi16Ei16rocblas_bfloat16PKffEviiT3_lPKT2_lT1_lS6_lS7_lS3_lPT4_lS7_li,"axG",@progbits,_ZL20rocblas_gemvn_kernelILi64ELi16Ei16rocblas_bfloat16PKffEviiT3_lPKT2_lT1_lS6_lS7_lS3_lPT4_lS7_li,comdat
.Lfunc_end638:
	.size	_ZL20rocblas_gemvn_kernelILi64ELi16Ei16rocblas_bfloat16PKffEviiT3_lPKT2_lT1_lS6_lS7_lS3_lPT4_lS7_li, .Lfunc_end638-_ZL20rocblas_gemvn_kernelILi64ELi16Ei16rocblas_bfloat16PKffEviiT3_lPKT2_lT1_lS6_lS7_lS3_lPT4_lS7_li
                                        ; -- End function
	.set _ZL20rocblas_gemvn_kernelILi64ELi16Ei16rocblas_bfloat16PKffEviiT3_lPKT2_lT1_lS6_lS7_lS3_lPT4_lS7_li.num_vgpr, 51
	.set _ZL20rocblas_gemvn_kernelILi64ELi16Ei16rocblas_bfloat16PKffEviiT3_lPKT2_lT1_lS6_lS7_lS3_lPT4_lS7_li.num_agpr, 0
	.set _ZL20rocblas_gemvn_kernelILi64ELi16Ei16rocblas_bfloat16PKffEviiT3_lPKT2_lT1_lS6_lS7_lS3_lPT4_lS7_li.numbered_sgpr, 55
	.set _ZL20rocblas_gemvn_kernelILi64ELi16Ei16rocblas_bfloat16PKffEviiT3_lPKT2_lT1_lS6_lS7_lS3_lPT4_lS7_li.num_named_barrier, 0
	.set _ZL20rocblas_gemvn_kernelILi64ELi16Ei16rocblas_bfloat16PKffEviiT3_lPKT2_lT1_lS6_lS7_lS3_lPT4_lS7_li.private_seg_size, 0
	.set _ZL20rocblas_gemvn_kernelILi64ELi16Ei16rocblas_bfloat16PKffEviiT3_lPKT2_lT1_lS6_lS7_lS3_lPT4_lS7_li.uses_vcc, 1
	.set _ZL20rocblas_gemvn_kernelILi64ELi16Ei16rocblas_bfloat16PKffEviiT3_lPKT2_lT1_lS6_lS7_lS3_lPT4_lS7_li.uses_flat_scratch, 0
	.set _ZL20rocblas_gemvn_kernelILi64ELi16Ei16rocblas_bfloat16PKffEviiT3_lPKT2_lT1_lS6_lS7_lS3_lPT4_lS7_li.has_dyn_sized_stack, 0
	.set _ZL20rocblas_gemvn_kernelILi64ELi16Ei16rocblas_bfloat16PKffEviiT3_lPKT2_lT1_lS6_lS7_lS3_lPT4_lS7_li.has_recursion, 0
	.set _ZL20rocblas_gemvn_kernelILi64ELi16Ei16rocblas_bfloat16PKffEviiT3_lPKT2_lT1_lS6_lS7_lS3_lPT4_lS7_li.has_indirect_call, 0
	.section	.AMDGPU.csdata,"",@progbits
; Kernel info:
; codeLenInByte = 3236
; TotalNumSgprs: 57
; NumVgprs: 51
; ScratchSize: 0
; MemoryBound: 0
; FloatMode: 240
; IeeeMode: 1
; LDSByteSize: 16384 bytes/workgroup (compile time only)
; SGPRBlocks: 0
; VGPRBlocks: 3
; NumSGPRsForWavesPerEU: 57
; NumVGPRsForWavesPerEU: 51
; NamedBarCnt: 0
; Occupancy: 16
; WaveLimiterHint : 1
; COMPUTE_PGM_RSRC2:SCRATCH_EN: 0
; COMPUTE_PGM_RSRC2:USER_SGPR: 2
; COMPUTE_PGM_RSRC2:TRAP_HANDLER: 0
; COMPUTE_PGM_RSRC2:TGID_X_EN: 1
; COMPUTE_PGM_RSRC2:TGID_Y_EN: 0
; COMPUTE_PGM_RSRC2:TGID_Z_EN: 1
; COMPUTE_PGM_RSRC2:TIDIG_COMP_CNT: 1
	.section	.text._ZL20rocblas_gemvn_kernelILi64ELi16El16rocblas_bfloat16PKffEviiT3_lPKT2_lT1_lS6_lS7_lS3_lPT4_lS7_li,"axG",@progbits,_ZL20rocblas_gemvn_kernelILi64ELi16El16rocblas_bfloat16PKffEviiT3_lPKT2_lT1_lS6_lS7_lS3_lPT4_lS7_li,comdat
	.globl	_ZL20rocblas_gemvn_kernelILi64ELi16El16rocblas_bfloat16PKffEviiT3_lPKT2_lT1_lS6_lS7_lS3_lPT4_lS7_li ; -- Begin function _ZL20rocblas_gemvn_kernelILi64ELi16El16rocblas_bfloat16PKffEviiT3_lPKT2_lT1_lS6_lS7_lS3_lPT4_lS7_li
	.p2align	8
	.type	_ZL20rocblas_gemvn_kernelILi64ELi16El16rocblas_bfloat16PKffEviiT3_lPKT2_lT1_lS6_lS7_lS3_lPT4_lS7_li,@function
_ZL20rocblas_gemvn_kernelILi64ELi16El16rocblas_bfloat16PKffEviiT3_lPKT2_lT1_lS6_lS7_lS3_lPT4_lS7_li: ; @_ZL20rocblas_gemvn_kernelILi64ELi16El16rocblas_bfloat16PKffEviiT3_lPKT2_lT1_lS6_lS7_lS3_lPT4_lS7_li
; %bb.0:
	s_load_b64 s[2:3], s[0:1], 0x9c
	s_wait_kmcnt 0x0
	s_lshr_b32 s4, s2, 16
	s_and_b32 s2, s2, 0xffff
	s_and_b32 s3, s3, 0xffff
	s_mul_i32 s2, s4, s2
	s_delay_alu instid0(SALU_CYCLE_1) | instskip(NEXT) | instid1(SALU_CYCLE_1)
	s_mul_i32 s2, s2, s3
	s_cmp_lg_u32 s2, 0x400
	s_cbranch_scc1 .LBB639_53
; %bb.1:
	s_load_b32 s33, s[0:1], 0x88
	s_bfe_u32 s2, ttmp6, 0x40014
	s_lshr_b32 s3, ttmp7, 16
	s_add_co_i32 s2, s2, 1
	s_bfe_u32 s5, ttmp6, 0x40008
	s_mul_i32 s4, s3, s2
	s_getreg_b32 s2, hwreg(HW_REG_IB_STS2, 6, 4)
	s_add_co_i32 s5, s5, s4
	s_cmp_eq_u32 s2, 0
	s_mov_b32 s11, 0
	s_cselect_b32 s10, s3, s5
	s_wait_kmcnt 0x0
	s_cmp_ge_u32 s10, s33
	s_cbranch_scc1 .LBB639_53
; %bb.2:
	s_clause 0x2
	s_load_b512 s[12:27], s[0:1], 0x8
	s_load_b512 s[36:51], s[0:1], 0x48
	s_load_b64 s[28:29], s[0:1], 0x0
	s_wait_xcnt 0x0
	s_bfe_u32 s0, ttmp6, 0x4000c
	v_and_b32_e32 v24, 0x3ff, v0
	s_add_co_i32 s0, s0, 1
	v_bfe_u32 v4, v0, 10, 10
	s_and_b32 s1, ttmp6, 15
	s_mul_i32 s0, ttmp9, s0
	v_dual_mov_b32 v1, 0 :: v_dual_lshlrev_b32 v2, 2, v24
	s_add_co_i32 s1, s1, s0
	v_lshl_add_u32 v6, v4, 6, v24
	s_delay_alu instid0(VALU_DEP_2) | instskip(NEXT) | instid1(VALU_DEP_3)
	v_dual_mov_b32 v5, v1 :: v_dual_lshlrev_b32 v52, 2, v4
	v_lshl_add_u32 v53, v4, 10, v2
	v_lshl_add_u32 v54, v4, 8, v2
	s_wait_kmcnt 0x0
	s_lshl_b64 s[4:5], s[18:19], 1
	s_lshl_b64 s[18:19], s[26:27], 1
	;; [unrolled: 1-line block ×3, first 2 shown]
	s_cmp_eq_u32 s2, 0
	s_mov_b32 s2, s28
	s_cselect_b32 s0, ttmp9, s1
	s_ashr_i32 s3, s28, 31
	s_lshl_b32 s1, s0, 8
	v_cmp_gt_u32_e64 s0, 0x100, v6
	v_dual_add_nc_u32 v0, s1, v6 :: v_dual_bitop2_b32 v6, s1, v6 bitop3:0x54
	v_mul_u64_e32 v[10:11], s[36:37], v[4:5]
	v_mul_u64_e32 v[12:13], s[20:21], v[4:5]
	v_mad_nc_u64_u32 v[8:9], s36, v52, s[36:37]
	s_delay_alu instid0(VALU_DEP_4)
	v_cmp_gt_i64_e32 vcc_lo, s[2:3], v[0:1]
	v_mul_u64_e32 v[2:3], s[48:49], v[0:1]
	v_dual_ashrrev_i32 v7, 31, v6 :: v_dual_bitop2_b32 v0, 3, v52 bitop3:0x54
	v_mad_nc_u64_u32 v[22:23], s20, v52, s[20:21]
	s_ashr_i32 s2, s29, 31
	v_add_nc_u32_e32 v24, s1, v24
	s_delay_alu instid0(VALU_DEP_3)
	v_mul_u64_e32 v[14:15], s[20:21], v[0:1]
	v_mul_u64_e32 v[16:17], s[36:37], v[0:1]
	v_or_b32_e32 v0, 2, v52
	v_mul_u64_e32 v[4:5], s[48:49], v[6:7]
	v_mad_u32 v9, s37, v52, v9
	s_lshr_b32 s2, s2, 26
	v_ashrrev_i32_e32 v25, 31, v24
	v_mul_u64_e32 v[18:19], s[20:21], v[0:1]
	v_mul_u64_e32 v[20:21], s[36:37], v[0:1]
	v_mad_u32 v23, s21, v52, v23
	s_add_co_i32 s52, s29, s2
	v_add_nc_u32_e32 v7, 0x80, v24
	s_and_not1_b32 s52, s52, 63
	v_add_nc_u32_e32 v0, 64, v24
	v_add_nc_u32_e32 v26, 0xc0, v24
	s_sub_co_i32 s3, s29, s52
	s_add_nc_u64 s[16:17], s[16:17], s[4:5]
	s_cmp_gt_i32 s3, 0
	v_cmp_gt_i32_e64 s3, s28, v6
	v_cmp_gt_i32_e64 s5, s28, v7
	v_lshlrev_b64_e32 v[6:7], 1, v[24:25]
	s_add_nc_u64 s[30:31], s[44:45], s[6:7]
	v_cmp_gt_i32_e64 s1, s52, v52
	v_cmp_gt_i32_e64 s2, s28, v24
	;; [unrolled: 1-line block ×4, first 2 shown]
	v_lshl_add_u64 v[8:9], v[8:9], 1, s[24:25]
	v_lshl_add_u64 v[10:11], v[10:11], 3, s[24:25]
	v_lshl_add_u64 v[12:13], v[12:13], 3, s[16:17]
	v_lshl_add_u64 v[22:23], v[22:23], 1, s[16:17]
	s_add_nc_u64 s[26:27], s[24:25], s[18:19]
	s_cselect_b32 s53, -1, 0
	v_lshl_add_u64 v[14:15], v[14:15], 1, s[16:17]
	v_lshl_add_u64 v[16:17], v[16:17], 1, s[24:25]
	s_lshl_b64 s[34:35], s[38:39], 1
	s_and_b32 s28, s0, vcc_lo
	s_lshl_b64 s[44:45], s[22:23], 1
	s_lshl_b64 s[46:47], s[20:21], 7
	v_lshl_add_u64 v[18:19], v[18:19], 1, s[16:17]
	v_lshl_add_u64 v[20:21], v[20:21], 1, s[24:25]
	s_lshl_b64 s[24:25], s[36:37], 7
	s_branch .LBB639_5
.LBB639_3:                              ;   in Loop: Header=BB639_5 Depth=1
	s_wait_xcnt 0x0
	s_or_b32 exec_lo, exec_lo, s7
.LBB639_4:                              ;   in Loop: Header=BB639_5 Depth=1
	s_add_co_i32 s10, s10, 0x10000
	s_delay_alu instid0(SALU_CYCLE_1)
	s_cmp_lt_u32 s10, s33
	s_cbranch_scc0 .LBB639_53
.LBB639_5:                              ; =>This Loop Header: Depth=1
                                        ;     Child Loop BB639_21 Depth 2
	s_wait_xcnt 0x1
	s_mul_u64 s[8:9], s[14:15], s[10:11]
	s_wait_xcnt 0x0
	s_mul_u64 s[48:49], s[42:43], s[10:11]
	s_lshl_b64 s[8:9], s[8:9], 2
	s_lshl_b64 s[48:49], s[48:49], 2
	s_add_nc_u64 s[8:9], s[12:13], s[8:9]
	s_add_nc_u64 s[48:49], s[40:41], s[48:49]
	s_clause 0x1
	global_load_b32 v55, v1, s[8:9]
	global_load_b32 v0, v1, s[48:49]
	s_wait_loadcnt 0x1
	v_cmp_eq_f32_e32 vcc_lo, 0, v55
	s_wait_loadcnt 0x0
	v_cmp_eq_f32_e64 s7, 1.0, v0
	v_readfirstlane_b32 s55, v0
	s_and_b32 s7, vcc_lo, s7
	s_delay_alu instid0(SALU_CYCLE_1)
	s_and_b32 vcc_lo, exec_lo, s7
	s_cbranch_vccnz .LBB639_4
; %bb.6:                                ;   in Loop: Header=BB639_5 Depth=1
	v_cmp_neq_f32_e32 vcc_lo, 0, v55
	s_wait_xcnt 0x1
	s_mul_u64 s[8:9], s[50:51], s[10:11]
	s_delay_alu instid0(SALU_CYCLE_1)
	s_lshl_b64 s[8:9], s[8:9], 2
	s_wait_xcnt 0x0
	s_add_nc_u64 s[48:49], s[30:31], s[8:9]
	s_cbranch_vccnz .LBB639_10
; %bb.7:                                ;   in Loop: Header=BB639_5 Depth=1
	s_mov_b32 s7, 0
	s_mov_b32 s54, 0
                                        ; implicit-def: $vgpr0
	s_and_saveexec_b32 s8, s28
	s_cbranch_execz .LBB639_11
; %bb.8:                                ;   in Loop: Header=BB639_5 Depth=1
	s_cmp_eq_f32 s55, 0
	s_cbranch_scc1 .LBB639_13
; %bb.9:                                ;   in Loop: Header=BB639_5 Depth=1
	v_lshl_add_u64 v[24:25], v[2:3], 2, s[48:49]
	global_load_b32 v0, v[24:25], off
	s_wait_loadcnt 0x0
	v_mul_f32_e32 v0, s55, v0
	s_branch .LBB639_14
.LBB639_10:                             ;   in Loop: Header=BB639_5 Depth=1
	s_mov_b32 s54, 0
                                        ; implicit-def: $vgpr0
	s_cbranch_execz .LBB639_12
	s_branch .LBB639_15
.LBB639_11:                             ;   in Loop: Header=BB639_5 Depth=1
	s_or_b32 exec_lo, exec_lo, s8
	s_delay_alu instid0(SALU_CYCLE_1)
	s_and_b32 vcc_lo, exec_lo, s7
	s_cbranch_vccnz .LBB639_15
.LBB639_12:                             ;   in Loop: Header=BB639_5 Depth=1
	v_mov_b64_e32 v[24:25], v[2:3]
	s_and_saveexec_b32 s7, s54
	s_cbranch_execz .LBB639_3
	s_branch .LBB639_52
.LBB639_13:                             ;   in Loop: Header=BB639_5 Depth=1
	v_mov_b32_e32 v0, 0
.LBB639_14:                             ;   in Loop: Header=BB639_5 Depth=1
	s_mov_b32 s54, exec_lo
	s_wait_xcnt 0x0
	s_or_b32 exec_lo, exec_lo, s8
	s_delay_alu instid0(SALU_CYCLE_1)
	s_and_b32 vcc_lo, exec_lo, s7
	s_cbranch_vccz .LBB639_12
.LBB639_15:                             ;   in Loop: Header=BB639_5 Depth=1
	v_dual_mov_b32 v56, 0 :: v_dual_mov_b32 v0, v52
	v_dual_mov_b32 v57, 0 :: v_dual_mov_b32 v58, 0
	v_mov_b32_e32 v59, 0
	s_and_saveexec_b32 s7, s1
	s_cbranch_execz .LBB639_27
; %bb.16:                               ;   in Loop: Header=BB639_5 Depth=1
	s_mul_u64 s[8:9], s[34:35], s[10:11]
	s_mul_u64 s[56:57], s[44:45], s[10:11]
	v_add_nc_u64_e32 v[24:25], s[8:9], v[10:11]
	v_add_nc_u64_e32 v[26:27], s[56:57], v[14:15]
	;; [unrolled: 1-line block ×8, first 2 shown]
	v_dual_mov_b32 v56, 0 :: v_dual_mov_b32 v0, v52
	v_dual_mov_b32 v57, 0 :: v_dual_mov_b32 v58, 0
	v_mov_b32_e32 v59, 0
	s_mov_b32 s8, 0
	s_branch .LBB639_21
.LBB639_17:                             ;   in Loop: Header=BB639_21 Depth=2
	s_or_b32 exec_lo, exec_lo, s58
	s_wait_loadcnt 0x2
	v_dual_lshlrev_b32 v45, 16, v71 :: v_dual_lshlrev_b32 v44, 16, v70
	s_delay_alu instid0(VALU_DEP_1) | instskip(SKIP_1) | instid1(VALU_DEP_1)
	v_pk_mul_f32 v[44:45], v[42:43], v[44:45]
	s_wait_loadcnt 0x0
	v_dual_add_f32 v44, v58, v44 :: v_dual_lshlrev_b32 v47, 16, v69
	s_delay_alu instid0(VALU_DEP_1) | instskip(NEXT) | instid1(VALU_DEP_1)
	v_dual_lshlrev_b32 v46, 16, v68 :: v_dual_add_f32 v48, v44, v45
	v_pk_mul_f32 v[44:45], v[40:41], v[46:47]
	s_delay_alu instid0(VALU_DEP_1) | instskip(NEXT) | instid1(VALU_DEP_1)
	v_add_f32_e32 v44, v48, v44
	v_add_f32_e32 v58, v44, v45
.LBB639_18:                             ;   in Loop: Header=BB639_21 Depth=2
	s_or_b32 exec_lo, exec_lo, s57
	s_wait_loadcnt 0x2
	v_dual_lshlrev_b32 v45, 16, v67 :: v_dual_lshlrev_b32 v44, 16, v66
	s_delay_alu instid0(VALU_DEP_1) | instskip(SKIP_1) | instid1(VALU_DEP_1)
	v_pk_mul_f32 v[44:45], v[42:43], v[44:45]
	s_wait_loadcnt 0x0
	v_dual_add_f32 v44, v57, v44 :: v_dual_lshlrev_b32 v47, 16, v65
	s_delay_alu instid0(VALU_DEP_1) | instskip(NEXT) | instid1(VALU_DEP_1)
	v_dual_lshlrev_b32 v46, 16, v64 :: v_dual_add_f32 v48, v44, v45
	v_pk_mul_f32 v[44:45], v[40:41], v[46:47]
	s_delay_alu instid0(VALU_DEP_1) | instskip(NEXT) | instid1(VALU_DEP_1)
	v_add_f32_e32 v44, v48, v44
	v_add_f32_e32 v57, v44, v45
.LBB639_19:                             ;   in Loop: Header=BB639_21 Depth=2
	s_or_b32 exec_lo, exec_lo, s56
	s_wait_loadcnt 0x2
	v_dual_lshlrev_b32 v45, 16, v63 :: v_dual_lshlrev_b32 v44, 16, v62
	s_delay_alu instid0(VALU_DEP_1) | instskip(SKIP_1) | instid1(VALU_DEP_1)
	v_pk_mul_f32 v[42:43], v[42:43], v[44:45]
	s_wait_loadcnt 0x0
	v_dual_add_f32 v42, v56, v42 :: v_dual_lshlrev_b32 v45, 16, v61
	s_delay_alu instid0(VALU_DEP_1) | instskip(NEXT) | instid1(VALU_DEP_1)
	v_dual_lshlrev_b32 v44, 16, v60 :: v_dual_add_f32 v42, v42, v43
	v_pk_mul_f32 v[40:41], v[40:41], v[44:45]
	s_delay_alu instid0(VALU_DEP_1) | instskip(NEXT) | instid1(VALU_DEP_1)
	v_add_f32_e32 v40, v42, v40
	v_add_f32_e32 v56, v40, v41
.LBB639_20:                             ;   in Loop: Header=BB639_21 Depth=2
	s_or_b32 exec_lo, exec_lo, s9
	v_add_nc_u32_e32 v0, 64, v0
	v_add_nc_u64_e32 v[24:25], s[24:25], v[24:25]
	v_add_nc_u64_e32 v[26:27], s[46:47], v[26:27]
	;; [unrolled: 1-line block ×7, first 2 shown]
	v_cmp_le_i32_e32 vcc_lo, s52, v0
	v_add_nc_u64_e32 v[38:39], s[46:47], v[38:39]
	s_or_b32 s8, vcc_lo, s8
	s_delay_alu instid0(SALU_CYCLE_1)
	s_and_not1_b32 exec_lo, exec_lo, s8
	s_cbranch_execz .LBB639_26
.LBB639_21:                             ;   Parent Loop BB639_5 Depth=1
                                        ; =>  This Inner Loop Header: Depth=2
	s_and_saveexec_b32 s9, s2
	s_cbranch_execz .LBB639_20
; %bb.22:                               ;   in Loop: Header=BB639_21 Depth=2
	v_add_nc_u64_e32 v[40:41], s[18:19], v[24:25]
	v_add_nc_u64_e32 v[42:43], s[18:19], v[36:37]
	;; [unrolled: 1-line block ×7, first 2 shown]
	global_load_u16 v40, v[40:41], off
	global_load_u16 v41, v[42:43], off
	v_add_nc_u64_e32 v[46:47], v[26:27], v[6:7]
	global_load_u16 v64, v[62:63], off
	global_load_u16 v65, v[60:61], off
	;; [unrolled: 1-line block ×6, first 2 shown]
	s_wait_loadcnt 0x6
	v_dual_lshlrev_b32 v42, 16, v40 :: v_dual_lshlrev_b32 v43, 16, v41
	s_wait_loadcnt 0x4
	v_dual_lshlrev_b32 v41, 16, v64 :: v_dual_lshlrev_b32 v40, 16, v65
	s_wait_xcnt 0x0
	s_and_saveexec_b32 s56, s4
	s_cbranch_execz .LBB639_19
; %bb.23:                               ;   in Loop: Header=BB639_21 Depth=2
	global_load_u16 v66, v[48:49], off offset:128
	global_load_u16 v67, v[50:51], off offset:128
	global_load_u16 v64, v[44:45], off offset:128
	global_load_u16 v65, v[46:47], off offset:128
	s_wait_xcnt 0x0
	s_and_saveexec_b32 s57, s5
	s_cbranch_execz .LBB639_18
; %bb.24:                               ;   in Loop: Header=BB639_21 Depth=2
	global_load_u16 v70, v[48:49], off offset:256
	global_load_u16 v71, v[50:51], off offset:256
	global_load_u16 v68, v[44:45], off offset:256
	global_load_u16 v69, v[46:47], off offset:256
	;; [unrolled: 8-line block ×3, first 2 shown]
	s_wait_loadcnt 0x2
	s_wait_xcnt 0x0
	v_dual_lshlrev_b32 v45, 16, v50 :: v_dual_lshlrev_b32 v44, 16, v48
	s_delay_alu instid0(VALU_DEP_1) | instskip(SKIP_1) | instid1(VALU_DEP_1)
	v_pk_mul_f32 v[44:45], v[42:43], v[44:45]
	s_wait_loadcnt 0x1
	v_dual_add_f32 v44, v59, v44 :: v_dual_lshlrev_b32 v47, 16, v46
	s_delay_alu instid0(VALU_DEP_1) | instskip(SKIP_2) | instid1(VALU_DEP_1)
	v_add_f32_e32 v48, v44, v45
	s_wait_loadcnt 0x0
	v_lshlrev_b32_e32 v46, 16, v49
	v_pk_mul_f32 v[44:45], v[40:41], v[46:47]
	s_delay_alu instid0(VALU_DEP_1) | instskip(NEXT) | instid1(VALU_DEP_1)
	v_add_f32_e32 v44, v48, v44
	v_add_f32_e32 v59, v44, v45
	s_branch .LBB639_17
.LBB639_26:                             ;   in Loop: Header=BB639_5 Depth=1
	s_or_b32 exec_lo, exec_lo, s8
.LBB639_27:                             ;   in Loop: Header=BB639_5 Depth=1
	s_delay_alu instid0(SALU_CYCLE_1) | instskip(NEXT) | instid1(SALU_CYCLE_1)
	s_or_b32 exec_lo, exec_lo, s7
	s_and_not1_b32 vcc_lo, exec_lo, s53
	s_cbranch_vccnz .LBB639_45
; %bb.28:                               ;   in Loop: Header=BB639_5 Depth=1
	v_dual_mov_b32 v24, 0 :: v_dual_bitop2_b32 v28, 1, v0 bitop3:0x54
	v_cmp_gt_i32_e32 vcc_lo, s29, v0
	s_delay_alu instid0(VALU_DEP_2)
	v_dual_mov_b32 v25, v24 :: v_dual_mov_b32 v26, v24
	v_mov_b32_e32 v27, v24
	s_and_saveexec_b32 s56, vcc_lo
	s_cbranch_execz .LBB639_36
; %bb.29:                               ;   in Loop: Header=BB639_5 Depth=1
	v_mul_u64_e32 v[24:25], s[36:37], v[0:1]
	s_mul_u64 s[8:9], s[38:39], s[10:11]
	v_mov_b32_e32 v27, 0
	s_lshl_b64 s[8:9], s[8:9], 1
	s_mov_b32 s57, exec_lo
	s_add_nc_u64 s[8:9], s[26:27], s[8:9]
	s_delay_alu instid0(VALU_DEP_2) | instid1(SALU_CYCLE_1)
	v_lshl_add_u64 v[24:25], v[24:25], 1, s[8:9]
	global_load_u16 v30, v[24:25], off
	s_wait_xcnt 0x0
	v_dual_mov_b32 v25, 0 :: v_dual_mov_b32 v24, 0
	v_cmpx_gt_i32_e64 s29, v28
	s_cbranch_execz .LBB639_35
; %bb.30:                               ;   in Loop: Header=BB639_5 Depth=1
	v_dual_mov_b32 v29, v1 :: v_dual_bitop2_b32 v26, 2, v0 bitop3:0x54
	s_mov_b32 s58, exec_lo
	s_delay_alu instid0(VALU_DEP_1) | instskip(NEXT) | instid1(VALU_DEP_1)
	v_mul_u64_e32 v[24:25], s[36:37], v[28:29]
	v_lshl_add_u64 v[24:25], v[24:25], 1, s[8:9]
	global_load_u16 v29, v[24:25], off
	s_wait_xcnt 0x0
	v_dual_mov_b32 v25, 0 :: v_dual_mov_b32 v24, 0
	v_cmpx_gt_i32_e64 s29, v26
	s_cbranch_execz .LBB639_34
; %bb.31:                               ;   in Loop: Header=BB639_5 Depth=1
	v_mov_b32_e32 v27, v1
	s_mov_b32 s59, exec_lo
	s_delay_alu instid0(VALU_DEP_1) | instskip(NEXT) | instid1(VALU_DEP_1)
	v_mul_u64_e32 v[24:25], s[36:37], v[26:27]
	v_lshl_add_u64 v[24:25], v[24:25], 1, s[8:9]
	global_load_u16 v26, v[24:25], off
	s_wait_xcnt 0x0
	v_dual_mov_b32 v25, 0 :: v_dual_bitop2_b32 v24, 3, v0 bitop3:0x54
	s_delay_alu instid0(VALU_DEP_1)
	v_cmpx_gt_i32_e64 s29, v24
	s_cbranch_execz .LBB639_33
; %bb.32:                               ;   in Loop: Header=BB639_5 Depth=1
	v_mov_b32_e32 v25, v1
	s_delay_alu instid0(VALU_DEP_1) | instskip(NEXT) | instid1(VALU_DEP_1)
	v_mul_u64_e32 v[24:25], s[36:37], v[24:25]
	v_lshl_add_u64 v[24:25], v[24:25], 1, s[8:9]
	global_load_u16 v24, v[24:25], off
	s_wait_loadcnt 0x0
	s_wait_xcnt 0x0
	v_lshlrev_b32_e32 v25, 16, v24
.LBB639_33:                             ;   in Loop: Header=BB639_5 Depth=1
	s_or_b32 exec_lo, exec_lo, s59
	s_wait_loadcnt 0x0
	v_lshlrev_b32_e32 v24, 16, v26
.LBB639_34:                             ;   in Loop: Header=BB639_5 Depth=1
	s_or_b32 exec_lo, exec_lo, s58
	s_wait_loadcnt 0x0
	v_lshlrev_b32_e32 v27, 16, v29
.LBB639_35:                             ;   in Loop: Header=BB639_5 Depth=1
	s_or_b32 exec_lo, exec_lo, s57
	s_wait_loadcnt 0x0
	v_lshlrev_b32_e32 v26, 16, v30
.LBB639_36:                             ;   in Loop: Header=BB639_5 Depth=1
	s_or_b32 exec_lo, exec_lo, s56
	s_and_saveexec_b32 s56, s2
	s_cbranch_execz .LBB639_44
; %bb.37:                               ;   in Loop: Header=BB639_5 Depth=1
	v_dual_mov_b32 v29, v1 :: v_dual_bitop2_b32 v30, 2, v0 bitop3:0x54
	v_mov_b32_e32 v31, v1
	v_mul_u64_e32 v[32:33], s[20:21], v[0:1]
	v_or_b32_e32 v0, 3, v0
	s_delay_alu instid0(VALU_DEP_4)
	v_mul_u64_e32 v[34:35], s[20:21], v[28:29]
	s_mul_u64 s[8:9], s[22:23], s[10:11]
	v_mul_u64_e32 v[36:37], s[20:21], v[30:31]
	v_cmp_gt_i32_e64 s7, s29, v28
	v_mul_u64_e32 v[38:39], s[20:21], v[0:1]
	s_lshl_b64 s[58:59], s[8:9], 1
	v_cmp_gt_i32_e64 s8, s29, v30
	v_cmp_gt_i32_e64 s9, s29, v0
	v_dual_cndmask_b32 v29, 0, v33 :: v_dual_cndmask_b32 v28, 0, v32
	v_dual_cndmask_b32 v31, 0, v35, s7 :: v_dual_cndmask_b32 v30, 0, v34, s7
	s_delay_alu instid0(VALU_DEP_4) | instskip(NEXT) | instid1(VALU_DEP_4)
	v_dual_cndmask_b32 v33, 0, v37, s8 :: v_dual_cndmask_b32 v32, 0, v36, s8
	v_dual_cndmask_b32 v35, 0, v39, s9 :: v_dual_cndmask_b32 v34, 0, v38, s9
	s_add_nc_u64 s[8:9], s[16:17], s[58:59]
	s_delay_alu instid0(VALU_DEP_3) | instid1(SALU_CYCLE_1)
	v_lshl_add_u64 v[30:31], v[30:31], 1, s[8:9]
	s_delay_alu instid0(VALU_DEP_3) | instskip(NEXT) | instid1(VALU_DEP_3)
	v_lshl_add_u64 v[36:37], v[32:33], 1, s[8:9]
	v_lshl_add_u64 v[34:35], v[34:35], 1, s[8:9]
	;; [unrolled: 1-line block ×3, first 2 shown]
	s_delay_alu instid0(VALU_DEP_4) | instskip(NEXT) | instid1(VALU_DEP_4)
	v_add_nc_u64_e32 v[32:33], v[30:31], v[6:7]
	v_add_nc_u64_e32 v[28:29], v[36:37], v[6:7]
	s_delay_alu instid0(VALU_DEP_4) | instskip(NEXT) | instid1(VALU_DEP_4)
	v_add_nc_u64_e32 v[30:31], v[34:35], v[6:7]
	v_add_nc_u64_e32 v[34:35], v[38:39], v[6:7]
	s_clause 0x3
	global_load_u16 v37, v[32:33], off
	global_load_u16 v0, v[28:29], off
	;; [unrolled: 1-line block ×4, first 2 shown]
	s_wait_xcnt 0x0
	s_and_saveexec_b32 s7, s4
	s_cbranch_execz .LBB639_43
; %bb.38:                               ;   in Loop: Header=BB639_5 Depth=1
	s_clause 0x3
	global_load_u16 v41, v[34:35], off offset:128
	global_load_u16 v42, v[32:33], off offset:128
	global_load_u16 v39, v[28:29], off offset:128
	global_load_u16 v40, v[30:31], off offset:128
	s_wait_xcnt 0x0
	s_and_saveexec_b32 s8, s5
	s_cbranch_execz .LBB639_42
; %bb.39:                               ;   in Loop: Header=BB639_5 Depth=1
	s_clause 0x3
	global_load_u16 v45, v[34:35], off offset:256
	global_load_u16 v46, v[32:33], off offset:256
	global_load_u16 v43, v[28:29], off offset:256
	global_load_u16 v44, v[30:31], off offset:256
	;; [unrolled: 9-line block ×3, first 2 shown]
	s_wait_loadcnt 0x2
	s_wait_xcnt 0x0
	v_dual_lshlrev_b32 v29, 16, v32 :: v_dual_lshlrev_b32 v28, 16, v33
	s_delay_alu instid0(VALU_DEP_1) | instskip(SKIP_1) | instid1(VALU_DEP_1)
	v_pk_mul_f32 v[28:29], v[26:27], v[28:29]
	s_wait_loadcnt 0x1
	v_dual_add_f32 v28, v59, v28 :: v_dual_lshlrev_b32 v31, 16, v30
	s_wait_loadcnt 0x0
	s_delay_alu instid0(VALU_DEP_1) | instskip(NEXT) | instid1(VALU_DEP_1)
	v_dual_lshlrev_b32 v30, 16, v34 :: v_dual_add_f32 v32, v28, v29
	v_pk_mul_f32 v[28:29], v[24:25], v[30:31]
	s_delay_alu instid0(VALU_DEP_1) | instskip(NEXT) | instid1(VALU_DEP_1)
	v_add_f32_e32 v28, v32, v28
	v_add_f32_e32 v59, v28, v29
.LBB639_41:                             ;   in Loop: Header=BB639_5 Depth=1
	s_or_b32 exec_lo, exec_lo, s9
	s_wait_loadcnt 0x2
	v_dual_lshlrev_b32 v29, 16, v46 :: v_dual_lshlrev_b32 v28, 16, v45
	s_wait_loadcnt 0x0
	v_dual_lshlrev_b32 v31, 16, v44 :: v_dual_lshlrev_b32 v30, 16, v43
	s_delay_alu instid0(VALU_DEP_2) | instskip(NEXT) | instid1(VALU_DEP_1)
	v_pk_mul_f32 v[28:29], v[26:27], v[28:29]
	v_add_f32_e32 v28, v58, v28
	s_delay_alu instid0(VALU_DEP_1) | instskip(NEXT) | instid1(VALU_DEP_4)
	v_add_f32_e32 v32, v28, v29
	v_pk_mul_f32 v[28:29], v[24:25], v[30:31]
	s_delay_alu instid0(VALU_DEP_1) | instskip(NEXT) | instid1(VALU_DEP_1)
	v_add_f32_e32 v28, v32, v28
	v_add_f32_e32 v58, v28, v29
.LBB639_42:                             ;   in Loop: Header=BB639_5 Depth=1
	s_or_b32 exec_lo, exec_lo, s8
	s_wait_loadcnt 0x2
	v_dual_lshlrev_b32 v29, 16, v42 :: v_dual_lshlrev_b32 v28, 16, v41
	s_wait_loadcnt 0x0
	v_dual_lshlrev_b32 v31, 16, v40 :: v_dual_lshlrev_b32 v30, 16, v39
	s_delay_alu instid0(VALU_DEP_2) | instskip(NEXT) | instid1(VALU_DEP_1)
	v_pk_mul_f32 v[28:29], v[26:27], v[28:29]
	v_add_f32_e32 v28, v57, v28
	s_delay_alu instid0(VALU_DEP_1) | instskip(NEXT) | instid1(VALU_DEP_4)
	v_add_f32_e32 v32, v28, v29
	v_pk_mul_f32 v[28:29], v[24:25], v[30:31]
	s_delay_alu instid0(VALU_DEP_1) | instskip(NEXT) | instid1(VALU_DEP_1)
	v_add_f32_e32 v28, v32, v28
	v_add_f32_e32 v57, v28, v29
.LBB639_43:                             ;   in Loop: Header=BB639_5 Depth=1
	s_or_b32 exec_lo, exec_lo, s7
	s_wait_loadcnt 0x0
	v_dual_lshlrev_b32 v29, 16, v37 :: v_dual_lshlrev_b32 v28, 16, v38
	s_delay_alu instid0(VALU_DEP_1) | instskip(NEXT) | instid1(VALU_DEP_1)
	v_pk_mul_f32 v[26:27], v[26:27], v[28:29]
	v_dual_add_f32 v26, v56, v26 :: v_dual_lshlrev_b32 v29, 16, v36
	s_delay_alu instid0(VALU_DEP_1) | instskip(NEXT) | instid1(VALU_DEP_1)
	v_dual_lshlrev_b32 v28, 16, v0 :: v_dual_add_f32 v0, v26, v27
	v_pk_mul_f32 v[24:25], v[24:25], v[28:29]
	s_delay_alu instid0(VALU_DEP_1) | instskip(NEXT) | instid1(VALU_DEP_1)
	v_add_f32_e32 v0, v0, v24
	v_add_f32_e32 v56, v0, v25
.LBB639_44:                             ;   in Loop: Header=BB639_5 Depth=1
	s_or_b32 exec_lo, exec_lo, s56
.LBB639_45:                             ;   in Loop: Header=BB639_5 Depth=1
	ds_store_2addr_stride64_b32 v53, v56, v57 offset1:1
	ds_store_2addr_stride64_b32 v53, v58, v59 offset0:2 offset1:3
	s_wait_dscnt 0x0
	s_barrier_signal -1
	s_barrier_wait -1
                                        ; implicit-def: $vgpr0
	s_and_saveexec_b32 s7, s0
	s_cbranch_execz .LBB639_51
; %bb.46:                               ;   in Loop: Header=BB639_5 Depth=1
	ds_load_2addr_stride64_b32 v[24:25], v54 offset1:4
	ds_load_2addr_stride64_b32 v[26:27], v54 offset0:8 offset1:12
	ds_load_2addr_stride64_b32 v[28:29], v54 offset0:16 offset1:20
	s_mov_b32 s9, s54
	s_wait_dscnt 0x2
	v_add_f32_e32 v0, v24, v25
	ds_load_2addr_stride64_b32 v[24:25], v54 offset0:24 offset1:28
	s_wait_dscnt 0x2
	v_add_f32_e32 v0, v26, v0
	s_delay_alu instid0(VALU_DEP_1) | instskip(SKIP_3) | instid1(VALU_DEP_1)
	v_add_f32_e32 v0, v27, v0
	ds_load_2addr_stride64_b32 v[26:27], v54 offset0:32 offset1:36
	s_wait_dscnt 0x2
	v_add_f32_e32 v0, v28, v0
	v_add_f32_e32 v0, v29, v0
	ds_load_2addr_stride64_b32 v[28:29], v54 offset0:40 offset1:44
	s_wait_dscnt 0x2
	v_add_f32_e32 v0, v24, v0
	s_delay_alu instid0(VALU_DEP_1) | instskip(SKIP_3) | instid1(VALU_DEP_1)
	v_add_f32_e32 v0, v25, v0
	ds_load_2addr_stride64_b32 v[24:25], v54 offset0:48 offset1:52
	s_wait_dscnt 0x2
	v_add_f32_e32 v0, v26, v0
	v_add_f32_e32 v0, v27, v0
	ds_load_2addr_stride64_b32 v[26:27], v54 offset0:56 offset1:60
	s_wait_dscnt 0x2
	v_add_f32_e32 v0, v28, v0
	s_delay_alu instid0(VALU_DEP_1) | instskip(SKIP_1) | instid1(VALU_DEP_1)
	v_add_f32_e32 v0, v29, v0
	s_wait_dscnt 0x1
	v_add_f32_e32 v0, v24, v0
	s_delay_alu instid0(VALU_DEP_1) | instskip(SKIP_1) | instid1(VALU_DEP_1)
	v_add_f32_e32 v0, v25, v0
	s_wait_dscnt 0x0
	v_add_f32_e32 v0, v26, v0
	s_delay_alu instid0(VALU_DEP_1)
	v_add_f32_e32 v24, v27, v0
                                        ; implicit-def: $vgpr0
	ds_store_b32 v54, v24
	s_and_saveexec_b32 s8, s3
	s_cbranch_execz .LBB639_50
; %bb.47:                               ;   in Loop: Header=BB639_5 Depth=1
	v_mul_f32_e32 v0, v55, v24
	s_cmp_eq_f32 s55, 0
	s_cbranch_scc1 .LBB639_49
; %bb.48:                               ;   in Loop: Header=BB639_5 Depth=1
	v_lshl_add_u64 v[24:25], v[4:5], 2, s[48:49]
	global_load_b32 v24, v[24:25], off
	s_wait_loadcnt 0x0
	v_fmac_f32_e32 v0, s55, v24
.LBB639_49:                             ;   in Loop: Header=BB639_5 Depth=1
	s_or_b32 s9, s54, exec_lo
.LBB639_50:                             ;   in Loop: Header=BB639_5 Depth=1
	s_wait_xcnt 0x0
	s_or_b32 exec_lo, exec_lo, s8
	s_delay_alu instid0(SALU_CYCLE_1) | instskip(SKIP_1) | instid1(SALU_CYCLE_1)
	s_and_not1_b32 s8, s54, exec_lo
	s_and_b32 s9, s9, exec_lo
	s_or_b32 s54, s8, s9
.LBB639_51:                             ;   in Loop: Header=BB639_5 Depth=1
	s_or_b32 exec_lo, exec_lo, s7
	v_mov_b64_e32 v[24:25], v[4:5]
	s_and_saveexec_b32 s7, s54
	s_cbranch_execz .LBB639_3
.LBB639_52:                             ;   in Loop: Header=BB639_5 Depth=1
	s_delay_alu instid0(VALU_DEP_1)
	v_lshl_add_u64 v[24:25], v[24:25], 2, s[48:49]
	global_store_b32 v[24:25], v0, off
	s_branch .LBB639_3
.LBB639_53:
	s_sendmsg sendmsg(MSG_DEALLOC_VGPRS)
	s_endpgm
	.section	.rodata,"a",@progbits
	.p2align	6, 0x0
	.amdhsa_kernel _ZL20rocblas_gemvn_kernelILi64ELi16El16rocblas_bfloat16PKffEviiT3_lPKT2_lT1_lS6_lS7_lS3_lPT4_lS7_li
		.amdhsa_group_segment_fixed_size 16384
		.amdhsa_private_segment_fixed_size 0
		.amdhsa_kernarg_size 400
		.amdhsa_user_sgpr_count 2
		.amdhsa_user_sgpr_dispatch_ptr 0
		.amdhsa_user_sgpr_queue_ptr 0
		.amdhsa_user_sgpr_kernarg_segment_ptr 1
		.amdhsa_user_sgpr_dispatch_id 0
		.amdhsa_user_sgpr_kernarg_preload_length 0
		.amdhsa_user_sgpr_kernarg_preload_offset 0
		.amdhsa_user_sgpr_private_segment_size 0
		.amdhsa_wavefront_size32 1
		.amdhsa_uses_dynamic_stack 0
		.amdhsa_enable_private_segment 0
		.amdhsa_system_sgpr_workgroup_id_x 1
		.amdhsa_system_sgpr_workgroup_id_y 0
		.amdhsa_system_sgpr_workgroup_id_z 1
		.amdhsa_system_sgpr_workgroup_info 0
		.amdhsa_system_vgpr_workitem_id 1
		.amdhsa_next_free_vgpr 72
		.amdhsa_next_free_sgpr 60
		.amdhsa_named_barrier_count 0
		.amdhsa_reserve_vcc 1
		.amdhsa_float_round_mode_32 0
		.amdhsa_float_round_mode_16_64 0
		.amdhsa_float_denorm_mode_32 3
		.amdhsa_float_denorm_mode_16_64 3
		.amdhsa_fp16_overflow 0
		.amdhsa_memory_ordered 1
		.amdhsa_forward_progress 1
		.amdhsa_inst_pref_size 25
		.amdhsa_round_robin_scheduling 0
		.amdhsa_exception_fp_ieee_invalid_op 0
		.amdhsa_exception_fp_denorm_src 0
		.amdhsa_exception_fp_ieee_div_zero 0
		.amdhsa_exception_fp_ieee_overflow 0
		.amdhsa_exception_fp_ieee_underflow 0
		.amdhsa_exception_fp_ieee_inexact 0
		.amdhsa_exception_int_div_zero 0
	.end_amdhsa_kernel
	.section	.text._ZL20rocblas_gemvn_kernelILi64ELi16El16rocblas_bfloat16PKffEviiT3_lPKT2_lT1_lS6_lS7_lS3_lPT4_lS7_li,"axG",@progbits,_ZL20rocblas_gemvn_kernelILi64ELi16El16rocblas_bfloat16PKffEviiT3_lPKT2_lT1_lS6_lS7_lS3_lPT4_lS7_li,comdat
.Lfunc_end639:
	.size	_ZL20rocblas_gemvn_kernelILi64ELi16El16rocblas_bfloat16PKffEviiT3_lPKT2_lT1_lS6_lS7_lS3_lPT4_lS7_li, .Lfunc_end639-_ZL20rocblas_gemvn_kernelILi64ELi16El16rocblas_bfloat16PKffEviiT3_lPKT2_lT1_lS6_lS7_lS3_lPT4_lS7_li
                                        ; -- End function
	.set _ZL20rocblas_gemvn_kernelILi64ELi16El16rocblas_bfloat16PKffEviiT3_lPKT2_lT1_lS6_lS7_lS3_lPT4_lS7_li.num_vgpr, 72
	.set _ZL20rocblas_gemvn_kernelILi64ELi16El16rocblas_bfloat16PKffEviiT3_lPKT2_lT1_lS6_lS7_lS3_lPT4_lS7_li.num_agpr, 0
	.set _ZL20rocblas_gemvn_kernelILi64ELi16El16rocblas_bfloat16PKffEviiT3_lPKT2_lT1_lS6_lS7_lS3_lPT4_lS7_li.numbered_sgpr, 60
	.set _ZL20rocblas_gemvn_kernelILi64ELi16El16rocblas_bfloat16PKffEviiT3_lPKT2_lT1_lS6_lS7_lS3_lPT4_lS7_li.num_named_barrier, 0
	.set _ZL20rocblas_gemvn_kernelILi64ELi16El16rocblas_bfloat16PKffEviiT3_lPKT2_lT1_lS6_lS7_lS3_lPT4_lS7_li.private_seg_size, 0
	.set _ZL20rocblas_gemvn_kernelILi64ELi16El16rocblas_bfloat16PKffEviiT3_lPKT2_lT1_lS6_lS7_lS3_lPT4_lS7_li.uses_vcc, 1
	.set _ZL20rocblas_gemvn_kernelILi64ELi16El16rocblas_bfloat16PKffEviiT3_lPKT2_lT1_lS6_lS7_lS3_lPT4_lS7_li.uses_flat_scratch, 0
	.set _ZL20rocblas_gemvn_kernelILi64ELi16El16rocblas_bfloat16PKffEviiT3_lPKT2_lT1_lS6_lS7_lS3_lPT4_lS7_li.has_dyn_sized_stack, 0
	.set _ZL20rocblas_gemvn_kernelILi64ELi16El16rocblas_bfloat16PKffEviiT3_lPKT2_lT1_lS6_lS7_lS3_lPT4_lS7_li.has_recursion, 0
	.set _ZL20rocblas_gemvn_kernelILi64ELi16El16rocblas_bfloat16PKffEviiT3_lPKT2_lT1_lS6_lS7_lS3_lPT4_lS7_li.has_indirect_call, 0
	.section	.AMDGPU.csdata,"",@progbits
; Kernel info:
; codeLenInByte = 3192
; TotalNumSgprs: 62
; NumVgprs: 72
; ScratchSize: 0
; MemoryBound: 0
; FloatMode: 240
; IeeeMode: 1
; LDSByteSize: 16384 bytes/workgroup (compile time only)
; SGPRBlocks: 0
; VGPRBlocks: 4
; NumSGPRsForWavesPerEU: 62
; NumVGPRsForWavesPerEU: 72
; NamedBarCnt: 0
; Occupancy: 12
; WaveLimiterHint : 1
; COMPUTE_PGM_RSRC2:SCRATCH_EN: 0
; COMPUTE_PGM_RSRC2:USER_SGPR: 2
; COMPUTE_PGM_RSRC2:TRAP_HANDLER: 0
; COMPUTE_PGM_RSRC2:TGID_X_EN: 1
; COMPUTE_PGM_RSRC2:TGID_Y_EN: 0
; COMPUTE_PGM_RSRC2:TGID_Z_EN: 1
; COMPUTE_PGM_RSRC2:TIDIG_COMP_CNT: 1
	.section	.text._ZL20rocblas_gemvn_kernelILi64ELi16Ei16rocblas_bfloat16ffEviiT3_lPKT2_lT1_lS4_lS5_lS1_lPT4_lS5_li,"axG",@progbits,_ZL20rocblas_gemvn_kernelILi64ELi16Ei16rocblas_bfloat16ffEviiT3_lPKT2_lT1_lS4_lS5_lS1_lPT4_lS5_li,comdat
	.globl	_ZL20rocblas_gemvn_kernelILi64ELi16Ei16rocblas_bfloat16ffEviiT3_lPKT2_lT1_lS4_lS5_lS1_lPT4_lS5_li ; -- Begin function _ZL20rocblas_gemvn_kernelILi64ELi16Ei16rocblas_bfloat16ffEviiT3_lPKT2_lT1_lS4_lS5_lS1_lPT4_lS5_li
	.p2align	8
	.type	_ZL20rocblas_gemvn_kernelILi64ELi16Ei16rocblas_bfloat16ffEviiT3_lPKT2_lT1_lS4_lS5_lS1_lPT4_lS5_li,@function
_ZL20rocblas_gemvn_kernelILi64ELi16Ei16rocblas_bfloat16ffEviiT3_lPKT2_lT1_lS4_lS5_lS1_lPT4_lS5_li: ; @_ZL20rocblas_gemvn_kernelILi64ELi16Ei16rocblas_bfloat16ffEviiT3_lPKT2_lT1_lS4_lS5_lS1_lPT4_lS5_li
; %bb.0:
	s_load_b64 s[2:3], s[0:1], 0x9c
	s_wait_kmcnt 0x0
	s_lshr_b32 s4, s2, 16
	s_and_b32 s2, s2, 0xffff
	s_and_b32 s3, s3, 0xffff
	s_mul_i32 s2, s4, s2
	s_delay_alu instid0(SALU_CYCLE_1) | instskip(NEXT) | instid1(SALU_CYCLE_1)
	s_mul_i32 s2, s2, s3
	s_cmp_lg_u32 s2, 0x400
	s_cbranch_scc1 .LBB640_53
; %bb.1:
	s_load_b32 s19, s[0:1], 0x88
	s_bfe_u32 s2, ttmp6, 0x40014
	s_lshr_b32 s3, ttmp7, 16
	s_add_co_i32 s2, s2, 1
	s_bfe_u32 s5, ttmp6, 0x40008
	s_mul_i32 s4, s3, s2
	s_getreg_b32 s2, hwreg(HW_REG_IB_STS2, 6, 4)
	s_add_co_i32 s5, s5, s4
	s_cmp_eq_u32 s2, 0
	s_mov_b32 s29, 0
	s_cselect_b32 s28, s3, s5
	s_wait_kmcnt 0x0
	s_cmp_ge_u32 s28, s19
	s_cbranch_scc1 .LBB640_53
; %bb.2:
	s_clause 0x7
	s_load_b128 s[4:7], s[0:1], 0x18
	s_load_b96 s[16:18], s[0:1], 0x40
	s_load_b128 s[12:15], s[0:1], 0x68
	s_load_b32 s30, s[0:1], 0x78
	s_load_b96 s[20:22], s[0:1], 0x0
	s_load_b96 s[24:26], s[0:1], 0x50
	s_load_b32 s23, s[0:1], 0x28
	s_load_b128 s[8:11], s[0:1], 0x30
	v_and_b32_e32 v4, 0x3ff, v0
	v_bfe_u32 v3, v0, 10, 10
	s_delay_alu instid0(VALU_DEP_1) | instskip(NEXT) | instid1(VALU_DEP_3)
	v_dual_mov_b32 v1, 0 :: v_dual_lshlrev_b32 v18, 2, v3
	v_lshl_add_u32 v5, v3, 6, v4
	s_delay_alu instid0(VALU_DEP_2)
	v_or_b32_e32 v10, 3, v18
	s_wait_kmcnt 0x0
	s_lshl_b64 s[6:7], s[6:7], 1
	s_lshl_b64 s[34:35], s[16:17], 1
	;; [unrolled: 1-line block ×3, first 2 shown]
	s_ashr_i32 s31, s30, 31
	s_cmp_eq_f32 s22, 0
	s_load_b64 s[14:15], s[0:1], 0x80
	s_add_nc_u64 s[16:17], s[4:5], s[6:7]
	s_wait_xcnt 0x0
	s_mov_b32 s0, s20
	s_cselect_b32 s27, -1, 0
	s_cmp_neq_f32 s22, 0
	v_mad_u32 v24, s23, v10, v4
	v_mad_u32 v26, s18, v18, s18
	v_mul_lo_u32 v28, s18, v10
	s_cselect_b32 s1, -1, 0
	s_cmp_neq_f32 s26, 1.0
	s_add_nc_u64 s[10:11], s[10:11], s[34:35]
	s_add_nc_u64 s[12:13], s[12:13], s[36:37]
	s_cselect_b32 s3, -1, 0
	s_bfe_u32 s4, ttmp6, 0x4000c
	s_and_b32 s5, ttmp6, 15
	s_add_co_i32 s4, s4, 1
	s_or_b32 s33, s1, s3
	s_mul_i32 s4, ttmp9, s4
	s_delay_alu instid0(SALU_CYCLE_1) | instskip(SKIP_4) | instid1(SALU_CYCLE_1)
	s_add_co_i32 s5, s5, s4
	s_cmp_eq_u32 s2, 0
	s_cselect_b32 s2, ttmp9, s5
	s_ashr_i32 s1, s20, 31
	s_lshl_b32 s38, s2, 8
	v_dual_lshlrev_b32 v6, 2, v4 :: v_dual_add_nc_u32 v0, s38, v5
	s_cmp_neq_f32 s26, 0
	v_dual_add_nc_u32 v19, s38, v4 :: v_dual_bitop2_b32 v7, s38, v5 bitop3:0x54
	s_delay_alu instid0(VALU_DEP_2) | instskip(NEXT) | instid1(VALU_DEP_3)
	v_lshl_add_u32 v20, v3, 10, v6
	v_cmp_gt_i64_e32 vcc_lo, s[0:1], v[0:1]
	v_mul_u64_e32 v[0:1], s[30:31], v[0:1]
	s_cselect_b32 s39, -1, 0
	s_ashr_i32 s2, s21, 31
	v_add_nc_u32_e32 v2, 64, v19
	s_lshr_b32 s1, s2, 26
	v_add_nc_u32_e32 v8, 0x80, v19
	s_add_co_i32 s40, s21, s1
	v_add_nc_u32_e32 v9, 0xc0, v19
	s_and_not1_b32 s40, s40, 63
	v_lshl_add_u32 v21, v3, 8, v6
	s_sub_co_i32 s5, s21, s40
	v_cmp_gt_i32_e64 s2, s20, v8
	v_cmp_gt_i32_e64 s4, s20, v9
	v_mul_lo_u32 v8, s23, v18
	s_cmp_gt_i32 s5, 0
	v_mul_lo_u32 v9, v3, s23
	v_cmp_gt_u32_e64 s5, 0x100, v5
	v_or_b32_e32 v5, 2, v18
	v_cmp_gt_i32_e64 s1, s20, v2
	v_mul_lo_u32 v2, s30, v7
	v_mul_lo_u32 v6, v3, s18
	v_cmp_gt_i32_e64 s0, s20, v19
	v_mad_u32 v23, s23, v5, v4
	v_mul_lo_u32 v27, s18, v5
	v_cmp_gt_i32_e64 s3, s40, v18
	v_cmp_gt_i32_e64 s6, s20, v7
	v_add3_u32 v22, v8, s23, v4
	v_lshl_add_u32 v25, v9, 2, v4
	s_cselect_b32 s20, -1, 0
	s_and_b32 s41, s5, vcc_lo
	v_ashrrev_i32_e32 v3, 31, v2
	v_lshlrev_b32_e32 v29, 2, v6
	s_lshl_b32 s42, s23, 6
	s_lshl_b32 s43, s18, 6
	s_branch .LBB640_5
.LBB640_3:                              ;   in Loop: Header=BB640_5 Depth=1
	s_wait_xcnt 0x0
	s_or_b32 exec_lo, exec_lo, s7
.LBB640_4:                              ;   in Loop: Header=BB640_5 Depth=1
	s_add_co_i32 s28, s28, 0x10000
	s_delay_alu instid0(SALU_CYCLE_1)
	s_cmp_lt_u32 s28, s19
	s_cbranch_scc0 .LBB640_53
.LBB640_5:                              ; =>This Loop Header: Depth=1
                                        ;     Child Loop BB640_21 Depth 2
	s_and_not1_b32 vcc_lo, exec_lo, s33
	s_cbranch_vccnz .LBB640_4
; %bb.6:                                ;   in Loop: Header=BB640_5 Depth=1
	s_wait_kmcnt 0x0
	s_mul_u64 s[30:31], s[14:15], s[28:29]
	s_and_not1_b32 vcc_lo, exec_lo, s27
	s_lshl_b64 s[30:31], s[30:31], 2
	s_delay_alu instid0(SALU_CYCLE_1)
	s_add_nc_u64 s[30:31], s[12:13], s[30:31]
	s_cbranch_vccnz .LBB640_10
; %bb.7:                                ;   in Loop: Header=BB640_5 Depth=1
	s_mov_b32 s7, 0
	s_mov_b32 s44, 0
                                        ; implicit-def: $vgpr6
	s_and_saveexec_b32 s34, s41
	s_cbranch_execz .LBB640_11
; %bb.8:                                ;   in Loop: Header=BB640_5 Depth=1
	s_and_not1_b32 vcc_lo, exec_lo, s39
	s_cbranch_vccnz .LBB640_13
; %bb.9:                                ;   in Loop: Header=BB640_5 Depth=1
	v_lshl_add_u64 v[4:5], v[0:1], 2, s[30:31]
	global_load_b32 v4, v[4:5], off
	s_wait_loadcnt 0x0
	v_mul_f32_e32 v6, s26, v4
	s_branch .LBB640_14
.LBB640_10:                             ;   in Loop: Header=BB640_5 Depth=1
	s_mov_b32 s44, 0
                                        ; implicit-def: $vgpr6
	s_cbranch_execz .LBB640_12
	s_branch .LBB640_15
.LBB640_11:                             ;   in Loop: Header=BB640_5 Depth=1
	s_or_b32 exec_lo, exec_lo, s34
	s_delay_alu instid0(SALU_CYCLE_1)
	s_and_b32 vcc_lo, exec_lo, s7
	s_cbranch_vccnz .LBB640_15
.LBB640_12:                             ;   in Loop: Header=BB640_5 Depth=1
	v_mov_b64_e32 v[4:5], v[0:1]
	s_and_saveexec_b32 s7, s44
	s_cbranch_execz .LBB640_3
	s_branch .LBB640_52
.LBB640_13:                             ;   in Loop: Header=BB640_5 Depth=1
	v_mov_b32_e32 v6, 0
.LBB640_14:                             ;   in Loop: Header=BB640_5 Depth=1
	s_mov_b32 s44, exec_lo
	s_wait_xcnt 0x0
	s_or_b32 exec_lo, exec_lo, s34
	s_delay_alu instid0(SALU_CYCLE_1)
	s_and_b32 vcc_lo, exec_lo, s7
	s_cbranch_vccz .LBB640_12
.LBB640_15:                             ;   in Loop: Header=BB640_5 Depth=1
	s_mul_u64 s[34:35], s[8:9], s[28:29]
	s_mul_u64 s[36:37], s[24:25], s[28:29]
	v_dual_mov_b32 v30, 0 :: v_dual_mov_b32 v34, v18
	v_dual_mov_b32 v31, 0 :: v_dual_mov_b32 v32, 0
	v_mov_b32_e32 v33, 0
	s_lshl_b64 s[34:35], s[34:35], 1
	s_lshl_b64 s[36:37], s[36:37], 1
	s_add_nc_u64 s[34:35], s[16:17], s[34:35]
	s_add_nc_u64 s[36:37], s[10:11], s[36:37]
	s_and_saveexec_b32 s7, s3
	s_cbranch_execz .LBB640_27
; %bb.16:                               ;   in Loop: Header=BB640_5 Depth=1
	v_dual_mov_b32 v30, 0 :: v_dual_mov_b32 v35, v25
	v_dual_mov_b32 v36, v24 :: v_dual_mov_b32 v37, v23
	;; [unrolled: 1-line block ×4, first 2 shown]
	v_mov_b32_e32 v33, 0
	s_mov_b32 s45, 0
	s_mov_b32 s46, 0
	s_branch .LBB640_21
.LBB640_17:                             ;   in Loop: Header=BB640_21 Depth=2
	s_or_b32 exec_lo, exec_lo, s50
	s_wait_loadcnt 0x2
	v_dual_lshlrev_b32 v9, 16, v48 :: v_dual_lshlrev_b32 v8, 16, v47
	s_delay_alu instid0(VALU_DEP_1) | instskip(SKIP_1) | instid1(VALU_DEP_1)
	v_pk_mul_f32 v[8:9], v[6:7], v[8:9]
	s_wait_loadcnt 0x0
	v_dual_add_f32 v8, v32, v8 :: v_dual_lshlrev_b32 v11, 16, v46
	s_delay_alu instid0(VALU_DEP_1) | instskip(SKIP_1) | instid1(VALU_DEP_1)
	v_add_f32_e32 v12, v8, v9
	v_lshlrev_b32_e32 v10, 16, v45
	v_pk_mul_f32 v[8:9], v[4:5], v[10:11]
	s_delay_alu instid0(VALU_DEP_1) | instskip(NEXT) | instid1(VALU_DEP_1)
	v_add_f32_e32 v8, v12, v8
	v_add_f32_e32 v32, v8, v9
.LBB640_18:                             ;   in Loop: Header=BB640_21 Depth=2
	s_or_b32 exec_lo, exec_lo, s49
	s_wait_loadcnt 0x2
	v_dual_lshlrev_b32 v9, 16, v44 :: v_dual_lshlrev_b32 v8, 16, v43
	s_delay_alu instid0(VALU_DEP_1) | instskip(SKIP_1) | instid1(VALU_DEP_1)
	v_pk_mul_f32 v[8:9], v[6:7], v[8:9]
	s_wait_loadcnt 0x0
	v_dual_add_f32 v8, v31, v8 :: v_dual_lshlrev_b32 v11, 16, v17
	s_delay_alu instid0(VALU_DEP_1) | instskip(NEXT) | instid1(VALU_DEP_1)
	v_dual_lshlrev_b32 v10, 16, v16 :: v_dual_add_f32 v12, v8, v9
	v_pk_mul_f32 v[8:9], v[4:5], v[10:11]
	s_delay_alu instid0(VALU_DEP_1) | instskip(NEXT) | instid1(VALU_DEP_1)
	v_add_f32_e32 v8, v12, v8
	v_add_f32_e32 v31, v8, v9
.LBB640_19:                             ;   in Loop: Header=BB640_21 Depth=2
	s_or_b32 exec_lo, exec_lo, s48
	s_wait_loadcnt 0x2
	v_dual_lshlrev_b32 v9, 16, v42 :: v_dual_lshlrev_b32 v8, 16, v41
	s_delay_alu instid0(VALU_DEP_1) | instskip(SKIP_1) | instid1(VALU_DEP_1)
	v_pk_mul_f32 v[6:7], v[6:7], v[8:9]
	s_wait_loadcnt 0x0
	v_dual_add_f32 v6, v30, v6 :: v_dual_lshlrev_b32 v9, 16, v40
	s_delay_alu instid0(VALU_DEP_1) | instskip(SKIP_1) | instid1(VALU_DEP_1)
	v_add_f32_e32 v6, v6, v7
	v_lshlrev_b32_e32 v8, 16, v39
	v_pk_mul_f32 v[4:5], v[4:5], v[8:9]
	s_delay_alu instid0(VALU_DEP_1) | instskip(NEXT) | instid1(VALU_DEP_1)
	v_add_f32_e32 v4, v6, v4
	v_add_f32_e32 v30, v4, v5
.LBB640_20:                             ;   in Loop: Header=BB640_21 Depth=2
	s_or_b32 exec_lo, exec_lo, s47
	v_dual_add_nc_u32 v34, 64, v34 :: v_dual_add_nc_u32 v37, s42, v37
	v_dual_add_nc_u32 v38, s42, v38 :: v_dual_add_nc_u32 v36, s42, v36
	v_add_nc_u32_e32 v35, s42, v35
	s_delay_alu instid0(VALU_DEP_3) | instskip(SKIP_2) | instid1(SALU_CYCLE_1)
	v_cmp_le_i32_e32 vcc_lo, s40, v34
	s_add_co_i32 s46, s46, s43
	s_or_b32 s45, vcc_lo, s45
	s_and_not1_b32 exec_lo, exec_lo, s45
	s_cbranch_execz .LBB640_26
.LBB640_21:                             ;   Parent Loop BB640_5 Depth=1
                                        ; =>  This Inner Loop Header: Depth=2
	s_and_saveexec_b32 s47, s0
	s_cbranch_execz .LBB640_20
; %bb.22:                               ;   in Loop: Header=BB640_21 Depth=2
	v_dual_add_nc_u32 v4, s46, v29 :: v_dual_add_nc_u32 v5, s46, v26
	v_dual_add_nc_u32 v6, s46, v27 :: v_dual_add_nc_u32 v7, s46, v28
	;; [unrolled: 1-line block ×3, first 2 shown]
	s_clause 0x3
	global_load_u16 v9, v4, s[36:37] scale_offset
	global_load_u16 v11, v5, s[36:37] scale_offset
	;; [unrolled: 1-line block ×4, first 2 shown]
	v_dual_add_nc_u32 v16, s38, v37 :: v_dual_add_nc_u32 v14, s38, v36
	s_clause 0x3
	global_load_u16 v41, v8, s[34:35] scale_offset
	global_load_u16 v42, v10, s[34:35] scale_offset
	;; [unrolled: 1-line block ×4, first 2 shown]
	s_wait_loadcnt 0x6
	s_wait_xcnt 0x4
	v_dual_lshlrev_b32 v6, 16, v9 :: v_dual_lshlrev_b32 v7, 16, v11
	s_wait_loadcnt 0x4
	v_dual_lshlrev_b32 v4, 16, v12 :: v_dual_lshlrev_b32 v5, 16, v13
	s_wait_xcnt 0x0
	s_and_saveexec_b32 s48, s1
	s_cbranch_execz .LBB640_19
; %bb.23:                               ;   in Loop: Header=BB640_21 Depth=2
	v_dual_ashrrev_i32 v9, 31, v8 :: v_dual_ashrrev_i32 v11, 31, v10
	v_dual_ashrrev_i32 v17, 31, v16 :: v_dual_ashrrev_i32 v15, 31, v14
	s_delay_alu instid0(VALU_DEP_2) | instskip(NEXT) | instid1(VALU_DEP_3)
	v_lshl_add_u64 v[12:13], v[8:9], 1, s[34:35]
	v_lshl_add_u64 v[8:9], v[10:11], 1, s[34:35]
	s_delay_alu instid0(VALU_DEP_3) | instskip(NEXT) | instid1(VALU_DEP_4)
	v_lshl_add_u64 v[10:11], v[16:17], 1, s[34:35]
	v_lshl_add_u64 v[14:15], v[14:15], 1, s[34:35]
	s_clause 0x3
	global_load_u16 v43, v[12:13], off offset:128
	global_load_u16 v44, v[8:9], off offset:128
	;; [unrolled: 1-line block ×4, first 2 shown]
	s_wait_xcnt 0x0
	s_and_saveexec_b32 s49, s2
	s_cbranch_execz .LBB640_18
; %bb.24:                               ;   in Loop: Header=BB640_21 Depth=2
	s_clause 0x3
	global_load_u16 v47, v[12:13], off offset:256
	global_load_u16 v48, v[8:9], off offset:256
	;; [unrolled: 1-line block ×4, first 2 shown]
	s_wait_xcnt 0x0
	s_and_saveexec_b32 s50, s4
	s_cbranch_execz .LBB640_17
; %bb.25:                               ;   in Loop: Header=BB640_21 Depth=2
	s_clause 0x3
	global_load_u16 v49, v[8:9], off offset:384
	global_load_u16 v50, v[12:13], off offset:384
	;; [unrolled: 1-line block ×4, first 2 shown]
	s_wait_loadcnt 0x2
	s_wait_xcnt 0x3
	v_dual_lshlrev_b32 v9, 16, v49 :: v_dual_lshlrev_b32 v8, 16, v50
	s_delay_alu instid0(VALU_DEP_1) | instskip(SKIP_2) | instid1(VALU_DEP_1)
	v_pk_mul_f32 v[8:9], v[6:7], v[8:9]
	s_wait_loadcnt 0x1
	s_wait_xcnt 0x0
	v_dual_add_f32 v8, v33, v8 :: v_dual_lshlrev_b32 v11, 16, v51
	s_wait_loadcnt 0x0
	s_delay_alu instid0(VALU_DEP_1) | instskip(NEXT) | instid1(VALU_DEP_1)
	v_dual_lshlrev_b32 v10, 16, v52 :: v_dual_add_f32 v12, v8, v9
	v_pk_mul_f32 v[8:9], v[4:5], v[10:11]
	s_delay_alu instid0(VALU_DEP_1) | instskip(NEXT) | instid1(VALU_DEP_1)
	v_add_f32_e32 v8, v12, v8
	v_add_f32_e32 v33, v8, v9
	s_branch .LBB640_17
.LBB640_26:                             ;   in Loop: Header=BB640_5 Depth=1
	s_or_b32 exec_lo, exec_lo, s45
.LBB640_27:                             ;   in Loop: Header=BB640_5 Depth=1
	s_delay_alu instid0(SALU_CYCLE_1) | instskip(NEXT) | instid1(SALU_CYCLE_1)
	s_or_b32 exec_lo, exec_lo, s7
	s_and_not1_b32 vcc_lo, exec_lo, s20
	s_cbranch_vccnz .LBB640_45
; %bb.28:                               ;   in Loop: Header=BB640_5 Depth=1
	v_dual_mov_b32 v4, 0 :: v_dual_bitop2_b32 v8, 1, v34 bitop3:0x54
	v_cmp_gt_i32_e32 vcc_lo, s21, v34
	s_delay_alu instid0(VALU_DEP_2)
	v_dual_mov_b32 v5, v4 :: v_dual_mov_b32 v6, v4
	v_mov_b32_e32 v7, v4
	s_and_saveexec_b32 s45, vcc_lo
	s_cbranch_execz .LBB640_36
; %bb.29:                               ;   in Loop: Header=BB640_5 Depth=1
	v_mul_lo_u32 v4, v34, s18
	v_dual_mov_b32 v7, 0 :: v_dual_mov_b32 v5, 0
	s_mov_b32 s46, exec_lo
	global_load_u16 v6, v4, s[36:37] scale_offset
	s_wait_xcnt 0x0
	v_mov_b32_e32 v4, 0
	v_cmpx_gt_i32_e64 s21, v8
	s_cbranch_execz .LBB640_35
; %bb.30:                               ;   in Loop: Header=BB640_5 Depth=1
	v_mul_lo_u32 v4, v8, s18
	v_dual_mov_b32 v5, 0 :: v_dual_bitop2_b32 v9, 2, v34 bitop3:0x54
	s_mov_b32 s47, exec_lo
	global_load_u16 v7, v4, s[36:37] scale_offset
	s_wait_xcnt 0x0
	v_mov_b32_e32 v4, 0
	v_cmpx_gt_i32_e64 s21, v9
	s_cbranch_execz .LBB640_34
; %bb.31:                               ;   in Loop: Header=BB640_5 Depth=1
	v_mul_lo_u32 v4, v9, s18
	v_dual_mov_b32 v5, 0 :: v_dual_bitop2_b32 v9, 3, v34 bitop3:0x54
	s_mov_b32 s48, exec_lo
	global_load_u16 v4, v4, s[36:37] scale_offset
	s_wait_xcnt 0x0
	v_cmpx_gt_i32_e64 s21, v9
	s_cbranch_execz .LBB640_33
; %bb.32:                               ;   in Loop: Header=BB640_5 Depth=1
	v_mul_lo_u32 v5, v9, s18
	global_load_u16 v5, v5, s[36:37] scale_offset
	s_wait_loadcnt 0x0
	s_wait_xcnt 0x0
	v_lshlrev_b32_e32 v5, 16, v5
.LBB640_33:                             ;   in Loop: Header=BB640_5 Depth=1
	s_or_b32 exec_lo, exec_lo, s48
	s_wait_loadcnt 0x0
	v_lshlrev_b32_e32 v4, 16, v4
.LBB640_34:                             ;   in Loop: Header=BB640_5 Depth=1
	s_or_b32 exec_lo, exec_lo, s47
	s_wait_loadcnt 0x0
	v_lshlrev_b32_e32 v7, 16, v7
.LBB640_35:                             ;   in Loop: Header=BB640_5 Depth=1
	s_or_b32 exec_lo, exec_lo, s46
	s_wait_loadcnt 0x0
	v_lshlrev_b32_e32 v6, 16, v6
.LBB640_36:                             ;   in Loop: Header=BB640_5 Depth=1
	s_or_b32 exec_lo, exec_lo, s45
	s_and_saveexec_b32 s36, s0
	s_cbranch_execz .LBB640_44
; %bb.37:                               ;   in Loop: Header=BB640_5 Depth=1
	v_mul_lo_u32 v11, v8, s23
	v_cmp_gt_i32_e64 s7, s21, v8
	v_or_b32_e32 v9, 2, v34
	v_mul_lo_u32 v14, v34, s23
	s_delay_alu instid0(VALU_DEP_3) | instskip(NEXT) | instid1(VALU_DEP_3)
	v_cndmask_b32_e64 v8, 0, v11, s7
	v_mul_lo_u32 v12, v9, s23
	v_cmp_gt_i32_e64 s7, s21, v9
	v_or_b32_e32 v10, 3, v34
	s_delay_alu instid0(VALU_DEP_2) | instskip(NEXT) | instid1(VALU_DEP_2)
	v_dual_cndmask_b32 v11, 0, v14, vcc_lo :: v_dual_cndmask_b32 v9, 0, v12, s7
	v_mul_lo_u32 v13, v10, s23
	v_cmp_gt_i32_e64 s7, s21, v10
	s_delay_alu instid0(VALU_DEP_3) | instskip(NEXT) | instid1(VALU_DEP_2)
	v_dual_add_nc_u32 v8, v8, v19 :: v_dual_add_nc_u32 v12, v9, v19
	v_cndmask_b32_e64 v10, 0, v13, s7
	s_delay_alu instid0(VALU_DEP_1)
	v_dual_add_nc_u32 v14, v10, v19 :: v_dual_add_nc_u32 v10, v11, v19
	s_clause 0x3
	global_load_u16 v34, v8, s[34:35] scale_offset
	global_load_u16 v16, v12, s[34:35] scale_offset
	;; [unrolled: 1-line block ×4, first 2 shown]
	s_wait_xcnt 0x0
	s_and_saveexec_b32 s7, s1
	s_cbranch_execz .LBB640_43
; %bb.38:                               ;   in Loop: Header=BB640_5 Depth=1
	v_dual_ashrrev_i32 v11, 31, v10 :: v_dual_ashrrev_i32 v9, 31, v8
	v_dual_ashrrev_i32 v13, 31, v12 :: v_dual_ashrrev_i32 v15, 31, v14
	s_delay_alu instid0(VALU_DEP_2) | instskip(NEXT) | instid1(VALU_DEP_3)
	v_lshl_add_u64 v[10:11], v[10:11], 1, s[34:35]
	v_lshl_add_u64 v[8:9], v[8:9], 1, s[34:35]
	s_delay_alu instid0(VALU_DEP_3) | instskip(NEXT) | instid1(VALU_DEP_4)
	v_lshl_add_u64 v[12:13], v[12:13], 1, s[34:35]
	v_lshl_add_u64 v[14:15], v[14:15], 1, s[34:35]
	s_clause 0x3
	global_load_u16 v38, v[10:11], off offset:128
	global_load_u16 v39, v[8:9], off offset:128
	;; [unrolled: 1-line block ×4, first 2 shown]
	s_wait_xcnt 0x0
	s_and_saveexec_b32 s34, s2
	s_cbranch_execz .LBB640_42
; %bb.39:                               ;   in Loop: Header=BB640_5 Depth=1
	s_clause 0x3
	global_load_u16 v42, v[10:11], off offset:256
	global_load_u16 v43, v[8:9], off offset:256
	;; [unrolled: 1-line block ×4, first 2 shown]
	s_wait_xcnt 0x0
	s_and_saveexec_b32 s35, s4
	s_cbranch_execz .LBB640_41
; %bb.40:                               ;   in Loop: Header=BB640_5 Depth=1
	s_clause 0x3
	global_load_u16 v44, v[8:9], off offset:384
	global_load_u16 v45, v[10:11], off offset:384
	;; [unrolled: 1-line block ×4, first 2 shown]
	s_wait_loadcnt 0x2
	s_wait_xcnt 0x3
	v_dual_lshlrev_b32 v9, 16, v44 :: v_dual_lshlrev_b32 v8, 16, v45
	s_delay_alu instid0(VALU_DEP_1) | instskip(SKIP_2) | instid1(VALU_DEP_1)
	v_pk_mul_f32 v[8:9], v[6:7], v[8:9]
	s_wait_loadcnt 0x1
	s_wait_xcnt 0x2
	v_dual_add_f32 v8, v33, v8 :: v_dual_lshlrev_b32 v11, 16, v46
	s_wait_loadcnt 0x0
	s_wait_xcnt 0x0
	s_delay_alu instid0(VALU_DEP_1) | instskip(NEXT) | instid1(VALU_DEP_1)
	v_dual_lshlrev_b32 v10, 16, v47 :: v_dual_add_f32 v12, v8, v9
	v_pk_mul_f32 v[8:9], v[4:5], v[10:11]
	s_delay_alu instid0(VALU_DEP_1) | instskip(NEXT) | instid1(VALU_DEP_1)
	v_add_f32_e32 v8, v12, v8
	v_add_f32_e32 v33, v8, v9
.LBB640_41:                             ;   in Loop: Header=BB640_5 Depth=1
	s_or_b32 exec_lo, exec_lo, s35
	s_wait_loadcnt 0x2
	v_dual_lshlrev_b32 v9, 16, v43 :: v_dual_lshlrev_b32 v8, 16, v42
	s_delay_alu instid0(VALU_DEP_1) | instskip(SKIP_1) | instid1(VALU_DEP_1)
	v_pk_mul_f32 v[8:9], v[6:7], v[8:9]
	s_wait_loadcnt 0x0
	v_dual_add_f32 v8, v32, v8 :: v_dual_lshlrev_b32 v11, 16, v41
	s_delay_alu instid0(VALU_DEP_1) | instskip(NEXT) | instid1(VALU_DEP_1)
	v_dual_lshlrev_b32 v10, 16, v40 :: v_dual_add_f32 v12, v8, v9
	v_pk_mul_f32 v[8:9], v[4:5], v[10:11]
	s_delay_alu instid0(VALU_DEP_1) | instskip(NEXT) | instid1(VALU_DEP_1)
	v_add_f32_e32 v8, v12, v8
	v_add_f32_e32 v32, v8, v9
.LBB640_42:                             ;   in Loop: Header=BB640_5 Depth=1
	s_or_b32 exec_lo, exec_lo, s34
	s_wait_loadcnt 0x2
	v_dual_lshlrev_b32 v9, 16, v39 :: v_dual_lshlrev_b32 v8, 16, v38
	s_delay_alu instid0(VALU_DEP_1) | instskip(SKIP_1) | instid1(VALU_DEP_1)
	v_pk_mul_f32 v[8:9], v[6:7], v[8:9]
	s_wait_loadcnt 0x0
	v_dual_add_f32 v8, v31, v8 :: v_dual_lshlrev_b32 v11, 16, v37
	s_delay_alu instid0(VALU_DEP_1) | instskip(NEXT) | instid1(VALU_DEP_1)
	v_dual_lshlrev_b32 v10, 16, v36 :: v_dual_add_f32 v12, v8, v9
	v_pk_mul_f32 v[8:9], v[4:5], v[10:11]
	s_delay_alu instid0(VALU_DEP_1) | instskip(NEXT) | instid1(VALU_DEP_1)
	v_add_f32_e32 v8, v12, v8
	v_add_f32_e32 v31, v8, v9
.LBB640_43:                             ;   in Loop: Header=BB640_5 Depth=1
	s_or_b32 exec_lo, exec_lo, s7
	s_wait_loadcnt 0x0
	v_dual_lshlrev_b32 v9, 16, v34 :: v_dual_lshlrev_b32 v8, 16, v35
	s_delay_alu instid0(VALU_DEP_1) | instskip(NEXT) | instid1(VALU_DEP_1)
	v_pk_mul_f32 v[6:7], v[6:7], v[8:9]
	v_dual_add_f32 v6, v30, v6 :: v_dual_lshlrev_b32 v9, 16, v17
	s_delay_alu instid0(VALU_DEP_1) | instskip(NEXT) | instid1(VALU_DEP_1)
	v_dual_lshlrev_b32 v8, 16, v16 :: v_dual_add_f32 v6, v6, v7
	v_pk_mul_f32 v[4:5], v[4:5], v[8:9]
	s_delay_alu instid0(VALU_DEP_1) | instskip(NEXT) | instid1(VALU_DEP_1)
	v_add_f32_e32 v4, v6, v4
	v_add_f32_e32 v30, v4, v5
.LBB640_44:                             ;   in Loop: Header=BB640_5 Depth=1
	s_or_b32 exec_lo, exec_lo, s36
.LBB640_45:                             ;   in Loop: Header=BB640_5 Depth=1
	ds_store_2addr_stride64_b32 v20, v30, v31 offset1:1
	ds_store_2addr_stride64_b32 v20, v32, v33 offset0:2 offset1:3
	s_wait_dscnt 0x0
	s_barrier_signal -1
	s_barrier_wait -1
                                        ; implicit-def: $vgpr6
	s_and_saveexec_b32 s7, s5
	s_cbranch_execz .LBB640_51
; %bb.46:                               ;   in Loop: Header=BB640_5 Depth=1
	ds_load_2addr_stride64_b32 v[4:5], v21 offset1:4
	ds_load_2addr_stride64_b32 v[6:7], v21 offset0:8 offset1:12
	ds_load_2addr_stride64_b32 v[8:9], v21 offset0:16 offset1:20
	s_mov_b32 s35, s44
	s_wait_dscnt 0x2
	v_add_f32_e32 v10, v4, v5
	ds_load_2addr_stride64_b32 v[4:5], v21 offset0:24 offset1:28
	s_wait_dscnt 0x2
	v_add_f32_e32 v6, v6, v10
	s_delay_alu instid0(VALU_DEP_1) | instskip(SKIP_3) | instid1(VALU_DEP_1)
	v_add_f32_e32 v10, v7, v6
	ds_load_2addr_stride64_b32 v[6:7], v21 offset0:32 offset1:36
	s_wait_dscnt 0x2
	v_add_f32_e32 v8, v8, v10
	v_add_f32_e32 v10, v9, v8
	ds_load_2addr_stride64_b32 v[8:9], v21 offset0:40 offset1:44
	s_wait_dscnt 0x2
	v_add_f32_e32 v4, v4, v10
	s_delay_alu instid0(VALU_DEP_1) | instskip(SKIP_1) | instid1(VALU_DEP_1)
	v_add_f32_e32 v4, v5, v4
	s_wait_dscnt 0x1
	v_add_f32_e32 v6, v6, v4
	ds_load_2addr_stride64_b32 v[4:5], v21 offset0:48 offset1:52
	v_add_f32_e32 v6, v7, v6
	s_wait_dscnt 0x1
	s_delay_alu instid0(VALU_DEP_1) | instskip(SKIP_3) | instid1(VALU_DEP_1)
	v_add_f32_e32 v8, v8, v6
	ds_load_2addr_stride64_b32 v[6:7], v21 offset0:56 offset1:60
	v_add_f32_e32 v8, v9, v8
	s_wait_dscnt 0x1
	v_add_f32_e32 v4, v4, v8
	s_delay_alu instid0(VALU_DEP_1) | instskip(SKIP_1) | instid1(VALU_DEP_1)
	v_add_f32_e32 v4, v5, v4
	s_wait_dscnt 0x0
	v_add_f32_e32 v4, v6, v4
                                        ; implicit-def: $vgpr6
	s_delay_alu instid0(VALU_DEP_1)
	v_add_f32_e32 v4, v7, v4
	ds_store_b32 v21, v4
	s_and_saveexec_b32 s34, s6
	s_cbranch_execz .LBB640_50
; %bb.47:                               ;   in Loop: Header=BB640_5 Depth=1
	v_mul_f32_e32 v6, s22, v4
	s_and_not1_b32 vcc_lo, exec_lo, s39
	s_cbranch_vccnz .LBB640_49
; %bb.48:                               ;   in Loop: Header=BB640_5 Depth=1
	v_lshl_add_u64 v[4:5], v[2:3], 2, s[30:31]
	global_load_b32 v4, v[4:5], off
	s_wait_loadcnt 0x0
	v_fmac_f32_e32 v6, s26, v4
.LBB640_49:                             ;   in Loop: Header=BB640_5 Depth=1
	s_or_b32 s35, s44, exec_lo
.LBB640_50:                             ;   in Loop: Header=BB640_5 Depth=1
	s_wait_xcnt 0x0
	s_or_b32 exec_lo, exec_lo, s34
	s_delay_alu instid0(SALU_CYCLE_1) | instskip(SKIP_1) | instid1(SALU_CYCLE_1)
	s_and_not1_b32 s34, s44, exec_lo
	s_and_b32 s35, s35, exec_lo
	s_or_b32 s44, s34, s35
.LBB640_51:                             ;   in Loop: Header=BB640_5 Depth=1
	s_or_b32 exec_lo, exec_lo, s7
	v_mov_b64_e32 v[4:5], v[2:3]
	s_and_saveexec_b32 s7, s44
	s_cbranch_execz .LBB640_3
.LBB640_52:                             ;   in Loop: Header=BB640_5 Depth=1
	s_delay_alu instid0(VALU_DEP_1)
	v_lshl_add_u64 v[4:5], v[4:5], 2, s[30:31]
	global_store_b32 v[4:5], v6, off
	s_branch .LBB640_3
.LBB640_53:
	s_endpgm
	.section	.rodata,"a",@progbits
	.p2align	6, 0x0
	.amdhsa_kernel _ZL20rocblas_gemvn_kernelILi64ELi16Ei16rocblas_bfloat16ffEviiT3_lPKT2_lT1_lS4_lS5_lS1_lPT4_lS5_li
		.amdhsa_group_segment_fixed_size 16384
		.amdhsa_private_segment_fixed_size 0
		.amdhsa_kernarg_size 400
		.amdhsa_user_sgpr_count 2
		.amdhsa_user_sgpr_dispatch_ptr 0
		.amdhsa_user_sgpr_queue_ptr 0
		.amdhsa_user_sgpr_kernarg_segment_ptr 1
		.amdhsa_user_sgpr_dispatch_id 0
		.amdhsa_user_sgpr_kernarg_preload_length 0
		.amdhsa_user_sgpr_kernarg_preload_offset 0
		.amdhsa_user_sgpr_private_segment_size 0
		.amdhsa_wavefront_size32 1
		.amdhsa_uses_dynamic_stack 0
		.amdhsa_enable_private_segment 0
		.amdhsa_system_sgpr_workgroup_id_x 1
		.amdhsa_system_sgpr_workgroup_id_y 0
		.amdhsa_system_sgpr_workgroup_id_z 1
		.amdhsa_system_sgpr_workgroup_info 0
		.amdhsa_system_vgpr_workitem_id 1
		.amdhsa_next_free_vgpr 53
		.amdhsa_next_free_sgpr 51
		.amdhsa_named_barrier_count 0
		.amdhsa_reserve_vcc 1
		.amdhsa_float_round_mode_32 0
		.amdhsa_float_round_mode_16_64 0
		.amdhsa_float_denorm_mode_32 3
		.amdhsa_float_denorm_mode_16_64 3
		.amdhsa_fp16_overflow 0
		.amdhsa_memory_ordered 1
		.amdhsa_forward_progress 1
		.amdhsa_inst_pref_size 25
		.amdhsa_round_robin_scheduling 0
		.amdhsa_exception_fp_ieee_invalid_op 0
		.amdhsa_exception_fp_denorm_src 0
		.amdhsa_exception_fp_ieee_div_zero 0
		.amdhsa_exception_fp_ieee_overflow 0
		.amdhsa_exception_fp_ieee_underflow 0
		.amdhsa_exception_fp_ieee_inexact 0
		.amdhsa_exception_int_div_zero 0
	.end_amdhsa_kernel
	.section	.text._ZL20rocblas_gemvn_kernelILi64ELi16Ei16rocblas_bfloat16ffEviiT3_lPKT2_lT1_lS4_lS5_lS1_lPT4_lS5_li,"axG",@progbits,_ZL20rocblas_gemvn_kernelILi64ELi16Ei16rocblas_bfloat16ffEviiT3_lPKT2_lT1_lS4_lS5_lS1_lPT4_lS5_li,comdat
.Lfunc_end640:
	.size	_ZL20rocblas_gemvn_kernelILi64ELi16Ei16rocblas_bfloat16ffEviiT3_lPKT2_lT1_lS4_lS5_lS1_lPT4_lS5_li, .Lfunc_end640-_ZL20rocblas_gemvn_kernelILi64ELi16Ei16rocblas_bfloat16ffEviiT3_lPKT2_lT1_lS4_lS5_lS1_lPT4_lS5_li
                                        ; -- End function
	.set _ZL20rocblas_gemvn_kernelILi64ELi16Ei16rocblas_bfloat16ffEviiT3_lPKT2_lT1_lS4_lS5_lS1_lPT4_lS5_li.num_vgpr, 53
	.set _ZL20rocblas_gemvn_kernelILi64ELi16Ei16rocblas_bfloat16ffEviiT3_lPKT2_lT1_lS4_lS5_lS1_lPT4_lS5_li.num_agpr, 0
	.set _ZL20rocblas_gemvn_kernelILi64ELi16Ei16rocblas_bfloat16ffEviiT3_lPKT2_lT1_lS4_lS5_lS1_lPT4_lS5_li.numbered_sgpr, 51
	.set _ZL20rocblas_gemvn_kernelILi64ELi16Ei16rocblas_bfloat16ffEviiT3_lPKT2_lT1_lS4_lS5_lS1_lPT4_lS5_li.num_named_barrier, 0
	.set _ZL20rocblas_gemvn_kernelILi64ELi16Ei16rocblas_bfloat16ffEviiT3_lPKT2_lT1_lS4_lS5_lS1_lPT4_lS5_li.private_seg_size, 0
	.set _ZL20rocblas_gemvn_kernelILi64ELi16Ei16rocblas_bfloat16ffEviiT3_lPKT2_lT1_lS4_lS5_lS1_lPT4_lS5_li.uses_vcc, 1
	.set _ZL20rocblas_gemvn_kernelILi64ELi16Ei16rocblas_bfloat16ffEviiT3_lPKT2_lT1_lS4_lS5_lS1_lPT4_lS5_li.uses_flat_scratch, 0
	.set _ZL20rocblas_gemvn_kernelILi64ELi16Ei16rocblas_bfloat16ffEviiT3_lPKT2_lT1_lS4_lS5_lS1_lPT4_lS5_li.has_dyn_sized_stack, 0
	.set _ZL20rocblas_gemvn_kernelILi64ELi16Ei16rocblas_bfloat16ffEviiT3_lPKT2_lT1_lS4_lS5_lS1_lPT4_lS5_li.has_recursion, 0
	.set _ZL20rocblas_gemvn_kernelILi64ELi16Ei16rocblas_bfloat16ffEviiT3_lPKT2_lT1_lS4_lS5_lS1_lPT4_lS5_li.has_indirect_call, 0
	.section	.AMDGPU.csdata,"",@progbits
; Kernel info:
; codeLenInByte = 3196
; TotalNumSgprs: 53
; NumVgprs: 53
; ScratchSize: 0
; MemoryBound: 0
; FloatMode: 240
; IeeeMode: 1
; LDSByteSize: 16384 bytes/workgroup (compile time only)
; SGPRBlocks: 0
; VGPRBlocks: 3
; NumSGPRsForWavesPerEU: 53
; NumVGPRsForWavesPerEU: 53
; NamedBarCnt: 0
; Occupancy: 16
; WaveLimiterHint : 1
; COMPUTE_PGM_RSRC2:SCRATCH_EN: 0
; COMPUTE_PGM_RSRC2:USER_SGPR: 2
; COMPUTE_PGM_RSRC2:TRAP_HANDLER: 0
; COMPUTE_PGM_RSRC2:TGID_X_EN: 1
; COMPUTE_PGM_RSRC2:TGID_Y_EN: 0
; COMPUTE_PGM_RSRC2:TGID_Z_EN: 1
; COMPUTE_PGM_RSRC2:TIDIG_COMP_CNT: 1
	.section	.text._ZL20rocblas_gemvn_kernelILi64ELi16El16rocblas_bfloat16ffEviiT3_lPKT2_lT1_lS4_lS5_lS1_lPT4_lS5_li,"axG",@progbits,_ZL20rocblas_gemvn_kernelILi64ELi16El16rocblas_bfloat16ffEviiT3_lPKT2_lT1_lS4_lS5_lS1_lPT4_lS5_li,comdat
	.globl	_ZL20rocblas_gemvn_kernelILi64ELi16El16rocblas_bfloat16ffEviiT3_lPKT2_lT1_lS4_lS5_lS1_lPT4_lS5_li ; -- Begin function _ZL20rocblas_gemvn_kernelILi64ELi16El16rocblas_bfloat16ffEviiT3_lPKT2_lT1_lS4_lS5_lS1_lPT4_lS5_li
	.p2align	8
	.type	_ZL20rocblas_gemvn_kernelILi64ELi16El16rocblas_bfloat16ffEviiT3_lPKT2_lT1_lS4_lS5_lS1_lPT4_lS5_li,@function
_ZL20rocblas_gemvn_kernelILi64ELi16El16rocblas_bfloat16ffEviiT3_lPKT2_lT1_lS4_lS5_lS1_lPT4_lS5_li: ; @_ZL20rocblas_gemvn_kernelILi64ELi16El16rocblas_bfloat16ffEviiT3_lPKT2_lT1_lS4_lS5_lS1_lPT4_lS5_li
; %bb.0:
	s_load_b64 s[2:3], s[0:1], 0x9c
	s_wait_kmcnt 0x0
	s_lshr_b32 s4, s2, 16
	s_and_b32 s2, s2, 0xffff
	s_and_b32 s3, s3, 0xffff
	s_mul_i32 s2, s4, s2
	s_delay_alu instid0(SALU_CYCLE_1) | instskip(NEXT) | instid1(SALU_CYCLE_1)
	s_mul_i32 s2, s2, s3
	s_cmp_lg_u32 s2, 0x400
	s_cbranch_scc1 .LBB641_53
; %bb.1:
	s_load_b32 s33, s[0:1], 0x88
	s_bfe_u32 s2, ttmp6, 0x40014
	s_lshr_b32 s3, ttmp7, 16
	s_add_co_i32 s2, s2, 1
	s_bfe_u32 s4, ttmp6, 0x40008
	s_mul_i32 s2, s3, s2
	s_getreg_b32 s6, hwreg(HW_REG_IB_STS2, 6, 4)
	s_add_co_i32 s4, s4, s2
	s_cmp_eq_u32 s6, 0
	s_mov_b32 s35, 0
	s_cselect_b32 s34, s3, s4
	s_wait_kmcnt 0x0
	s_cmp_ge_u32 s34, s33
	s_cbranch_scc1 .LBB641_53
; %bb.2:
	s_clause 0x3
	s_load_b512 s[8:23], s[0:1], 0x18
	s_load_b256 s[24:31], s[0:1], 0x68
	s_load_b96 s[36:38], s[0:1], 0x0
	s_load_b32 s39, s[0:1], 0x58
	v_and_b32_e32 v6, 0x3ff, v0
	v_bfe_u32 v2, v0, 10, 10
	s_delay_alu instid0(VALU_DEP_2) | instskip(NEXT) | instid1(VALU_DEP_2)
	v_dual_mov_b32 v1, 0 :: v_dual_lshlrev_b32 v0, 2, v6
	v_lshl_add_u32 v7, v2, 6, v6
	s_delay_alu instid0(VALU_DEP_2) | instskip(NEXT) | instid1(VALU_DEP_3)
	v_dual_mov_b32 v3, v1 :: v_dual_lshlrev_b32 v52, 2, v2
	v_lshl_add_u32 v53, v2, 10, v0
	v_lshl_add_u32 v54, v2, 8, v0
	s_wait_xcnt 0x0
	v_cmp_gt_u32_e64 s0, 0x100, v7
	s_wait_kmcnt 0x0
	s_lshl_b64 s[4:5], s[10:11], 1
	s_lshl_b64 s[10:11], s[18:19], 1
	;; [unrolled: 1-line block ×3, first 2 shown]
	s_cmp_eq_f32 s38, 0
	v_mul_u64_e32 v[10:11], s[20:21], v[2:3]
	v_mul_u64_e32 v[12:13], s[12:13], v[2:3]
	v_mad_nc_u64_u32 v[4:5], s20, v52, s[20:21]
	s_cselect_b32 s46, -1, 0
	s_cmp_neq_f32 s38, 0
	v_mad_nc_u64_u32 v[8:9], s12, v52, s[12:13]
	s_add_nc_u64 s[24:25], s[24:25], s[2:3]
	s_add_nc_u64 s[26:27], s[16:17], s[10:11]
	s_cselect_b32 s1, -1, 0
	s_cmp_neq_f32 s39, 1.0
	s_cselect_b32 s7, -1, 0
	s_bfe_u32 s18, ttmp6, 0x4000c
	s_and_b32 s19, ttmp6, 15
	s_add_co_i32 s18, s18, 1
	s_or_b32 s47, s1, s7
	s_mul_i32 s18, ttmp9, s18
	v_mad_u32 v5, s21, v52, v5
	s_add_co_i32 s19, s19, s18
	s_cmp_eq_u32 s6, 0
	s_mov_b32 s6, s36
	s_cselect_b32 s1, ttmp9, s19
	s_ashr_i32 s7, s36, 31
	s_lshl_b32 s1, s1, 8
	s_cmp_neq_f32 s39, 0
	v_dual_add_nc_u32 v0, s1, v7 :: v_dual_bitop2_b32 v14, s1, v7 bitop3:0x54
	v_mad_u32 v9, s13, v52, v9
	s_cselect_b32 s48, -1, 0
	s_add_nc_u64 s[18:19], s[8:9], s[4:5]
	s_delay_alu instid0(VALU_DEP_2)
	v_cmp_gt_i64_e32 vcc_lo, s[6:7], v[0:1]
	v_mul_u64_e32 v[2:3], s[28:29], v[0:1]
	v_dual_ashrrev_i32 v15, 31, v14 :: v_dual_bitop2_b32 v0, 3, v52 bitop3:0x54
	v_add_nc_u32_e32 v24, s1, v6
	s_ashr_i32 s1, s37, 31
	v_cmp_gt_i32_e64 s2, s36, v14
	s_delay_alu instid0(VALU_DEP_3)
	v_mul_u64_e32 v[16:17], s[12:13], v[0:1]
	v_mul_u64_e32 v[18:19], s[20:21], v[0:1]
	v_or_b32_e32 v0, 2, v52
	v_mul_u64_e32 v[6:7], s[28:29], v[14:15]
	s_lshr_b32 s3, s1, 26
	v_ashrrev_i32_e32 v25, 31, v24
	v_add_nc_u32_e32 v15, 0x80, v24
	v_mul_u64_e32 v[20:21], s[12:13], v[0:1]
	v_mul_u64_e32 v[22:23], s[20:21], v[0:1]
	s_add_co_i32 s49, s37, s3
	v_add_nc_u32_e32 v0, 64, v24
	v_add_nc_u32_e32 v26, 0xc0, v24
	s_and_not1_b32 s49, s49, 63
	v_cmp_gt_i32_e64 s4, s36, v15
	s_sub_co_i32 s6, s37, s49
	v_lshlrev_b64_e32 v[14:15], 1, v[24:25]
	v_lshl_add_u64 v[4:5], v[4:5], 1, s[16:17]
	v_lshl_add_u64 v[8:9], v[8:9], 1, s[18:19]
	v_cmp_gt_i32_e64 s1, s36, v24
	v_lshl_add_u64 v[10:11], v[10:11], 3, s[16:17]
	v_lshl_add_u64 v[12:13], v[12:13], 3, s[18:19]
	v_cmp_gt_i32_e64 s3, s36, v0
	v_cmp_gt_i32_e64 s5, s36, v26
	s_cmp_gt_i32 s6, 0
	v_cmp_gt_i32_e64 s6, s49, v52
	s_cselect_b32 s36, -1, 0
	s_and_b32 s50, s0, vcc_lo
	s_lshl_b64 s[28:29], s[22:23], 1
	s_lshl_b64 s[40:41], s[14:15], 1
	;; [unrolled: 1-line block ×3, first 2 shown]
	v_lshl_add_u64 v[16:17], v[16:17], 1, s[18:19]
	v_lshl_add_u64 v[18:19], v[18:19], 1, s[16:17]
	;; [unrolled: 1-line block ×4, first 2 shown]
	s_lshl_b64 s[16:17], s[20:21], 7
	s_branch .LBB641_5
.LBB641_3:                              ;   in Loop: Header=BB641_5 Depth=1
	s_wait_xcnt 0x0
	s_or_b32 exec_lo, exec_lo, s7
.LBB641_4:                              ;   in Loop: Header=BB641_5 Depth=1
	s_add_co_i32 s34, s34, 0x10000
	s_delay_alu instid0(SALU_CYCLE_1)
	s_cmp_lt_u32 s34, s33
	s_cbranch_scc0 .LBB641_53
.LBB641_5:                              ; =>This Loop Header: Depth=1
                                        ;     Child Loop BB641_21 Depth 2
	s_and_not1_b32 vcc_lo, exec_lo, s47
	s_cbranch_vccnz .LBB641_4
; %bb.6:                                ;   in Loop: Header=BB641_5 Depth=1
	s_mul_u64 s[8:9], s[30:31], s[34:35]
	s_and_not1_b32 vcc_lo, exec_lo, s46
	s_lshl_b64 s[8:9], s[8:9], 2
	s_delay_alu instid0(SALU_CYCLE_1)
	s_add_nc_u64 s[44:45], s[24:25], s[8:9]
	s_cbranch_vccnz .LBB641_10
; %bb.7:                                ;   in Loop: Header=BB641_5 Depth=1
	s_mov_b32 s7, 0
	s_mov_b32 s51, 0
                                        ; implicit-def: $vgpr0
	s_and_saveexec_b32 s8, s50
	s_cbranch_execz .LBB641_11
; %bb.8:                                ;   in Loop: Header=BB641_5 Depth=1
	s_and_not1_b32 vcc_lo, exec_lo, s48
	s_cbranch_vccnz .LBB641_13
; %bb.9:                                ;   in Loop: Header=BB641_5 Depth=1
	v_lshl_add_u64 v[24:25], v[2:3], 2, s[44:45]
	global_load_b32 v0, v[24:25], off
	s_wait_loadcnt 0x0
	v_mul_f32_e32 v0, s39, v0
	s_branch .LBB641_14
.LBB641_10:                             ;   in Loop: Header=BB641_5 Depth=1
	s_mov_b32 s51, 0
                                        ; implicit-def: $vgpr0
	s_cbranch_execz .LBB641_12
	s_branch .LBB641_15
.LBB641_11:                             ;   in Loop: Header=BB641_5 Depth=1
	s_or_b32 exec_lo, exec_lo, s8
	s_delay_alu instid0(SALU_CYCLE_1)
	s_and_b32 vcc_lo, exec_lo, s7
	s_cbranch_vccnz .LBB641_15
.LBB641_12:                             ;   in Loop: Header=BB641_5 Depth=1
	v_mov_b64_e32 v[24:25], v[2:3]
	s_and_saveexec_b32 s7, s51
	s_cbranch_execz .LBB641_3
	s_branch .LBB641_52
.LBB641_13:                             ;   in Loop: Header=BB641_5 Depth=1
	v_mov_b32_e32 v0, 0
.LBB641_14:                             ;   in Loop: Header=BB641_5 Depth=1
	s_mov_b32 s51, exec_lo
	s_wait_xcnt 0x0
	s_or_b32 exec_lo, exec_lo, s8
	s_delay_alu instid0(SALU_CYCLE_1)
	s_and_b32 vcc_lo, exec_lo, s7
	s_cbranch_vccz .LBB641_12
.LBB641_15:                             ;   in Loop: Header=BB641_5 Depth=1
	v_dual_mov_b32 v55, 0 :: v_dual_mov_b32 v0, v52
	v_dual_mov_b32 v56, 0 :: v_dual_mov_b32 v57, 0
	v_mov_b32_e32 v58, 0
	s_and_saveexec_b32 s7, s6
	s_cbranch_execz .LBB641_27
; %bb.16:                               ;   in Loop: Header=BB641_5 Depth=1
	s_mul_u64 s[8:9], s[28:29], s[34:35]
	s_mul_u64 s[52:53], s[40:41], s[34:35]
	v_add_nc_u64_e32 v[24:25], s[8:9], v[10:11]
	v_add_nc_u64_e32 v[26:27], s[52:53], v[16:17]
	;; [unrolled: 1-line block ×8, first 2 shown]
	v_dual_mov_b32 v55, 0 :: v_dual_mov_b32 v0, v52
	v_dual_mov_b32 v56, 0 :: v_dual_mov_b32 v57, 0
	v_mov_b32_e32 v58, 0
	s_mov_b32 s8, 0
	s_branch .LBB641_21
.LBB641_17:                             ;   in Loop: Header=BB641_21 Depth=2
	s_or_b32 exec_lo, exec_lo, s54
	s_wait_loadcnt 0x2
	v_dual_lshlrev_b32 v45, 16, v70 :: v_dual_lshlrev_b32 v44, 16, v69
	s_wait_loadcnt 0x0
	v_dual_lshlrev_b32 v47, 16, v68 :: v_dual_lshlrev_b32 v46, 16, v67
	s_delay_alu instid0(VALU_DEP_2) | instskip(NEXT) | instid1(VALU_DEP_1)
	v_pk_mul_f32 v[44:45], v[42:43], v[44:45]
	v_add_f32_e32 v44, v57, v44
	s_delay_alu instid0(VALU_DEP_1) | instskip(NEXT) | instid1(VALU_DEP_4)
	v_add_f32_e32 v48, v44, v45
	v_pk_mul_f32 v[44:45], v[40:41], v[46:47]
	s_delay_alu instid0(VALU_DEP_1) | instskip(NEXT) | instid1(VALU_DEP_1)
	v_add_f32_e32 v44, v48, v44
	v_add_f32_e32 v57, v44, v45
.LBB641_18:                             ;   in Loop: Header=BB641_21 Depth=2
	s_or_b32 exec_lo, exec_lo, s53
	s_wait_loadcnt 0x2
	v_dual_lshlrev_b32 v45, 16, v66 :: v_dual_lshlrev_b32 v44, 16, v65
	s_wait_loadcnt 0x0
	v_dual_lshlrev_b32 v47, 16, v64 :: v_dual_lshlrev_b32 v46, 16, v63
	s_delay_alu instid0(VALU_DEP_2) | instskip(NEXT) | instid1(VALU_DEP_1)
	v_pk_mul_f32 v[44:45], v[42:43], v[44:45]
	v_add_f32_e32 v44, v56, v44
	s_delay_alu instid0(VALU_DEP_1) | instskip(NEXT) | instid1(VALU_DEP_4)
	v_add_f32_e32 v48, v44, v45
	v_pk_mul_f32 v[44:45], v[40:41], v[46:47]
	s_delay_alu instid0(VALU_DEP_1) | instskip(NEXT) | instid1(VALU_DEP_1)
	v_add_f32_e32 v44, v48, v44
	v_add_f32_e32 v56, v44, v45
.LBB641_19:                             ;   in Loop: Header=BB641_21 Depth=2
	s_or_b32 exec_lo, exec_lo, s52
	s_wait_loadcnt 0x2
	v_dual_lshlrev_b32 v45, 16, v62 :: v_dual_lshlrev_b32 v44, 16, v61
	s_delay_alu instid0(VALU_DEP_1) | instskip(SKIP_1) | instid1(VALU_DEP_1)
	v_pk_mul_f32 v[42:43], v[42:43], v[44:45]
	s_wait_loadcnt 0x0
	v_dual_add_f32 v42, v55, v42 :: v_dual_lshlrev_b32 v45, 16, v60
	s_delay_alu instid0(VALU_DEP_1) | instskip(SKIP_1) | instid1(VALU_DEP_1)
	v_add_f32_e32 v42, v42, v43
	v_lshlrev_b32_e32 v44, 16, v59
	v_pk_mul_f32 v[40:41], v[40:41], v[44:45]
	s_delay_alu instid0(VALU_DEP_1) | instskip(NEXT) | instid1(VALU_DEP_1)
	v_add_f32_e32 v40, v42, v40
	v_add_f32_e32 v55, v40, v41
.LBB641_20:                             ;   in Loop: Header=BB641_21 Depth=2
	s_or_b32 exec_lo, exec_lo, s9
	v_add_nc_u32_e32 v0, 64, v0
	v_add_nc_u64_e32 v[24:25], s[16:17], v[24:25]
	v_add_nc_u64_e32 v[26:27], s[42:43], v[26:27]
	;; [unrolled: 1-line block ×7, first 2 shown]
	v_cmp_le_i32_e32 vcc_lo, s49, v0
	v_add_nc_u64_e32 v[38:39], s[42:43], v[38:39]
	s_or_b32 s8, vcc_lo, s8
	s_delay_alu instid0(SALU_CYCLE_1)
	s_and_not1_b32 exec_lo, exec_lo, s8
	s_cbranch_execz .LBB641_26
.LBB641_21:                             ;   Parent Loop BB641_5 Depth=1
                                        ; =>  This Inner Loop Header: Depth=2
	s_and_saveexec_b32 s9, s1
	s_cbranch_execz .LBB641_20
; %bb.22:                               ;   in Loop: Header=BB641_21 Depth=2
	v_add_nc_u64_e32 v[40:41], s[10:11], v[24:25]
	v_add_nc_u64_e32 v[42:43], s[10:11], v[36:37]
	v_add_nc_u64_e32 v[64:65], s[10:11], v[28:29]
	v_add_nc_u64_e32 v[62:63], s[10:11], v[34:35]
	v_add_nc_u64_e32 v[46:47], v[30:31], v[14:15]
	v_add_nc_u64_e32 v[50:51], v[38:39], v[14:15]
	v_add_nc_u64_e32 v[44:45], v[32:33], v[14:15]
	global_load_u16 v66, v[40:41], off
	global_load_u16 v67, v[42:43], off
	v_add_nc_u64_e32 v[48:49], v[26:27], v[14:15]
	global_load_u16 v40, v[64:65], off
	global_load_u16 v68, v[62:63], off
	;; [unrolled: 1-line block ×3, first 2 shown]
                                        ; kill: killed $vgpr62_vgpr63
                                        ; kill: killed $vgpr64_vgpr65
	global_load_u16 v62, v[50:51], off
	global_load_u16 v59, v[44:45], off
	;; [unrolled: 1-line block ×3, first 2 shown]
	s_wait_loadcnt 0x5
	v_lshlrev_b32_e32 v41, 16, v40
	s_wait_loadcnt 0x4
	v_dual_lshlrev_b32 v40, 16, v68 :: v_dual_lshlrev_b32 v42, 16, v66
	v_lshlrev_b32_e32 v43, 16, v67
	s_wait_xcnt 0x0
	s_and_saveexec_b32 s52, s3
	s_cbranch_execz .LBB641_19
; %bb.23:                               ;   in Loop: Header=BB641_21 Depth=2
	global_load_u16 v65, v[46:47], off offset:128
	global_load_u16 v66, v[50:51], off offset:128
	global_load_u16 v63, v[44:45], off offset:128
	global_load_u16 v64, v[48:49], off offset:128
	s_wait_xcnt 0x0
	s_and_saveexec_b32 s53, s4
	s_cbranch_execz .LBB641_18
; %bb.24:                               ;   in Loop: Header=BB641_21 Depth=2
	global_load_u16 v69, v[46:47], off offset:256
	global_load_u16 v70, v[50:51], off offset:256
	global_load_u16 v67, v[44:45], off offset:256
	global_load_u16 v68, v[48:49], off offset:256
	;; [unrolled: 8-line block ×3, first 2 shown]
	s_wait_loadcnt 0x3
	s_wait_xcnt 0x0
	v_lshlrev_b32_e32 v45, 16, v50
	s_wait_loadcnt 0x1
	v_dual_lshlrev_b32 v44, 16, v46 :: v_dual_lshlrev_b32 v47, 16, v47
	s_wait_loadcnt 0x0
	v_lshlrev_b32_e32 v46, 16, v48
	s_delay_alu instid0(VALU_DEP_2) | instskip(NEXT) | instid1(VALU_DEP_1)
	v_pk_mul_f32 v[44:45], v[42:43], v[44:45]
	v_add_f32_e32 v44, v58, v44
	s_delay_alu instid0(VALU_DEP_1) | instskip(NEXT) | instid1(VALU_DEP_4)
	v_add_f32_e32 v48, v44, v45
	v_pk_mul_f32 v[44:45], v[40:41], v[46:47]
	s_delay_alu instid0(VALU_DEP_1) | instskip(NEXT) | instid1(VALU_DEP_1)
	v_add_f32_e32 v44, v48, v44
	v_add_f32_e32 v58, v44, v45
	s_branch .LBB641_17
.LBB641_26:                             ;   in Loop: Header=BB641_5 Depth=1
	s_or_b32 exec_lo, exec_lo, s8
.LBB641_27:                             ;   in Loop: Header=BB641_5 Depth=1
	s_delay_alu instid0(SALU_CYCLE_1) | instskip(NEXT) | instid1(SALU_CYCLE_1)
	s_or_b32 exec_lo, exec_lo, s7
	s_and_not1_b32 vcc_lo, exec_lo, s36
	s_cbranch_vccnz .LBB641_45
; %bb.28:                               ;   in Loop: Header=BB641_5 Depth=1
	v_dual_mov_b32 v24, 0 :: v_dual_bitop2_b32 v28, 1, v0 bitop3:0x54
	v_cmp_gt_i32_e32 vcc_lo, s37, v0
	s_delay_alu instid0(VALU_DEP_2)
	v_dual_mov_b32 v25, v24 :: v_dual_mov_b32 v26, v24
	v_mov_b32_e32 v27, v24
	s_and_saveexec_b32 s52, vcc_lo
	s_cbranch_execz .LBB641_36
; %bb.29:                               ;   in Loop: Header=BB641_5 Depth=1
	v_mul_u64_e32 v[24:25], s[20:21], v[0:1]
	s_mul_u64 s[8:9], s[22:23], s[34:35]
	v_mov_b32_e32 v27, 0
	s_lshl_b64 s[8:9], s[8:9], 1
	s_mov_b32 s53, exec_lo
	s_add_nc_u64 s[8:9], s[26:27], s[8:9]
	s_delay_alu instid0(VALU_DEP_2) | instid1(SALU_CYCLE_1)
	v_lshl_add_u64 v[24:25], v[24:25], 1, s[8:9]
	global_load_u16 v30, v[24:25], off
	s_wait_xcnt 0x0
	v_dual_mov_b32 v25, 0 :: v_dual_mov_b32 v24, 0
	v_cmpx_gt_i32_e64 s37, v28
	s_cbranch_execz .LBB641_35
; %bb.30:                               ;   in Loop: Header=BB641_5 Depth=1
	v_dual_mov_b32 v29, v1 :: v_dual_bitop2_b32 v26, 2, v0 bitop3:0x54
	s_mov_b32 s54, exec_lo
	s_delay_alu instid0(VALU_DEP_1) | instskip(NEXT) | instid1(VALU_DEP_1)
	v_mul_u64_e32 v[24:25], s[20:21], v[28:29]
	v_lshl_add_u64 v[24:25], v[24:25], 1, s[8:9]
	global_load_u16 v29, v[24:25], off
	s_wait_xcnt 0x0
	v_dual_mov_b32 v25, 0 :: v_dual_mov_b32 v24, 0
	v_cmpx_gt_i32_e64 s37, v26
	s_cbranch_execz .LBB641_34
; %bb.31:                               ;   in Loop: Header=BB641_5 Depth=1
	v_mov_b32_e32 v27, v1
	s_mov_b32 s55, exec_lo
	s_delay_alu instid0(VALU_DEP_1) | instskip(NEXT) | instid1(VALU_DEP_1)
	v_mul_u64_e32 v[24:25], s[20:21], v[26:27]
	v_lshl_add_u64 v[24:25], v[24:25], 1, s[8:9]
	global_load_u16 v26, v[24:25], off
	s_wait_xcnt 0x0
	v_dual_mov_b32 v25, 0 :: v_dual_bitop2_b32 v24, 3, v0 bitop3:0x54
	s_delay_alu instid0(VALU_DEP_1)
	v_cmpx_gt_i32_e64 s37, v24
	s_cbranch_execz .LBB641_33
; %bb.32:                               ;   in Loop: Header=BB641_5 Depth=1
	v_mov_b32_e32 v25, v1
	s_delay_alu instid0(VALU_DEP_1) | instskip(NEXT) | instid1(VALU_DEP_1)
	v_mul_u64_e32 v[24:25], s[20:21], v[24:25]
	v_lshl_add_u64 v[24:25], v[24:25], 1, s[8:9]
	global_load_u16 v24, v[24:25], off
	s_wait_loadcnt 0x0
	s_wait_xcnt 0x0
	v_lshlrev_b32_e32 v25, 16, v24
.LBB641_33:                             ;   in Loop: Header=BB641_5 Depth=1
	s_or_b32 exec_lo, exec_lo, s55
	s_wait_loadcnt 0x0
	v_lshlrev_b32_e32 v24, 16, v26
.LBB641_34:                             ;   in Loop: Header=BB641_5 Depth=1
	s_or_b32 exec_lo, exec_lo, s54
	s_wait_loadcnt 0x0
	v_lshlrev_b32_e32 v27, 16, v29
.LBB641_35:                             ;   in Loop: Header=BB641_5 Depth=1
	s_or_b32 exec_lo, exec_lo, s53
	s_wait_loadcnt 0x0
	v_lshlrev_b32_e32 v26, 16, v30
.LBB641_36:                             ;   in Loop: Header=BB641_5 Depth=1
	s_or_b32 exec_lo, exec_lo, s52
	s_and_saveexec_b32 s52, s1
	s_cbranch_execz .LBB641_44
; %bb.37:                               ;   in Loop: Header=BB641_5 Depth=1
	v_dual_mov_b32 v29, v1 :: v_dual_bitop2_b32 v30, 2, v0 bitop3:0x54
	v_mov_b32_e32 v31, v1
	v_mul_u64_e32 v[32:33], s[12:13], v[0:1]
	v_or_b32_e32 v0, 3, v0
	s_delay_alu instid0(VALU_DEP_4)
	v_mul_u64_e32 v[34:35], s[12:13], v[28:29]
	s_mul_u64 s[8:9], s[14:15], s[34:35]
	v_mul_u64_e32 v[36:37], s[12:13], v[30:31]
	v_cmp_gt_i32_e64 s7, s37, v28
	v_mul_u64_e32 v[38:39], s[12:13], v[0:1]
	s_lshl_b64 s[54:55], s[8:9], 1
	v_cmp_gt_i32_e64 s8, s37, v30
	v_cmp_gt_i32_e64 s9, s37, v0
	v_dual_cndmask_b32 v29, 0, v33 :: v_dual_cndmask_b32 v28, 0, v32
	v_dual_cndmask_b32 v31, 0, v35, s7 :: v_dual_cndmask_b32 v30, 0, v34, s7
	s_delay_alu instid0(VALU_DEP_4) | instskip(NEXT) | instid1(VALU_DEP_4)
	v_dual_cndmask_b32 v33, 0, v37, s8 :: v_dual_cndmask_b32 v32, 0, v36, s8
	v_dual_cndmask_b32 v35, 0, v39, s9 :: v_dual_cndmask_b32 v34, 0, v38, s9
	s_add_nc_u64 s[8:9], s[18:19], s[54:55]
	s_delay_alu instid0(VALU_DEP_3) | instid1(SALU_CYCLE_1)
	v_lshl_add_u64 v[30:31], v[30:31], 1, s[8:9]
	s_delay_alu instid0(VALU_DEP_3) | instskip(NEXT) | instid1(VALU_DEP_3)
	v_lshl_add_u64 v[32:33], v[32:33], 1, s[8:9]
	v_lshl_add_u64 v[34:35], v[34:35], 1, s[8:9]
	;; [unrolled: 1-line block ×3, first 2 shown]
	s_delay_alu instid0(VALU_DEP_4) | instskip(NEXT) | instid1(VALU_DEP_4)
	v_add_nc_u64_e32 v[28:29], v[30:31], v[14:15]
	v_add_nc_u64_e32 v[30:31], v[32:33], v[14:15]
	s_delay_alu instid0(VALU_DEP_4) | instskip(NEXT) | instid1(VALU_DEP_4)
	v_add_nc_u64_e32 v[32:33], v[34:35], v[14:15]
	v_add_nc_u64_e32 v[34:35], v[36:37], v[14:15]
	s_clause 0x3
	global_load_u16 v37, v[28:29], off
	global_load_u16 v0, v[30:31], off
	global_load_u16 v36, v[32:33], off
	global_load_u16 v38, v[34:35], off
	s_wait_xcnt 0x0
	s_and_saveexec_b32 s7, s3
	s_cbranch_execz .LBB641_43
; %bb.38:                               ;   in Loop: Header=BB641_5 Depth=1
	s_clause 0x3
	global_load_u16 v41, v[34:35], off offset:128
	global_load_u16 v42, v[28:29], off offset:128
	global_load_u16 v39, v[30:31], off offset:128
	global_load_u16 v40, v[32:33], off offset:128
	s_wait_xcnt 0x0
	s_and_saveexec_b32 s8, s4
	s_cbranch_execz .LBB641_42
; %bb.39:                               ;   in Loop: Header=BB641_5 Depth=1
	s_clause 0x3
	global_load_u16 v45, v[34:35], off offset:256
	global_load_u16 v46, v[28:29], off offset:256
	global_load_u16 v43, v[30:31], off offset:256
	global_load_u16 v44, v[32:33], off offset:256
	;; [unrolled: 9-line block ×3, first 2 shown]
	s_wait_loadcnt 0x2
	s_wait_xcnt 0x3
	v_dual_lshlrev_b32 v29, 16, v47 :: v_dual_lshlrev_b32 v28, 16, v48
	s_delay_alu instid0(VALU_DEP_1) | instskip(SKIP_2) | instid1(VALU_DEP_1)
	v_pk_mul_f32 v[28:29], v[26:27], v[28:29]
	s_wait_loadcnt 0x1
	s_wait_xcnt 0x0
	v_dual_add_f32 v28, v58, v28 :: v_dual_lshlrev_b32 v31, 16, v49
	s_wait_loadcnt 0x0
	s_delay_alu instid0(VALU_DEP_1) | instskip(NEXT) | instid1(VALU_DEP_1)
	v_dual_lshlrev_b32 v30, 16, v50 :: v_dual_add_f32 v32, v28, v29
	v_pk_mul_f32 v[28:29], v[24:25], v[30:31]
	s_delay_alu instid0(VALU_DEP_1) | instskip(NEXT) | instid1(VALU_DEP_1)
	v_add_f32_e32 v28, v32, v28
	v_add_f32_e32 v58, v28, v29
.LBB641_41:                             ;   in Loop: Header=BB641_5 Depth=1
	s_or_b32 exec_lo, exec_lo, s9
	s_wait_loadcnt 0x2
	v_dual_lshlrev_b32 v29, 16, v46 :: v_dual_lshlrev_b32 v28, 16, v45
	s_wait_loadcnt 0x0
	v_dual_lshlrev_b32 v31, 16, v44 :: v_dual_lshlrev_b32 v30, 16, v43
	s_delay_alu instid0(VALU_DEP_2) | instskip(NEXT) | instid1(VALU_DEP_1)
	v_pk_mul_f32 v[28:29], v[26:27], v[28:29]
	v_add_f32_e32 v28, v57, v28
	s_delay_alu instid0(VALU_DEP_1) | instskip(NEXT) | instid1(VALU_DEP_4)
	v_add_f32_e32 v32, v28, v29
	v_pk_mul_f32 v[28:29], v[24:25], v[30:31]
	s_delay_alu instid0(VALU_DEP_1) | instskip(NEXT) | instid1(VALU_DEP_1)
	v_add_f32_e32 v28, v32, v28
	v_add_f32_e32 v57, v28, v29
.LBB641_42:                             ;   in Loop: Header=BB641_5 Depth=1
	s_or_b32 exec_lo, exec_lo, s8
	s_wait_loadcnt 0x2
	v_dual_lshlrev_b32 v29, 16, v42 :: v_dual_lshlrev_b32 v28, 16, v41
	s_wait_loadcnt 0x0
	v_dual_lshlrev_b32 v31, 16, v40 :: v_dual_lshlrev_b32 v30, 16, v39
	s_delay_alu instid0(VALU_DEP_2) | instskip(NEXT) | instid1(VALU_DEP_1)
	v_pk_mul_f32 v[28:29], v[26:27], v[28:29]
	v_add_f32_e32 v28, v56, v28
	s_delay_alu instid0(VALU_DEP_1) | instskip(NEXT) | instid1(VALU_DEP_4)
	v_add_f32_e32 v32, v28, v29
	v_pk_mul_f32 v[28:29], v[24:25], v[30:31]
	s_delay_alu instid0(VALU_DEP_1) | instskip(NEXT) | instid1(VALU_DEP_1)
	v_add_f32_e32 v28, v32, v28
	v_add_f32_e32 v56, v28, v29
.LBB641_43:                             ;   in Loop: Header=BB641_5 Depth=1
	s_or_b32 exec_lo, exec_lo, s7
	s_wait_loadcnt 0x0
	v_dual_lshlrev_b32 v29, 16, v37 :: v_dual_lshlrev_b32 v28, 16, v38
	s_delay_alu instid0(VALU_DEP_1) | instskip(NEXT) | instid1(VALU_DEP_1)
	v_pk_mul_f32 v[26:27], v[26:27], v[28:29]
	v_dual_add_f32 v26, v55, v26 :: v_dual_lshlrev_b32 v29, 16, v36
	s_delay_alu instid0(VALU_DEP_1) | instskip(NEXT) | instid1(VALU_DEP_1)
	v_dual_lshlrev_b32 v28, 16, v0 :: v_dual_add_f32 v0, v26, v27
	v_pk_mul_f32 v[24:25], v[24:25], v[28:29]
	s_delay_alu instid0(VALU_DEP_1) | instskip(NEXT) | instid1(VALU_DEP_1)
	v_add_f32_e32 v0, v0, v24
	v_add_f32_e32 v55, v0, v25
.LBB641_44:                             ;   in Loop: Header=BB641_5 Depth=1
	s_or_b32 exec_lo, exec_lo, s52
.LBB641_45:                             ;   in Loop: Header=BB641_5 Depth=1
	ds_store_2addr_stride64_b32 v53, v55, v56 offset1:1
	ds_store_2addr_stride64_b32 v53, v57, v58 offset0:2 offset1:3
	s_wait_dscnt 0x0
	s_barrier_signal -1
	s_barrier_wait -1
                                        ; implicit-def: $vgpr0
	s_and_saveexec_b32 s7, s0
	s_cbranch_execz .LBB641_51
; %bb.46:                               ;   in Loop: Header=BB641_5 Depth=1
	ds_load_2addr_stride64_b32 v[24:25], v54 offset1:4
	ds_load_2addr_stride64_b32 v[26:27], v54 offset0:8 offset1:12
	ds_load_2addr_stride64_b32 v[28:29], v54 offset0:16 offset1:20
	s_mov_b32 s9, s51
	s_wait_dscnt 0x2
	v_add_f32_e32 v0, v24, v25
	ds_load_2addr_stride64_b32 v[24:25], v54 offset0:24 offset1:28
	s_wait_dscnt 0x2
	v_add_f32_e32 v0, v26, v0
	s_delay_alu instid0(VALU_DEP_1) | instskip(SKIP_3) | instid1(VALU_DEP_1)
	v_add_f32_e32 v0, v27, v0
	ds_load_2addr_stride64_b32 v[26:27], v54 offset0:32 offset1:36
	s_wait_dscnt 0x2
	v_add_f32_e32 v0, v28, v0
	v_add_f32_e32 v0, v29, v0
	ds_load_2addr_stride64_b32 v[28:29], v54 offset0:40 offset1:44
	s_wait_dscnt 0x2
	v_add_f32_e32 v0, v24, v0
	s_delay_alu instid0(VALU_DEP_1) | instskip(SKIP_3) | instid1(VALU_DEP_1)
	v_add_f32_e32 v0, v25, v0
	ds_load_2addr_stride64_b32 v[24:25], v54 offset0:48 offset1:52
	s_wait_dscnt 0x2
	v_add_f32_e32 v0, v26, v0
	v_add_f32_e32 v0, v27, v0
	ds_load_2addr_stride64_b32 v[26:27], v54 offset0:56 offset1:60
	s_wait_dscnt 0x2
	v_add_f32_e32 v0, v28, v0
	s_delay_alu instid0(VALU_DEP_1) | instskip(SKIP_1) | instid1(VALU_DEP_1)
	v_add_f32_e32 v0, v29, v0
	s_wait_dscnt 0x1
	v_add_f32_e32 v0, v24, v0
	s_delay_alu instid0(VALU_DEP_1) | instskip(SKIP_1) | instid1(VALU_DEP_1)
	v_add_f32_e32 v0, v25, v0
	s_wait_dscnt 0x0
	v_add_f32_e32 v0, v26, v0
	s_delay_alu instid0(VALU_DEP_1)
	v_add_f32_e32 v24, v27, v0
                                        ; implicit-def: $vgpr0
	ds_store_b32 v54, v24
	s_and_saveexec_b32 s8, s2
	s_cbranch_execz .LBB641_50
; %bb.47:                               ;   in Loop: Header=BB641_5 Depth=1
	v_mul_f32_e32 v0, s38, v24
	s_and_not1_b32 vcc_lo, exec_lo, s48
	s_cbranch_vccnz .LBB641_49
; %bb.48:                               ;   in Loop: Header=BB641_5 Depth=1
	v_lshl_add_u64 v[24:25], v[6:7], 2, s[44:45]
	global_load_b32 v24, v[24:25], off
	s_wait_loadcnt 0x0
	v_fmac_f32_e32 v0, s39, v24
.LBB641_49:                             ;   in Loop: Header=BB641_5 Depth=1
	s_or_b32 s9, s51, exec_lo
.LBB641_50:                             ;   in Loop: Header=BB641_5 Depth=1
	s_wait_xcnt 0x0
	s_or_b32 exec_lo, exec_lo, s8
	s_delay_alu instid0(SALU_CYCLE_1) | instskip(SKIP_1) | instid1(SALU_CYCLE_1)
	s_and_not1_b32 s8, s51, exec_lo
	s_and_b32 s9, s9, exec_lo
	s_or_b32 s51, s8, s9
.LBB641_51:                             ;   in Loop: Header=BB641_5 Depth=1
	s_or_b32 exec_lo, exec_lo, s7
	v_mov_b64_e32 v[24:25], v[6:7]
	s_and_saveexec_b32 s7, s51
	s_cbranch_execz .LBB641_3
.LBB641_52:                             ;   in Loop: Header=BB641_5 Depth=1
	s_delay_alu instid0(VALU_DEP_1)
	v_lshl_add_u64 v[24:25], v[24:25], 2, s[44:45]
	global_store_b32 v[24:25], v0, off
	s_branch .LBB641_3
.LBB641_53:
	s_sendmsg sendmsg(MSG_DEALLOC_VGPRS)
	s_endpgm
	.section	.rodata,"a",@progbits
	.p2align	6, 0x0
	.amdhsa_kernel _ZL20rocblas_gemvn_kernelILi64ELi16El16rocblas_bfloat16ffEviiT3_lPKT2_lT1_lS4_lS5_lS1_lPT4_lS5_li
		.amdhsa_group_segment_fixed_size 16384
		.amdhsa_private_segment_fixed_size 0
		.amdhsa_kernarg_size 400
		.amdhsa_user_sgpr_count 2
		.amdhsa_user_sgpr_dispatch_ptr 0
		.amdhsa_user_sgpr_queue_ptr 0
		.amdhsa_user_sgpr_kernarg_segment_ptr 1
		.amdhsa_user_sgpr_dispatch_id 0
		.amdhsa_user_sgpr_kernarg_preload_length 0
		.amdhsa_user_sgpr_kernarg_preload_offset 0
		.amdhsa_user_sgpr_private_segment_size 0
		.amdhsa_wavefront_size32 1
		.amdhsa_uses_dynamic_stack 0
		.amdhsa_enable_private_segment 0
		.amdhsa_system_sgpr_workgroup_id_x 1
		.amdhsa_system_sgpr_workgroup_id_y 0
		.amdhsa_system_sgpr_workgroup_id_z 1
		.amdhsa_system_sgpr_workgroup_info 0
		.amdhsa_system_vgpr_workitem_id 1
		.amdhsa_next_free_vgpr 71
		.amdhsa_next_free_sgpr 56
		.amdhsa_named_barrier_count 0
		.amdhsa_reserve_vcc 1
		.amdhsa_float_round_mode_32 0
		.amdhsa_float_round_mode_16_64 0
		.amdhsa_float_denorm_mode_32 3
		.amdhsa_float_denorm_mode_16_64 3
		.amdhsa_fp16_overflow 0
		.amdhsa_memory_ordered 1
		.amdhsa_forward_progress 1
		.amdhsa_inst_pref_size 25
		.amdhsa_round_robin_scheduling 0
		.amdhsa_exception_fp_ieee_invalid_op 0
		.amdhsa_exception_fp_denorm_src 0
		.amdhsa_exception_fp_ieee_div_zero 0
		.amdhsa_exception_fp_ieee_overflow 0
		.amdhsa_exception_fp_ieee_underflow 0
		.amdhsa_exception_fp_ieee_inexact 0
		.amdhsa_exception_int_div_zero 0
	.end_amdhsa_kernel
	.section	.text._ZL20rocblas_gemvn_kernelILi64ELi16El16rocblas_bfloat16ffEviiT3_lPKT2_lT1_lS4_lS5_lS1_lPT4_lS5_li,"axG",@progbits,_ZL20rocblas_gemvn_kernelILi64ELi16El16rocblas_bfloat16ffEviiT3_lPKT2_lT1_lS4_lS5_lS1_lPT4_lS5_li,comdat
.Lfunc_end641:
	.size	_ZL20rocblas_gemvn_kernelILi64ELi16El16rocblas_bfloat16ffEviiT3_lPKT2_lT1_lS4_lS5_lS1_lPT4_lS5_li, .Lfunc_end641-_ZL20rocblas_gemvn_kernelILi64ELi16El16rocblas_bfloat16ffEviiT3_lPKT2_lT1_lS4_lS5_lS1_lPT4_lS5_li
                                        ; -- End function
	.set _ZL20rocblas_gemvn_kernelILi64ELi16El16rocblas_bfloat16ffEviiT3_lPKT2_lT1_lS4_lS5_lS1_lPT4_lS5_li.num_vgpr, 71
	.set _ZL20rocblas_gemvn_kernelILi64ELi16El16rocblas_bfloat16ffEviiT3_lPKT2_lT1_lS4_lS5_lS1_lPT4_lS5_li.num_agpr, 0
	.set _ZL20rocblas_gemvn_kernelILi64ELi16El16rocblas_bfloat16ffEviiT3_lPKT2_lT1_lS4_lS5_lS1_lPT4_lS5_li.numbered_sgpr, 56
	.set _ZL20rocblas_gemvn_kernelILi64ELi16El16rocblas_bfloat16ffEviiT3_lPKT2_lT1_lS4_lS5_lS1_lPT4_lS5_li.num_named_barrier, 0
	.set _ZL20rocblas_gemvn_kernelILi64ELi16El16rocblas_bfloat16ffEviiT3_lPKT2_lT1_lS4_lS5_lS1_lPT4_lS5_li.private_seg_size, 0
	.set _ZL20rocblas_gemvn_kernelILi64ELi16El16rocblas_bfloat16ffEviiT3_lPKT2_lT1_lS4_lS5_lS1_lPT4_lS5_li.uses_vcc, 1
	.set _ZL20rocblas_gemvn_kernelILi64ELi16El16rocblas_bfloat16ffEviiT3_lPKT2_lT1_lS4_lS5_lS1_lPT4_lS5_li.uses_flat_scratch, 0
	.set _ZL20rocblas_gemvn_kernelILi64ELi16El16rocblas_bfloat16ffEviiT3_lPKT2_lT1_lS4_lS5_lS1_lPT4_lS5_li.has_dyn_sized_stack, 0
	.set _ZL20rocblas_gemvn_kernelILi64ELi16El16rocblas_bfloat16ffEviiT3_lPKT2_lT1_lS4_lS5_lS1_lPT4_lS5_li.has_recursion, 0
	.set _ZL20rocblas_gemvn_kernelILi64ELi16El16rocblas_bfloat16ffEviiT3_lPKT2_lT1_lS4_lS5_lS1_lPT4_lS5_li.has_indirect_call, 0
	.section	.AMDGPU.csdata,"",@progbits
; Kernel info:
; codeLenInByte = 3128
; TotalNumSgprs: 58
; NumVgprs: 71
; ScratchSize: 0
; MemoryBound: 0
; FloatMode: 240
; IeeeMode: 1
; LDSByteSize: 16384 bytes/workgroup (compile time only)
; SGPRBlocks: 0
; VGPRBlocks: 4
; NumSGPRsForWavesPerEU: 58
; NumVGPRsForWavesPerEU: 71
; NamedBarCnt: 0
; Occupancy: 12
; WaveLimiterHint : 1
; COMPUTE_PGM_RSRC2:SCRATCH_EN: 0
; COMPUTE_PGM_RSRC2:USER_SGPR: 2
; COMPUTE_PGM_RSRC2:TRAP_HANDLER: 0
; COMPUTE_PGM_RSRC2:TGID_X_EN: 1
; COMPUTE_PGM_RSRC2:TGID_Y_EN: 0
; COMPUTE_PGM_RSRC2:TGID_Z_EN: 1
; COMPUTE_PGM_RSRC2:TIDIG_COMP_CNT: 1
	.section	.text._ZL22rocblas_gemvtsm_kernelILb0ELi256E16rocblas_bfloat16PKffEviiT2_lPKT1_lilS6_lilS3_lPT3_lil,"axG",@progbits,_ZL22rocblas_gemvtsm_kernelILb0ELi256E16rocblas_bfloat16PKffEviiT2_lPKT1_lilS6_lilS3_lPT3_lil,comdat
	.globl	_ZL22rocblas_gemvtsm_kernelILb0ELi256E16rocblas_bfloat16PKffEviiT2_lPKT1_lilS6_lilS3_lPT3_lil ; -- Begin function _ZL22rocblas_gemvtsm_kernelILb0ELi256E16rocblas_bfloat16PKffEviiT2_lPKT1_lilS6_lilS3_lPT3_lil
	.p2align	8
	.type	_ZL22rocblas_gemvtsm_kernelILb0ELi256E16rocblas_bfloat16PKffEviiT2_lPKT1_lilS6_lilS3_lPT3_lil,@function
_ZL22rocblas_gemvtsm_kernelILb0ELi256E16rocblas_bfloat16PKffEviiT2_lPKT1_lilS6_lilS3_lPT3_lil: ; @_ZL22rocblas_gemvtsm_kernelILb0ELi256E16rocblas_bfloat16PKffEviiT2_lPKT1_lilS6_lilS3_lPT3_lil
; %bb.0:
	s_clause 0x1
	s_load_b256 s[4:11], s[0:1], 0x8
	s_load_b256 s[12:19], s[0:1], 0x50
	s_bfe_u32 s2, ttmp6, 0x4000c
	s_and_b32 s3, ttmp6, 15
	s_add_co_i32 s2, s2, 1
	s_getreg_b32 s20, hwreg(HW_REG_IB_STS2, 6, 4)
	s_mul_i32 s2, ttmp9, s2
	s_mov_b32 s25, 0
	s_add_co_i32 s3, s3, s2
	s_cmp_eq_u32 s20, 0
	s_cselect_b32 s24, ttmp9, s3
	s_wait_kmcnt 0x0
	s_mul_u64 s[2:3], s[6:7], s[24:25]
	s_delay_alu instid0(SALU_CYCLE_1) | instskip(NEXT) | instid1(SALU_CYCLE_1)
	s_lshl_b64 s[2:3], s[2:3], 2
	s_add_nc_u64 s[2:3], s[4:5], s[2:3]
	s_mul_u64 s[4:5], s[16:17], s[24:25]
	s_load_b32 s26, s[2:3], 0x0
	s_wait_xcnt 0x0
	s_lshl_b64 s[2:3], s[4:5], 2
	s_delay_alu instid0(SALU_CYCLE_1)
	s_add_nc_u64 s[2:3], s[14:15], s[2:3]
	s_load_b32 s23, s[2:3], 0x0
	s_wait_kmcnt 0x0
	s_cmp_eq_f32 s26, 0
	s_cselect_b32 s2, -1, 0
	s_cmp_eq_f32 s23, 1.0
	s_cselect_b32 s3, -1, 0
	s_delay_alu instid0(SALU_CYCLE_1) | instskip(NEXT) | instid1(SALU_CYCLE_1)
	s_and_b32 s2, s2, s3
	s_and_b32 vcc_lo, exec_lo, s2
	s_cbranch_vccnz .LBB642_58
; %bb.1:
	s_clause 0x2
	s_load_b64 s[4:5], s[0:1], 0x80
	s_load_b96 s[20:22], s[0:1], 0x70
	s_load_b64 s[2:3], s[0:1], 0x0
	s_cmp_neq_f32 s26, 0
	s_wait_kmcnt 0x0
	s_mul_u64 s[14:15], s[4:5], s[24:25]
	s_cbranch_scc1 .LBB642_9
; %bb.2:
	s_cmp_gt_i32 s3, 0
	s_cselect_b32 s6, -1, 0
	s_cmp_neq_f32 s23, 0
	v_cndmask_b32_e64 v1, 0, 1, s6
	s_delay_alu instid0(VALU_DEP_1)
	v_cmp_ne_u32_e32 vcc_lo, 1, v1
	s_cbranch_scc1 .LBB642_10
; %bb.3:
	s_and_b32 vcc_lo, exec_lo, vcc_lo
	s_cbranch_vccnz .LBB642_8
; %bb.4:
	v_mov_b32_e32 v1, 0
	s_ashr_i32 s5, s22, 31
	s_mov_b32 s4, s22
	s_lshl_b64 s[16:17], s[20:21], 2
	s_lshl_b64 s[28:29], s[14:15], 2
	v_mul_u64_e32 v[2:3], s[4:5], v[0:1]
	s_add_nc_u64 s[16:17], s[18:19], s[16:17]
	s_lshl_b64 s[4:5], s[4:5], 10
	s_add_nc_u64 s[16:17], s[16:17], s[28:29]
	s_mov_b32 s7, 0
	s_delay_alu instid0(VALU_DEP_1)
	v_lshl_add_u64 v[2:3], v[2:3], 2, s[16:17]
	s_branch .LBB642_6
.LBB642_5:                              ;   in Loop: Header=BB642_6 Depth=1
	s_wait_xcnt 0x0
	s_or_b32 exec_lo, exec_lo, s16
	v_add_nc_u64_e32 v[2:3], s[4:5], v[2:3]
	s_addk_co_i32 s7, 0x100
	s_delay_alu instid0(SALU_CYCLE_1)
	s_cmp_ge_i32 s7, s3
	s_cbranch_scc1 .LBB642_8
.LBB642_6:                              ; =>This Inner Loop Header: Depth=1
	v_add_nc_u32_e32 v4, s7, v0
	s_mov_b32 s16, exec_lo
	s_delay_alu instid0(VALU_DEP_1)
	v_cmpx_gt_i32_e64 s3, v4
	s_cbranch_execz .LBB642_5
; %bb.7:                                ;   in Loop: Header=BB642_6 Depth=1
	global_store_b32 v[2:3], v1, off
	s_branch .LBB642_5
.LBB642_8:
	s_cbranch_execz .LBB642_11
	s_branch .LBB642_16
.LBB642_9:
	s_branch .LBB642_17
.LBB642_10:
.LBB642_11:
	s_and_not1_b32 vcc_lo, exec_lo, s6
	s_cbranch_vccnz .LBB642_16
; %bb.12:
	v_mov_b32_e32 v1, 0
	s_ashr_i32 s5, s22, 31
	s_mov_b32 s4, s22
	s_lshl_b64 s[6:7], s[20:21], 2
	s_lshl_b64 s[16:17], s[14:15], 2
	v_mul_u64_e32 v[2:3], s[4:5], v[0:1]
	s_add_nc_u64 s[6:7], s[18:19], s[6:7]
	s_lshl_b64 s[4:5], s[4:5], 10
	s_add_nc_u64 s[6:7], s[6:7], s[16:17]
	s_delay_alu instid0(VALU_DEP_1) | instid1(SALU_CYCLE_1)
	v_lshl_add_u64 v[2:3], v[2:3], 2, s[6:7]
	s_mov_b32 s6, 0
	s_branch .LBB642_14
.LBB642_13:                             ;   in Loop: Header=BB642_14 Depth=1
	s_wait_xcnt 0x0
	s_or_b32 exec_lo, exec_lo, s7
	v_add_nc_u64_e32 v[2:3], s[4:5], v[2:3]
	s_addk_co_i32 s6, 0x100
	s_delay_alu instid0(SALU_CYCLE_1)
	s_cmp_ge_i32 s6, s3
	s_cbranch_scc1 .LBB642_16
.LBB642_14:                             ; =>This Inner Loop Header: Depth=1
	v_add_nc_u32_e32 v1, s6, v0
	s_mov_b32 s7, exec_lo
	s_delay_alu instid0(VALU_DEP_1)
	v_cmpx_gt_i32_e64 s3, v1
	s_cbranch_execz .LBB642_13
; %bb.15:                               ;   in Loop: Header=BB642_14 Depth=1
	global_load_b32 v1, v[2:3], off
	s_wait_loadcnt 0x0
	v_mul_f32_e32 v1, s23, v1
	global_store_b32 v[2:3], v1, off
	s_branch .LBB642_13
.LBB642_16:
	s_cbranch_execnz .LBB642_58
.LBB642_17:
	s_clause 0x1
	s_load_b128 s[4:7], s[0:1], 0x30
	s_load_b64 s[16:17], s[0:1], 0x40
	s_mov_b32 s27, exec_lo
	v_cmpx_gt_i32_e64 s2, v0
	s_cbranch_execz .LBB642_23
; %bb.18:
	s_load_b32 s28, s[0:1], 0x48
	v_mov_b32_e32 v1, 0
	s_mul_u64 s[12:13], s[12:13], s[24:25]
	s_delay_alu instid0(SALU_CYCLE_1) | instskip(SKIP_3) | instid1(SALU_CYCLE_1)
	s_lshl_b64 s[12:13], s[12:13], 1
	s_wait_kmcnt 0x0
	s_add_nc_u64 s[6:7], s[6:7], s[12:13]
	s_lshl_b64 s[12:13], s[16:17], 1
	s_add_nc_u64 s[6:7], s[6:7], s[12:13]
	s_ashr_i32 s29, s28, 31
	s_delay_alu instid0(SALU_CYCLE_1) | instskip(NEXT) | instid1(VALU_DEP_1)
	v_mul_u64_e32 v[2:3], s[28:29], v[0:1]
	v_lshl_add_u64 v[2:3], v[2:3], 1, s[6:7]
	global_load_u16 v1, v[2:3], off
	s_wait_loadcnt 0x0
	v_lshlrev_b32_e32 v1, 16, v1
	s_delay_alu instid0(VALU_DEP_1) | instskip(SKIP_1) | instid1(VALU_DEP_1)
	v_mul_f32_e32 v1, s26, v1
	s_wait_xcnt 0x0
	v_and_b32_e32 v2, 0x7f800000, v1
	s_delay_alu instid0(VALU_DEP_1) | instskip(SKIP_1) | instid1(SALU_CYCLE_1)
	v_cmp_ne_u32_e32 vcc_lo, 0x7f800000, v2
                                        ; implicit-def: $vgpr2
	s_and_saveexec_b32 s6, vcc_lo
	s_xor_b32 s6, exec_lo, s6
; %bb.19:
	v_bfe_u32 v2, v1, 16, 1
	s_delay_alu instid0(VALU_DEP_1)
	v_add3_u32 v2, v1, v2, 0x7fff
                                        ; implicit-def: $vgpr1
; %bb.20:
	s_and_not1_saveexec_b32 s6, s6
; %bb.21:
	v_and_b32_e32 v2, 0xffff, v1
	v_or_b32_e32 v3, 0x10000, v1
	s_delay_alu instid0(VALU_DEP_2) | instskip(NEXT) | instid1(VALU_DEP_2)
	v_cmp_eq_u32_e32 vcc_lo, 0, v2
	v_cndmask_b32_e32 v2, v3, v1, vcc_lo
; %bb.22:
	s_or_b32 exec_lo, exec_lo, s6
	s_delay_alu instid0(VALU_DEP_1)
	v_and_b32_e32 v1, 0xffff0000, v2
	v_lshlrev_b32_e32 v2, 2, v0
	ds_store_b32 v2, v1
.LBB642_23:
	s_or_b32 exec_lo, exec_lo, s27
	s_cmp_lt_i32 s3, 1
	s_wait_storecnt_dscnt 0x0
	s_barrier_signal -1
	s_barrier_wait -1
	s_cbranch_scc1 .LBB642_58
; %bb.24:
	s_load_b32 s26, s[0:1], 0x28
	v_mov_b32_e32 v3, 0
	s_wait_kmcnt 0x0
	s_lshl_b64 s[6:7], s[14:15], 2
	s_lshl_b64 s[20:21], s[20:21], 2
	s_ashr_i32 s1, s22, 31
	s_mul_u64 s[4:5], s[4:5], s[24:25]
	v_mov_b32_e32 v1, v3
	s_mov_b32 s0, s22
	s_ashr_i32 s27, s26, 31
	s_cmp_neq_f32 s23, 0
	s_delay_alu instid0(VALU_DEP_1)
	v_mul_u64_e32 v[4:5], s[26:27], v[0:1]
	s_cselect_b32 s12, -1, 0
	s_cmp_gt_i32 s2, 0
	s_cselect_b32 s13, -1, 0
	s_and_b32 s14, s2, 3
	s_cmp_gt_u32 s2, 3
	s_cselect_b32 s15, -1, 0
	s_and_b32 s2, s2, 0x7ffffffc
	s_cmp_lg_u32 s14, 0
	s_cselect_b32 s16, -1, 0
	s_lshl_b64 s[10:11], s[10:11], 1
	s_lshl_b64 s[4:5], s[4:5], 1
	s_add_nc_u64 s[8:9], s[8:9], s[10:11]
	s_mov_b32 s10, 0
	s_add_nc_u64 s[4:5], s[8:9], s[4:5]
	s_lshl_b64 s[8:9], s[26:27], 9
	s_delay_alu instid0(VALU_DEP_1) | instskip(SKIP_3) | instid1(VALU_DEP_1)
	v_lshl_add_u64 v[4:5], v[4:5], 1, s[4:5]
	s_add_nc_u64 s[4:5], s[18:19], s[6:7]
	s_mov_b32 s7, 0
	s_add_nc_u64 s[4:5], s[4:5], s[20:21]
	v_add_nc_u64_e32 v[6:7], 4, v[4:5]
	s_branch .LBB642_27
.LBB642_25:                             ;   in Loop: Header=BB642_27 Depth=1
	global_store_b32 v[8:9], v1, off
.LBB642_26:                             ;   in Loop: Header=BB642_27 Depth=1
	s_wait_xcnt 0x0
	s_or_b32 exec_lo, exec_lo, s11
	v_add_nc_u64_e32 v[6:7], s[8:9], v[6:7]
	v_add_nc_u64_e32 v[4:5], s[8:9], v[4:5]
	s_addk_co_i32 s10, 0x100
	s_delay_alu instid0(SALU_CYCLE_1)
	s_cmp_ge_i32 s10, s3
	s_cbranch_scc1 .LBB642_58
.LBB642_27:                             ; =>This Loop Header: Depth=1
                                        ;     Child Loop BB642_34 Depth 2
                                        ;     Child Loop BB642_54 Depth 2
	v_add_nc_u32_e32 v2, s10, v0
	s_mov_b32 s11, exec_lo
	s_delay_alu instid0(VALU_DEP_1)
	v_cmpx_gt_i32_e64 s3, v2
	s_cbranch_execz .LBB642_26
; %bb.28:                               ;   in Loop: Header=BB642_27 Depth=1
	v_mul_u64_e32 v[8:9], s[0:1], v[2:3]
	s_and_not1_b32 vcc_lo, exec_lo, s12
	s_delay_alu instid0(VALU_DEP_1)
	v_lshl_add_u64 v[8:9], v[8:9], 2, s[4:5]
	s_cbranch_vccnz .LBB642_30
; %bb.29:                               ;   in Loop: Header=BB642_27 Depth=1
	global_load_b32 v1, v[8:9], off
	s_wait_loadcnt 0x0
	v_mul_f32_e32 v1, s23, v1
	s_and_not1_b32 vcc_lo, exec_lo, s13
	s_cbranch_vccz .LBB642_31
	s_branch .LBB642_25
.LBB642_30:                             ;   in Loop: Header=BB642_27 Depth=1
	v_mov_b32_e32 v1, 0
	s_and_not1_b32 vcc_lo, exec_lo, s13
	s_cbranch_vccnz .LBB642_25
.LBB642_31:                             ;   in Loop: Header=BB642_27 Depth=1
	s_and_not1_b32 vcc_lo, exec_lo, s15
	s_mov_b32 s17, 0
	s_cbranch_vccnz .LBB642_51
; %bb.32:                               ;   in Loop: Header=BB642_27 Depth=1
	v_mov_b64_e32 v[10:11], v[6:7]
	s_mov_b32 s6, 0
	s_branch .LBB642_34
.LBB642_33:                             ;   in Loop: Header=BB642_34 Depth=2
	s_or_b32 exec_lo, exec_lo, s18
	v_and_b32_e32 v2, 0xffff0000, v2
	v_and_b32_e32 v12, 0xffff0000, v12
	v_add_nc_u64_e32 v[10:11], 8, v[10:11]
	s_add_co_i32 s17, s17, 4
	s_add_co_i32 s6, s6, 16
	v_add_f32_e32 v1, v1, v2
	v_and_b32_e32 v2, 0xffff0000, v13
	s_cmp_eq_u32 s2, s17
	s_delay_alu instid0(VALU_DEP_2) | instskip(SKIP_1) | instid1(VALU_DEP_2)
	v_add_f32_e32 v1, v1, v12
	v_and_b32_e32 v12, 0xffff0000, v14
	v_add_f32_e32 v1, v1, v2
	s_delay_alu instid0(VALU_DEP_1)
	v_add_f32_e32 v1, v1, v12
	s_cbranch_scc1 .LBB642_50
.LBB642_34:                             ;   Parent Loop BB642_27 Depth=1
                                        ; =>  This Inner Loop Header: Depth=2
	global_load_u16 v2, v[10:11], off offset:-4
	s_wait_loadcnt 0x0
	v_dual_mov_b32 v12, s6 :: v_dual_lshlrev_b32 v2, 16, v2
	ds_load_b32 v12, v12
	s_wait_dscnt 0x0
	v_mul_f32_e32 v12, v12, v2
	s_delay_alu instid0(VALU_DEP_1) | instskip(NEXT) | instid1(VALU_DEP_1)
	v_and_b32_e32 v2, 0x7f800000, v12
	v_cmp_ne_u32_e32 vcc_lo, 0x7f800000, v2
                                        ; implicit-def: $vgpr2
	s_wait_xcnt 0x0
	s_and_saveexec_b32 s18, vcc_lo
	s_delay_alu instid0(SALU_CYCLE_1)
	s_xor_b32 s18, exec_lo, s18
; %bb.35:                               ;   in Loop: Header=BB642_34 Depth=2
	v_bfe_u32 v2, v12, 16, 1
	s_delay_alu instid0(VALU_DEP_1)
	v_add3_u32 v2, v12, v2, 0x7fff
                                        ; implicit-def: $vgpr12
; %bb.36:                               ;   in Loop: Header=BB642_34 Depth=2
	s_and_not1_saveexec_b32 s18, s18
; %bb.37:                               ;   in Loop: Header=BB642_34 Depth=2
	v_and_b32_e32 v2, 0xffff, v12
	v_or_b32_e32 v13, 0x10000, v12
	s_delay_alu instid0(VALU_DEP_2) | instskip(NEXT) | instid1(VALU_DEP_2)
	v_cmp_eq_u32_e32 vcc_lo, 0, v2
	v_cndmask_b32_e32 v2, v13, v12, vcc_lo
; %bb.38:                               ;   in Loop: Header=BB642_34 Depth=2
	s_or_b32 exec_lo, exec_lo, s18
	global_load_u16 v12, v[10:11], off offset:-2
	s_wait_loadcnt 0x0
	v_dual_mov_b32 v13, s6 :: v_dual_lshlrev_b32 v12, 16, v12
	ds_load_b32 v13, v13 offset:4
	s_wait_dscnt 0x0
	v_mul_f32_e32 v13, v13, v12
	s_delay_alu instid0(VALU_DEP_1) | instskip(NEXT) | instid1(VALU_DEP_1)
	v_and_b32_e32 v12, 0x7f800000, v13
	v_cmp_ne_u32_e32 vcc_lo, 0x7f800000, v12
                                        ; implicit-def: $vgpr12
	s_wait_xcnt 0x0
	s_and_saveexec_b32 s18, vcc_lo
	s_delay_alu instid0(SALU_CYCLE_1)
	s_xor_b32 s18, exec_lo, s18
; %bb.39:                               ;   in Loop: Header=BB642_34 Depth=2
	v_bfe_u32 v12, v13, 16, 1
	s_delay_alu instid0(VALU_DEP_1)
	v_add3_u32 v12, v13, v12, 0x7fff
                                        ; implicit-def: $vgpr13
; %bb.40:                               ;   in Loop: Header=BB642_34 Depth=2
	s_and_not1_saveexec_b32 s18, s18
; %bb.41:                               ;   in Loop: Header=BB642_34 Depth=2
	v_and_b32_e32 v12, 0xffff, v13
	v_or_b32_e32 v14, 0x10000, v13
	s_delay_alu instid0(VALU_DEP_2) | instskip(NEXT) | instid1(VALU_DEP_2)
	v_cmp_eq_u32_e32 vcc_lo, 0, v12
	v_cndmask_b32_e32 v12, v14, v13, vcc_lo
; %bb.42:                               ;   in Loop: Header=BB642_34 Depth=2
	s_or_b32 exec_lo, exec_lo, s18
	global_load_u16 v13, v[10:11], off
	s_wait_loadcnt 0x0
	v_dual_mov_b32 v14, s6 :: v_dual_lshlrev_b32 v13, 16, v13
	ds_load_b32 v14, v14 offset:8
	s_wait_dscnt 0x0
	v_mul_f32_e32 v14, v14, v13
	s_delay_alu instid0(VALU_DEP_1) | instskip(NEXT) | instid1(VALU_DEP_1)
	v_and_b32_e32 v13, 0x7f800000, v14
	v_cmp_ne_u32_e32 vcc_lo, 0x7f800000, v13
                                        ; implicit-def: $vgpr13
	s_wait_xcnt 0x0
	s_and_saveexec_b32 s18, vcc_lo
	s_delay_alu instid0(SALU_CYCLE_1)
	s_xor_b32 s18, exec_lo, s18
; %bb.43:                               ;   in Loop: Header=BB642_34 Depth=2
	v_bfe_u32 v13, v14, 16, 1
	s_delay_alu instid0(VALU_DEP_1)
	v_add3_u32 v13, v14, v13, 0x7fff
                                        ; implicit-def: $vgpr14
; %bb.44:                               ;   in Loop: Header=BB642_34 Depth=2
	s_and_not1_saveexec_b32 s18, s18
; %bb.45:                               ;   in Loop: Header=BB642_34 Depth=2
	v_and_b32_e32 v13, 0xffff, v14
	v_or_b32_e32 v15, 0x10000, v14
	s_delay_alu instid0(VALU_DEP_2) | instskip(NEXT) | instid1(VALU_DEP_2)
	v_cmp_eq_u32_e32 vcc_lo, 0, v13
	v_cndmask_b32_e32 v13, v15, v14, vcc_lo
; %bb.46:                               ;   in Loop: Header=BB642_34 Depth=2
	s_or_b32 exec_lo, exec_lo, s18
	global_load_u16 v14, v[10:11], off offset:2
	s_wait_loadcnt 0x0
	v_dual_mov_b32 v15, s6 :: v_dual_lshlrev_b32 v14, 16, v14
	ds_load_b32 v15, v15 offset:12
	s_wait_dscnt 0x0
	v_mul_f32_e32 v15, v15, v14
	s_delay_alu instid0(VALU_DEP_1) | instskip(NEXT) | instid1(VALU_DEP_1)
	v_and_b32_e32 v14, 0x7f800000, v15
	v_cmp_ne_u32_e32 vcc_lo, 0x7f800000, v14
                                        ; implicit-def: $vgpr14
	s_wait_xcnt 0x0
	s_and_saveexec_b32 s18, vcc_lo
	s_delay_alu instid0(SALU_CYCLE_1)
	s_xor_b32 s18, exec_lo, s18
; %bb.47:                               ;   in Loop: Header=BB642_34 Depth=2
	v_bfe_u32 v14, v15, 16, 1
	s_delay_alu instid0(VALU_DEP_1)
	v_add3_u32 v14, v15, v14, 0x7fff
                                        ; implicit-def: $vgpr15
; %bb.48:                               ;   in Loop: Header=BB642_34 Depth=2
	s_and_not1_saveexec_b32 s18, s18
	s_cbranch_execz .LBB642_33
; %bb.49:                               ;   in Loop: Header=BB642_34 Depth=2
	v_and_b32_e32 v14, 0xffff, v15
	v_or_b32_e32 v16, 0x10000, v15
	s_delay_alu instid0(VALU_DEP_2) | instskip(NEXT) | instid1(VALU_DEP_2)
	v_cmp_eq_u32_e32 vcc_lo, 0, v14
	v_cndmask_b32_e32 v14, v16, v15, vcc_lo
	s_branch .LBB642_33
.LBB642_50:                             ;   in Loop: Header=BB642_27 Depth=1
	s_mov_b32 s17, s2
.LBB642_51:                             ;   in Loop: Header=BB642_27 Depth=1
	s_and_not1_b32 vcc_lo, exec_lo, s16
	s_cbranch_vccnz .LBB642_25
; %bb.52:                               ;   in Loop: Header=BB642_27 Depth=1
	s_lshl_b32 s6, s17, 1
	s_delay_alu instid0(SALU_CYCLE_1)
	v_add_nc_u64_e32 v[10:11], s[6:7], v[4:5]
	s_lshl_b32 s6, s17, 2
	s_mov_b32 s17, s14
	s_branch .LBB642_54
.LBB642_53:                             ;   in Loop: Header=BB642_54 Depth=2
	s_or_b32 exec_lo, exec_lo, s18
	s_delay_alu instid0(VALU_DEP_1)
	v_and_b32_e32 v2, 0xffff0000, v12
	v_add_nc_u64_e32 v[10:11], 2, v[10:11]
	s_add_co_i32 s17, s17, -1
	s_add_co_i32 s6, s6, 4
	s_cmp_lg_u32 s17, 0
	v_add_f32_e32 v1, v1, v2
	s_cbranch_scc0 .LBB642_25
.LBB642_54:                             ;   Parent Loop BB642_27 Depth=1
                                        ; =>  This Inner Loop Header: Depth=2
	global_load_u16 v2, v[10:11], off
	s_wait_loadcnt 0x0
	v_dual_mov_b32 v12, s6 :: v_dual_lshlrev_b32 v2, 16, v2
	ds_load_b32 v12, v12
	s_wait_dscnt 0x0
	v_mul_f32_e32 v2, v12, v2
	s_delay_alu instid0(VALU_DEP_1) | instskip(NEXT) | instid1(VALU_DEP_1)
	v_and_b32_e32 v12, 0x7f800000, v2
	v_cmp_ne_u32_e32 vcc_lo, 0x7f800000, v12
                                        ; implicit-def: $vgpr12
	s_wait_xcnt 0x0
	s_and_saveexec_b32 s18, vcc_lo
	s_delay_alu instid0(SALU_CYCLE_1)
	s_xor_b32 s18, exec_lo, s18
; %bb.55:                               ;   in Loop: Header=BB642_54 Depth=2
	v_bfe_u32 v12, v2, 16, 1
	s_delay_alu instid0(VALU_DEP_1)
	v_add3_u32 v12, v2, v12, 0x7fff
                                        ; implicit-def: $vgpr2
; %bb.56:                               ;   in Loop: Header=BB642_54 Depth=2
	s_and_not1_saveexec_b32 s18, s18
	s_cbranch_execz .LBB642_53
; %bb.57:                               ;   in Loop: Header=BB642_54 Depth=2
	v_and_b32_e32 v12, 0xffff, v2
	v_or_b32_e32 v13, 0x10000, v2
	s_delay_alu instid0(VALU_DEP_2) | instskip(NEXT) | instid1(VALU_DEP_2)
	v_cmp_eq_u32_e32 vcc_lo, 0, v12
	v_cndmask_b32_e32 v12, v13, v2, vcc_lo
	s_branch .LBB642_53
.LBB642_58:
	s_endpgm
	.section	.rodata,"a",@progbits
	.p2align	6, 0x0
	.amdhsa_kernel _ZL22rocblas_gemvtsm_kernelILb0ELi256E16rocblas_bfloat16PKffEviiT2_lPKT1_lilS6_lilS3_lPT3_lil
		.amdhsa_group_segment_fixed_size 256
		.amdhsa_private_segment_fixed_size 0
		.amdhsa_kernarg_size 136
		.amdhsa_user_sgpr_count 2
		.amdhsa_user_sgpr_dispatch_ptr 0
		.amdhsa_user_sgpr_queue_ptr 0
		.amdhsa_user_sgpr_kernarg_segment_ptr 1
		.amdhsa_user_sgpr_dispatch_id 0
		.amdhsa_user_sgpr_kernarg_preload_length 0
		.amdhsa_user_sgpr_kernarg_preload_offset 0
		.amdhsa_user_sgpr_private_segment_size 0
		.amdhsa_wavefront_size32 1
		.amdhsa_uses_dynamic_stack 0
		.amdhsa_enable_private_segment 0
		.amdhsa_system_sgpr_workgroup_id_x 1
		.amdhsa_system_sgpr_workgroup_id_y 0
		.amdhsa_system_sgpr_workgroup_id_z 0
		.amdhsa_system_sgpr_workgroup_info 0
		.amdhsa_system_vgpr_workitem_id 0
		.amdhsa_next_free_vgpr 17
		.amdhsa_next_free_sgpr 30
		.amdhsa_named_barrier_count 0
		.amdhsa_reserve_vcc 1
		.amdhsa_float_round_mode_32 0
		.amdhsa_float_round_mode_16_64 0
		.amdhsa_float_denorm_mode_32 3
		.amdhsa_float_denorm_mode_16_64 3
		.amdhsa_fp16_overflow 0
		.amdhsa_memory_ordered 1
		.amdhsa_forward_progress 1
		.amdhsa_inst_pref_size 16
		.amdhsa_round_robin_scheduling 0
		.amdhsa_exception_fp_ieee_invalid_op 0
		.amdhsa_exception_fp_denorm_src 0
		.amdhsa_exception_fp_ieee_div_zero 0
		.amdhsa_exception_fp_ieee_overflow 0
		.amdhsa_exception_fp_ieee_underflow 0
		.amdhsa_exception_fp_ieee_inexact 0
		.amdhsa_exception_int_div_zero 0
	.end_amdhsa_kernel
	.section	.text._ZL22rocblas_gemvtsm_kernelILb0ELi256E16rocblas_bfloat16PKffEviiT2_lPKT1_lilS6_lilS3_lPT3_lil,"axG",@progbits,_ZL22rocblas_gemvtsm_kernelILb0ELi256E16rocblas_bfloat16PKffEviiT2_lPKT1_lilS6_lilS3_lPT3_lil,comdat
.Lfunc_end642:
	.size	_ZL22rocblas_gemvtsm_kernelILb0ELi256E16rocblas_bfloat16PKffEviiT2_lPKT1_lilS6_lilS3_lPT3_lil, .Lfunc_end642-_ZL22rocblas_gemvtsm_kernelILb0ELi256E16rocblas_bfloat16PKffEviiT2_lPKT1_lilS6_lilS3_lPT3_lil
                                        ; -- End function
	.set _ZL22rocblas_gemvtsm_kernelILb0ELi256E16rocblas_bfloat16PKffEviiT2_lPKT1_lilS6_lilS3_lPT3_lil.num_vgpr, 17
	.set _ZL22rocblas_gemvtsm_kernelILb0ELi256E16rocblas_bfloat16PKffEviiT2_lPKT1_lilS6_lilS3_lPT3_lil.num_agpr, 0
	.set _ZL22rocblas_gemvtsm_kernelILb0ELi256E16rocblas_bfloat16PKffEviiT2_lPKT1_lilS6_lilS3_lPT3_lil.numbered_sgpr, 30
	.set _ZL22rocblas_gemvtsm_kernelILb0ELi256E16rocblas_bfloat16PKffEviiT2_lPKT1_lilS6_lilS3_lPT3_lil.num_named_barrier, 0
	.set _ZL22rocblas_gemvtsm_kernelILb0ELi256E16rocblas_bfloat16PKffEviiT2_lPKT1_lilS6_lilS3_lPT3_lil.private_seg_size, 0
	.set _ZL22rocblas_gemvtsm_kernelILb0ELi256E16rocblas_bfloat16PKffEviiT2_lPKT1_lilS6_lilS3_lPT3_lil.uses_vcc, 1
	.set _ZL22rocblas_gemvtsm_kernelILb0ELi256E16rocblas_bfloat16PKffEviiT2_lPKT1_lilS6_lilS3_lPT3_lil.uses_flat_scratch, 0
	.set _ZL22rocblas_gemvtsm_kernelILb0ELi256E16rocblas_bfloat16PKffEviiT2_lPKT1_lilS6_lilS3_lPT3_lil.has_dyn_sized_stack, 0
	.set _ZL22rocblas_gemvtsm_kernelILb0ELi256E16rocblas_bfloat16PKffEviiT2_lPKT1_lilS6_lilS3_lPT3_lil.has_recursion, 0
	.set _ZL22rocblas_gemvtsm_kernelILb0ELi256E16rocblas_bfloat16PKffEviiT2_lPKT1_lilS6_lilS3_lPT3_lil.has_indirect_call, 0
	.section	.AMDGPU.csdata,"",@progbits
; Kernel info:
; codeLenInByte = 1960
; TotalNumSgprs: 32
; NumVgprs: 17
; ScratchSize: 0
; MemoryBound: 0
; FloatMode: 240
; IeeeMode: 1
; LDSByteSize: 256 bytes/workgroup (compile time only)
; SGPRBlocks: 0
; VGPRBlocks: 1
; NumSGPRsForWavesPerEU: 32
; NumVGPRsForWavesPerEU: 17
; NamedBarCnt: 0
; Occupancy: 16
; WaveLimiterHint : 1
; COMPUTE_PGM_RSRC2:SCRATCH_EN: 0
; COMPUTE_PGM_RSRC2:USER_SGPR: 2
; COMPUTE_PGM_RSRC2:TRAP_HANDLER: 0
; COMPUTE_PGM_RSRC2:TGID_X_EN: 1
; COMPUTE_PGM_RSRC2:TGID_Y_EN: 0
; COMPUTE_PGM_RSRC2:TGID_Z_EN: 0
; COMPUTE_PGM_RSRC2:TIDIG_COMP_CNT: 0
	.section	.text._ZL22rocblas_gemvtsm_kernelILb0ELi256E16rocblas_bfloat16ffEviiT2_lPKT1_lilS4_lilS1_lPT3_lil,"axG",@progbits,_ZL22rocblas_gemvtsm_kernelILb0ELi256E16rocblas_bfloat16ffEviiT2_lPKT1_lilS4_lilS1_lPT3_lil,comdat
	.globl	_ZL22rocblas_gemvtsm_kernelILb0ELi256E16rocblas_bfloat16ffEviiT2_lPKT1_lilS4_lilS1_lPT3_lil ; -- Begin function _ZL22rocblas_gemvtsm_kernelILb0ELi256E16rocblas_bfloat16ffEviiT2_lPKT1_lilS4_lilS1_lPT3_lil
	.p2align	8
	.type	_ZL22rocblas_gemvtsm_kernelILb0ELi256E16rocblas_bfloat16ffEviiT2_lPKT1_lilS4_lilS1_lPT3_lil,@function
_ZL22rocblas_gemvtsm_kernelILb0ELi256E16rocblas_bfloat16ffEviiT2_lPKT1_lilS4_lilS1_lPT3_lil: ; @_ZL22rocblas_gemvtsm_kernelILb0ELi256E16rocblas_bfloat16ffEviiT2_lPKT1_lilS4_lilS1_lPT3_lil
; %bb.0:
	s_clause 0x1
	s_load_b96 s[12:14], s[0:1], 0x0
	s_load_b32 s15, s[0:1], 0x58
	s_mov_b32 s17, 0
	s_wait_kmcnt 0x0
	s_cmp_eq_f32 s14, 0
	s_cselect_b32 s2, -1, 0
	s_cmp_eq_f32 s15, 1.0
	s_cselect_b32 s3, -1, 0
	s_delay_alu instid0(SALU_CYCLE_1) | instskip(NEXT) | instid1(SALU_CYCLE_1)
	s_and_b32 s2, s2, s3
	s_and_b32 vcc_lo, exec_lo, s2
	s_cbranch_vccnz .LBB643_58
; %bb.1:
	s_clause 0x2
	s_load_b64 s[8:9], s[0:1], 0x80
	s_load_b128 s[4:7], s[0:1], 0x68
	s_load_b32 s2, s[0:1], 0x78
	s_bfe_u32 s3, ttmp6, 0x4000c
	s_and_b32 s10, ttmp6, 15
	s_add_co_i32 s3, s3, 1
	s_getreg_b32 s11, hwreg(HW_REG_IB_STS2, 6, 4)
	s_mul_i32 s3, ttmp9, s3
	s_delay_alu instid0(SALU_CYCLE_1)
	s_add_co_i32 s10, s10, s3
	s_cmp_eq_u32 s11, 0
	s_cselect_b32 s16, ttmp9, s10
	s_cmp_neq_f32 s14, 0
	s_wait_kmcnt 0x0
	s_mul_u64 s[18:19], s[8:9], s[16:17]
	s_cbranch_scc1 .LBB643_9
; %bb.2:
	s_cmp_gt_i32 s13, 0
	s_cselect_b32 s10, -1, 0
	s_cmp_neq_f32 s15, 0
	v_cndmask_b32_e64 v1, 0, 1, s10
	s_delay_alu instid0(VALU_DEP_1)
	v_cmp_ne_u32_e32 vcc_lo, 1, v1
	s_cbranch_scc1 .LBB643_10
; %bb.3:
	s_and_b32 vcc_lo, exec_lo, vcc_lo
	s_cbranch_vccnz .LBB643_8
; %bb.4:
	v_mov_b32_e32 v1, 0
	s_ashr_i32 s3, s2, 31
	s_lshl_b64 s[8:9], s[6:7], 2
	s_lshl_b64 s[20:21], s[18:19], 2
	s_add_nc_u64 s[8:9], s[4:5], s[8:9]
	v_mul_u64_e32 v[2:3], s[2:3], v[0:1]
	s_add_nc_u64 s[8:9], s[8:9], s[20:21]
	s_delay_alu instid0(VALU_DEP_1) | instid1(SALU_CYCLE_1)
	v_lshl_add_u64 v[2:3], v[2:3], 2, s[8:9]
	s_lshl_b64 s[8:9], s[2:3], 10
	s_mov_b32 s3, 0
	s_branch .LBB643_6
.LBB643_5:                              ;   in Loop: Header=BB643_6 Depth=1
	s_wait_xcnt 0x0
	s_or_b32 exec_lo, exec_lo, s11
	v_add_nc_u64_e32 v[2:3], s[8:9], v[2:3]
	s_addk_co_i32 s3, 0x100
	s_delay_alu instid0(SALU_CYCLE_1)
	s_cmp_ge_i32 s3, s13
	s_cbranch_scc1 .LBB643_8
.LBB643_6:                              ; =>This Inner Loop Header: Depth=1
	v_add_nc_u32_e32 v4, s3, v0
	s_mov_b32 s11, exec_lo
	s_delay_alu instid0(VALU_DEP_1)
	v_cmpx_gt_i32_e64 s13, v4
	s_cbranch_execz .LBB643_5
; %bb.7:                                ;   in Loop: Header=BB643_6 Depth=1
	global_store_b32 v[2:3], v1, off
	s_branch .LBB643_5
.LBB643_8:
	s_cbranch_execz .LBB643_11
	s_branch .LBB643_16
.LBB643_9:
	s_branch .LBB643_17
.LBB643_10:
.LBB643_11:
	s_and_not1_b32 vcc_lo, exec_lo, s10
	s_cbranch_vccnz .LBB643_16
; %bb.12:
	v_mov_b32_e32 v1, 0
	s_ashr_i32 s3, s2, 31
	s_lshl_b64 s[8:9], s[6:7], 2
	s_lshl_b64 s[10:11], s[18:19], 2
	s_add_nc_u64 s[8:9], s[4:5], s[8:9]
	v_mul_u64_e32 v[2:3], s[2:3], v[0:1]
	s_add_nc_u64 s[8:9], s[8:9], s[10:11]
	s_delay_alu instid0(VALU_DEP_1) | instid1(SALU_CYCLE_1)
	v_lshl_add_u64 v[2:3], v[2:3], 2, s[8:9]
	s_lshl_b64 s[8:9], s[2:3], 10
	s_mov_b32 s3, 0
	s_branch .LBB643_14
.LBB643_13:                             ;   in Loop: Header=BB643_14 Depth=1
	s_wait_xcnt 0x0
	s_or_b32 exec_lo, exec_lo, s10
	v_add_nc_u64_e32 v[2:3], s[8:9], v[2:3]
	s_addk_co_i32 s3, 0x100
	s_delay_alu instid0(SALU_CYCLE_1)
	s_cmp_ge_i32 s3, s13
	s_cbranch_scc1 .LBB643_16
.LBB643_14:                             ; =>This Inner Loop Header: Depth=1
	v_add_nc_u32_e32 v1, s3, v0
	s_mov_b32 s10, exec_lo
	s_delay_alu instid0(VALU_DEP_1)
	v_cmpx_gt_i32_e64 s13, v1
	s_cbranch_execz .LBB643_13
; %bb.15:                               ;   in Loop: Header=BB643_14 Depth=1
	global_load_b32 v1, v[2:3], off
	s_wait_loadcnt 0x0
	v_mul_f32_e32 v1, s15, v1
	global_store_b32 v[2:3], v1, off
	s_branch .LBB643_13
.LBB643_16:
	s_cbranch_execnz .LBB643_58
.LBB643_17:
	s_clause 0x1
	s_load_b128 s[8:11], s[0:1], 0x30
	s_load_b64 s[20:21], s[0:1], 0x40
	s_mov_b32 s3, exec_lo
	v_cmpx_gt_i32_e64 s12, v0
	s_cbranch_execz .LBB643_23
; %bb.18:
	s_clause 0x1
	s_load_b32 s22, s[0:1], 0x48
	s_load_b64 s[24:25], s[0:1], 0x50
	v_mov_b32_e32 v1, 0
	s_wait_kmcnt 0x0
	s_lshl_b64 s[20:21], s[20:21], 1
	s_ashr_i32 s23, s22, 31
	s_delay_alu instid0(VALU_DEP_1) | instid1(SALU_CYCLE_1)
	v_mul_u64_e32 v[2:3], s[22:23], v[0:1]
	s_mul_u64 s[22:23], s[24:25], s[16:17]
	s_delay_alu instid0(SALU_CYCLE_1) | instskip(NEXT) | instid1(SALU_CYCLE_1)
	s_lshl_b64 s[22:23], s[22:23], 1
	s_add_nc_u64 s[10:11], s[10:11], s[22:23]
	s_delay_alu instid0(SALU_CYCLE_1)
	s_add_nc_u64 s[10:11], s[10:11], s[20:21]
	s_delay_alu instid0(VALU_DEP_1) | instid1(SALU_CYCLE_1)
	v_lshl_add_u64 v[2:3], v[2:3], 1, s[10:11]
	global_load_u16 v1, v[2:3], off
	s_wait_loadcnt 0x0
	v_lshlrev_b32_e32 v1, 16, v1
	s_delay_alu instid0(VALU_DEP_1) | instskip(SKIP_1) | instid1(VALU_DEP_1)
	v_mul_f32_e32 v1, s14, v1
	s_wait_xcnt 0x0
	v_and_b32_e32 v2, 0x7f800000, v1
	s_delay_alu instid0(VALU_DEP_1) | instskip(SKIP_1) | instid1(SALU_CYCLE_1)
	v_cmp_ne_u32_e32 vcc_lo, 0x7f800000, v2
                                        ; implicit-def: $vgpr2
	s_and_saveexec_b32 s10, vcc_lo
	s_xor_b32 s10, exec_lo, s10
; %bb.19:
	v_bfe_u32 v2, v1, 16, 1
	s_delay_alu instid0(VALU_DEP_1)
	v_add3_u32 v2, v1, v2, 0x7fff
                                        ; implicit-def: $vgpr1
; %bb.20:
	s_and_not1_saveexec_b32 s10, s10
; %bb.21:
	v_and_b32_e32 v2, 0xffff, v1
	v_or_b32_e32 v3, 0x10000, v1
	s_delay_alu instid0(VALU_DEP_2) | instskip(NEXT) | instid1(VALU_DEP_2)
	v_cmp_eq_u32_e32 vcc_lo, 0, v2
	v_cndmask_b32_e32 v2, v3, v1, vcc_lo
; %bb.22:
	s_or_b32 exec_lo, exec_lo, s10
	s_delay_alu instid0(VALU_DEP_1)
	v_and_b32_e32 v1, 0xffff0000, v2
	v_lshlrev_b32_e32 v2, 2, v0
	ds_store_b32 v2, v1
.LBB643_23:
	s_or_b32 exec_lo, exec_lo, s3
	s_cmp_lt_i32 s13, 1
	s_wait_storecnt_dscnt 0x0
	s_barrier_signal -1
	s_barrier_wait -1
	s_cbranch_scc1 .LBB643_58
; %bb.24:
	s_load_b32 s24, s[0:1], 0x28
	s_wait_kmcnt 0x0
	s_load_b128 s[20:23], s[0:1], 0x18
	v_mov_b32_e32 v3, 0
	s_wait_xcnt 0x0
	s_lshl_b64 s[0:1], s[18:19], 2
	s_lshl_b64 s[6:7], s[6:7], 2
	s_ashr_i32 s3, s2, 31
	s_mul_u64 s[16:17], s[8:9], s[16:17]
	v_mov_b32_e32 v1, v3
	s_add_nc_u64 s[0:1], s[4:5], s[0:1]
	s_mov_b32 s5, 0
	s_add_nc_u64 s[0:1], s[0:1], s[6:7]
	s_mov_b32 s9, 0
	s_ashr_i32 s25, s24, 31
	s_cmp_neq_f32 s15, 0
	v_mul_u64_e32 v[4:5], s[24:25], v[0:1]
	s_cselect_b32 s10, -1, 0
	s_cmp_gt_i32 s12, 0
	s_cselect_b32 s11, -1, 0
	s_and_b32 s14, s12, 3
	s_cmp_gt_u32 s12, 3
	s_cselect_b32 s18, -1, 0
	s_and_b32 s12, s12, 0x7ffffffc
	s_cmp_lg_u32 s14, 0
	s_cselect_b32 s8, -1, 0
	s_wait_kmcnt 0x0
	s_lshl_b64 s[22:23], s[22:23], 1
	s_lshl_b64 s[16:17], s[16:17], 1
	s_add_nc_u64 s[20:21], s[20:21], s[22:23]
	s_lshl_b64 s[6:7], s[24:25], 9
	s_add_nc_u64 s[16:17], s[20:21], s[16:17]
	s_delay_alu instid0(VALU_DEP_1) | instid1(SALU_CYCLE_1)
	v_lshl_add_u64 v[4:5], v[4:5], 1, s[16:17]
	s_delay_alu instid0(VALU_DEP_1)
	v_add_nc_u64_e32 v[6:7], 4, v[4:5]
	s_branch .LBB643_27
.LBB643_25:                             ;   in Loop: Header=BB643_27 Depth=1
	global_store_b32 v[8:9], v1, off
.LBB643_26:                             ;   in Loop: Header=BB643_27 Depth=1
	s_wait_xcnt 0x0
	s_or_b32 exec_lo, exec_lo, s16
	v_add_nc_u64_e32 v[6:7], s[6:7], v[6:7]
	v_add_nc_u64_e32 v[4:5], s[6:7], v[4:5]
	s_addk_co_i32 s9, 0x100
	s_delay_alu instid0(SALU_CYCLE_1)
	s_cmp_ge_i32 s9, s13
	s_cbranch_scc1 .LBB643_58
.LBB643_27:                             ; =>This Loop Header: Depth=1
                                        ;     Child Loop BB643_34 Depth 2
                                        ;     Child Loop BB643_54 Depth 2
	v_add_nc_u32_e32 v2, s9, v0
	s_mov_b32 s16, exec_lo
	s_delay_alu instid0(VALU_DEP_1)
	v_cmpx_gt_i32_e64 s13, v2
	s_cbranch_execz .LBB643_26
; %bb.28:                               ;   in Loop: Header=BB643_27 Depth=1
	v_mul_u64_e32 v[8:9], s[2:3], v[2:3]
	s_and_not1_b32 vcc_lo, exec_lo, s10
	s_delay_alu instid0(VALU_DEP_1)
	v_lshl_add_u64 v[8:9], v[8:9], 2, s[0:1]
	s_cbranch_vccnz .LBB643_30
; %bb.29:                               ;   in Loop: Header=BB643_27 Depth=1
	global_load_b32 v1, v[8:9], off
	s_wait_loadcnt 0x0
	v_mul_f32_e32 v1, s15, v1
	s_and_not1_b32 vcc_lo, exec_lo, s11
	s_cbranch_vccz .LBB643_31
	s_branch .LBB643_25
.LBB643_30:                             ;   in Loop: Header=BB643_27 Depth=1
	v_mov_b32_e32 v1, 0
	s_and_not1_b32 vcc_lo, exec_lo, s11
	s_cbranch_vccnz .LBB643_25
.LBB643_31:                             ;   in Loop: Header=BB643_27 Depth=1
	s_and_not1_b32 vcc_lo, exec_lo, s18
	s_mov_b32 s17, 0
	s_cbranch_vccnz .LBB643_51
; %bb.32:                               ;   in Loop: Header=BB643_27 Depth=1
	v_mov_b64_e32 v[10:11], v[6:7]
	s_mov_b32 s4, 0
	s_branch .LBB643_34
.LBB643_33:                             ;   in Loop: Header=BB643_34 Depth=2
	s_or_b32 exec_lo, exec_lo, s19
	v_and_b32_e32 v2, 0xffff0000, v2
	v_and_b32_e32 v12, 0xffff0000, v12
	v_add_nc_u64_e32 v[10:11], 8, v[10:11]
	s_add_co_i32 s17, s17, 4
	s_add_co_i32 s4, s4, 16
	v_add_f32_e32 v1, v1, v2
	v_and_b32_e32 v2, 0xffff0000, v13
	s_cmp_eq_u32 s12, s17
	s_delay_alu instid0(VALU_DEP_2) | instskip(SKIP_1) | instid1(VALU_DEP_2)
	v_add_f32_e32 v1, v1, v12
	v_and_b32_e32 v12, 0xffff0000, v14
	v_add_f32_e32 v1, v1, v2
	s_delay_alu instid0(VALU_DEP_1)
	v_add_f32_e32 v1, v1, v12
	s_cbranch_scc1 .LBB643_50
.LBB643_34:                             ;   Parent Loop BB643_27 Depth=1
                                        ; =>  This Inner Loop Header: Depth=2
	global_load_u16 v2, v[10:11], off offset:-4
	s_wait_loadcnt 0x0
	v_dual_mov_b32 v12, s4 :: v_dual_lshlrev_b32 v2, 16, v2
	ds_load_b32 v12, v12
	s_wait_dscnt 0x0
	v_mul_f32_e32 v12, v12, v2
	s_delay_alu instid0(VALU_DEP_1) | instskip(NEXT) | instid1(VALU_DEP_1)
	v_and_b32_e32 v2, 0x7f800000, v12
	v_cmp_ne_u32_e32 vcc_lo, 0x7f800000, v2
                                        ; implicit-def: $vgpr2
	s_wait_xcnt 0x0
	s_and_saveexec_b32 s19, vcc_lo
	s_delay_alu instid0(SALU_CYCLE_1)
	s_xor_b32 s19, exec_lo, s19
; %bb.35:                               ;   in Loop: Header=BB643_34 Depth=2
	v_bfe_u32 v2, v12, 16, 1
	s_delay_alu instid0(VALU_DEP_1)
	v_add3_u32 v2, v12, v2, 0x7fff
                                        ; implicit-def: $vgpr12
; %bb.36:                               ;   in Loop: Header=BB643_34 Depth=2
	s_and_not1_saveexec_b32 s19, s19
; %bb.37:                               ;   in Loop: Header=BB643_34 Depth=2
	v_and_b32_e32 v2, 0xffff, v12
	v_or_b32_e32 v13, 0x10000, v12
	s_delay_alu instid0(VALU_DEP_2) | instskip(NEXT) | instid1(VALU_DEP_2)
	v_cmp_eq_u32_e32 vcc_lo, 0, v2
	v_cndmask_b32_e32 v2, v13, v12, vcc_lo
; %bb.38:                               ;   in Loop: Header=BB643_34 Depth=2
	s_or_b32 exec_lo, exec_lo, s19
	global_load_u16 v12, v[10:11], off offset:-2
	s_wait_loadcnt 0x0
	v_dual_mov_b32 v13, s4 :: v_dual_lshlrev_b32 v12, 16, v12
	ds_load_b32 v13, v13 offset:4
	s_wait_dscnt 0x0
	v_mul_f32_e32 v13, v13, v12
	s_delay_alu instid0(VALU_DEP_1) | instskip(NEXT) | instid1(VALU_DEP_1)
	v_and_b32_e32 v12, 0x7f800000, v13
	v_cmp_ne_u32_e32 vcc_lo, 0x7f800000, v12
                                        ; implicit-def: $vgpr12
	s_wait_xcnt 0x0
	s_and_saveexec_b32 s19, vcc_lo
	s_delay_alu instid0(SALU_CYCLE_1)
	s_xor_b32 s19, exec_lo, s19
; %bb.39:                               ;   in Loop: Header=BB643_34 Depth=2
	v_bfe_u32 v12, v13, 16, 1
	s_delay_alu instid0(VALU_DEP_1)
	v_add3_u32 v12, v13, v12, 0x7fff
                                        ; implicit-def: $vgpr13
; %bb.40:                               ;   in Loop: Header=BB643_34 Depth=2
	s_and_not1_saveexec_b32 s19, s19
; %bb.41:                               ;   in Loop: Header=BB643_34 Depth=2
	v_and_b32_e32 v12, 0xffff, v13
	v_or_b32_e32 v14, 0x10000, v13
	s_delay_alu instid0(VALU_DEP_2) | instskip(NEXT) | instid1(VALU_DEP_2)
	v_cmp_eq_u32_e32 vcc_lo, 0, v12
	v_cndmask_b32_e32 v12, v14, v13, vcc_lo
; %bb.42:                               ;   in Loop: Header=BB643_34 Depth=2
	s_or_b32 exec_lo, exec_lo, s19
	global_load_u16 v13, v[10:11], off
	s_wait_loadcnt 0x0
	v_dual_mov_b32 v14, s4 :: v_dual_lshlrev_b32 v13, 16, v13
	ds_load_b32 v14, v14 offset:8
	s_wait_dscnt 0x0
	v_mul_f32_e32 v14, v14, v13
	s_delay_alu instid0(VALU_DEP_1) | instskip(NEXT) | instid1(VALU_DEP_1)
	v_and_b32_e32 v13, 0x7f800000, v14
	v_cmp_ne_u32_e32 vcc_lo, 0x7f800000, v13
                                        ; implicit-def: $vgpr13
	s_wait_xcnt 0x0
	s_and_saveexec_b32 s19, vcc_lo
	s_delay_alu instid0(SALU_CYCLE_1)
	s_xor_b32 s19, exec_lo, s19
; %bb.43:                               ;   in Loop: Header=BB643_34 Depth=2
	v_bfe_u32 v13, v14, 16, 1
	s_delay_alu instid0(VALU_DEP_1)
	v_add3_u32 v13, v14, v13, 0x7fff
                                        ; implicit-def: $vgpr14
; %bb.44:                               ;   in Loop: Header=BB643_34 Depth=2
	s_and_not1_saveexec_b32 s19, s19
; %bb.45:                               ;   in Loop: Header=BB643_34 Depth=2
	v_and_b32_e32 v13, 0xffff, v14
	v_or_b32_e32 v15, 0x10000, v14
	s_delay_alu instid0(VALU_DEP_2) | instskip(NEXT) | instid1(VALU_DEP_2)
	v_cmp_eq_u32_e32 vcc_lo, 0, v13
	v_cndmask_b32_e32 v13, v15, v14, vcc_lo
; %bb.46:                               ;   in Loop: Header=BB643_34 Depth=2
	s_or_b32 exec_lo, exec_lo, s19
	global_load_u16 v14, v[10:11], off offset:2
	s_wait_loadcnt 0x0
	v_dual_mov_b32 v15, s4 :: v_dual_lshlrev_b32 v14, 16, v14
	ds_load_b32 v15, v15 offset:12
	s_wait_dscnt 0x0
	v_mul_f32_e32 v15, v15, v14
	s_delay_alu instid0(VALU_DEP_1) | instskip(NEXT) | instid1(VALU_DEP_1)
	v_and_b32_e32 v14, 0x7f800000, v15
	v_cmp_ne_u32_e32 vcc_lo, 0x7f800000, v14
                                        ; implicit-def: $vgpr14
	s_wait_xcnt 0x0
	s_and_saveexec_b32 s19, vcc_lo
	s_delay_alu instid0(SALU_CYCLE_1)
	s_xor_b32 s19, exec_lo, s19
; %bb.47:                               ;   in Loop: Header=BB643_34 Depth=2
	v_bfe_u32 v14, v15, 16, 1
	s_delay_alu instid0(VALU_DEP_1)
	v_add3_u32 v14, v15, v14, 0x7fff
                                        ; implicit-def: $vgpr15
; %bb.48:                               ;   in Loop: Header=BB643_34 Depth=2
	s_and_not1_saveexec_b32 s19, s19
	s_cbranch_execz .LBB643_33
; %bb.49:                               ;   in Loop: Header=BB643_34 Depth=2
	v_and_b32_e32 v14, 0xffff, v15
	v_or_b32_e32 v16, 0x10000, v15
	s_delay_alu instid0(VALU_DEP_2) | instskip(NEXT) | instid1(VALU_DEP_2)
	v_cmp_eq_u32_e32 vcc_lo, 0, v14
	v_cndmask_b32_e32 v14, v16, v15, vcc_lo
	s_branch .LBB643_33
.LBB643_50:                             ;   in Loop: Header=BB643_27 Depth=1
	s_mov_b32 s17, s12
.LBB643_51:                             ;   in Loop: Header=BB643_27 Depth=1
	s_and_not1_b32 vcc_lo, exec_lo, s8
	s_cbranch_vccnz .LBB643_25
; %bb.52:                               ;   in Loop: Header=BB643_27 Depth=1
	s_lshl_b32 s4, s17, 1
	s_delay_alu instid0(SALU_CYCLE_1)
	v_add_nc_u64_e32 v[10:11], s[4:5], v[4:5]
	s_lshl_b32 s4, s17, 2
	s_mov_b32 s17, s14
	s_branch .LBB643_54
.LBB643_53:                             ;   in Loop: Header=BB643_54 Depth=2
	s_or_b32 exec_lo, exec_lo, s19
	s_delay_alu instid0(VALU_DEP_1)
	v_and_b32_e32 v2, 0xffff0000, v12
	v_add_nc_u64_e32 v[10:11], 2, v[10:11]
	s_add_co_i32 s17, s17, -1
	s_add_co_i32 s4, s4, 4
	s_cmp_lg_u32 s17, 0
	v_add_f32_e32 v1, v1, v2
	s_cbranch_scc0 .LBB643_25
.LBB643_54:                             ;   Parent Loop BB643_27 Depth=1
                                        ; =>  This Inner Loop Header: Depth=2
	global_load_u16 v2, v[10:11], off
	s_wait_loadcnt 0x0
	v_dual_mov_b32 v12, s4 :: v_dual_lshlrev_b32 v2, 16, v2
	ds_load_b32 v12, v12
	s_wait_dscnt 0x0
	v_mul_f32_e32 v2, v12, v2
	s_delay_alu instid0(VALU_DEP_1) | instskip(NEXT) | instid1(VALU_DEP_1)
	v_and_b32_e32 v12, 0x7f800000, v2
	v_cmp_ne_u32_e32 vcc_lo, 0x7f800000, v12
                                        ; implicit-def: $vgpr12
	s_wait_xcnt 0x0
	s_and_saveexec_b32 s19, vcc_lo
	s_delay_alu instid0(SALU_CYCLE_1)
	s_xor_b32 s19, exec_lo, s19
; %bb.55:                               ;   in Loop: Header=BB643_54 Depth=2
	v_bfe_u32 v12, v2, 16, 1
	s_delay_alu instid0(VALU_DEP_1)
	v_add3_u32 v12, v2, v12, 0x7fff
                                        ; implicit-def: $vgpr2
; %bb.56:                               ;   in Loop: Header=BB643_54 Depth=2
	s_and_not1_saveexec_b32 s19, s19
	s_cbranch_execz .LBB643_53
; %bb.57:                               ;   in Loop: Header=BB643_54 Depth=2
	v_and_b32_e32 v12, 0xffff, v2
	v_or_b32_e32 v13, 0x10000, v2
	s_delay_alu instid0(VALU_DEP_2) | instskip(NEXT) | instid1(VALU_DEP_2)
	v_cmp_eq_u32_e32 vcc_lo, 0, v12
	v_cndmask_b32_e32 v12, v13, v2, vcc_lo
	s_branch .LBB643_53
.LBB643_58:
	s_endpgm
	.section	.rodata,"a",@progbits
	.p2align	6, 0x0
	.amdhsa_kernel _ZL22rocblas_gemvtsm_kernelILb0ELi256E16rocblas_bfloat16ffEviiT2_lPKT1_lilS4_lilS1_lPT3_lil
		.amdhsa_group_segment_fixed_size 256
		.amdhsa_private_segment_fixed_size 0
		.amdhsa_kernarg_size 136
		.amdhsa_user_sgpr_count 2
		.amdhsa_user_sgpr_dispatch_ptr 0
		.amdhsa_user_sgpr_queue_ptr 0
		.amdhsa_user_sgpr_kernarg_segment_ptr 1
		.amdhsa_user_sgpr_dispatch_id 0
		.amdhsa_user_sgpr_kernarg_preload_length 0
		.amdhsa_user_sgpr_kernarg_preload_offset 0
		.amdhsa_user_sgpr_private_segment_size 0
		.amdhsa_wavefront_size32 1
		.amdhsa_uses_dynamic_stack 0
		.amdhsa_enable_private_segment 0
		.amdhsa_system_sgpr_workgroup_id_x 1
		.amdhsa_system_sgpr_workgroup_id_y 0
		.amdhsa_system_sgpr_workgroup_id_z 0
		.amdhsa_system_sgpr_workgroup_info 0
		.amdhsa_system_vgpr_workitem_id 0
		.amdhsa_next_free_vgpr 17
		.amdhsa_next_free_sgpr 26
		.amdhsa_named_barrier_count 0
		.amdhsa_reserve_vcc 1
		.amdhsa_float_round_mode_32 0
		.amdhsa_float_round_mode_16_64 0
		.amdhsa_float_denorm_mode_32 3
		.amdhsa_float_denorm_mode_16_64 3
		.amdhsa_fp16_overflow 0
		.amdhsa_memory_ordered 1
		.amdhsa_forward_progress 1
		.amdhsa_inst_pref_size 16
		.amdhsa_round_robin_scheduling 0
		.amdhsa_exception_fp_ieee_invalid_op 0
		.amdhsa_exception_fp_denorm_src 0
		.amdhsa_exception_fp_ieee_div_zero 0
		.amdhsa_exception_fp_ieee_overflow 0
		.amdhsa_exception_fp_ieee_underflow 0
		.amdhsa_exception_fp_ieee_inexact 0
		.amdhsa_exception_int_div_zero 0
	.end_amdhsa_kernel
	.section	.text._ZL22rocblas_gemvtsm_kernelILb0ELi256E16rocblas_bfloat16ffEviiT2_lPKT1_lilS4_lilS1_lPT3_lil,"axG",@progbits,_ZL22rocblas_gemvtsm_kernelILb0ELi256E16rocblas_bfloat16ffEviiT2_lPKT1_lilS4_lilS1_lPT3_lil,comdat
.Lfunc_end643:
	.size	_ZL22rocblas_gemvtsm_kernelILb0ELi256E16rocblas_bfloat16ffEviiT2_lPKT1_lilS4_lilS1_lPT3_lil, .Lfunc_end643-_ZL22rocblas_gemvtsm_kernelILb0ELi256E16rocblas_bfloat16ffEviiT2_lPKT1_lilS4_lilS1_lPT3_lil
                                        ; -- End function
	.set _ZL22rocblas_gemvtsm_kernelILb0ELi256E16rocblas_bfloat16ffEviiT2_lPKT1_lilS4_lilS1_lPT3_lil.num_vgpr, 17
	.set _ZL22rocblas_gemvtsm_kernelILb0ELi256E16rocblas_bfloat16ffEviiT2_lPKT1_lilS4_lilS1_lPT3_lil.num_agpr, 0
	.set _ZL22rocblas_gemvtsm_kernelILb0ELi256E16rocblas_bfloat16ffEviiT2_lPKT1_lilS4_lilS1_lPT3_lil.numbered_sgpr, 26
	.set _ZL22rocblas_gemvtsm_kernelILb0ELi256E16rocblas_bfloat16ffEviiT2_lPKT1_lilS4_lilS1_lPT3_lil.num_named_barrier, 0
	.set _ZL22rocblas_gemvtsm_kernelILb0ELi256E16rocblas_bfloat16ffEviiT2_lPKT1_lilS4_lilS1_lPT3_lil.private_seg_size, 0
	.set _ZL22rocblas_gemvtsm_kernelILb0ELi256E16rocblas_bfloat16ffEviiT2_lPKT1_lilS4_lilS1_lPT3_lil.uses_vcc, 1
	.set _ZL22rocblas_gemvtsm_kernelILb0ELi256E16rocblas_bfloat16ffEviiT2_lPKT1_lilS4_lilS1_lPT3_lil.uses_flat_scratch, 0
	.set _ZL22rocblas_gemvtsm_kernelILb0ELi256E16rocblas_bfloat16ffEviiT2_lPKT1_lilS4_lilS1_lPT3_lil.has_dyn_sized_stack, 0
	.set _ZL22rocblas_gemvtsm_kernelILb0ELi256E16rocblas_bfloat16ffEviiT2_lPKT1_lilS4_lilS1_lPT3_lil.has_recursion, 0
	.set _ZL22rocblas_gemvtsm_kernelILb0ELi256E16rocblas_bfloat16ffEviiT2_lPKT1_lilS4_lilS1_lPT3_lil.has_indirect_call, 0
	.section	.AMDGPU.csdata,"",@progbits
; Kernel info:
; codeLenInByte = 1932
; TotalNumSgprs: 28
; NumVgprs: 17
; ScratchSize: 0
; MemoryBound: 0
; FloatMode: 240
; IeeeMode: 1
; LDSByteSize: 256 bytes/workgroup (compile time only)
; SGPRBlocks: 0
; VGPRBlocks: 1
; NumSGPRsForWavesPerEU: 28
; NumVGPRsForWavesPerEU: 17
; NamedBarCnt: 0
; Occupancy: 16
; WaveLimiterHint : 1
; COMPUTE_PGM_RSRC2:SCRATCH_EN: 0
; COMPUTE_PGM_RSRC2:USER_SGPR: 2
; COMPUTE_PGM_RSRC2:TRAP_HANDLER: 0
; COMPUTE_PGM_RSRC2:TGID_X_EN: 1
; COMPUTE_PGM_RSRC2:TGID_Y_EN: 0
; COMPUTE_PGM_RSRC2:TGID_Z_EN: 0
; COMPUTE_PGM_RSRC2:TIDIG_COMP_CNT: 0
	.section	.text._ZL32rocblas_gemvt_warp_reduce_kernelILb0ELi256Ei16rocblas_bfloat16PKffEviiT3_lPKT2_lT1_lS6_lS7_lS3_lPT4_lS7_li,"axG",@progbits,_ZL32rocblas_gemvt_warp_reduce_kernelILb0ELi256Ei16rocblas_bfloat16PKffEviiT3_lPKT2_lT1_lS6_lS7_lS3_lPT4_lS7_li,comdat
	.globl	_ZL32rocblas_gemvt_warp_reduce_kernelILb0ELi256Ei16rocblas_bfloat16PKffEviiT3_lPKT2_lT1_lS6_lS7_lS3_lPT4_lS7_li ; -- Begin function _ZL32rocblas_gemvt_warp_reduce_kernelILb0ELi256Ei16rocblas_bfloat16PKffEviiT3_lPKT2_lT1_lS6_lS7_lS3_lPT4_lS7_li
	.p2align	8
	.type	_ZL32rocblas_gemvt_warp_reduce_kernelILb0ELi256Ei16rocblas_bfloat16PKffEviiT3_lPKT2_lT1_lS6_lS7_lS3_lPT4_lS7_li,@function
_ZL32rocblas_gemvt_warp_reduce_kernelILb0ELi256Ei16rocblas_bfloat16PKffEviiT3_lPKT2_lT1_lS6_lS7_lS3_lPT4_lS7_li: ; @_ZL32rocblas_gemvt_warp_reduce_kernelILb0ELi256Ei16rocblas_bfloat16PKffEviiT3_lPKT2_lT1_lS6_lS7_lS3_lPT4_lS7_li
; %bb.0:
	s_load_b32 s33, s[0:1], 0x88
	s_bfe_u32 s2, ttmp6, 0x40014
	s_lshr_b32 s3, ttmp7, 16
	s_add_co_i32 s2, s2, 1
	s_bfe_u32 s5, ttmp6, 0x40008
	s_mul_i32 s4, s3, s2
	s_getreg_b32 s2, hwreg(HW_REG_IB_STS2, 6, 4)
	s_add_co_i32 s5, s5, s4
	s_cmp_eq_u32 s2, 0
	s_mov_b32 s35, 0
	s_cselect_b32 s34, s3, s5
	s_wait_kmcnt 0x0
	s_cmp_ge_u32 s34, s33
	s_cbranch_scc1 .LBB644_42
; %bb.1:
	s_clause 0x7
	s_load_b96 s[4:6], s[0:1], 0x40
	s_load_b96 s[28:30], s[0:1], 0x70
	s_load_b256 s[8:15], s[0:1], 0x8
	s_load_b32 s7, s[0:1], 0x0
	s_load_b32 s3, s[0:1], 0x28
	s_load_b128 s[24:27], s[0:1], 0x30
	s_load_b256 s[16:23], s[0:1], 0x50
	s_load_b64 s[36:37], s[0:1], 0x80
	s_wait_xcnt 0x0
	s_bfe_u32 s1, ttmp6, 0x4000c
	s_and_b32 s31, ttmp6, 15
	s_add_co_i32 s1, s1, 1
	v_dual_mov_b32 v3, 0 :: v_dual_bitop2_b32 v2, 31, v0 bitop3:0x40
	s_mul_i32 s1, ttmp9, s1
	v_lshrrev_b32_e32 v8, 3, v0
	s_add_co_i32 s31, s31, s1
	v_mbcnt_lo_u32_b32 v13, -1, 0
	v_lshlrev_b32_e32 v1, 2, v2
	v_cmp_eq_u32_e64 s0, 0, v0
	v_and_b32_e32 v14, 28, v8
	s_wait_kmcnt 0x0
	s_lshl_b64 s[4:5], s[4:5], 1
	s_lshl_b64 s[28:29], s[28:29], 2
	;; [unrolled: 1-line block ×3, first 2 shown]
	s_cmp_eq_u32 s2, 0
	v_cmp_gt_i32_e32 vcc_lo, s7, v0
	s_cselect_b32 s15, ttmp9, s31
	s_ashr_i32 s2, s7, 31
	s_add_nc_u64 s[26:27], s[26:27], s[4:5]
	s_lshr_b32 s2, s2, 24
	s_add_nc_u64 s[4:5], s[12:13], s[38:39]
	s_add_co_i32 s2, s7, s2
	s_add_nc_u64 s[22:23], s[22:23], s[28:29]
	s_and_b32 s14, s2, 0xffffff00
	s_delay_alu instid0(SALU_CYCLE_1)
	v_dual_cndmask_b32 v4, 0, v0, vcc_lo :: v_dual_bitop2_b32 v5, s14, v0 bitop3:0x54
	v_cmp_eq_u32_e64 s2, 0, v2
	s_mul_i32 s28, s30, s15
	s_mul_i32 s30, s3, s15
	v_lshlrev_b32_e32 v2, 1, v4
	v_mul_lo_u32 v4, s6, v5
	s_ashr_i32 s31, s30, 31
	v_mul_lo_u32 v12, v0, s6
	s_lshl_b64 s[30:31], s[30:31], 1
	v_add_nc_u64_e32 v[6:7], s[4:5], v[2:3]
	v_cmp_gt_i32_e64 s4, s7, v5
	v_cmp_gt_u32_e64 s1, 32, v0
	v_cmp_gt_i32_e64 s3, s14, v0
	v_cmp_gt_u32_e64 s5, 8, v0
	s_ashr_i32 s29, s28, 31
	s_ashr_i32 s15, s14, 31
	v_add_nc_u64_e32 v[6:7], s[30:31], v[6:7]
	s_add_nc_u64 s[30:31], s[38:39], s[30:31]
	v_ashrrev_i32_e32 v5, 31, v4
	s_add_nc_u64 s[12:13], s[12:13], s[30:31]
	s_lshl_b32 s38, s6, 8
	v_add_nc_u64_e32 v[8:9], s[12:13], v[2:3]
	v_lshl_or_b32 v2, v13, 2, 64
	s_lshl_b64 s[12:13], s[24:25], 1
	s_lshl_b64 s[28:29], s[28:29], 2
	s_branch .LBB644_4
.LBB644_2:                              ;   in Loop: Header=BB644_4 Depth=1
	s_wait_xcnt 0x0
	s_or_b32 exec_lo, exec_lo, s30
.LBB644_3:                              ;   in Loop: Header=BB644_4 Depth=1
	s_add_co_i32 s34, s34, 0x10000
	s_delay_alu instid0(SALU_CYCLE_1)
	s_cmp_lt_u32 s34, s33
	s_cbranch_scc0 .LBB644_42
.LBB644_4:                              ; =>This Loop Header: Depth=1
                                        ;     Child Loop BB644_24 Depth 2
	s_mul_u64 s[6:7], s[10:11], s[34:35]
	s_wait_xcnt 0x0
	s_mul_u64 s[30:31], s[20:21], s[34:35]
	s_lshl_b64 s[6:7], s[6:7], 2
	s_lshl_b64 s[30:31], s[30:31], 2
	s_add_nc_u64 s[6:7], s[8:9], s[6:7]
	s_add_nc_u64 s[30:31], s[18:19], s[30:31]
	s_clause 0x1
	global_load_b32 v15, v3, s[6:7]
	global_load_b32 v10, v3, s[30:31]
	s_wait_loadcnt 0x1
	v_cmp_eq_f32_e32 vcc_lo, 0, v15
	s_wait_loadcnt 0x0
	s_wait_xcnt 0x1
	v_cmp_eq_f32_e64 s6, 1.0, v10
	v_readfirstlane_b32 s39, v10
	s_and_b32 s6, vcc_lo, s6
	s_delay_alu instid0(SALU_CYCLE_1)
	s_and_b32 vcc_lo, exec_lo, s6
	s_cbranch_vccnz .LBB644_3
; %bb.5:                                ;   in Loop: Header=BB644_4 Depth=1
	v_cmp_neq_f32_e32 vcc_lo, 0, v15
	s_mul_u64 s[6:7], s[36:37], s[34:35]
	s_delay_alu instid0(SALU_CYCLE_1) | instskip(NEXT) | instid1(SALU_CYCLE_1)
	s_lshl_b64 s[6:7], s[6:7], 2
	s_add_nc_u64 s[6:7], s[22:23], s[6:7]
	s_cbranch_vccnz .LBB644_9
; %bb.6:                                ;   in Loop: Header=BB644_4 Depth=1
	s_wait_xcnt 0x0
	s_mov_b32 s30, 0
	s_mov_b32 s40, 0
                                        ; implicit-def: $vgpr10
	s_and_saveexec_b32 s31, s0
	s_cbranch_execz .LBB644_10
; %bb.7:                                ;   in Loop: Header=BB644_4 Depth=1
	s_cmp_eq_f32 s39, 0
	s_cbranch_scc1 .LBB644_11
; %bb.8:                                ;   in Loop: Header=BB644_4 Depth=1
	s_add_nc_u64 s[40:41], s[6:7], s[28:29]
	global_load_b32 v10, v3, s[40:41]
	s_wait_loadcnt 0x0
	v_mul_f32_e32 v10, s39, v10
	s_branch .LBB644_12
.LBB644_9:                              ;   in Loop: Header=BB644_4 Depth=1
	s_wait_xcnt 0x0
	s_mov_b32 s40, 0
                                        ; implicit-def: $vgpr10
	s_cbranch_execnz .LBB644_13
	s_branch .LBB644_34
.LBB644_10:                             ;   in Loop: Header=BB644_4 Depth=1
	s_or_b32 exec_lo, exec_lo, s31
	s_delay_alu instid0(SALU_CYCLE_1)
	s_and_b32 vcc_lo, exec_lo, s30
	s_cbranch_vccnz .LBB644_13
	s_branch .LBB644_34
.LBB644_11:                             ;   in Loop: Header=BB644_4 Depth=1
	v_mov_b32_e32 v10, 0
.LBB644_12:                             ;   in Loop: Header=BB644_4 Depth=1
	s_wait_xcnt 0x0
	s_mov_b32 s40, exec_lo
	s_or_b32 exec_lo, exec_lo, s31
	s_delay_alu instid0(SALU_CYCLE_1)
	s_and_b32 vcc_lo, exec_lo, s30
	s_cbranch_vccz .LBB644_34
.LBB644_13:                             ;   in Loop: Header=BB644_4 Depth=1
	s_mul_u64 s[30:31], s[16:17], s[34:35]
	v_mov_b32_e32 v16, 0
	s_lshl_b64 s[30:31], s[30:31], 1
	s_delay_alu instid0(SALU_CYCLE_1)
	s_add_nc_u64 s[30:31], s[26:27], s[30:31]
	s_and_saveexec_b32 s41, s3
	s_cbranch_execnz .LBB644_22
; %bb.14:                               ;   in Loop: Header=BB644_4 Depth=1
	s_or_b32 exec_lo, exec_lo, s41
	s_and_saveexec_b32 s41, s4
	s_cbranch_execnz .LBB644_37
.LBB644_15:                             ;   in Loop: Header=BB644_4 Depth=1
	s_or_b32 exec_lo, exec_lo, s41
	s_and_saveexec_b32 s30, s1
.LBB644_16:                             ;   in Loop: Header=BB644_4 Depth=1
	ds_store_b32 v1, v3
.LBB644_17:                             ;   in Loop: Header=BB644_4 Depth=1
	s_or_b32 exec_lo, exec_lo, s30
	ds_bpermute_b32 v10, v2, v16
	v_cmp_gt_u32_e32 vcc_lo, 24, v13
	s_wait_dscnt 0x0
	s_barrier_signal -1
	s_barrier_wait -1
	v_cndmask_b32_e64 v11, 0, 8, vcc_lo
	v_cmp_gt_u32_e32 vcc_lo, 28, v13
	s_delay_alu instid0(VALU_DEP_2)
	v_add_lshl_u32 v11, v11, v13, 2
	v_add_f32_e32 v16, v16, v10
	v_cndmask_b32_e64 v10, 0, 4, vcc_lo
	v_cmp_gt_u32_e32 vcc_lo, 30, v13
	ds_bpermute_b32 v11, v11, v16
	v_add_lshl_u32 v10, v10, v13, 2
	s_wait_dscnt 0x0
	v_add_f32_e32 v16, v16, v11
	v_cndmask_b32_e64 v11, 0, 2, vcc_lo
	v_cmp_ne_u32_e32 vcc_lo, 31, v13
	ds_bpermute_b32 v17, v10, v16
	v_add_lshl_u32 v11, v11, v13, 2
	v_add_co_ci_u32_e64 v18, null, 0, v13, vcc_lo
	s_wait_dscnt 0x0
	v_add_f32_e32 v16, v16, v17
	ds_bpermute_b32 v17, v11, v16
	s_wait_dscnt 0x0
	v_dual_add_f32 v17, v16, v17 :: v_dual_lshlrev_b32 v16, 2, v18
	ds_bpermute_b32 v18, v16, v17
	s_and_saveexec_b32 s30, s2
	s_cbranch_execz .LBB644_19
; %bb.18:                               ;   in Loop: Header=BB644_4 Depth=1
	s_wait_dscnt 0x0
	v_add_f32_e32 v17, v17, v18
	ds_store_b32 v14, v17
.LBB644_19:                             ;   in Loop: Header=BB644_4 Depth=1
	s_or_b32 exec_lo, exec_lo, s30
	v_mov_b32_e32 v17, 0
	s_wait_dscnt 0x0
	s_barrier_signal -1
	s_barrier_wait -1
	s_and_saveexec_b32 s30, s5
	s_cbranch_execnz .LBB644_28
; %bb.20:                               ;   in Loop: Header=BB644_4 Depth=1
	s_or_b32 exec_lo, exec_lo, s30
	s_and_saveexec_b32 s30, s1
	s_cbranch_execnz .LBB644_29
.LBB644_21:                             ;   in Loop: Header=BB644_4 Depth=1
	s_or_b32 exec_lo, exec_lo, s30
                                        ; implicit-def: $vgpr10
	s_and_saveexec_b32 s30, s0
	s_cbranch_execnz .LBB644_30
	s_branch .LBB644_33
.LBB644_22:                             ;   in Loop: Header=BB644_4 Depth=1
	v_mad_nc_u64_u32 v[10:11], s12, s34, v[8:9]
	s_wait_dscnt 0x0
	v_dual_mov_b32 v16, 0 :: v_dual_mov_b32 v17, v12
	v_mov_b32_e32 v18, v0
	s_mov_b32 s42, 0
	s_delay_alu instid0(VALU_DEP_3)
	v_mad_u32 v11, s13, s34, v11
	s_branch .LBB644_24
.LBB644_23:                             ;   in Loop: Header=BB644_24 Depth=2
	s_or_b32 exec_lo, exec_lo, s43
	v_add_nc_u32_e32 v18, 0x100, v18
	s_delay_alu instid0(VALU_DEP_2) | instskip(SKIP_2) | instid1(VALU_DEP_4)
	v_and_b32_e32 v19, 0xffff0000, v20
	v_add_nc_u64_e32 v[10:11], 0x200, v[10:11]
	v_add_nc_u32_e32 v17, s38, v17
	v_cmp_le_i32_e32 vcc_lo, s14, v18
	s_delay_alu instid0(VALU_DEP_4) | instskip(SKIP_1) | instid1(SALU_CYCLE_1)
	v_add_f32_e32 v16, v16, v19
	s_or_b32 s42, vcc_lo, s42
	s_and_not1_b32 exec_lo, exec_lo, s42
	s_cbranch_execz .LBB644_36
.LBB644_24:                             ;   Parent Loop BB644_4 Depth=1
                                        ; =>  This Inner Loop Header: Depth=2
	global_load_u16 v19, v[10:11], off
	global_load_u16 v20, v17, s[30:31] scale_offset
	s_wait_loadcnt 0x0
	v_dual_lshlrev_b32 v19, 16, v19 :: v_dual_lshlrev_b32 v20, 16, v20
	s_delay_alu instid0(VALU_DEP_1) | instskip(NEXT) | instid1(VALU_DEP_1)
	v_mul_f32_e32 v19, v20, v19
	v_and_b32_e32 v20, 0x7f800000, v19
	s_delay_alu instid0(VALU_DEP_1) | instskip(SKIP_2) | instid1(SALU_CYCLE_1)
	v_cmp_ne_u32_e32 vcc_lo, 0x7f800000, v20
                                        ; implicit-def: $vgpr20
	s_wait_xcnt 0x0
	s_and_saveexec_b32 s43, vcc_lo
	s_xor_b32 s43, exec_lo, s43
; %bb.25:                               ;   in Loop: Header=BB644_24 Depth=2
	v_bfe_u32 v20, v19, 16, 1
	s_delay_alu instid0(VALU_DEP_1)
	v_add3_u32 v20, v19, v20, 0x7fff
                                        ; implicit-def: $vgpr19
; %bb.26:                               ;   in Loop: Header=BB644_24 Depth=2
	s_and_not1_saveexec_b32 s43, s43
	s_cbranch_execz .LBB644_23
; %bb.27:                               ;   in Loop: Header=BB644_24 Depth=2
	v_and_b32_e32 v20, 0xffff, v19
	v_or_b32_e32 v21, 0x10000, v19
	s_delay_alu instid0(VALU_DEP_2) | instskip(NEXT) | instid1(VALU_DEP_2)
	v_cmp_eq_u32_e32 vcc_lo, 0, v20
	v_cndmask_b32_e32 v20, v21, v19, vcc_lo
	s_branch .LBB644_23
.LBB644_28:                             ;   in Loop: Header=BB644_4 Depth=1
	ds_load_b32 v17, v1
	s_or_b32 exec_lo, exec_lo, s30
	s_and_saveexec_b32 s30, s1
	s_cbranch_execz .LBB644_21
.LBB644_29:                             ;   in Loop: Header=BB644_4 Depth=1
	s_wait_dscnt 0x0
	ds_bpermute_b32 v10, v10, v17
	s_wait_dscnt 0x0
	v_add_f32_e32 v10, v17, v10
	ds_bpermute_b32 v11, v11, v10
	s_wait_dscnt 0x0
	v_add_f32_e32 v10, v10, v11
	;; [unrolled: 3-line block ×3, first 2 shown]
	s_or_b32 exec_lo, exec_lo, s30
                                        ; implicit-def: $vgpr10
	s_and_saveexec_b32 s30, s0
	s_cbranch_execz .LBB644_33
.LBB644_30:                             ;   in Loop: Header=BB644_4 Depth=1
	s_wait_dscnt 0x0
	v_mul_f32_e32 v10, v15, v17
	s_cmp_eq_f32 s39, 0
	s_cbranch_scc1 .LBB644_32
; %bb.31:                               ;   in Loop: Header=BB644_4 Depth=1
	s_add_nc_u64 s[42:43], s[6:7], s[28:29]
	global_load_b32 v11, v3, s[42:43]
	s_wait_loadcnt 0x0
	v_fmac_f32_e32 v10, s39, v11
.LBB644_32:                             ;   in Loop: Header=BB644_4 Depth=1
	s_or_b32 s40, s40, exec_lo
.LBB644_33:                             ;   in Loop: Header=BB644_4 Depth=1
	s_wait_xcnt 0x0
	s_or_b32 exec_lo, exec_lo, s30
.LBB644_34:                             ;   in Loop: Header=BB644_4 Depth=1
	s_and_saveexec_b32 s30, s40
	s_cbranch_execz .LBB644_2
; %bb.35:                               ;   in Loop: Header=BB644_4 Depth=1
	s_add_nc_u64 s[6:7], s[6:7], s[28:29]
	global_store_b32 v3, v10, s[6:7]
	s_branch .LBB644_2
.LBB644_36:                             ;   in Loop: Header=BB644_4 Depth=1
	s_or_b32 exec_lo, exec_lo, s42
	s_delay_alu instid0(SALU_CYCLE_1)
	s_or_b32 exec_lo, exec_lo, s41
	s_and_saveexec_b32 s41, s4
	s_cbranch_execz .LBB644_15
.LBB644_37:                             ;   in Loop: Header=BB644_4 Depth=1
	s_mul_u64 s[42:43], s[24:25], s[34:35]
	v_lshl_add_u64 v[18:19], v[4:5], 1, s[30:31]
	v_lshl_add_u64 v[10:11], s[42:43], 1, v[6:7]
	s_delay_alu instid0(VALU_DEP_1)
	v_lshl_add_u64 v[10:11], s[14:15], 1, v[10:11]
	s_wait_dscnt 0x0
	global_load_u16 v17, v[18:19], off
	global_load_u16 v20, v[10:11], off
	s_wait_loadcnt 0x0
	s_wait_xcnt 0x0
	v_dual_lshlrev_b32 v10, 16, v17 :: v_dual_lshlrev_b32 v11, 16, v20
	s_delay_alu instid0(VALU_DEP_1) | instskip(NEXT) | instid1(VALU_DEP_1)
	v_mul_f32_e32 v10, v10, v11
	v_and_b32_e32 v11, 0x7f800000, v10
	s_delay_alu instid0(VALU_DEP_1) | instskip(SKIP_1) | instid1(SALU_CYCLE_1)
	v_cmp_ne_u32_e32 vcc_lo, 0x7f800000, v11
                                        ; implicit-def: $vgpr11
	s_and_saveexec_b32 s30, vcc_lo
	s_xor_b32 s30, exec_lo, s30
; %bb.38:                               ;   in Loop: Header=BB644_4 Depth=1
	v_bfe_u32 v11, v10, 16, 1
	s_delay_alu instid0(VALU_DEP_1)
	v_add3_u32 v11, v10, v11, 0x7fff
                                        ; implicit-def: $vgpr10
; %bb.39:                               ;   in Loop: Header=BB644_4 Depth=1
	s_and_not1_saveexec_b32 s30, s30
; %bb.40:                               ;   in Loop: Header=BB644_4 Depth=1
	v_and_b32_e32 v11, 0xffff, v10
	v_or_b32_e32 v17, 0x10000, v10
	s_delay_alu instid0(VALU_DEP_2) | instskip(NEXT) | instid1(VALU_DEP_2)
	v_cmp_eq_u32_e32 vcc_lo, 0, v11
	v_cndmask_b32_e32 v11, v17, v10, vcc_lo
; %bb.41:                               ;   in Loop: Header=BB644_4 Depth=1
	s_or_b32 exec_lo, exec_lo, s30
	s_delay_alu instid0(VALU_DEP_1) | instskip(NEXT) | instid1(VALU_DEP_1)
	v_and_b32_e32 v10, 0xffff0000, v11
	v_add_f32_e32 v16, v16, v10
	s_or_b32 exec_lo, exec_lo, s41
	s_and_saveexec_b32 s30, s1
	s_cbranch_execnz .LBB644_16
	s_branch .LBB644_17
.LBB644_42:
	s_endpgm
	.section	.rodata,"a",@progbits
	.p2align	6, 0x0
	.amdhsa_kernel _ZL32rocblas_gemvt_warp_reduce_kernelILb0ELi256Ei16rocblas_bfloat16PKffEviiT3_lPKT2_lT1_lS6_lS7_lS3_lPT4_lS7_li
		.amdhsa_group_segment_fixed_size 128
		.amdhsa_private_segment_fixed_size 0
		.amdhsa_kernarg_size 140
		.amdhsa_user_sgpr_count 2
		.amdhsa_user_sgpr_dispatch_ptr 0
		.amdhsa_user_sgpr_queue_ptr 0
		.amdhsa_user_sgpr_kernarg_segment_ptr 1
		.amdhsa_user_sgpr_dispatch_id 0
		.amdhsa_user_sgpr_kernarg_preload_length 0
		.amdhsa_user_sgpr_kernarg_preload_offset 0
		.amdhsa_user_sgpr_private_segment_size 0
		.amdhsa_wavefront_size32 1
		.amdhsa_uses_dynamic_stack 0
		.amdhsa_enable_private_segment 0
		.amdhsa_system_sgpr_workgroup_id_x 1
		.amdhsa_system_sgpr_workgroup_id_y 0
		.amdhsa_system_sgpr_workgroup_id_z 1
		.amdhsa_system_sgpr_workgroup_info 0
		.amdhsa_system_vgpr_workitem_id 0
		.amdhsa_next_free_vgpr 22
		.amdhsa_next_free_sgpr 44
		.amdhsa_named_barrier_count 0
		.amdhsa_reserve_vcc 1
		.amdhsa_float_round_mode_32 0
		.amdhsa_float_round_mode_16_64 0
		.amdhsa_float_denorm_mode_32 3
		.amdhsa_float_denorm_mode_16_64 3
		.amdhsa_fp16_overflow 0
		.amdhsa_memory_ordered 1
		.amdhsa_forward_progress 1
		.amdhsa_inst_pref_size 13
		.amdhsa_round_robin_scheduling 0
		.amdhsa_exception_fp_ieee_invalid_op 0
		.amdhsa_exception_fp_denorm_src 0
		.amdhsa_exception_fp_ieee_div_zero 0
		.amdhsa_exception_fp_ieee_overflow 0
		.amdhsa_exception_fp_ieee_underflow 0
		.amdhsa_exception_fp_ieee_inexact 0
		.amdhsa_exception_int_div_zero 0
	.end_amdhsa_kernel
	.section	.text._ZL32rocblas_gemvt_warp_reduce_kernelILb0ELi256Ei16rocblas_bfloat16PKffEviiT3_lPKT2_lT1_lS6_lS7_lS3_lPT4_lS7_li,"axG",@progbits,_ZL32rocblas_gemvt_warp_reduce_kernelILb0ELi256Ei16rocblas_bfloat16PKffEviiT3_lPKT2_lT1_lS6_lS7_lS3_lPT4_lS7_li,comdat
.Lfunc_end644:
	.size	_ZL32rocblas_gemvt_warp_reduce_kernelILb0ELi256Ei16rocblas_bfloat16PKffEviiT3_lPKT2_lT1_lS6_lS7_lS3_lPT4_lS7_li, .Lfunc_end644-_ZL32rocblas_gemvt_warp_reduce_kernelILb0ELi256Ei16rocblas_bfloat16PKffEviiT3_lPKT2_lT1_lS6_lS7_lS3_lPT4_lS7_li
                                        ; -- End function
	.set _ZL32rocblas_gemvt_warp_reduce_kernelILb0ELi256Ei16rocblas_bfloat16PKffEviiT3_lPKT2_lT1_lS6_lS7_lS3_lPT4_lS7_li.num_vgpr, 22
	.set _ZL32rocblas_gemvt_warp_reduce_kernelILb0ELi256Ei16rocblas_bfloat16PKffEviiT3_lPKT2_lT1_lS6_lS7_lS3_lPT4_lS7_li.num_agpr, 0
	.set _ZL32rocblas_gemvt_warp_reduce_kernelILb0ELi256Ei16rocblas_bfloat16PKffEviiT3_lPKT2_lT1_lS6_lS7_lS3_lPT4_lS7_li.numbered_sgpr, 44
	.set _ZL32rocblas_gemvt_warp_reduce_kernelILb0ELi256Ei16rocblas_bfloat16PKffEviiT3_lPKT2_lT1_lS6_lS7_lS3_lPT4_lS7_li.num_named_barrier, 0
	.set _ZL32rocblas_gemvt_warp_reduce_kernelILb0ELi256Ei16rocblas_bfloat16PKffEviiT3_lPKT2_lT1_lS6_lS7_lS3_lPT4_lS7_li.private_seg_size, 0
	.set _ZL32rocblas_gemvt_warp_reduce_kernelILb0ELi256Ei16rocblas_bfloat16PKffEviiT3_lPKT2_lT1_lS6_lS7_lS3_lPT4_lS7_li.uses_vcc, 1
	.set _ZL32rocblas_gemvt_warp_reduce_kernelILb0ELi256Ei16rocblas_bfloat16PKffEviiT3_lPKT2_lT1_lS6_lS7_lS3_lPT4_lS7_li.uses_flat_scratch, 0
	.set _ZL32rocblas_gemvt_warp_reduce_kernelILb0ELi256Ei16rocblas_bfloat16PKffEviiT3_lPKT2_lT1_lS6_lS7_lS3_lPT4_lS7_li.has_dyn_sized_stack, 0
	.set _ZL32rocblas_gemvt_warp_reduce_kernelILb0ELi256Ei16rocblas_bfloat16PKffEviiT3_lPKT2_lT1_lS6_lS7_lS3_lPT4_lS7_li.has_recursion, 0
	.set _ZL32rocblas_gemvt_warp_reduce_kernelILb0ELi256Ei16rocblas_bfloat16PKffEviiT3_lPKT2_lT1_lS6_lS7_lS3_lPT4_lS7_li.has_indirect_call, 0
	.section	.AMDGPU.csdata,"",@progbits
; Kernel info:
; codeLenInByte = 1628
; TotalNumSgprs: 46
; NumVgprs: 22
; ScratchSize: 0
; MemoryBound: 0
; FloatMode: 240
; IeeeMode: 1
; LDSByteSize: 128 bytes/workgroup (compile time only)
; SGPRBlocks: 0
; VGPRBlocks: 1
; NumSGPRsForWavesPerEU: 46
; NumVGPRsForWavesPerEU: 22
; NamedBarCnt: 0
; Occupancy: 16
; WaveLimiterHint : 0
; COMPUTE_PGM_RSRC2:SCRATCH_EN: 0
; COMPUTE_PGM_RSRC2:USER_SGPR: 2
; COMPUTE_PGM_RSRC2:TRAP_HANDLER: 0
; COMPUTE_PGM_RSRC2:TGID_X_EN: 1
; COMPUTE_PGM_RSRC2:TGID_Y_EN: 0
; COMPUTE_PGM_RSRC2:TGID_Z_EN: 1
; COMPUTE_PGM_RSRC2:TIDIG_COMP_CNT: 0
	.section	.text._ZL32rocblas_gemvt_warp_reduce_kernelILb0ELi256El16rocblas_bfloat16PKffEviiT3_lPKT2_lT1_lS6_lS7_lS3_lPT4_lS7_li,"axG",@progbits,_ZL32rocblas_gemvt_warp_reduce_kernelILb0ELi256El16rocblas_bfloat16PKffEviiT3_lPKT2_lT1_lS6_lS7_lS3_lPT4_lS7_li,comdat
	.globl	_ZL32rocblas_gemvt_warp_reduce_kernelILb0ELi256El16rocblas_bfloat16PKffEviiT3_lPKT2_lT1_lS6_lS7_lS3_lPT4_lS7_li ; -- Begin function _ZL32rocblas_gemvt_warp_reduce_kernelILb0ELi256El16rocblas_bfloat16PKffEviiT3_lPKT2_lT1_lS6_lS7_lS3_lPT4_lS7_li
	.p2align	8
	.type	_ZL32rocblas_gemvt_warp_reduce_kernelILb0ELi256El16rocblas_bfloat16PKffEviiT3_lPKT2_lT1_lS6_lS7_lS3_lPT4_lS7_li,@function
_ZL32rocblas_gemvt_warp_reduce_kernelILb0ELi256El16rocblas_bfloat16PKffEviiT3_lPKT2_lT1_lS6_lS7_lS3_lPT4_lS7_li: ; @_ZL32rocblas_gemvt_warp_reduce_kernelILb0ELi256El16rocblas_bfloat16PKffEviiT3_lPKT2_lT1_lS6_lS7_lS3_lPT4_lS7_li
; %bb.0:
	s_load_b32 s30, s[0:1], 0x88
	s_bfe_u32 s2, ttmp6, 0x40014
	s_lshr_b32 s3, ttmp7, 16
	s_add_co_i32 s2, s2, 1
	s_bfe_u32 s5, ttmp6, 0x40008
	s_mul_i32 s4, s3, s2
	s_getreg_b32 s2, hwreg(HW_REG_IB_STS2, 6, 4)
	s_add_co_i32 s5, s5, s4
	s_cmp_eq_u32 s2, 0
	s_mov_b32 s25, 0
	s_cselect_b32 s24, s3, s5
	s_wait_kmcnt 0x0
	s_cmp_ge_u32 s24, s30
	s_cbranch_scc1 .LBB645_42
; %bb.1:
	s_clause 0x2
	s_load_b512 s[8:23], s[0:1], 0x8
	s_load_b512 s[36:51], s[0:1], 0x48
	s_load_b32 s26, s[0:1], 0x0
	s_wait_xcnt 0x0
	s_bfe_u32 s0, ttmp6, 0x4000c
	s_and_b32 s1, ttmp6, 15
	s_add_co_i32 s0, s0, 1
	v_mbcnt_lo_u32_b32 v17, -1, 0
	s_mul_i32 s0, ttmp9, s0
	s_delay_alu instid0(SALU_CYCLE_1)
	s_add_co_i32 s3, s1, s0
	s_wait_kmcnt 0x0
	s_lshl_b64 s[0:1], s[22:23], 1
	s_lshl_b64 s[4:5], s[46:47], 2
	s_lshl_b64 s[6:7], s[14:15], 1
	s_cmp_eq_u32 s2, 0
	v_cmp_gt_i32_e32 vcc_lo, s26, v0
	s_cselect_b32 s2, ttmp9, s3
	s_ashr_i32 s3, s26, 31
	s_add_nc_u64 s[22:23], s[12:13], s[6:7]
	s_lshr_b32 s3, s3, 24
	s_add_nc_u64 s[20:21], s[20:21], s[0:1]
	s_add_co_i32 s3, s26, s3
	v_cmp_eq_u32_e64 s0, 0, v0
	s_and_b32 s14, s3, 0xffffff00
	s_delay_alu instid0(SALU_CYCLE_1) | instskip(SKIP_3) | instid1(VALU_DEP_3)
	v_dual_mov_b32 v3, 0 :: v_dual_bitop2_b32 v8, s14, v0 bitop3:0x54
	v_cndmask_b32_e32 v2, 0, v0, vcc_lo
	s_ashr_i32 s3, s2, 31
	v_cmp_gt_i32_e64 s1, s14, v0
	v_dual_mov_b32 v1, v3 :: v_dual_ashrrev_i32 v9, 31, v8
	s_delay_alu instid0(VALU_DEP_3) | instskip(SKIP_2) | instid1(VALU_DEP_2)
	v_lshlrev_b32_e32 v2, 1, v2
	s_mul_u64 s[28:29], s[48:49], s[2:3]
	s_ashr_i32 s15, s14, 31
	v_mul_u64_e32 v[10:11], s[36:37], v[0:1]
	v_mul_u64_e32 v[4:5], s[36:37], v[8:9]
	v_add_nc_u64_e32 v[6:7], s[22:23], v[2:3]
	s_add_nc_u64 s[22:23], s[44:45], s[4:5]
	s_mul_u64 s[4:5], s[16:17], s[2:3]
	v_and_b32_e32 v9, 31, v0
	s_lshl_b64 s[16:17], s[4:5], 1
	v_cmp_gt_i32_e64 s2, s26, v8
	v_lshrrev_b32_e32 v8, 3, v0
	s_add_nc_u64 s[6:7], s[16:17], s[6:7]
	v_add_nc_u64_e32 v[6:7], s[16:17], v[6:7]
	s_add_nc_u64 s[6:7], s[12:13], s[6:7]
	s_delay_alu instid0(VALU_DEP_2)
	v_dual_lshlrev_b32 v1, 2, v9 :: v_dual_bitop2_b32 v16, 28, v8 bitop3:0x40
	v_cmp_eq_u32_e64 s4, 0, v9
	v_add_nc_u64_e32 v[8:9], s[6:7], v[2:3]
	v_cmp_gt_u32_e64 s3, 32, v0
	v_cmp_gt_u32_e64 s5, 8, v0
	v_lshl_or_b32 v2, v17, 2, 64
	s_lshl_b64 s[12:13], s[18:19], 1
	s_lshl_b64 s[16:17], s[38:39], 1
	;; [unrolled: 1-line block ×4, first 2 shown]
	v_lshl_add_u64 v[10:11], v[10:11], 1, s[20:21]
	s_branch .LBB645_4
.LBB645_2:                              ;   in Loop: Header=BB645_4 Depth=1
	s_wait_xcnt 0x0
	s_or_b32 exec_lo, exec_lo, s31
.LBB645_3:                              ;   in Loop: Header=BB645_4 Depth=1
	s_add_co_i32 s24, s24, 0x10000
	s_delay_alu instid0(SALU_CYCLE_1)
	s_cmp_lt_u32 s24, s30
	s_cbranch_scc0 .LBB645_42
.LBB645_4:                              ; =>This Loop Header: Depth=1
                                        ;     Child Loop BB645_24 Depth 2
	s_mul_u64 s[6:7], s[10:11], s[24:25]
	s_wait_xcnt 0x0
	s_mul_u64 s[34:35], s[42:43], s[24:25]
	s_lshl_b64 s[6:7], s[6:7], 2
	s_lshl_b64 s[34:35], s[34:35], 2
	s_add_nc_u64 s[6:7], s[8:9], s[6:7]
	s_add_nc_u64 s[34:35], s[40:41], s[34:35]
	s_clause 0x1
	global_load_b32 v18, v3, s[6:7]
	global_load_b32 v12, v3, s[34:35]
	s_wait_loadcnt 0x1
	v_cmp_eq_f32_e32 vcc_lo, 0, v18
	s_wait_loadcnt 0x0
	s_wait_xcnt 0x1
	v_cmp_eq_f32_e64 s6, 1.0, v12
	v_readfirstlane_b32 s31, v12
	s_and_b32 s6, vcc_lo, s6
	s_delay_alu instid0(SALU_CYCLE_1)
	s_and_b32 vcc_lo, exec_lo, s6
	s_cbranch_vccnz .LBB645_3
; %bb.5:                                ;   in Loop: Header=BB645_4 Depth=1
	v_cmp_neq_f32_e32 vcc_lo, 0, v18
	s_mul_u64 s[6:7], s[50:51], s[24:25]
	s_delay_alu instid0(SALU_CYCLE_1) | instskip(NEXT) | instid1(SALU_CYCLE_1)
	s_lshl_b64 s[6:7], s[6:7], 2
	s_add_nc_u64 s[6:7], s[22:23], s[6:7]
	s_cbranch_vccnz .LBB645_9
; %bb.6:                                ;   in Loop: Header=BB645_4 Depth=1
	s_wait_xcnt 0x0
	s_mov_b32 s34, 0
	s_mov_b32 s33, 0
                                        ; implicit-def: $vgpr12
	s_and_saveexec_b32 s35, s0
	s_cbranch_execz .LBB645_10
; %bb.7:                                ;   in Loop: Header=BB645_4 Depth=1
	s_cmp_eq_f32 s31, 0
	s_cbranch_scc1 .LBB645_11
; %bb.8:                                ;   in Loop: Header=BB645_4 Depth=1
	s_add_nc_u64 s[36:37], s[6:7], s[28:29]
	global_load_b32 v12, v3, s[36:37]
	s_wait_loadcnt 0x0
	v_mul_f32_e32 v12, s31, v12
	s_branch .LBB645_12
.LBB645_9:                              ;   in Loop: Header=BB645_4 Depth=1
	s_wait_xcnt 0x0
	s_mov_b32 s33, 0
                                        ; implicit-def: $vgpr12
	s_cbranch_execnz .LBB645_13
	s_branch .LBB645_34
.LBB645_10:                             ;   in Loop: Header=BB645_4 Depth=1
	s_or_b32 exec_lo, exec_lo, s35
	s_delay_alu instid0(SALU_CYCLE_1)
	s_and_b32 vcc_lo, exec_lo, s34
	s_cbranch_vccnz .LBB645_13
	s_branch .LBB645_34
.LBB645_11:                             ;   in Loop: Header=BB645_4 Depth=1
	v_mov_b32_e32 v12, 0
.LBB645_12:                             ;   in Loop: Header=BB645_4 Depth=1
	s_mov_b32 s33, exec_lo
	s_wait_xcnt 0x0
	s_or_b32 exec_lo, exec_lo, s35
	s_delay_alu instid0(SALU_CYCLE_1)
	s_and_b32 vcc_lo, exec_lo, s34
	s_cbranch_vccz .LBB645_34
.LBB645_13:                             ;   in Loop: Header=BB645_4 Depth=1
	v_mov_b32_e32 v19, 0
	s_and_saveexec_b32 s34, s1
	s_cbranch_execnz .LBB645_22
; %bb.14:                               ;   in Loop: Header=BB645_4 Depth=1
	s_or_b32 exec_lo, exec_lo, s34
	s_and_saveexec_b32 s34, s2
	s_cbranch_execnz .LBB645_37
.LBB645_15:                             ;   in Loop: Header=BB645_4 Depth=1
	s_or_b32 exec_lo, exec_lo, s34
	s_and_saveexec_b32 s34, s3
.LBB645_16:                             ;   in Loop: Header=BB645_4 Depth=1
	ds_store_b32 v1, v3
.LBB645_17:                             ;   in Loop: Header=BB645_4 Depth=1
	s_or_b32 exec_lo, exec_lo, s34
	ds_bpermute_b32 v12, v2, v19
	v_cmp_gt_u32_e32 vcc_lo, 24, v17
	s_wait_dscnt 0x0
	s_barrier_signal -1
	s_barrier_wait -1
	v_cndmask_b32_e64 v13, 0, 8, vcc_lo
	v_cmp_gt_u32_e32 vcc_lo, 28, v17
	s_delay_alu instid0(VALU_DEP_2)
	v_add_lshl_u32 v13, v13, v17, 2
	v_add_f32_e32 v14, v19, v12
	v_cndmask_b32_e64 v12, 0, 4, vcc_lo
	v_cmp_gt_u32_e32 vcc_lo, 30, v17
	ds_bpermute_b32 v13, v13, v14
	v_add_lshl_u32 v12, v12, v17, 2
	s_wait_dscnt 0x0
	v_add_f32_e32 v14, v14, v13
	v_cndmask_b32_e64 v13, 0, 2, vcc_lo
	v_cmp_ne_u32_e32 vcc_lo, 31, v17
	ds_bpermute_b32 v15, v12, v14
	v_add_lshl_u32 v13, v13, v17, 2
	v_add_co_ci_u32_e64 v19, null, 0, v17, vcc_lo
	s_wait_dscnt 0x0
	v_add_f32_e32 v14, v14, v15
	ds_bpermute_b32 v15, v13, v14
	s_wait_dscnt 0x0
	v_add_f32_e32 v15, v14, v15
	v_lshlrev_b32_e32 v14, 2, v19
	ds_bpermute_b32 v19, v14, v15
	s_and_saveexec_b32 s34, s4
	s_cbranch_execz .LBB645_19
; %bb.18:                               ;   in Loop: Header=BB645_4 Depth=1
	s_wait_dscnt 0x0
	v_add_f32_e32 v15, v15, v19
	ds_store_b32 v16, v15
.LBB645_19:                             ;   in Loop: Header=BB645_4 Depth=1
	s_or_b32 exec_lo, exec_lo, s34
	v_mov_b32_e32 v15, 0
	s_wait_dscnt 0x0
	s_barrier_signal -1
	s_barrier_wait -1
	s_and_saveexec_b32 s34, s5
	s_cbranch_execnz .LBB645_28
; %bb.20:                               ;   in Loop: Header=BB645_4 Depth=1
	s_or_b32 exec_lo, exec_lo, s34
	s_and_saveexec_b32 s34, s3
	s_cbranch_execnz .LBB645_29
.LBB645_21:                             ;   in Loop: Header=BB645_4 Depth=1
	s_or_b32 exec_lo, exec_lo, s34
                                        ; implicit-def: $vgpr12
	s_and_saveexec_b32 s34, s0
	s_cbranch_execnz .LBB645_30
	s_branch .LBB645_33
.LBB645_22:                             ;   in Loop: Header=BB645_4 Depth=1
	v_mad_nc_u64_u32 v[12:13], s12, s24, v[8:9]
	s_wait_dscnt 0x0
	v_mad_nc_u64_u32 v[14:15], s16, s24, v[10:11]
	v_dual_mov_b32 v19, 0 :: v_dual_mov_b32 v20, v0
	s_mov_b32 s35, 0
	s_delay_alu instid0(VALU_DEP_3) | instskip(NEXT) | instid1(VALU_DEP_3)
	v_mad_u32 v13, s13, s24, v13
	v_mad_u32 v15, s17, s24, v15
	s_branch .LBB645_24
.LBB645_23:                             ;   in Loop: Header=BB645_24 Depth=2
	s_or_b32 exec_lo, exec_lo, s36
	s_delay_alu instid0(VALU_DEP_1) | instskip(SKIP_3) | instid1(VALU_DEP_4)
	v_and_b32_e32 v21, 0xffff0000, v22
	v_add_nc_u32_e32 v20, 0x100, v20
	v_add_nc_u64_e32 v[12:13], 0x200, v[12:13]
	v_add_nc_u64_e32 v[14:15], s[26:27], v[14:15]
	v_add_f32_e32 v19, v19, v21
	s_delay_alu instid0(VALU_DEP_4) | instskip(SKIP_1) | instid1(SALU_CYCLE_1)
	v_cmp_le_i32_e32 vcc_lo, s14, v20
	s_or_b32 s35, vcc_lo, s35
	s_and_not1_b32 exec_lo, exec_lo, s35
	s_cbranch_execz .LBB645_36
.LBB645_24:                             ;   Parent Loop BB645_4 Depth=1
                                        ; =>  This Inner Loop Header: Depth=2
	global_load_u16 v21, v[12:13], off
	global_load_u16 v22, v[14:15], off
	s_wait_loadcnt 0x0
	v_dual_lshlrev_b32 v21, 16, v21 :: v_dual_lshlrev_b32 v22, 16, v22
	s_delay_alu instid0(VALU_DEP_1) | instskip(NEXT) | instid1(VALU_DEP_1)
	v_mul_f32_e32 v21, v22, v21
	v_and_b32_e32 v22, 0x7f800000, v21
	s_delay_alu instid0(VALU_DEP_1) | instskip(SKIP_2) | instid1(SALU_CYCLE_1)
	v_cmp_ne_u32_e32 vcc_lo, 0x7f800000, v22
                                        ; implicit-def: $vgpr22
	s_wait_xcnt 0x0
	s_and_saveexec_b32 s36, vcc_lo
	s_xor_b32 s36, exec_lo, s36
; %bb.25:                               ;   in Loop: Header=BB645_24 Depth=2
	v_bfe_u32 v22, v21, 16, 1
	s_delay_alu instid0(VALU_DEP_1)
	v_add3_u32 v22, v21, v22, 0x7fff
                                        ; implicit-def: $vgpr21
; %bb.26:                               ;   in Loop: Header=BB645_24 Depth=2
	s_and_not1_saveexec_b32 s36, s36
	s_cbranch_execz .LBB645_23
; %bb.27:                               ;   in Loop: Header=BB645_24 Depth=2
	v_and_b32_e32 v22, 0xffff, v21
	v_or_b32_e32 v23, 0x10000, v21
	s_delay_alu instid0(VALU_DEP_2) | instskip(NEXT) | instid1(VALU_DEP_2)
	v_cmp_eq_u32_e32 vcc_lo, 0, v22
	v_cndmask_b32_e32 v22, v23, v21, vcc_lo
	s_branch .LBB645_23
.LBB645_28:                             ;   in Loop: Header=BB645_4 Depth=1
	ds_load_b32 v15, v1
	s_or_b32 exec_lo, exec_lo, s34
	s_and_saveexec_b32 s34, s3
	s_cbranch_execz .LBB645_21
.LBB645_29:                             ;   in Loop: Header=BB645_4 Depth=1
	s_wait_dscnt 0x0
	ds_bpermute_b32 v12, v12, v15
	s_wait_dscnt 0x0
	v_add_f32_e32 v12, v15, v12
	ds_bpermute_b32 v13, v13, v12
	s_wait_dscnt 0x0
	v_add_f32_e32 v12, v12, v13
	;; [unrolled: 3-line block ×3, first 2 shown]
	s_or_b32 exec_lo, exec_lo, s34
                                        ; implicit-def: $vgpr12
	s_and_saveexec_b32 s34, s0
	s_cbranch_execz .LBB645_33
.LBB645_30:                             ;   in Loop: Header=BB645_4 Depth=1
	s_wait_dscnt 0x0
	v_mul_f32_e32 v12, v18, v15
	s_cmp_eq_f32 s31, 0
	s_cbranch_scc1 .LBB645_32
; %bb.31:                               ;   in Loop: Header=BB645_4 Depth=1
	s_add_nc_u64 s[36:37], s[6:7], s[28:29]
	global_load_b32 v13, v3, s[36:37]
	s_wait_loadcnt 0x0
	v_fmac_f32_e32 v12, s31, v13
.LBB645_32:                             ;   in Loop: Header=BB645_4 Depth=1
	s_or_b32 s33, s33, exec_lo
.LBB645_33:                             ;   in Loop: Header=BB645_4 Depth=1
	s_wait_xcnt 0x0
	s_or_b32 exec_lo, exec_lo, s34
.LBB645_34:                             ;   in Loop: Header=BB645_4 Depth=1
	s_and_saveexec_b32 s31, s33
	s_cbranch_execz .LBB645_2
; %bb.35:                               ;   in Loop: Header=BB645_4 Depth=1
	s_add_nc_u64 s[6:7], s[6:7], s[28:29]
	global_store_b32 v3, v12, s[6:7]
	s_branch .LBB645_2
.LBB645_36:                             ;   in Loop: Header=BB645_4 Depth=1
	s_or_b32 exec_lo, exec_lo, s35
	s_delay_alu instid0(SALU_CYCLE_1)
	s_or_b32 exec_lo, exec_lo, s34
	s_and_saveexec_b32 s34, s2
	s_cbranch_execz .LBB645_15
.LBB645_37:                             ;   in Loop: Header=BB645_4 Depth=1
	s_mul_u64 s[36:37], s[18:19], s[24:25]
	s_mul_u64 s[44:45], s[38:39], s[24:25]
	v_lshl_add_u64 v[12:13], s[36:37], 1, v[6:7]
	s_lshl_b64 s[36:37], s[44:45], 1
	s_delay_alu instid0(SALU_CYCLE_1)
	s_add_nc_u64 s[36:37], s[20:21], s[36:37]
	s_wait_dscnt 0x0
	v_lshl_add_u64 v[14:15], v[4:5], 1, s[36:37]
	v_lshl_add_u64 v[12:13], s[14:15], 1, v[12:13]
	global_load_u16 v20, v[12:13], off
	global_load_u16 v21, v[14:15], off
	s_wait_loadcnt 0x0
	s_wait_xcnt 0x1
	v_dual_lshlrev_b32 v12, 16, v20 :: v_dual_lshlrev_b32 v13, 16, v21
	s_delay_alu instid0(VALU_DEP_1) | instskip(NEXT) | instid1(VALU_DEP_1)
	v_mul_f32_e32 v12, v13, v12
	v_and_b32_e32 v13, 0x7f800000, v12
	s_delay_alu instid0(VALU_DEP_1) | instskip(SKIP_2) | instid1(SALU_CYCLE_1)
	v_cmp_ne_u32_e32 vcc_lo, 0x7f800000, v13
                                        ; implicit-def: $vgpr13
	s_wait_xcnt 0x0
	s_and_saveexec_b32 s35, vcc_lo
	s_xor_b32 s35, exec_lo, s35
; %bb.38:                               ;   in Loop: Header=BB645_4 Depth=1
	v_bfe_u32 v13, v12, 16, 1
	s_delay_alu instid0(VALU_DEP_1)
	v_add3_u32 v13, v12, v13, 0x7fff
                                        ; implicit-def: $vgpr12
; %bb.39:                               ;   in Loop: Header=BB645_4 Depth=1
	s_and_not1_saveexec_b32 s35, s35
; %bb.40:                               ;   in Loop: Header=BB645_4 Depth=1
	v_and_b32_e32 v13, 0xffff, v12
	v_or_b32_e32 v14, 0x10000, v12
	s_delay_alu instid0(VALU_DEP_2) | instskip(NEXT) | instid1(VALU_DEP_2)
	v_cmp_eq_u32_e32 vcc_lo, 0, v13
	v_cndmask_b32_e32 v13, v14, v12, vcc_lo
; %bb.41:                               ;   in Loop: Header=BB645_4 Depth=1
	s_or_b32 exec_lo, exec_lo, s35
	s_delay_alu instid0(VALU_DEP_1) | instskip(NEXT) | instid1(VALU_DEP_1)
	v_and_b32_e32 v12, 0xffff0000, v13
	v_add_f32_e32 v19, v19, v12
	s_or_b32 exec_lo, exec_lo, s34
	s_and_saveexec_b32 s34, s3
	s_cbranch_execnz .LBB645_16
	s_branch .LBB645_17
.LBB645_42:
	s_endpgm
	.section	.rodata,"a",@progbits
	.p2align	6, 0x0
	.amdhsa_kernel _ZL32rocblas_gemvt_warp_reduce_kernelILb0ELi256El16rocblas_bfloat16PKffEviiT3_lPKT2_lT1_lS6_lS7_lS3_lPT4_lS7_li
		.amdhsa_group_segment_fixed_size 128
		.amdhsa_private_segment_fixed_size 0
		.amdhsa_kernarg_size 140
		.amdhsa_user_sgpr_count 2
		.amdhsa_user_sgpr_dispatch_ptr 0
		.amdhsa_user_sgpr_queue_ptr 0
		.amdhsa_user_sgpr_kernarg_segment_ptr 1
		.amdhsa_user_sgpr_dispatch_id 0
		.amdhsa_user_sgpr_kernarg_preload_length 0
		.amdhsa_user_sgpr_kernarg_preload_offset 0
		.amdhsa_user_sgpr_private_segment_size 0
		.amdhsa_wavefront_size32 1
		.amdhsa_uses_dynamic_stack 0
		.amdhsa_enable_private_segment 0
		.amdhsa_system_sgpr_workgroup_id_x 1
		.amdhsa_system_sgpr_workgroup_id_y 0
		.amdhsa_system_sgpr_workgroup_id_z 1
		.amdhsa_system_sgpr_workgroup_info 0
		.amdhsa_system_vgpr_workitem_id 0
		.amdhsa_next_free_vgpr 24
		.amdhsa_next_free_sgpr 52
		.amdhsa_named_barrier_count 0
		.amdhsa_reserve_vcc 1
		.amdhsa_float_round_mode_32 0
		.amdhsa_float_round_mode_16_64 0
		.amdhsa_float_denorm_mode_32 3
		.amdhsa_float_denorm_mode_16_64 3
		.amdhsa_fp16_overflow 0
		.amdhsa_memory_ordered 1
		.amdhsa_forward_progress 1
		.amdhsa_inst_pref_size 13
		.amdhsa_round_robin_scheduling 0
		.amdhsa_exception_fp_ieee_invalid_op 0
		.amdhsa_exception_fp_denorm_src 0
		.amdhsa_exception_fp_ieee_div_zero 0
		.amdhsa_exception_fp_ieee_overflow 0
		.amdhsa_exception_fp_ieee_underflow 0
		.amdhsa_exception_fp_ieee_inexact 0
		.amdhsa_exception_int_div_zero 0
	.end_amdhsa_kernel
	.section	.text._ZL32rocblas_gemvt_warp_reduce_kernelILb0ELi256El16rocblas_bfloat16PKffEviiT3_lPKT2_lT1_lS6_lS7_lS3_lPT4_lS7_li,"axG",@progbits,_ZL32rocblas_gemvt_warp_reduce_kernelILb0ELi256El16rocblas_bfloat16PKffEviiT3_lPKT2_lT1_lS6_lS7_lS3_lPT4_lS7_li,comdat
.Lfunc_end645:
	.size	_ZL32rocblas_gemvt_warp_reduce_kernelILb0ELi256El16rocblas_bfloat16PKffEviiT3_lPKT2_lT1_lS6_lS7_lS3_lPT4_lS7_li, .Lfunc_end645-_ZL32rocblas_gemvt_warp_reduce_kernelILb0ELi256El16rocblas_bfloat16PKffEviiT3_lPKT2_lT1_lS6_lS7_lS3_lPT4_lS7_li
                                        ; -- End function
	.set _ZL32rocblas_gemvt_warp_reduce_kernelILb0ELi256El16rocblas_bfloat16PKffEviiT3_lPKT2_lT1_lS6_lS7_lS3_lPT4_lS7_li.num_vgpr, 24
	.set _ZL32rocblas_gemvt_warp_reduce_kernelILb0ELi256El16rocblas_bfloat16PKffEviiT3_lPKT2_lT1_lS6_lS7_lS3_lPT4_lS7_li.num_agpr, 0
	.set _ZL32rocblas_gemvt_warp_reduce_kernelILb0ELi256El16rocblas_bfloat16PKffEviiT3_lPKT2_lT1_lS6_lS7_lS3_lPT4_lS7_li.numbered_sgpr, 52
	.set _ZL32rocblas_gemvt_warp_reduce_kernelILb0ELi256El16rocblas_bfloat16PKffEviiT3_lPKT2_lT1_lS6_lS7_lS3_lPT4_lS7_li.num_named_barrier, 0
	.set _ZL32rocblas_gemvt_warp_reduce_kernelILb0ELi256El16rocblas_bfloat16PKffEviiT3_lPKT2_lT1_lS6_lS7_lS3_lPT4_lS7_li.private_seg_size, 0
	.set _ZL32rocblas_gemvt_warp_reduce_kernelILb0ELi256El16rocblas_bfloat16PKffEviiT3_lPKT2_lT1_lS6_lS7_lS3_lPT4_lS7_li.uses_vcc, 1
	.set _ZL32rocblas_gemvt_warp_reduce_kernelILb0ELi256El16rocblas_bfloat16PKffEviiT3_lPKT2_lT1_lS6_lS7_lS3_lPT4_lS7_li.uses_flat_scratch, 0
	.set _ZL32rocblas_gemvt_warp_reduce_kernelILb0ELi256El16rocblas_bfloat16PKffEviiT3_lPKT2_lT1_lS6_lS7_lS3_lPT4_lS7_li.has_dyn_sized_stack, 0
	.set _ZL32rocblas_gemvt_warp_reduce_kernelILb0ELi256El16rocblas_bfloat16PKffEviiT3_lPKT2_lT1_lS6_lS7_lS3_lPT4_lS7_li.has_recursion, 0
	.set _ZL32rocblas_gemvt_warp_reduce_kernelILb0ELi256El16rocblas_bfloat16PKffEviiT3_lPKT2_lT1_lS6_lS7_lS3_lPT4_lS7_li.has_indirect_call, 0
	.section	.AMDGPU.csdata,"",@progbits
; Kernel info:
; codeLenInByte = 1620
; TotalNumSgprs: 54
; NumVgprs: 24
; ScratchSize: 0
; MemoryBound: 0
; FloatMode: 240
; IeeeMode: 1
; LDSByteSize: 128 bytes/workgroup (compile time only)
; SGPRBlocks: 0
; VGPRBlocks: 1
; NumSGPRsForWavesPerEU: 54
; NumVGPRsForWavesPerEU: 24
; NamedBarCnt: 0
; Occupancy: 16
; WaveLimiterHint : 0
; COMPUTE_PGM_RSRC2:SCRATCH_EN: 0
; COMPUTE_PGM_RSRC2:USER_SGPR: 2
; COMPUTE_PGM_RSRC2:TRAP_HANDLER: 0
; COMPUTE_PGM_RSRC2:TGID_X_EN: 1
; COMPUTE_PGM_RSRC2:TGID_Y_EN: 0
; COMPUTE_PGM_RSRC2:TGID_Z_EN: 1
; COMPUTE_PGM_RSRC2:TIDIG_COMP_CNT: 0
	.section	.text._ZL32rocblas_gemvt_warp_reduce_kernelILb0ELi256Ei16rocblas_bfloat16ffEviiT3_lPKT2_lT1_lS4_lS5_lS1_lPT4_lS5_li,"axG",@progbits,_ZL32rocblas_gemvt_warp_reduce_kernelILb0ELi256Ei16rocblas_bfloat16ffEviiT3_lPKT2_lT1_lS4_lS5_lS1_lPT4_lS5_li,comdat
	.globl	_ZL32rocblas_gemvt_warp_reduce_kernelILb0ELi256Ei16rocblas_bfloat16ffEviiT3_lPKT2_lT1_lS4_lS5_lS1_lPT4_lS5_li ; -- Begin function _ZL32rocblas_gemvt_warp_reduce_kernelILb0ELi256Ei16rocblas_bfloat16ffEviiT3_lPKT2_lT1_lS4_lS5_lS1_lPT4_lS5_li
	.p2align	8
	.type	_ZL32rocblas_gemvt_warp_reduce_kernelILb0ELi256Ei16rocblas_bfloat16ffEviiT3_lPKT2_lT1_lS4_lS5_lS1_lPT4_lS5_li,@function
_ZL32rocblas_gemvt_warp_reduce_kernelILb0ELi256Ei16rocblas_bfloat16ffEviiT3_lPKT2_lT1_lS4_lS5_lS1_lPT4_lS5_li: ; @_ZL32rocblas_gemvt_warp_reduce_kernelILb0ELi256Ei16rocblas_bfloat16ffEviiT3_lPKT2_lT1_lS4_lS5_lS1_lPT4_lS5_li
; %bb.0:
	s_load_b32 s19, s[0:1], 0x88
	s_bfe_u32 s2, ttmp6, 0x40014
	s_lshr_b32 s3, ttmp7, 16
	s_add_co_i32 s2, s2, 1
	s_bfe_u32 s4, ttmp6, 0x40008
	s_mul_i32 s2, s3, s2
	s_getreg_b32 s23, hwreg(HW_REG_IB_STS2, 6, 4)
	s_add_co_i32 s4, s4, s2
	s_cmp_eq_u32 s23, 0
	s_mov_b32 s25, 0
	s_cselect_b32 s24, s3, s4
	s_wait_kmcnt 0x0
	s_cmp_ge_u32 s24, s19
	s_cbranch_scc1 .LBB646_42
; %bb.1:
	s_clause 0x7
	s_load_b96 s[20:22], s[0:1], 0x40
	s_load_b128 s[4:7], s[0:1], 0x68
	s_load_b128 s[12:15], s[0:1], 0x18
	s_load_b32 s30, s[0:1], 0x8
	s_load_b96 s[16:18], s[0:1], 0x50
	s_load_b128 s[8:11], s[0:1], 0x30
	s_load_b32 s35, s[0:1], 0x0
	s_load_b32 s36, s[0:1], 0x28
	v_dual_mov_b32 v3, 0 :: v_dual_bitop2_b32 v2, 31, v0 bitop3:0x40
	v_lshrrev_b32_e32 v4, 3, v0
	v_mbcnt_lo_u32_b32 v1, -1, 0
	v_cmp_gt_u32_e64 s2, 8, v0
	s_delay_alu instid0(VALU_DEP_4)
	v_lshlrev_b32_e32 v12, 2, v2
	v_cmp_eq_u32_e64 s3, 0, v2
	s_wait_kmcnt 0x0
	s_lshl_b64 s[20:21], s[20:21], 1
	s_lshl_b64 s[28:29], s[6:7], 2
	;; [unrolled: 1-line block ×3, first 2 shown]
	s_cmp_eq_f32 s30, 0
	s_clause 0x1
	s_load_b32 s37, s[0:1], 0x78
	s_load_b64 s[6:7], s[0:1], 0x80
	s_add_nc_u64 s[10:11], s[10:11], s[20:21]
	v_cmp_gt_i32_e32 vcc_lo, s35, v0
	s_cselect_b32 s31, -1, 0
	s_cmp_neq_f32 s30, 0
	v_mul_lo_u32 v14, v0, s22
	s_wait_xcnt 0x0
	v_cmp_eq_u32_e64 s0, 0, v0
	v_cmp_gt_u32_e64 s1, 32, v0
	s_cselect_b32 s14, -1, 0
	s_cmp_neq_f32 s18, 1.0
	s_cselect_b32 s15, -1, 0
	s_delay_alu instid0(SALU_CYCLE_1)
	s_or_b32 s33, s14, s15
	s_cmp_neq_f32 s18, 0
	s_cselect_b32 s34, -1, 0
	s_bfe_u32 s14, ttmp6, 0x4000c
	s_and_b32 s15, ttmp6, 15
	s_add_co_i32 s14, s14, 1
	s_delay_alu instid0(SALU_CYCLE_1) | instskip(NEXT) | instid1(SALU_CYCLE_1)
	s_mul_i32 s14, ttmp9, s14
	s_add_co_i32 s20, s15, s14
	s_cmp_eq_u32 s23, 0
	s_add_nc_u64 s[14:15], s[4:5], s[28:29]
	s_cselect_b32 s21, ttmp9, s20
	s_ashr_i32 s4, s35, 31
	s_wait_kmcnt 0x0
	s_mul_i32 s28, s37, s21
	s_lshr_b32 s20, s4, 24
	s_add_nc_u64 s[4:5], s[12:13], s[26:27]
	s_add_co_i32 s20, s35, s20
	s_ashr_i32 s29, s28, 31
	s_and_b32 s20, s20, 0xffffff00
	s_delay_alu instid0(SALU_CYCLE_1) | instskip(NEXT) | instid1(VALU_DEP_1)
	v_dual_cndmask_b32 v2, 0, v0, vcc_lo :: v_dual_bitop2_b32 v5, s20, v0 bitop3:0x54
	v_dual_lshlrev_b32 v2, 1, v2 :: v_dual_bitop2_b32 v13, 28, v4 bitop3:0x40
	s_delay_alu instid0(VALU_DEP_2) | instskip(NEXT) | instid1(VALU_DEP_2)
	v_mul_lo_u32 v4, s22, v5
	v_add_nc_u64_e32 v[6:7], s[4:5], v[2:3]
	s_mul_i32 s4, s36, s21
	s_ashr_i32 s21, s20, 31
	s_ashr_i32 s5, s4, 31
	s_delay_alu instid0(SALU_CYCLE_1) | instskip(NEXT) | instid1(SALU_CYCLE_1)
	s_lshl_b64 s[4:5], s[4:5], 1
	s_add_nc_u64 s[26:27], s[26:27], s[4:5]
	s_delay_alu instid0(VALU_DEP_1)
	v_add_nc_u64_e32 v[6:7], s[4:5], v[6:7]
	s_add_nc_u64 s[12:13], s[12:13], s[26:27]
	v_cmp_gt_i32_e64 s4, s20, v0
	v_add_nc_u64_e32 v[8:9], s[12:13], v[2:3]
	v_cmp_gt_i32_e64 s5, s35, v5
	v_ashrrev_i32_e32 v5, 31, v4
	v_lshl_or_b32 v2, v1, 2, 64
	s_lshl_b64 s[12:13], s[8:9], 1
	s_lshl_b32 s35, s22, 8
	s_lshl_b64 s[22:23], s[28:29], 2
	s_branch .LBB646_4
.LBB646_2:                              ;   in Loop: Header=BB646_4 Depth=1
	s_wait_xcnt 0x0
	s_or_b32 exec_lo, exec_lo, s28
.LBB646_3:                              ;   in Loop: Header=BB646_4 Depth=1
	s_add_co_i32 s24, s24, 0x10000
	s_delay_alu instid0(SALU_CYCLE_1)
	s_cmp_lt_u32 s24, s19
	s_cbranch_scc0 .LBB646_42
.LBB646_4:                              ; =>This Loop Header: Depth=1
                                        ;     Child Loop BB646_24 Depth 2
	s_and_not1_b32 vcc_lo, exec_lo, s33
	s_cbranch_vccnz .LBB646_3
; %bb.5:                                ;   in Loop: Header=BB646_4 Depth=1
	s_mul_u64 s[26:27], s[6:7], s[24:25]
	s_and_not1_b32 vcc_lo, exec_lo, s31
	s_lshl_b64 s[26:27], s[26:27], 2
	s_delay_alu instid0(SALU_CYCLE_1)
	s_add_nc_u64 s[26:27], s[14:15], s[26:27]
	s_cbranch_vccnz .LBB646_9
; %bb.6:                                ;   in Loop: Header=BB646_4 Depth=1
	s_mov_b32 s28, 0
	s_mov_b32 s36, 0
                                        ; implicit-def: $vgpr10
	s_and_saveexec_b32 s29, s0
	s_cbranch_execz .LBB646_10
; %bb.7:                                ;   in Loop: Header=BB646_4 Depth=1
	s_and_not1_b32 vcc_lo, exec_lo, s34
	s_cbranch_vccnz .LBB646_11
; %bb.8:                                ;   in Loop: Header=BB646_4 Depth=1
	s_add_nc_u64 s[36:37], s[26:27], s[22:23]
	global_load_b32 v10, v3, s[36:37]
	s_wait_loadcnt 0x0
	v_mul_f32_e32 v10, s18, v10
	s_branch .LBB646_12
.LBB646_9:                              ;   in Loop: Header=BB646_4 Depth=1
	s_mov_b32 s36, 0
                                        ; implicit-def: $vgpr10
	s_cbranch_execnz .LBB646_13
	s_branch .LBB646_34
.LBB646_10:                             ;   in Loop: Header=BB646_4 Depth=1
	s_or_b32 exec_lo, exec_lo, s29
	s_delay_alu instid0(SALU_CYCLE_1)
	s_and_b32 vcc_lo, exec_lo, s28
	s_cbranch_vccnz .LBB646_13
	s_branch .LBB646_34
.LBB646_11:                             ;   in Loop: Header=BB646_4 Depth=1
	v_mov_b32_e32 v10, 0
.LBB646_12:                             ;   in Loop: Header=BB646_4 Depth=1
	s_wait_xcnt 0x0
	s_mov_b32 s36, exec_lo
	s_or_b32 exec_lo, exec_lo, s29
	s_delay_alu instid0(SALU_CYCLE_1)
	s_and_b32 vcc_lo, exec_lo, s28
	s_cbranch_vccz .LBB646_34
.LBB646_13:                             ;   in Loop: Header=BB646_4 Depth=1
	s_mul_u64 s[28:29], s[16:17], s[24:25]
	v_mov_b32_e32 v15, 0
	s_lshl_b64 s[28:29], s[28:29], 1
	s_delay_alu instid0(SALU_CYCLE_1)
	s_add_nc_u64 s[28:29], s[10:11], s[28:29]
	s_and_saveexec_b32 s37, s4
	s_cbranch_execnz .LBB646_22
; %bb.14:                               ;   in Loop: Header=BB646_4 Depth=1
	s_or_b32 exec_lo, exec_lo, s37
	s_and_saveexec_b32 s37, s5
	s_cbranch_execnz .LBB646_37
.LBB646_15:                             ;   in Loop: Header=BB646_4 Depth=1
	s_or_b32 exec_lo, exec_lo, s37
	s_and_saveexec_b32 s28, s1
.LBB646_16:                             ;   in Loop: Header=BB646_4 Depth=1
	ds_store_b32 v12, v3
.LBB646_17:                             ;   in Loop: Header=BB646_4 Depth=1
	s_or_b32 exec_lo, exec_lo, s28
	ds_bpermute_b32 v10, v2, v15
	v_cmp_gt_u32_e32 vcc_lo, 24, v1
	s_wait_dscnt 0x0
	s_barrier_signal -1
	s_barrier_wait -1
	v_cndmask_b32_e64 v11, 0, 8, vcc_lo
	v_cmp_gt_u32_e32 vcc_lo, 28, v1
	s_delay_alu instid0(VALU_DEP_2)
	v_add_lshl_u32 v11, v11, v1, 2
	v_add_f32_e32 v15, v15, v10
	v_cndmask_b32_e64 v10, 0, 4, vcc_lo
	v_cmp_gt_u32_e32 vcc_lo, 30, v1
	ds_bpermute_b32 v11, v11, v15
	v_add_lshl_u32 v10, v10, v1, 2
	s_wait_dscnt 0x0
	v_add_f32_e32 v15, v15, v11
	v_cndmask_b32_e64 v11, 0, 2, vcc_lo
	v_cmp_ne_u32_e32 vcc_lo, 31, v1
	ds_bpermute_b32 v16, v10, v15
	v_add_lshl_u32 v11, v11, v1, 2
	v_add_co_ci_u32_e64 v17, null, 0, v1, vcc_lo
	s_wait_dscnt 0x0
	v_add_f32_e32 v15, v15, v16
	ds_bpermute_b32 v16, v11, v15
	s_wait_dscnt 0x0
	v_dual_add_f32 v16, v15, v16 :: v_dual_lshlrev_b32 v15, 2, v17
	ds_bpermute_b32 v17, v15, v16
	s_and_saveexec_b32 s28, s3
	s_cbranch_execz .LBB646_19
; %bb.18:                               ;   in Loop: Header=BB646_4 Depth=1
	s_wait_dscnt 0x0
	v_add_f32_e32 v16, v16, v17
	ds_store_b32 v13, v16
.LBB646_19:                             ;   in Loop: Header=BB646_4 Depth=1
	s_or_b32 exec_lo, exec_lo, s28
	v_mov_b32_e32 v16, 0
	s_wait_dscnt 0x0
	s_barrier_signal -1
	s_barrier_wait -1
	s_and_saveexec_b32 s28, s2
	s_cbranch_execnz .LBB646_28
; %bb.20:                               ;   in Loop: Header=BB646_4 Depth=1
	s_or_b32 exec_lo, exec_lo, s28
	s_and_saveexec_b32 s28, s1
	s_cbranch_execnz .LBB646_29
.LBB646_21:                             ;   in Loop: Header=BB646_4 Depth=1
	s_or_b32 exec_lo, exec_lo, s28
                                        ; implicit-def: $vgpr10
	s_and_saveexec_b32 s28, s0
	s_cbranch_execnz .LBB646_30
	s_branch .LBB646_33
.LBB646_22:                             ;   in Loop: Header=BB646_4 Depth=1
	v_mad_nc_u64_u32 v[10:11], s12, s24, v[8:9]
	s_wait_dscnt 0x0
	v_dual_mov_b32 v15, 0 :: v_dual_mov_b32 v16, v14
	v_mov_b32_e32 v17, v0
	s_mov_b32 s38, 0
	s_delay_alu instid0(VALU_DEP_3)
	v_mad_u32 v11, s13, s24, v11
	s_branch .LBB646_24
.LBB646_23:                             ;   in Loop: Header=BB646_24 Depth=2
	s_or_b32 exec_lo, exec_lo, s39
	v_add_nc_u32_e32 v17, 0x100, v17
	s_delay_alu instid0(VALU_DEP_2) | instskip(SKIP_2) | instid1(VALU_DEP_4)
	v_and_b32_e32 v18, 0xffff0000, v19
	v_add_nc_u64_e32 v[10:11], 0x200, v[10:11]
	v_add_nc_u32_e32 v16, s35, v16
	v_cmp_le_i32_e32 vcc_lo, s20, v17
	s_delay_alu instid0(VALU_DEP_4) | instskip(SKIP_1) | instid1(SALU_CYCLE_1)
	v_add_f32_e32 v15, v15, v18
	s_or_b32 s38, vcc_lo, s38
	s_and_not1_b32 exec_lo, exec_lo, s38
	s_cbranch_execz .LBB646_36
.LBB646_24:                             ;   Parent Loop BB646_4 Depth=1
                                        ; =>  This Inner Loop Header: Depth=2
	global_load_u16 v18, v[10:11], off
	global_load_u16 v19, v16, s[28:29] scale_offset
	s_wait_loadcnt 0x0
	v_dual_lshlrev_b32 v18, 16, v18 :: v_dual_lshlrev_b32 v19, 16, v19
	s_delay_alu instid0(VALU_DEP_1) | instskip(NEXT) | instid1(VALU_DEP_1)
	v_mul_f32_e32 v18, v19, v18
	v_and_b32_e32 v19, 0x7f800000, v18
	s_delay_alu instid0(VALU_DEP_1) | instskip(SKIP_2) | instid1(SALU_CYCLE_1)
	v_cmp_ne_u32_e32 vcc_lo, 0x7f800000, v19
                                        ; implicit-def: $vgpr19
	s_wait_xcnt 0x0
	s_and_saveexec_b32 s39, vcc_lo
	s_xor_b32 s39, exec_lo, s39
; %bb.25:                               ;   in Loop: Header=BB646_24 Depth=2
	v_bfe_u32 v19, v18, 16, 1
	s_delay_alu instid0(VALU_DEP_1)
	v_add3_u32 v19, v18, v19, 0x7fff
                                        ; implicit-def: $vgpr18
; %bb.26:                               ;   in Loop: Header=BB646_24 Depth=2
	s_and_not1_saveexec_b32 s39, s39
	s_cbranch_execz .LBB646_23
; %bb.27:                               ;   in Loop: Header=BB646_24 Depth=2
	v_and_b32_e32 v19, 0xffff, v18
	v_or_b32_e32 v20, 0x10000, v18
	s_delay_alu instid0(VALU_DEP_2) | instskip(NEXT) | instid1(VALU_DEP_2)
	v_cmp_eq_u32_e32 vcc_lo, 0, v19
	v_cndmask_b32_e32 v19, v20, v18, vcc_lo
	s_branch .LBB646_23
.LBB646_28:                             ;   in Loop: Header=BB646_4 Depth=1
	ds_load_b32 v16, v12
	s_or_b32 exec_lo, exec_lo, s28
	s_and_saveexec_b32 s28, s1
	s_cbranch_execz .LBB646_21
.LBB646_29:                             ;   in Loop: Header=BB646_4 Depth=1
	s_wait_dscnt 0x0
	ds_bpermute_b32 v10, v10, v16
	s_wait_dscnt 0x0
	v_add_f32_e32 v10, v16, v10
	ds_bpermute_b32 v11, v11, v10
	s_wait_dscnt 0x0
	v_add_f32_e32 v10, v10, v11
	;; [unrolled: 3-line block ×3, first 2 shown]
	s_or_b32 exec_lo, exec_lo, s28
                                        ; implicit-def: $vgpr10
	s_and_saveexec_b32 s28, s0
	s_cbranch_execz .LBB646_33
.LBB646_30:                             ;   in Loop: Header=BB646_4 Depth=1
	s_wait_dscnt 0x0
	v_mul_f32_e32 v10, s30, v16
	s_and_not1_b32 vcc_lo, exec_lo, s34
	s_cbranch_vccnz .LBB646_32
; %bb.31:                               ;   in Loop: Header=BB646_4 Depth=1
	s_add_nc_u64 s[38:39], s[26:27], s[22:23]
	global_load_b32 v11, v3, s[38:39]
	s_wait_loadcnt 0x0
	v_fmac_f32_e32 v10, s18, v11
.LBB646_32:                             ;   in Loop: Header=BB646_4 Depth=1
	s_or_b32 s36, s36, exec_lo
.LBB646_33:                             ;   in Loop: Header=BB646_4 Depth=1
	s_wait_xcnt 0x0
	s_or_b32 exec_lo, exec_lo, s28
.LBB646_34:                             ;   in Loop: Header=BB646_4 Depth=1
	s_and_saveexec_b32 s28, s36
	s_cbranch_execz .LBB646_2
; %bb.35:                               ;   in Loop: Header=BB646_4 Depth=1
	s_add_nc_u64 s[26:27], s[26:27], s[22:23]
	global_store_b32 v3, v10, s[26:27]
	s_branch .LBB646_2
.LBB646_36:                             ;   in Loop: Header=BB646_4 Depth=1
	s_or_b32 exec_lo, exec_lo, s38
	s_delay_alu instid0(SALU_CYCLE_1)
	s_or_b32 exec_lo, exec_lo, s37
	s_and_saveexec_b32 s37, s5
	s_cbranch_execz .LBB646_15
.LBB646_37:                             ;   in Loop: Header=BB646_4 Depth=1
	s_mul_u64 s[38:39], s[8:9], s[24:25]
	s_wait_dscnt 0x0
	v_lshl_add_u64 v[16:17], v[4:5], 1, s[28:29]
	v_lshl_add_u64 v[10:11], s[38:39], 1, v[6:7]
	s_delay_alu instid0(VALU_DEP_1)
	v_lshl_add_u64 v[10:11], s[20:21], 1, v[10:11]
	global_load_u16 v18, v[16:17], off
	global_load_u16 v19, v[10:11], off
	s_wait_loadcnt 0x0
	s_wait_xcnt 0x0
	v_dual_lshlrev_b32 v10, 16, v18 :: v_dual_lshlrev_b32 v11, 16, v19
	s_delay_alu instid0(VALU_DEP_1) | instskip(NEXT) | instid1(VALU_DEP_1)
	v_mul_f32_e32 v10, v10, v11
	v_and_b32_e32 v11, 0x7f800000, v10
	s_delay_alu instid0(VALU_DEP_1) | instskip(SKIP_1) | instid1(SALU_CYCLE_1)
	v_cmp_ne_u32_e32 vcc_lo, 0x7f800000, v11
                                        ; implicit-def: $vgpr11
	s_and_saveexec_b32 s28, vcc_lo
	s_xor_b32 s28, exec_lo, s28
; %bb.38:                               ;   in Loop: Header=BB646_4 Depth=1
	v_bfe_u32 v11, v10, 16, 1
	s_delay_alu instid0(VALU_DEP_1)
	v_add3_u32 v11, v10, v11, 0x7fff
                                        ; implicit-def: $vgpr10
; %bb.39:                               ;   in Loop: Header=BB646_4 Depth=1
	s_and_not1_saveexec_b32 s28, s28
; %bb.40:                               ;   in Loop: Header=BB646_4 Depth=1
	v_and_b32_e32 v11, 0xffff, v10
	v_or_b32_e32 v16, 0x10000, v10
	s_delay_alu instid0(VALU_DEP_2) | instskip(NEXT) | instid1(VALU_DEP_2)
	v_cmp_eq_u32_e32 vcc_lo, 0, v11
	v_cndmask_b32_e32 v11, v16, v10, vcc_lo
; %bb.41:                               ;   in Loop: Header=BB646_4 Depth=1
	s_or_b32 exec_lo, exec_lo, s28
	s_delay_alu instid0(VALU_DEP_1) | instskip(NEXT) | instid1(VALU_DEP_1)
	v_and_b32_e32 v10, 0xffff0000, v11
	v_add_f32_e32 v15, v15, v10
	s_or_b32 exec_lo, exec_lo, s37
	s_and_saveexec_b32 s28, s1
	s_cbranch_execnz .LBB646_16
	s_branch .LBB646_17
.LBB646_42:
	s_endpgm
	.section	.rodata,"a",@progbits
	.p2align	6, 0x0
	.amdhsa_kernel _ZL32rocblas_gemvt_warp_reduce_kernelILb0ELi256Ei16rocblas_bfloat16ffEviiT3_lPKT2_lT1_lS4_lS5_lS1_lPT4_lS5_li
		.amdhsa_group_segment_fixed_size 128
		.amdhsa_private_segment_fixed_size 0
		.amdhsa_kernarg_size 140
		.amdhsa_user_sgpr_count 2
		.amdhsa_user_sgpr_dispatch_ptr 0
		.amdhsa_user_sgpr_queue_ptr 0
		.amdhsa_user_sgpr_kernarg_segment_ptr 1
		.amdhsa_user_sgpr_dispatch_id 0
		.amdhsa_user_sgpr_kernarg_preload_length 0
		.amdhsa_user_sgpr_kernarg_preload_offset 0
		.amdhsa_user_sgpr_private_segment_size 0
		.amdhsa_wavefront_size32 1
		.amdhsa_uses_dynamic_stack 0
		.amdhsa_enable_private_segment 0
		.amdhsa_system_sgpr_workgroup_id_x 1
		.amdhsa_system_sgpr_workgroup_id_y 0
		.amdhsa_system_sgpr_workgroup_id_z 1
		.amdhsa_system_sgpr_workgroup_info 0
		.amdhsa_system_vgpr_workitem_id 0
		.amdhsa_next_free_vgpr 21
		.amdhsa_next_free_sgpr 40
		.amdhsa_named_barrier_count 0
		.amdhsa_reserve_vcc 1
		.amdhsa_float_round_mode_32 0
		.amdhsa_float_round_mode_16_64 0
		.amdhsa_float_denorm_mode_32 3
		.amdhsa_float_denorm_mode_16_64 3
		.amdhsa_fp16_overflow 0
		.amdhsa_memory_ordered 1
		.amdhsa_forward_progress 1
		.amdhsa_inst_pref_size 13
		.amdhsa_round_robin_scheduling 0
		.amdhsa_exception_fp_ieee_invalid_op 0
		.amdhsa_exception_fp_denorm_src 0
		.amdhsa_exception_fp_ieee_div_zero 0
		.amdhsa_exception_fp_ieee_overflow 0
		.amdhsa_exception_fp_ieee_underflow 0
		.amdhsa_exception_fp_ieee_inexact 0
		.amdhsa_exception_int_div_zero 0
	.end_amdhsa_kernel
	.section	.text._ZL32rocblas_gemvt_warp_reduce_kernelILb0ELi256Ei16rocblas_bfloat16ffEviiT3_lPKT2_lT1_lS4_lS5_lS1_lPT4_lS5_li,"axG",@progbits,_ZL32rocblas_gemvt_warp_reduce_kernelILb0ELi256Ei16rocblas_bfloat16ffEviiT3_lPKT2_lT1_lS4_lS5_lS1_lPT4_lS5_li,comdat
.Lfunc_end646:
	.size	_ZL32rocblas_gemvt_warp_reduce_kernelILb0ELi256Ei16rocblas_bfloat16ffEviiT3_lPKT2_lT1_lS4_lS5_lS1_lPT4_lS5_li, .Lfunc_end646-_ZL32rocblas_gemvt_warp_reduce_kernelILb0ELi256Ei16rocblas_bfloat16ffEviiT3_lPKT2_lT1_lS4_lS5_lS1_lPT4_lS5_li
                                        ; -- End function
	.set _ZL32rocblas_gemvt_warp_reduce_kernelILb0ELi256Ei16rocblas_bfloat16ffEviiT3_lPKT2_lT1_lS4_lS5_lS1_lPT4_lS5_li.num_vgpr, 21
	.set _ZL32rocblas_gemvt_warp_reduce_kernelILb0ELi256Ei16rocblas_bfloat16ffEviiT3_lPKT2_lT1_lS4_lS5_lS1_lPT4_lS5_li.num_agpr, 0
	.set _ZL32rocblas_gemvt_warp_reduce_kernelILb0ELi256Ei16rocblas_bfloat16ffEviiT3_lPKT2_lT1_lS4_lS5_lS1_lPT4_lS5_li.numbered_sgpr, 40
	.set _ZL32rocblas_gemvt_warp_reduce_kernelILb0ELi256Ei16rocblas_bfloat16ffEviiT3_lPKT2_lT1_lS4_lS5_lS1_lPT4_lS5_li.num_named_barrier, 0
	.set _ZL32rocblas_gemvt_warp_reduce_kernelILb0ELi256Ei16rocblas_bfloat16ffEviiT3_lPKT2_lT1_lS4_lS5_lS1_lPT4_lS5_li.private_seg_size, 0
	.set _ZL32rocblas_gemvt_warp_reduce_kernelILb0ELi256Ei16rocblas_bfloat16ffEviiT3_lPKT2_lT1_lS4_lS5_lS1_lPT4_lS5_li.uses_vcc, 1
	.set _ZL32rocblas_gemvt_warp_reduce_kernelILb0ELi256Ei16rocblas_bfloat16ffEviiT3_lPKT2_lT1_lS4_lS5_lS1_lPT4_lS5_li.uses_flat_scratch, 0
	.set _ZL32rocblas_gemvt_warp_reduce_kernelILb0ELi256Ei16rocblas_bfloat16ffEviiT3_lPKT2_lT1_lS4_lS5_lS1_lPT4_lS5_li.has_dyn_sized_stack, 0
	.set _ZL32rocblas_gemvt_warp_reduce_kernelILb0ELi256Ei16rocblas_bfloat16ffEviiT3_lPKT2_lT1_lS4_lS5_lS1_lPT4_lS5_li.has_recursion, 0
	.set _ZL32rocblas_gemvt_warp_reduce_kernelILb0ELi256Ei16rocblas_bfloat16ffEviiT3_lPKT2_lT1_lS4_lS5_lS1_lPT4_lS5_li.has_indirect_call, 0
	.section	.AMDGPU.csdata,"",@progbits
; Kernel info:
; codeLenInByte = 1616
; TotalNumSgprs: 42
; NumVgprs: 21
; ScratchSize: 0
; MemoryBound: 0
; FloatMode: 240
; IeeeMode: 1
; LDSByteSize: 128 bytes/workgroup (compile time only)
; SGPRBlocks: 0
; VGPRBlocks: 1
; NumSGPRsForWavesPerEU: 42
; NumVGPRsForWavesPerEU: 21
; NamedBarCnt: 0
; Occupancy: 16
; WaveLimiterHint : 0
; COMPUTE_PGM_RSRC2:SCRATCH_EN: 0
; COMPUTE_PGM_RSRC2:USER_SGPR: 2
; COMPUTE_PGM_RSRC2:TRAP_HANDLER: 0
; COMPUTE_PGM_RSRC2:TGID_X_EN: 1
; COMPUTE_PGM_RSRC2:TGID_Y_EN: 0
; COMPUTE_PGM_RSRC2:TGID_Z_EN: 1
; COMPUTE_PGM_RSRC2:TIDIG_COMP_CNT: 0
	.section	.text._ZL32rocblas_gemvt_warp_reduce_kernelILb0ELi256El16rocblas_bfloat16ffEviiT3_lPKT2_lT1_lS4_lS5_lS1_lPT4_lS5_li,"axG",@progbits,_ZL32rocblas_gemvt_warp_reduce_kernelILb0ELi256El16rocblas_bfloat16ffEviiT3_lPKT2_lT1_lS4_lS5_lS1_lPT4_lS5_li,comdat
	.globl	_ZL32rocblas_gemvt_warp_reduce_kernelILb0ELi256El16rocblas_bfloat16ffEviiT3_lPKT2_lT1_lS4_lS5_lS1_lPT4_lS5_li ; -- Begin function _ZL32rocblas_gemvt_warp_reduce_kernelILb0ELi256El16rocblas_bfloat16ffEviiT3_lPKT2_lT1_lS4_lS5_lS1_lPT4_lS5_li
	.p2align	8
	.type	_ZL32rocblas_gemvt_warp_reduce_kernelILb0ELi256El16rocblas_bfloat16ffEviiT3_lPKT2_lT1_lS4_lS5_lS1_lPT4_lS5_li,@function
_ZL32rocblas_gemvt_warp_reduce_kernelILb0ELi256El16rocblas_bfloat16ffEviiT3_lPKT2_lT1_lS4_lS5_lS1_lPT4_lS5_li: ; @_ZL32rocblas_gemvt_warp_reduce_kernelILb0ELi256El16rocblas_bfloat16ffEviiT3_lPKT2_lT1_lS4_lS5_lS1_lPT4_lS5_li
; %bb.0:
	s_load_b32 s33, s[0:1], 0x88
	s_bfe_u32 s2, ttmp6, 0x40014
	s_lshr_b32 s3, ttmp7, 16
	s_add_co_i32 s2, s2, 1
	s_bfe_u32 s5, ttmp6, 0x40008
	s_mul_i32 s4, s3, s2
	s_getreg_b32 s2, hwreg(HW_REG_IB_STS2, 6, 4)
	s_add_co_i32 s5, s5, s4
	s_cmp_eq_u32 s2, 0
	s_mov_b32 s7, 0
	s_cselect_b32 s6, s3, s5
	s_wait_kmcnt 0x0
	s_cmp_ge_u32 s6, s33
	s_cbranch_scc1 .LBB647_42
; %bb.1:
	s_clause 0x3
	s_load_b512 s[8:23], s[0:1], 0x18
	s_load_b256 s[24:31], s[0:1], 0x68
	s_load_b32 s34, s[0:1], 0x8
	s_load_b32 s35, s[0:1], 0x58
	s_wait_kmcnt 0x0
	s_lshl_b64 s[4:5], s[18:19], 1
	s_lshl_b64 s[18:19], s[26:27], 2
	;; [unrolled: 1-line block ×3, first 2 shown]
	s_cmp_eq_f32 s34, 0
	s_load_b32 s11, s[0:1], 0x0
	s_add_nc_u64 s[16:17], s[16:17], s[4:5]
	s_add_nc_u64 s[18:19], s[24:25], s[18:19]
	s_cselect_b32 s36, -1, 0
	s_cmp_neq_f32 s34, 0
	s_cselect_b32 s3, -1, 0
	s_cmp_neq_f32 s35, 1.0
	s_wait_xcnt 0x0
	s_cselect_b32 s0, -1, 0
	s_delay_alu instid0(SALU_CYCLE_1)
	s_or_b32 s37, s3, s0
	s_cmp_neq_f32 s35, 0
	s_cselect_b32 s38, -1, 0
	s_bfe_u32 s0, ttmp6, 0x4000c
	s_and_b32 s1, ttmp6, 15
	s_add_co_i32 s0, s0, 1
	s_wait_kmcnt 0x0
	v_cmp_gt_i32_e32 vcc_lo, s11, v0
	s_mul_i32 s0, ttmp9, s0
	v_mov_b32_e32 v3, 0
	s_add_co_i32 s1, s1, s0
	s_cmp_eq_u32 s2, 0
	v_cndmask_b32_e32 v2, 0, v0, vcc_lo
	s_cselect_b32 s2, ttmp9, s1
	s_ashr_i32 s0, s11, 31
	s_ashr_i32 s3, s2, 31
	s_lshr_b32 s0, s0, 24
	s_mul_u64 s[4:5], s[12:13], s[2:3]
	s_add_co_i32 s0, s11, s0
	s_lshl_b64 s[12:13], s[4:5], 1
	s_and_b32 s10, s0, 0xffffff00
	s_delay_alu instid0(SALU_CYCLE_1) | instskip(SKIP_3) | instid1(VALU_DEP_2)
	v_dual_mov_b32 v1, v3 :: v_dual_bitop2_b32 v8, s10, v0 bitop3:0x54
	v_lshlrev_b32_e32 v2, 1, v2
	s_add_nc_u64 s[0:1], s[8:9], s[26:27]
	s_mul_u64 s[24:25], s[28:29], s[2:3]
	v_mul_u64_e32 v[10:11], s[20:21], v[0:1]
	v_ashrrev_i32_e32 v9, 31, v8
	v_add_nc_u64_e32 v[6:7], s[0:1], v[2:3]
	v_cmp_gt_i32_e64 s2, s11, v8
	v_cmp_eq_u32_e64 s0, 0, v0
	v_cmp_gt_i32_e64 s1, s10, v0
	v_mul_u64_e32 v[4:5], s[20:21], v[8:9]
	v_dual_lshrrev_b32 v8, 3, v0 :: v_dual_bitop2_b32 v9, 31, v0 bitop3:0x40
	v_add_nc_u64_e32 v[6:7], s[12:13], v[6:7]
	s_add_nc_u64 s[12:13], s[12:13], s[26:27]
	v_cmp_gt_u32_e64 s3, 32, v0
	s_add_nc_u64 s[8:9], s[8:9], s[12:13]
	v_dual_lshlrev_b32 v1, 2, v9 :: v_dual_bitop2_b32 v16, 28, v8 bitop3:0x40
	v_cmp_eq_u32_e64 s4, 0, v9
	v_add_nc_u64_e32 v[8:9], s[8:9], v[2:3]
	v_mbcnt_lo_u32_b32 v2, -1, 0
	v_cmp_gt_u32_e64 s5, 8, v0
	s_ashr_i32 s11, s10, 31
	s_lshl_b64 s[8:9], s[14:15], 1
	s_lshl_b64 s[12:13], s[22:23], 1
	v_lshl_or_b32 v17, v2, 2, 64
	s_lshl_b64 s[20:21], s[20:21], 9
	s_lshl_b64 s[24:25], s[24:25], 2
	v_lshl_add_u64 v[10:11], v[10:11], 1, s[16:17]
	s_branch .LBB647_4
.LBB647_2:                              ;   in Loop: Header=BB647_4 Depth=1
	s_wait_xcnt 0x0
	s_or_b32 exec_lo, exec_lo, s29
.LBB647_3:                              ;   in Loop: Header=BB647_4 Depth=1
	s_add_co_i32 s6, s6, 0x10000
	s_delay_alu instid0(SALU_CYCLE_1)
	s_cmp_lt_u32 s6, s33
	s_cbranch_scc0 .LBB647_42
.LBB647_4:                              ; =>This Loop Header: Depth=1
                                        ;     Child Loop BB647_24 Depth 2
	s_and_not1_b32 vcc_lo, exec_lo, s37
	s_cbranch_vccnz .LBB647_3
; %bb.5:                                ;   in Loop: Header=BB647_4 Depth=1
	s_mul_u64 s[26:27], s[30:31], s[6:7]
	s_and_not1_b32 vcc_lo, exec_lo, s36
	s_lshl_b64 s[26:27], s[26:27], 2
	s_delay_alu instid0(SALU_CYCLE_1)
	s_add_nc_u64 s[26:27], s[18:19], s[26:27]
	s_cbranch_vccnz .LBB647_9
; %bb.6:                                ;   in Loop: Header=BB647_4 Depth=1
	s_mov_b32 s29, 0
	s_mov_b32 s28, 0
                                        ; implicit-def: $vgpr12
	s_and_saveexec_b32 s39, s0
	s_cbranch_execz .LBB647_10
; %bb.7:                                ;   in Loop: Header=BB647_4 Depth=1
	s_and_not1_b32 vcc_lo, exec_lo, s38
	s_cbranch_vccnz .LBB647_11
; %bb.8:                                ;   in Loop: Header=BB647_4 Depth=1
	s_add_nc_u64 s[40:41], s[26:27], s[24:25]
	global_load_b32 v12, v3, s[40:41]
	s_wait_loadcnt 0x0
	v_mul_f32_e32 v12, s35, v12
	s_branch .LBB647_12
.LBB647_9:                              ;   in Loop: Header=BB647_4 Depth=1
	s_mov_b32 s28, 0
                                        ; implicit-def: $vgpr12
	s_cbranch_execnz .LBB647_13
	s_branch .LBB647_34
.LBB647_10:                             ;   in Loop: Header=BB647_4 Depth=1
	s_or_b32 exec_lo, exec_lo, s39
	s_delay_alu instid0(SALU_CYCLE_1)
	s_and_b32 vcc_lo, exec_lo, s29
	s_cbranch_vccnz .LBB647_13
	s_branch .LBB647_34
.LBB647_11:                             ;   in Loop: Header=BB647_4 Depth=1
	v_mov_b32_e32 v12, 0
.LBB647_12:                             ;   in Loop: Header=BB647_4 Depth=1
	s_mov_b32 s28, exec_lo
	s_wait_xcnt 0x0
	s_or_b32 exec_lo, exec_lo, s39
	s_delay_alu instid0(SALU_CYCLE_1)
	s_and_b32 vcc_lo, exec_lo, s29
	s_cbranch_vccz .LBB647_34
.LBB647_13:                             ;   in Loop: Header=BB647_4 Depth=1
	v_mov_b32_e32 v18, 0
	s_and_saveexec_b32 s29, s1
	s_cbranch_execnz .LBB647_22
; %bb.14:                               ;   in Loop: Header=BB647_4 Depth=1
	s_or_b32 exec_lo, exec_lo, s29
	s_and_saveexec_b32 s29, s2
	s_cbranch_execnz .LBB647_37
.LBB647_15:                             ;   in Loop: Header=BB647_4 Depth=1
	s_or_b32 exec_lo, exec_lo, s29
	s_and_saveexec_b32 s29, s3
.LBB647_16:                             ;   in Loop: Header=BB647_4 Depth=1
	ds_store_b32 v1, v3
.LBB647_17:                             ;   in Loop: Header=BB647_4 Depth=1
	s_or_b32 exec_lo, exec_lo, s29
	ds_bpermute_b32 v12, v17, v18
	v_cmp_gt_u32_e32 vcc_lo, 24, v2
	s_wait_dscnt 0x0
	s_barrier_signal -1
	s_barrier_wait -1
	v_cndmask_b32_e64 v13, 0, 8, vcc_lo
	v_cmp_gt_u32_e32 vcc_lo, 28, v2
	s_delay_alu instid0(VALU_DEP_2)
	v_add_lshl_u32 v13, v13, v2, 2
	v_add_f32_e32 v14, v18, v12
	v_cndmask_b32_e64 v12, 0, 4, vcc_lo
	v_cmp_gt_u32_e32 vcc_lo, 30, v2
	ds_bpermute_b32 v13, v13, v14
	v_add_lshl_u32 v12, v12, v2, 2
	s_wait_dscnt 0x0
	v_add_f32_e32 v14, v14, v13
	v_cndmask_b32_e64 v13, 0, 2, vcc_lo
	v_cmp_ne_u32_e32 vcc_lo, 31, v2
	ds_bpermute_b32 v15, v12, v14
	v_add_lshl_u32 v13, v13, v2, 2
	v_add_co_ci_u32_e64 v18, null, 0, v2, vcc_lo
	s_wait_dscnt 0x0
	v_add_f32_e32 v14, v14, v15
	ds_bpermute_b32 v15, v13, v14
	s_wait_dscnt 0x0
	v_dual_add_f32 v15, v14, v15 :: v_dual_lshlrev_b32 v14, 2, v18
	ds_bpermute_b32 v18, v14, v15
	s_and_saveexec_b32 s29, s4
	s_cbranch_execz .LBB647_19
; %bb.18:                               ;   in Loop: Header=BB647_4 Depth=1
	s_wait_dscnt 0x0
	v_add_f32_e32 v15, v15, v18
	ds_store_b32 v16, v15
.LBB647_19:                             ;   in Loop: Header=BB647_4 Depth=1
	s_or_b32 exec_lo, exec_lo, s29
	v_mov_b32_e32 v15, 0
	s_wait_dscnt 0x0
	s_barrier_signal -1
	s_barrier_wait -1
	s_and_saveexec_b32 s29, s5
	s_cbranch_execnz .LBB647_28
; %bb.20:                               ;   in Loop: Header=BB647_4 Depth=1
	s_or_b32 exec_lo, exec_lo, s29
	s_and_saveexec_b32 s29, s3
	s_cbranch_execnz .LBB647_29
.LBB647_21:                             ;   in Loop: Header=BB647_4 Depth=1
	s_or_b32 exec_lo, exec_lo, s29
                                        ; implicit-def: $vgpr12
	s_and_saveexec_b32 s29, s0
	s_cbranch_execnz .LBB647_30
	s_branch .LBB647_33
.LBB647_22:                             ;   in Loop: Header=BB647_4 Depth=1
	v_mad_nc_u64_u32 v[12:13], s8, s6, v[8:9]
	s_wait_dscnt 0x0
	v_mad_nc_u64_u32 v[14:15], s12, s6, v[10:11]
	v_dual_mov_b32 v18, 0 :: v_dual_mov_b32 v19, v0
	s_mov_b32 s39, 0
	s_delay_alu instid0(VALU_DEP_3) | instskip(NEXT) | instid1(VALU_DEP_3)
	v_mad_u32 v13, s9, s6, v13
	v_mad_u32 v15, s13, s6, v15
	s_branch .LBB647_24
.LBB647_23:                             ;   in Loop: Header=BB647_24 Depth=2
	s_or_b32 exec_lo, exec_lo, s40
	s_delay_alu instid0(VALU_DEP_1) | instskip(SKIP_3) | instid1(VALU_DEP_4)
	v_and_b32_e32 v20, 0xffff0000, v21
	v_add_nc_u32_e32 v19, 0x100, v19
	v_add_nc_u64_e32 v[12:13], 0x200, v[12:13]
	v_add_nc_u64_e32 v[14:15], s[20:21], v[14:15]
	v_add_f32_e32 v18, v18, v20
	s_delay_alu instid0(VALU_DEP_4) | instskip(SKIP_1) | instid1(SALU_CYCLE_1)
	v_cmp_le_i32_e32 vcc_lo, s10, v19
	s_or_b32 s39, vcc_lo, s39
	s_and_not1_b32 exec_lo, exec_lo, s39
	s_cbranch_execz .LBB647_36
.LBB647_24:                             ;   Parent Loop BB647_4 Depth=1
                                        ; =>  This Inner Loop Header: Depth=2
	global_load_u16 v20, v[12:13], off
	global_load_u16 v21, v[14:15], off
	s_wait_loadcnt 0x0
	v_dual_lshlrev_b32 v20, 16, v20 :: v_dual_lshlrev_b32 v21, 16, v21
	s_delay_alu instid0(VALU_DEP_1) | instskip(NEXT) | instid1(VALU_DEP_1)
	v_mul_f32_e32 v20, v21, v20
	v_and_b32_e32 v21, 0x7f800000, v20
	s_delay_alu instid0(VALU_DEP_1) | instskip(SKIP_2) | instid1(SALU_CYCLE_1)
	v_cmp_ne_u32_e32 vcc_lo, 0x7f800000, v21
                                        ; implicit-def: $vgpr21
	s_wait_xcnt 0x0
	s_and_saveexec_b32 s40, vcc_lo
	s_xor_b32 s40, exec_lo, s40
; %bb.25:                               ;   in Loop: Header=BB647_24 Depth=2
	v_bfe_u32 v21, v20, 16, 1
	s_delay_alu instid0(VALU_DEP_1)
	v_add3_u32 v21, v20, v21, 0x7fff
                                        ; implicit-def: $vgpr20
; %bb.26:                               ;   in Loop: Header=BB647_24 Depth=2
	s_and_not1_saveexec_b32 s40, s40
	s_cbranch_execz .LBB647_23
; %bb.27:                               ;   in Loop: Header=BB647_24 Depth=2
	v_and_b32_e32 v21, 0xffff, v20
	v_or_b32_e32 v22, 0x10000, v20
	s_delay_alu instid0(VALU_DEP_2) | instskip(NEXT) | instid1(VALU_DEP_2)
	v_cmp_eq_u32_e32 vcc_lo, 0, v21
	v_cndmask_b32_e32 v21, v22, v20, vcc_lo
	s_branch .LBB647_23
.LBB647_28:                             ;   in Loop: Header=BB647_4 Depth=1
	ds_load_b32 v15, v1
	s_or_b32 exec_lo, exec_lo, s29
	s_and_saveexec_b32 s29, s3
	s_cbranch_execz .LBB647_21
.LBB647_29:                             ;   in Loop: Header=BB647_4 Depth=1
	s_wait_dscnt 0x0
	ds_bpermute_b32 v12, v12, v15
	s_wait_dscnt 0x0
	v_add_f32_e32 v12, v15, v12
	ds_bpermute_b32 v13, v13, v12
	s_wait_dscnt 0x0
	v_add_f32_e32 v12, v12, v13
	;; [unrolled: 3-line block ×3, first 2 shown]
	s_or_b32 exec_lo, exec_lo, s29
                                        ; implicit-def: $vgpr12
	s_and_saveexec_b32 s29, s0
	s_cbranch_execz .LBB647_33
.LBB647_30:                             ;   in Loop: Header=BB647_4 Depth=1
	s_wait_dscnt 0x0
	v_mul_f32_e32 v12, s34, v15
	s_and_not1_b32 vcc_lo, exec_lo, s38
	s_cbranch_vccnz .LBB647_32
; %bb.31:                               ;   in Loop: Header=BB647_4 Depth=1
	s_add_nc_u64 s[40:41], s[26:27], s[24:25]
	global_load_b32 v13, v3, s[40:41]
	s_wait_loadcnt 0x0
	v_fmac_f32_e32 v12, s35, v13
.LBB647_32:                             ;   in Loop: Header=BB647_4 Depth=1
	s_or_b32 s28, s28, exec_lo
.LBB647_33:                             ;   in Loop: Header=BB647_4 Depth=1
	s_wait_xcnt 0x0
	s_or_b32 exec_lo, exec_lo, s29
.LBB647_34:                             ;   in Loop: Header=BB647_4 Depth=1
	s_and_saveexec_b32 s29, s28
	s_cbranch_execz .LBB647_2
; %bb.35:                               ;   in Loop: Header=BB647_4 Depth=1
	s_add_nc_u64 s[26:27], s[26:27], s[24:25]
	global_store_b32 v3, v12, s[26:27]
	s_branch .LBB647_2
.LBB647_36:                             ;   in Loop: Header=BB647_4 Depth=1
	s_or_b32 exec_lo, exec_lo, s39
	s_delay_alu instid0(SALU_CYCLE_1)
	s_or_b32 exec_lo, exec_lo, s29
	s_and_saveexec_b32 s29, s2
	s_cbranch_execz .LBB647_15
.LBB647_37:                             ;   in Loop: Header=BB647_4 Depth=1
	s_mul_u64 s[40:41], s[14:15], s[6:7]
	s_mul_u64 s[42:43], s[22:23], s[6:7]
	v_lshl_add_u64 v[12:13], s[40:41], 1, v[6:7]
	s_lshl_b64 s[40:41], s[42:43], 1
	s_delay_alu instid0(SALU_CYCLE_1)
	s_add_nc_u64 s[40:41], s[16:17], s[40:41]
	s_wait_dscnt 0x0
	v_lshl_add_u64 v[14:15], v[4:5], 1, s[40:41]
	v_lshl_add_u64 v[12:13], s[10:11], 1, v[12:13]
	global_load_u16 v19, v[12:13], off
	global_load_u16 v20, v[14:15], off
	s_wait_loadcnt 0x0
	s_wait_xcnt 0x1
	v_dual_lshlrev_b32 v12, 16, v19 :: v_dual_lshlrev_b32 v13, 16, v20
	s_delay_alu instid0(VALU_DEP_1) | instskip(NEXT) | instid1(VALU_DEP_1)
	v_mul_f32_e32 v12, v13, v12
	v_and_b32_e32 v13, 0x7f800000, v12
	s_delay_alu instid0(VALU_DEP_1) | instskip(SKIP_2) | instid1(SALU_CYCLE_1)
	v_cmp_ne_u32_e32 vcc_lo, 0x7f800000, v13
                                        ; implicit-def: $vgpr13
	s_wait_xcnt 0x0
	s_and_saveexec_b32 s39, vcc_lo
	s_xor_b32 s39, exec_lo, s39
; %bb.38:                               ;   in Loop: Header=BB647_4 Depth=1
	v_bfe_u32 v13, v12, 16, 1
	s_delay_alu instid0(VALU_DEP_1)
	v_add3_u32 v13, v12, v13, 0x7fff
                                        ; implicit-def: $vgpr12
; %bb.39:                               ;   in Loop: Header=BB647_4 Depth=1
	s_and_not1_saveexec_b32 s39, s39
; %bb.40:                               ;   in Loop: Header=BB647_4 Depth=1
	v_and_b32_e32 v13, 0xffff, v12
	v_or_b32_e32 v14, 0x10000, v12
	s_delay_alu instid0(VALU_DEP_2) | instskip(NEXT) | instid1(VALU_DEP_2)
	v_cmp_eq_u32_e32 vcc_lo, 0, v13
	v_cndmask_b32_e32 v13, v14, v12, vcc_lo
; %bb.41:                               ;   in Loop: Header=BB647_4 Depth=1
	s_or_b32 exec_lo, exec_lo, s39
	s_delay_alu instid0(VALU_DEP_1) | instskip(NEXT) | instid1(VALU_DEP_1)
	v_and_b32_e32 v12, 0xffff0000, v13
	v_add_f32_e32 v18, v18, v12
	s_or_b32 exec_lo, exec_lo, s29
	s_and_saveexec_b32 s29, s3
	s_cbranch_execnz .LBB647_16
	s_branch .LBB647_17
.LBB647_42:
	s_endpgm
	.section	.rodata,"a",@progbits
	.p2align	6, 0x0
	.amdhsa_kernel _ZL32rocblas_gemvt_warp_reduce_kernelILb0ELi256El16rocblas_bfloat16ffEviiT3_lPKT2_lT1_lS4_lS5_lS1_lPT4_lS5_li
		.amdhsa_group_segment_fixed_size 128
		.amdhsa_private_segment_fixed_size 0
		.amdhsa_kernarg_size 140
		.amdhsa_user_sgpr_count 2
		.amdhsa_user_sgpr_dispatch_ptr 0
		.amdhsa_user_sgpr_queue_ptr 0
		.amdhsa_user_sgpr_kernarg_segment_ptr 1
		.amdhsa_user_sgpr_dispatch_id 0
		.amdhsa_user_sgpr_kernarg_preload_length 0
		.amdhsa_user_sgpr_kernarg_preload_offset 0
		.amdhsa_user_sgpr_private_segment_size 0
		.amdhsa_wavefront_size32 1
		.amdhsa_uses_dynamic_stack 0
		.amdhsa_enable_private_segment 0
		.amdhsa_system_sgpr_workgroup_id_x 1
		.amdhsa_system_sgpr_workgroup_id_y 0
		.amdhsa_system_sgpr_workgroup_id_z 1
		.amdhsa_system_sgpr_workgroup_info 0
		.amdhsa_system_vgpr_workitem_id 0
		.amdhsa_next_free_vgpr 23
		.amdhsa_next_free_sgpr 44
		.amdhsa_named_barrier_count 0
		.amdhsa_reserve_vcc 1
		.amdhsa_float_round_mode_32 0
		.amdhsa_float_round_mode_16_64 0
		.amdhsa_float_denorm_mode_32 3
		.amdhsa_float_denorm_mode_16_64 3
		.amdhsa_fp16_overflow 0
		.amdhsa_memory_ordered 1
		.amdhsa_forward_progress 1
		.amdhsa_inst_pref_size 13
		.amdhsa_round_robin_scheduling 0
		.amdhsa_exception_fp_ieee_invalid_op 0
		.amdhsa_exception_fp_denorm_src 0
		.amdhsa_exception_fp_ieee_div_zero 0
		.amdhsa_exception_fp_ieee_overflow 0
		.amdhsa_exception_fp_ieee_underflow 0
		.amdhsa_exception_fp_ieee_inexact 0
		.amdhsa_exception_int_div_zero 0
	.end_amdhsa_kernel
	.section	.text._ZL32rocblas_gemvt_warp_reduce_kernelILb0ELi256El16rocblas_bfloat16ffEviiT3_lPKT2_lT1_lS4_lS5_lS1_lPT4_lS5_li,"axG",@progbits,_ZL32rocblas_gemvt_warp_reduce_kernelILb0ELi256El16rocblas_bfloat16ffEviiT3_lPKT2_lT1_lS4_lS5_lS1_lPT4_lS5_li,comdat
.Lfunc_end647:
	.size	_ZL32rocblas_gemvt_warp_reduce_kernelILb0ELi256El16rocblas_bfloat16ffEviiT3_lPKT2_lT1_lS4_lS5_lS1_lPT4_lS5_li, .Lfunc_end647-_ZL32rocblas_gemvt_warp_reduce_kernelILb0ELi256El16rocblas_bfloat16ffEviiT3_lPKT2_lT1_lS4_lS5_lS1_lPT4_lS5_li
                                        ; -- End function
	.set _ZL32rocblas_gemvt_warp_reduce_kernelILb0ELi256El16rocblas_bfloat16ffEviiT3_lPKT2_lT1_lS4_lS5_lS1_lPT4_lS5_li.num_vgpr, 23
	.set _ZL32rocblas_gemvt_warp_reduce_kernelILb0ELi256El16rocblas_bfloat16ffEviiT3_lPKT2_lT1_lS4_lS5_lS1_lPT4_lS5_li.num_agpr, 0
	.set _ZL32rocblas_gemvt_warp_reduce_kernelILb0ELi256El16rocblas_bfloat16ffEviiT3_lPKT2_lT1_lS4_lS5_lS1_lPT4_lS5_li.numbered_sgpr, 44
	.set _ZL32rocblas_gemvt_warp_reduce_kernelILb0ELi256El16rocblas_bfloat16ffEviiT3_lPKT2_lT1_lS4_lS5_lS1_lPT4_lS5_li.num_named_barrier, 0
	.set _ZL32rocblas_gemvt_warp_reduce_kernelILb0ELi256El16rocblas_bfloat16ffEviiT3_lPKT2_lT1_lS4_lS5_lS1_lPT4_lS5_li.private_seg_size, 0
	.set _ZL32rocblas_gemvt_warp_reduce_kernelILb0ELi256El16rocblas_bfloat16ffEviiT3_lPKT2_lT1_lS4_lS5_lS1_lPT4_lS5_li.uses_vcc, 1
	.set _ZL32rocblas_gemvt_warp_reduce_kernelILb0ELi256El16rocblas_bfloat16ffEviiT3_lPKT2_lT1_lS4_lS5_lS1_lPT4_lS5_li.uses_flat_scratch, 0
	.set _ZL32rocblas_gemvt_warp_reduce_kernelILb0ELi256El16rocblas_bfloat16ffEviiT3_lPKT2_lT1_lS4_lS5_lS1_lPT4_lS5_li.has_dyn_sized_stack, 0
	.set _ZL32rocblas_gemvt_warp_reduce_kernelILb0ELi256El16rocblas_bfloat16ffEviiT3_lPKT2_lT1_lS4_lS5_lS1_lPT4_lS5_li.has_recursion, 0
	.set _ZL32rocblas_gemvt_warp_reduce_kernelILb0ELi256El16rocblas_bfloat16ffEviiT3_lPKT2_lT1_lS4_lS5_lS1_lPT4_lS5_li.has_indirect_call, 0
	.section	.AMDGPU.csdata,"",@progbits
; Kernel info:
; codeLenInByte = 1568
; TotalNumSgprs: 46
; NumVgprs: 23
; ScratchSize: 0
; MemoryBound: 0
; FloatMode: 240
; IeeeMode: 1
; LDSByteSize: 128 bytes/workgroup (compile time only)
; SGPRBlocks: 0
; VGPRBlocks: 1
; NumSGPRsForWavesPerEU: 46
; NumVGPRsForWavesPerEU: 23
; NamedBarCnt: 0
; Occupancy: 16
; WaveLimiterHint : 0
; COMPUTE_PGM_RSRC2:SCRATCH_EN: 0
; COMPUTE_PGM_RSRC2:USER_SGPR: 2
; COMPUTE_PGM_RSRC2:TRAP_HANDLER: 0
; COMPUTE_PGM_RSRC2:TGID_X_EN: 1
; COMPUTE_PGM_RSRC2:TGID_Y_EN: 0
; COMPUTE_PGM_RSRC2:TGID_Z_EN: 1
; COMPUTE_PGM_RSRC2:TIDIG_COMP_CNT: 0
	.section	.text._ZL20rocblas_gemvt_kernelILb0ELi256E16rocblas_bfloat16PKffEviiT2_lPKT1_lilS6_lilS3_lPT3_lili,"axG",@progbits,_ZL20rocblas_gemvt_kernelILb0ELi256E16rocblas_bfloat16PKffEviiT2_lPKT1_lilS6_lilS3_lPT3_lili,comdat
	.globl	_ZL20rocblas_gemvt_kernelILb0ELi256E16rocblas_bfloat16PKffEviiT2_lPKT1_lilS6_lilS3_lPT3_lili ; -- Begin function _ZL20rocblas_gemvt_kernelILb0ELi256E16rocblas_bfloat16PKffEviiT2_lPKT1_lilS6_lilS3_lPT3_lili
	.p2align	8
	.type	_ZL20rocblas_gemvt_kernelILb0ELi256E16rocblas_bfloat16PKffEviiT2_lPKT1_lilS6_lilS3_lPT3_lili,@function
_ZL20rocblas_gemvt_kernelILb0ELi256E16rocblas_bfloat16PKffEviiT2_lPKT1_lilS6_lilS3_lPT3_lili: ; @_ZL20rocblas_gemvt_kernelILb0ELi256E16rocblas_bfloat16PKffEviiT2_lPKT1_lilS6_lilS3_lPT3_lili
; %bb.0:
	s_load_b32 s33, s[0:1], 0x88
	s_bfe_u32 s2, ttmp6, 0x40014
	s_lshr_b32 s3, ttmp7, 16
	s_add_co_i32 s2, s2, 1
	s_bfe_u32 s4, ttmp6, 0x40008
	s_mul_i32 s2, s3, s2
	s_getreg_b32 s7, hwreg(HW_REG_IB_STS2, 6, 4)
	s_add_co_i32 s4, s4, s2
	s_cmp_eq_u32 s7, 0
	s_mov_b32 s35, 0
	s_cselect_b32 s34, s3, s4
	s_wait_kmcnt 0x0
	s_cmp_ge_u32 s34, s33
	s_cbranch_scc1 .LBB648_49
; %bb.1:
	s_clause 0x4
	s_load_b32 s2, s[0:1], 0x28
	s_load_b96 s[4:6], s[0:1], 0x40
	s_load_b96 s[8:10], s[0:1], 0x70
	s_load_b256 s[12:19], s[0:1], 0x8
	s_load_b32 s46, s[0:1], 0x0
	s_bfe_u32 s3, ttmp6, 0x4000c
	s_and_b32 s11, ttmp6, 15
	s_add_co_i32 s3, s3, 1
	s_load_b128 s[28:31], s[0:1], 0x30
	s_mul_i32 s3, ttmp9, s3
	s_load_b64 s[36:37], s[0:1], 0x80
	s_add_co_i32 s11, s11, s3
	s_load_b256 s[20:27], s[0:1], 0x50
	v_lshlrev_b32_e32 v14, 2, v0
	s_wait_kmcnt 0x0
	s_ashr_i32 s3, s2, 31
	s_ashr_i32 s39, s6, 31
	;; [unrolled: 1-line block ×3, first 2 shown]
	s_lshl_b64 s[4:5], s[4:5], 1
	s_lshl_b64 s[8:9], s[8:9], 2
	;; [unrolled: 1-line block ×3, first 2 shown]
	s_cmp_eq_u32 s7, 0
	s_mov_b32 s38, s6
	s_cselect_b32 s44, ttmp9, s11
	s_ashr_i32 s7, s46, 31
	v_cmp_gt_i32_e32 vcc_lo, s46, v0
	s_lshr_b32 s0, s7, 24
	s_ashr_i32 s45, s44, 31
	s_add_co_i32 s0, s46, s0
	s_mul_u64 s[2:3], s[2:3], s[44:45]
	s_and_b32 s18, s0, 0xffffff00
	s_delay_alu instid0(SALU_CYCLE_1) | instskip(SKIP_3) | instid1(VALU_DEP_1)
	v_dual_mov_b32 v3, 0 :: v_dual_bitop2_b32 v8, s18, v0 bitop3:0x54
	s_add_nc_u64 s[0:1], s[16:17], s[42:43]
	s_add_nc_u64 s[26:27], s[26:27], s[8:9]
	s_lshl_b64 s[8:9], s[2:3], 1
	v_dual_mov_b32 v1, v3 :: v_dual_ashrrev_i32 v9, 31, v8
	s_mov_b32 s40, s10
	s_add_nc_u64 s[10:11], s[30:31], s[4:5]
	s_add_nc_u64 s[30:31], s[8:9], s[42:43]
	s_delay_alu instid0(VALU_DEP_1)
	v_mul_u64_e32 v[10:11], s[38:39], v[0:1]
	v_mul_u64_e32 v[4:5], s[38:39], v[8:9]
	v_cndmask_b32_e32 v1, 0, v0, vcc_lo
	s_add_nc_u64 s[16:17], s[16:17], s[30:31]
	v_cmp_gt_u32_e64 s2, 0x80, v0
	v_cmp_gt_u32_e64 s3, 64, v0
	;; [unrolled: 1-line block ×3, first 2 shown]
	v_lshlrev_b32_e32 v2, 1, v1
	v_cmp_gt_u32_e64 s5, 16, v0
	v_cmp_gt_u32_e64 s6, 8, v0
	;; [unrolled: 1-line block ×3, first 2 shown]
	s_mul_u64 s[40:41], s[40:41], s[44:45]
	v_add_nc_u64_e32 v[6:7], s[0:1], v[2:3]
	v_cmp_gt_i32_e64 s1, s46, v8
	v_add_nc_u64_e32 v[8:9], s[16:17], v[2:3]
	v_cmp_eq_u32_e64 s0, 0, v0
	s_cmp_gt_i32 s46, 0xff
	s_cselect_b32 s44, -1, 0
	v_add_nc_u64_e32 v[6:7], s[8:9], v[6:7]
	v_cmp_gt_u32_e64 s8, 2, v0
	s_ashr_i32 s19, s18, 31
	s_lshl_b64 s[16:17], s[20:21], 1
	s_lshl_b64 s[30:31], s[38:39], 9
	s_lshl_b64 s[38:39], s[28:29], 1
	s_lshl_b64 s[40:41], s[40:41], 2
	v_lshl_add_u64 v[0:1], v[10:11], 1, s[10:11]
	s_branch .LBB648_4
.LBB648_2:                              ;   in Loop: Header=BB648_4 Depth=1
	s_wait_xcnt 0x0
	s_or_b32 exec_lo, exec_lo, s45
.LBB648_3:                              ;   in Loop: Header=BB648_4 Depth=1
	s_add_co_i32 s34, s34, 0x10000
	s_delay_alu instid0(SALU_CYCLE_1)
	s_cmp_lt_u32 s34, s33
	s_cbranch_scc0 .LBB648_49
.LBB648_4:                              ; =>This Loop Header: Depth=1
                                        ;     Child Loop BB648_16 Depth 2
	s_wait_xcnt 0x1
	s_mul_u64 s[42:43], s[14:15], s[34:35]
	s_wait_xcnt 0x0
	s_mul_u64 s[46:47], s[24:25], s[34:35]
	s_lshl_b64 s[42:43], s[42:43], 2
	s_lshl_b64 s[46:47], s[46:47], 2
	s_add_nc_u64 s[42:43], s[12:13], s[42:43]
	s_add_nc_u64 s[46:47], s[22:23], s[46:47]
	s_clause 0x1
	global_load_b32 v15, v3, s[42:43]
	global_load_b32 v2, v3, s[46:47]
	s_wait_loadcnt 0x1
	v_cmp_eq_f32_e32 vcc_lo, 0, v15
	s_wait_loadcnt 0x0
	v_cmp_eq_f32_e64 s9, 1.0, v2
	s_and_b32 s9, vcc_lo, s9
	s_delay_alu instid0(SALU_CYCLE_1)
	s_and_b32 vcc_lo, exec_lo, s9
	s_cbranch_vccnz .LBB648_3
; %bb.5:                                ;   in Loop: Header=BB648_4 Depth=1
	v_cmp_neq_f32_e32 vcc_lo, 0, v15
	s_wait_xcnt 0x1
	s_mul_u64 s[42:43], s[36:37], s[34:35]
	s_delay_alu instid0(SALU_CYCLE_1) | instskip(NEXT) | instid1(SALU_CYCLE_1)
	s_lshl_b64 s[42:43], s[42:43], 2
	s_add_nc_u64 s[42:43], s[26:27], s[42:43]
	s_cbranch_vccnz .LBB648_9
; %bb.6:                                ;   in Loop: Header=BB648_4 Depth=1
	s_mov_b32 s45, 0
	s_mov_b32 s9, 0
                                        ; implicit-def: $vgpr10
	s_wait_xcnt 0x0
	s_and_saveexec_b32 s46, s0
	s_cbranch_execz .LBB648_10
; %bb.7:                                ;   in Loop: Header=BB648_4 Depth=1
	v_cmp_eq_f32_e32 vcc_lo, 0, v2
	s_cbranch_vccnz .LBB648_11
; %bb.8:                                ;   in Loop: Header=BB648_4 Depth=1
	s_add_nc_u64 s[48:49], s[42:43], s[40:41]
	global_load_b32 v10, v3, s[48:49]
	s_wait_loadcnt 0x0
	v_mul_f32_e32 v10, v2, v10
	s_branch .LBB648_12
.LBB648_9:                              ;   in Loop: Header=BB648_4 Depth=1
	s_mov_b32 s9, 0
                                        ; implicit-def: $vgpr10
	s_cbranch_execnz .LBB648_13
	s_branch .LBB648_47
.LBB648_10:                             ;   in Loop: Header=BB648_4 Depth=1
	s_or_b32 exec_lo, exec_lo, s46
	s_delay_alu instid0(SALU_CYCLE_1)
	s_and_b32 vcc_lo, exec_lo, s45
	s_cbranch_vccnz .LBB648_13
	s_branch .LBB648_47
.LBB648_11:                             ;   in Loop: Header=BB648_4 Depth=1
	v_mov_b32_e32 v10, 0
.LBB648_12:                             ;   in Loop: Header=BB648_4 Depth=1
	s_mov_b32 s9, exec_lo
	s_wait_xcnt 0x0
	s_or_b32 exec_lo, exec_lo, s46
	s_delay_alu instid0(SALU_CYCLE_1)
	s_and_b32 vcc_lo, exec_lo, s45
	s_cbranch_vccz .LBB648_47
.LBB648_13:                             ;   in Loop: Header=BB648_4 Depth=1
	v_mov_b32_e32 v16, 0
	s_and_not1_b32 vcc_lo, exec_lo, s44
	s_cbranch_vccnz .LBB648_20
; %bb.14:                               ;   in Loop: Header=BB648_4 Depth=1
	v_mad_nc_u64_u32 v[10:11], s16, s34, v[0:1]
	v_mad_nc_u64_u32 v[12:13], s38, s34, v[8:9]
	v_mov_b32_e32 v16, 0
	s_mov_b32 s45, 0
	s_delay_alu instid0(VALU_DEP_3) | instskip(NEXT) | instid1(VALU_DEP_3)
	v_mad_u32 v11, s17, s34, v11
	v_mad_u32 v13, s39, s34, v13
	s_branch .LBB648_16
.LBB648_15:                             ;   in Loop: Header=BB648_16 Depth=2
	s_or_b32 exec_lo, exec_lo, s46
	s_delay_alu instid0(VALU_DEP_1) | instskip(SKIP_3) | instid1(SALU_CYCLE_1)
	v_and_b32_e32 v17, 0xffff0000, v18
	v_add_nc_u64_e32 v[10:11], s[30:31], v[10:11]
	v_add_nc_u64_e32 v[12:13], 0x200, v[12:13]
	s_addk_co_i32 s45, 0x100
	s_cmp_ge_i32 s45, s18
	v_add_f32_e32 v16, v16, v17
	s_cbranch_scc1 .LBB648_20
.LBB648_16:                             ;   Parent Loop BB648_4 Depth=1
                                        ; =>  This Inner Loop Header: Depth=2
	global_load_u16 v17, v[12:13], off
	global_load_u16 v18, v[10:11], off
	s_wait_loadcnt 0x0
	v_dual_lshlrev_b32 v17, 16, v17 :: v_dual_lshlrev_b32 v18, 16, v18
	s_delay_alu instid0(VALU_DEP_1) | instskip(NEXT) | instid1(VALU_DEP_1)
	v_mul_f32_e32 v17, v18, v17
	v_and_b32_e32 v18, 0x7f800000, v17
	s_delay_alu instid0(VALU_DEP_1) | instskip(SKIP_2) | instid1(SALU_CYCLE_1)
	v_cmp_ne_u32_e32 vcc_lo, 0x7f800000, v18
                                        ; implicit-def: $vgpr18
	s_wait_xcnt 0x0
	s_and_saveexec_b32 s46, vcc_lo
	s_xor_b32 s46, exec_lo, s46
; %bb.17:                               ;   in Loop: Header=BB648_16 Depth=2
	v_bfe_u32 v18, v17, 16, 1
	s_delay_alu instid0(VALU_DEP_1)
	v_add3_u32 v18, v17, v18, 0x7fff
                                        ; implicit-def: $vgpr17
; %bb.18:                               ;   in Loop: Header=BB648_16 Depth=2
	s_and_not1_saveexec_b32 s46, s46
	s_cbranch_execz .LBB648_15
; %bb.19:                               ;   in Loop: Header=BB648_16 Depth=2
	v_and_b32_e32 v18, 0xffff, v17
	v_or_b32_e32 v19, 0x10000, v17
	s_delay_alu instid0(VALU_DEP_2) | instskip(NEXT) | instid1(VALU_DEP_2)
	v_cmp_eq_u32_e32 vcc_lo, 0, v18
	v_cndmask_b32_e32 v18, v19, v17, vcc_lo
	s_branch .LBB648_15
.LBB648_20:                             ;   in Loop: Header=BB648_4 Depth=1
	s_wait_xcnt 0x0
	s_and_saveexec_b32 s45, s1
	s_cbranch_execz .LBB648_26
; %bb.21:                               ;   in Loop: Header=BB648_4 Depth=1
	s_mul_u64 s[46:47], s[28:29], s[34:35]
	s_mul_u64 s[48:49], s[20:21], s[34:35]
	v_lshl_add_u64 v[10:11], s[46:47], 1, v[6:7]
	s_lshl_b64 s[46:47], s[48:49], 1
	s_delay_alu instid0(SALU_CYCLE_1) | instskip(NEXT) | instid1(SALU_CYCLE_1)
	s_add_nc_u64 s[46:47], s[10:11], s[46:47]
	v_lshl_add_u64 v[12:13], v[4:5], 1, s[46:47]
	s_delay_alu instid0(VALU_DEP_2)
	v_lshl_add_u64 v[10:11], s[18:19], 1, v[10:11]
	global_load_u16 v17, v[10:11], off
	global_load_u16 v18, v[12:13], off
	s_wait_loadcnt 0x0
	s_wait_xcnt 0x1
	v_dual_lshlrev_b32 v10, 16, v17 :: v_dual_lshlrev_b32 v11, 16, v18
	s_delay_alu instid0(VALU_DEP_1) | instskip(NEXT) | instid1(VALU_DEP_1)
	v_mul_f32_e32 v10, v11, v10
	v_and_b32_e32 v11, 0x7f800000, v10
	s_delay_alu instid0(VALU_DEP_1) | instskip(SKIP_2) | instid1(SALU_CYCLE_1)
	v_cmp_ne_u32_e32 vcc_lo, 0x7f800000, v11
                                        ; implicit-def: $vgpr11
	s_wait_xcnt 0x0
	s_and_saveexec_b32 s46, vcc_lo
	s_xor_b32 s46, exec_lo, s46
; %bb.22:                               ;   in Loop: Header=BB648_4 Depth=1
	v_bfe_u32 v11, v10, 16, 1
	s_delay_alu instid0(VALU_DEP_1)
	v_add3_u32 v11, v10, v11, 0x7fff
                                        ; implicit-def: $vgpr10
; %bb.23:                               ;   in Loop: Header=BB648_4 Depth=1
	s_and_not1_saveexec_b32 s46, s46
; %bb.24:                               ;   in Loop: Header=BB648_4 Depth=1
	v_and_b32_e32 v11, 0xffff, v10
	v_or_b32_e32 v12, 0x10000, v10
	s_delay_alu instid0(VALU_DEP_2) | instskip(NEXT) | instid1(VALU_DEP_2)
	v_cmp_eq_u32_e32 vcc_lo, 0, v11
	v_cndmask_b32_e32 v11, v12, v10, vcc_lo
; %bb.25:                               ;   in Loop: Header=BB648_4 Depth=1
	s_or_b32 exec_lo, exec_lo, s46
	s_delay_alu instid0(VALU_DEP_1) | instskip(NEXT) | instid1(VALU_DEP_1)
	v_and_b32_e32 v10, 0xffff0000, v11
	v_add_f32_e32 v16, v16, v10
.LBB648_26:                             ;   in Loop: Header=BB648_4 Depth=1
	s_or_b32 exec_lo, exec_lo, s45
	ds_store_b32 v14, v16
	s_wait_dscnt 0x0
	s_barrier_signal -1
	s_barrier_wait -1
	s_and_saveexec_b32 s45, s2
	s_cbranch_execz .LBB648_28
; %bb.27:                               ;   in Loop: Header=BB648_4 Depth=1
	ds_load_2addr_stride64_b32 v[10:11], v14 offset1:2
	s_wait_dscnt 0x0
	v_add_f32_e32 v10, v11, v10
	ds_store_b32 v14, v10
.LBB648_28:                             ;   in Loop: Header=BB648_4 Depth=1
	s_or_b32 exec_lo, exec_lo, s45
	s_wait_dscnt 0x0
	s_barrier_signal -1
	s_barrier_wait -1
	s_and_saveexec_b32 s45, s3
	s_cbranch_execz .LBB648_30
; %bb.29:                               ;   in Loop: Header=BB648_4 Depth=1
	ds_load_2addr_stride64_b32 v[10:11], v14 offset1:1
	s_wait_dscnt 0x0
	v_add_f32_e32 v10, v11, v10
	ds_store_b32 v14, v10
.LBB648_30:                             ;   in Loop: Header=BB648_4 Depth=1
	s_or_b32 exec_lo, exec_lo, s45
	s_wait_dscnt 0x0
	s_barrier_signal -1
	s_barrier_wait -1
	s_and_saveexec_b32 s45, s4
	s_cbranch_execz .LBB648_32
; %bb.31:                               ;   in Loop: Header=BB648_4 Depth=1
	ds_load_2addr_b32 v[10:11], v14 offset1:32
	s_wait_dscnt 0x0
	v_add_f32_e32 v10, v11, v10
	ds_store_b32 v14, v10
.LBB648_32:                             ;   in Loop: Header=BB648_4 Depth=1
	s_or_b32 exec_lo, exec_lo, s45
	s_wait_dscnt 0x0
	s_barrier_signal -1
	s_barrier_wait -1
	s_and_saveexec_b32 s45, s5
	s_cbranch_execz .LBB648_34
; %bb.33:                               ;   in Loop: Header=BB648_4 Depth=1
	ds_load_2addr_b32 v[10:11], v14 offset1:16
	s_wait_dscnt 0x0
	v_add_f32_e32 v10, v11, v10
	ds_store_b32 v14, v10
.LBB648_34:                             ;   in Loop: Header=BB648_4 Depth=1
	;; [unrolled: 12-line block ×5, first 2 shown]
	s_or_b32 exec_lo, exec_lo, s45
	s_wait_dscnt 0x0
	s_barrier_signal -1
	s_barrier_wait -1
	s_and_saveexec_b32 s45, s0
	s_cbranch_execz .LBB648_42
; %bb.41:                               ;   in Loop: Header=BB648_4 Depth=1
	ds_load_b64 v[10:11], v3
	s_wait_dscnt 0x0
	v_add_f32_e32 v10, v11, v10
	ds_store_b32 v3, v10
.LBB648_42:                             ;   in Loop: Header=BB648_4 Depth=1
	s_or_b32 exec_lo, exec_lo, s45
	s_wait_dscnt 0x0
	s_barrier_signal -1
	s_barrier_wait -1
                                        ; implicit-def: $vgpr10
	s_and_saveexec_b32 s45, s0
	s_cbranch_execz .LBB648_46
; %bb.43:                               ;   in Loop: Header=BB648_4 Depth=1
	ds_load_b32 v10, v3
	v_cmp_eq_f32_e32 vcc_lo, 0, v2
	s_wait_dscnt 0x0
	v_mul_f32_e32 v10, v15, v10
	s_cbranch_vccnz .LBB648_45
; %bb.44:                               ;   in Loop: Header=BB648_4 Depth=1
	s_add_nc_u64 s[46:47], s[42:43], s[40:41]
	global_load_b32 v11, v3, s[46:47]
	s_wait_loadcnt 0x0
	v_fmac_f32_e32 v10, v2, v11
.LBB648_45:                             ;   in Loop: Header=BB648_4 Depth=1
	s_or_b32 s9, s9, exec_lo
.LBB648_46:                             ;   in Loop: Header=BB648_4 Depth=1
	s_wait_xcnt 0x0
	s_or_b32 exec_lo, exec_lo, s45
.LBB648_47:                             ;   in Loop: Header=BB648_4 Depth=1
	s_wait_xcnt 0x0
	s_and_saveexec_b32 s45, s9
	s_cbranch_execz .LBB648_2
; %bb.48:                               ;   in Loop: Header=BB648_4 Depth=1
	s_add_nc_u64 s[42:43], s[42:43], s[40:41]
	global_store_b32 v3, v10, s[42:43]
	s_branch .LBB648_2
.LBB648_49:
	s_endpgm
	.section	.rodata,"a",@progbits
	.p2align	6, 0x0
	.amdhsa_kernel _ZL20rocblas_gemvt_kernelILb0ELi256E16rocblas_bfloat16PKffEviiT2_lPKT1_lilS6_lilS3_lPT3_lili
		.amdhsa_group_segment_fixed_size 1024
		.amdhsa_private_segment_fixed_size 0
		.amdhsa_kernarg_size 140
		.amdhsa_user_sgpr_count 2
		.amdhsa_user_sgpr_dispatch_ptr 0
		.amdhsa_user_sgpr_queue_ptr 0
		.amdhsa_user_sgpr_kernarg_segment_ptr 1
		.amdhsa_user_sgpr_dispatch_id 0
		.amdhsa_user_sgpr_kernarg_preload_length 0
		.amdhsa_user_sgpr_kernarg_preload_offset 0
		.amdhsa_user_sgpr_private_segment_size 0
		.amdhsa_wavefront_size32 1
		.amdhsa_uses_dynamic_stack 0
		.amdhsa_enable_private_segment 0
		.amdhsa_system_sgpr_workgroup_id_x 1
		.amdhsa_system_sgpr_workgroup_id_y 0
		.amdhsa_system_sgpr_workgroup_id_z 1
		.amdhsa_system_sgpr_workgroup_info 0
		.amdhsa_system_vgpr_workitem_id 0
		.amdhsa_next_free_vgpr 20
		.amdhsa_next_free_sgpr 50
		.amdhsa_named_barrier_count 0
		.amdhsa_reserve_vcc 1
		.amdhsa_float_round_mode_32 0
		.amdhsa_float_round_mode_16_64 0
		.amdhsa_float_denorm_mode_32 3
		.amdhsa_float_denorm_mode_16_64 3
		.amdhsa_fp16_overflow 0
		.amdhsa_memory_ordered 1
		.amdhsa_forward_progress 1
		.amdhsa_inst_pref_size 14
		.amdhsa_round_robin_scheduling 0
		.amdhsa_exception_fp_ieee_invalid_op 0
		.amdhsa_exception_fp_denorm_src 0
		.amdhsa_exception_fp_ieee_div_zero 0
		.amdhsa_exception_fp_ieee_overflow 0
		.amdhsa_exception_fp_ieee_underflow 0
		.amdhsa_exception_fp_ieee_inexact 0
		.amdhsa_exception_int_div_zero 0
	.end_amdhsa_kernel
	.section	.text._ZL20rocblas_gemvt_kernelILb0ELi256E16rocblas_bfloat16PKffEviiT2_lPKT1_lilS6_lilS3_lPT3_lili,"axG",@progbits,_ZL20rocblas_gemvt_kernelILb0ELi256E16rocblas_bfloat16PKffEviiT2_lPKT1_lilS6_lilS3_lPT3_lili,comdat
.Lfunc_end648:
	.size	_ZL20rocblas_gemvt_kernelILb0ELi256E16rocblas_bfloat16PKffEviiT2_lPKT1_lilS6_lilS3_lPT3_lili, .Lfunc_end648-_ZL20rocblas_gemvt_kernelILb0ELi256E16rocblas_bfloat16PKffEviiT2_lPKT1_lilS6_lilS3_lPT3_lili
                                        ; -- End function
	.set _ZL20rocblas_gemvt_kernelILb0ELi256E16rocblas_bfloat16PKffEviiT2_lPKT1_lilS6_lilS3_lPT3_lili.num_vgpr, 20
	.set _ZL20rocblas_gemvt_kernelILb0ELi256E16rocblas_bfloat16PKffEviiT2_lPKT1_lilS6_lilS3_lPT3_lili.num_agpr, 0
	.set _ZL20rocblas_gemvt_kernelILb0ELi256E16rocblas_bfloat16PKffEviiT2_lPKT1_lilS6_lilS3_lPT3_lili.numbered_sgpr, 50
	.set _ZL20rocblas_gemvt_kernelILb0ELi256E16rocblas_bfloat16PKffEviiT2_lPKT1_lilS6_lilS3_lPT3_lili.num_named_barrier, 0
	.set _ZL20rocblas_gemvt_kernelILb0ELi256E16rocblas_bfloat16PKffEviiT2_lPKT1_lilS6_lilS3_lPT3_lili.private_seg_size, 0
	.set _ZL20rocblas_gemvt_kernelILb0ELi256E16rocblas_bfloat16PKffEviiT2_lPKT1_lilS6_lilS3_lPT3_lili.uses_vcc, 1
	.set _ZL20rocblas_gemvt_kernelILb0ELi256E16rocblas_bfloat16PKffEviiT2_lPKT1_lilS6_lilS3_lPT3_lili.uses_flat_scratch, 0
	.set _ZL20rocblas_gemvt_kernelILb0ELi256E16rocblas_bfloat16PKffEviiT2_lPKT1_lilS6_lilS3_lPT3_lili.has_dyn_sized_stack, 0
	.set _ZL20rocblas_gemvt_kernelILb0ELi256E16rocblas_bfloat16PKffEviiT2_lPKT1_lilS6_lilS3_lPT3_lili.has_recursion, 0
	.set _ZL20rocblas_gemvt_kernelILb0ELi256E16rocblas_bfloat16PKffEviiT2_lPKT1_lilS6_lilS3_lPT3_lili.has_indirect_call, 0
	.section	.AMDGPU.csdata,"",@progbits
; Kernel info:
; codeLenInByte = 1696
; TotalNumSgprs: 52
; NumVgprs: 20
; ScratchSize: 0
; MemoryBound: 0
; FloatMode: 240
; IeeeMode: 1
; LDSByteSize: 1024 bytes/workgroup (compile time only)
; SGPRBlocks: 0
; VGPRBlocks: 1
; NumSGPRsForWavesPerEU: 52
; NumVGPRsForWavesPerEU: 20
; NamedBarCnt: 0
; Occupancy: 16
; WaveLimiterHint : 0
; COMPUTE_PGM_RSRC2:SCRATCH_EN: 0
; COMPUTE_PGM_RSRC2:USER_SGPR: 2
; COMPUTE_PGM_RSRC2:TRAP_HANDLER: 0
; COMPUTE_PGM_RSRC2:TGID_X_EN: 1
; COMPUTE_PGM_RSRC2:TGID_Y_EN: 0
; COMPUTE_PGM_RSRC2:TGID_Z_EN: 1
; COMPUTE_PGM_RSRC2:TIDIG_COMP_CNT: 0
	.section	.text._ZL20rocblas_gemvt_kernelILb0ELi256E16rocblas_bfloat16ffEviiT2_lPKT1_lilS4_lilS1_lPT3_lili,"axG",@progbits,_ZL20rocblas_gemvt_kernelILb0ELi256E16rocblas_bfloat16ffEviiT2_lPKT1_lilS4_lilS1_lPT3_lili,comdat
	.globl	_ZL20rocblas_gemvt_kernelILb0ELi256E16rocblas_bfloat16ffEviiT2_lPKT1_lilS4_lilS1_lPT3_lili ; -- Begin function _ZL20rocblas_gemvt_kernelILb0ELi256E16rocblas_bfloat16ffEviiT2_lPKT1_lilS4_lilS1_lPT3_lili
	.p2align	8
	.type	_ZL20rocblas_gemvt_kernelILb0ELi256E16rocblas_bfloat16ffEviiT2_lPKT1_lilS4_lilS1_lPT3_lili,@function
_ZL20rocblas_gemvt_kernelILb0ELi256E16rocblas_bfloat16ffEviiT2_lPKT1_lilS4_lilS1_lPT3_lili: ; @_ZL20rocblas_gemvt_kernelILb0ELi256E16rocblas_bfloat16ffEviiT2_lPKT1_lilS4_lilS1_lPT3_lili
; %bb.0:
	s_load_b32 s23, s[0:1], 0x88
	s_bfe_u32 s2, ttmp6, 0x40014
	s_lshr_b32 s3, ttmp7, 16
	s_add_co_i32 s2, s2, 1
	s_bfe_u32 s4, ttmp6, 0x40008
	s_mul_i32 s2, s3, s2
	s_getreg_b32 s11, hwreg(HW_REG_IB_STS2, 6, 4)
	s_add_co_i32 s4, s4, s2
	s_cmp_eq_u32 s11, 0
	s_mov_b32 s25, 0
	s_cselect_b32 s24, s3, s4
	s_wait_kmcnt 0x0
	s_cmp_ge_u32 s24, s23
	s_cbranch_scc1 .LBB649_49
; %bb.1:
	s_clause 0x8
	s_load_b32 s2, s[0:1], 0x28
	s_load_b96 s[8:10], s[0:1], 0x40
	s_load_b32 s30, s[0:1], 0x78
	s_load_b128 s[4:7], s[0:1], 0x68
	s_load_b128 s[16:19], s[0:1], 0x18
	s_load_b32 s33, s[0:1], 0x8
	s_load_b96 s[20:22], s[0:1], 0x50
	s_load_b64 s[26:27], s[0:1], 0x80
	s_load_b32 s42, s[0:1], 0x0
	v_lshlrev_b32_e32 v14, 2, v0
	s_wait_kmcnt 0x0
	s_ashr_i32 s3, s2, 31
	s_ashr_i32 s29, s10, 31
	;; [unrolled: 1-line block ×3, first 2 shown]
	s_lshl_b64 s[34:35], s[8:9], 1
	s_lshl_b64 s[6:7], s[6:7], 2
	;; [unrolled: 1-line block ×3, first 2 shown]
	s_cmp_eq_f32 s33, 0
	s_mov_b32 s28, s10
	s_cselect_b32 s9, -1, 0
	s_cmp_neq_f32 s33, 0
	s_cselect_b32 s8, -1, 0
	s_cmp_neq_f32 s22, 1.0
	s_cselect_b32 s12, -1, 0
	s_delay_alu instid0(SALU_CYCLE_1)
	s_or_b32 s38, s8, s12
	s_cmp_neq_f32 s22, 0
	s_load_b128 s[12:15], s[0:1], 0x30
	v_cmp_gt_i32_e32 vcc_lo, s42, v0
	v_mov_b32_e32 v3, 0
	s_cselect_b32 s39, -1, 0
	s_bfe_u32 s8, ttmp6, 0x4000c
	s_and_b32 s18, ttmp6, 15
	s_add_co_i32 s8, s8, 1
	s_delay_alu instid0(SALU_CYCLE_1) | instskip(NEXT) | instid1(SALU_CYCLE_1)
	s_mul_i32 s8, ttmp9, s8
	s_add_co_i32 s18, s18, s8
	s_cmp_eq_u32 s11, 0
	v_cmp_gt_u32_e64 s8, 2, v0
	s_cselect_b32 s40, ttmp9, s18
	s_wait_xcnt 0x0
	s_ashr_i32 s0, s42, 31
	s_ashr_i32 s41, s40, 31
	s_lshr_b32 s0, s0, 24
	s_mul_u64 s[2:3], s[2:3], s[40:41]
	s_add_co_i32 s0, s42, s0
	s_add_nc_u64 s[18:19], s[4:5], s[6:7]
	s_and_b32 s10, s0, 0xffffff00
	s_delay_alu instid0(SALU_CYCLE_1)
	v_dual_mov_b32 v1, v3 :: v_dual_bitop2_b32 v10, s10, v0 bitop3:0x54
	s_add_nc_u64 s[0:1], s[16:17], s[36:37]
	s_wait_kmcnt 0x0
	s_add_nc_u64 s[14:15], s[14:15], s[34:35]
	s_mul_u64 s[34:35], s[30:31], s[40:41]
	v_mul_u64_e32 v[8:9], s[28:29], v[0:1]
	v_dual_cndmask_b32 v1, 0, v0, vcc_lo :: v_dual_ashrrev_i32 v11, 31, v10
	s_lshl_b64 s[30:31], s[2:3], 1
	v_cmp_gt_u32_e64 s2, 0x80, v0
	v_cmp_gt_u32_e64 s3, 64, v0
	s_delay_alu instid0(VALU_DEP_3)
	v_lshlrev_b32_e32 v2, 1, v1
	v_mul_u64_e32 v[4:5], s[28:29], v[10:11]
	v_cmp_gt_u32_e64 s4, 32, v0
	v_cmp_gt_u32_e64 s5, 16, v0
	;; [unrolled: 1-line block ×3, first 2 shown]
	v_add_nc_u64_e32 v[6:7], s[0:1], v[2:3]
	v_cmp_eq_u32_e64 s0, 0, v0
	v_cmp_gt_u32_e64 s7, 4, v0
	v_cmp_gt_i32_e64 s1, s42, v10
	s_cmp_gt_i32 s42, 0xff
	s_cselect_b32 s40, -1, 0
	v_add_nc_u64_e32 v[6:7], s[30:31], v[6:7]
	s_add_nc_u64 s[30:31], s[30:31], s[36:37]
	s_ashr_i32 s11, s10, 31
	s_add_nc_u64 s[30:31], s[16:17], s[30:31]
	s_lshl_b64 s[16:17], s[20:21], 1
	s_lshl_b64 s[28:29], s[28:29], 9
	;; [unrolled: 1-line block ×3, first 2 shown]
	v_lshl_add_u64 v[0:1], v[8:9], 1, s[14:15]
	v_add_nc_u64_e32 v[8:9], s[30:31], v[2:3]
	s_lshl_b64 s[30:31], s[12:13], 1
	s_branch .LBB649_4
.LBB649_2:                              ;   in Loop: Header=BB649_4 Depth=1
	s_wait_xcnt 0x0
	s_or_b32 exec_lo, exec_lo, s42
.LBB649_3:                              ;   in Loop: Header=BB649_4 Depth=1
	s_add_co_i32 s24, s24, 0x10000
	s_delay_alu instid0(SALU_CYCLE_1)
	s_cmp_lt_u32 s24, s23
	s_cbranch_scc0 .LBB649_49
.LBB649_4:                              ; =>This Loop Header: Depth=1
                                        ;     Child Loop BB649_16 Depth 2
	s_and_not1_b32 vcc_lo, exec_lo, s38
	s_cbranch_vccnz .LBB649_3
; %bb.5:                                ;   in Loop: Header=BB649_4 Depth=1
	s_mul_u64 s[36:37], s[26:27], s[24:25]
	s_and_not1_b32 vcc_lo, exec_lo, s9
	s_lshl_b64 s[36:37], s[36:37], 2
	s_delay_alu instid0(SALU_CYCLE_1)
	s_add_nc_u64 s[36:37], s[18:19], s[36:37]
	s_cbranch_vccnz .LBB649_9
; %bb.6:                                ;   in Loop: Header=BB649_4 Depth=1
	s_mov_b32 s42, 0
	s_mov_b32 s41, 0
                                        ; implicit-def: $vgpr2
	s_and_saveexec_b32 s43, s0
	s_cbranch_execz .LBB649_10
; %bb.7:                                ;   in Loop: Header=BB649_4 Depth=1
	s_and_not1_b32 vcc_lo, exec_lo, s39
	s_cbranch_vccnz .LBB649_11
; %bb.8:                                ;   in Loop: Header=BB649_4 Depth=1
	s_add_nc_u64 s[44:45], s[36:37], s[34:35]
	global_load_b32 v2, v3, s[44:45]
	s_wait_loadcnt 0x0
	v_mul_f32_e32 v2, s22, v2
	s_branch .LBB649_12
.LBB649_9:                              ;   in Loop: Header=BB649_4 Depth=1
	s_mov_b32 s41, 0
                                        ; implicit-def: $vgpr2
	s_cbranch_execnz .LBB649_13
	s_branch .LBB649_47
.LBB649_10:                             ;   in Loop: Header=BB649_4 Depth=1
	s_or_b32 exec_lo, exec_lo, s43
	s_delay_alu instid0(SALU_CYCLE_1)
	s_and_b32 vcc_lo, exec_lo, s42
	s_cbranch_vccnz .LBB649_13
	s_branch .LBB649_47
.LBB649_11:                             ;   in Loop: Header=BB649_4 Depth=1
	v_mov_b32_e32 v2, 0
.LBB649_12:                             ;   in Loop: Header=BB649_4 Depth=1
	s_mov_b32 s41, exec_lo
	s_wait_xcnt 0x0
	s_or_b32 exec_lo, exec_lo, s43
	s_delay_alu instid0(SALU_CYCLE_1)
	s_and_b32 vcc_lo, exec_lo, s42
	s_cbranch_vccz .LBB649_47
.LBB649_13:                             ;   in Loop: Header=BB649_4 Depth=1
	v_mov_b32_e32 v2, 0
	s_and_not1_b32 vcc_lo, exec_lo, s40
	s_cbranch_vccnz .LBB649_20
; %bb.14:                               ;   in Loop: Header=BB649_4 Depth=1
	v_mad_nc_u64_u32 v[10:11], s16, s24, v[0:1]
	v_mad_nc_u64_u32 v[12:13], s30, s24, v[8:9]
	v_mov_b32_e32 v2, 0
	s_mov_b32 s42, 0
	s_delay_alu instid0(VALU_DEP_3) | instskip(NEXT) | instid1(VALU_DEP_3)
	v_mad_u32 v11, s17, s24, v11
	v_mad_u32 v13, s31, s24, v13
	s_branch .LBB649_16
.LBB649_15:                             ;   in Loop: Header=BB649_16 Depth=2
	s_or_b32 exec_lo, exec_lo, s43
	s_delay_alu instid0(VALU_DEP_1) | instskip(SKIP_3) | instid1(SALU_CYCLE_1)
	v_and_b32_e32 v15, 0xffff0000, v16
	v_add_nc_u64_e32 v[10:11], s[28:29], v[10:11]
	v_add_nc_u64_e32 v[12:13], 0x200, v[12:13]
	s_addk_co_i32 s42, 0x100
	s_cmp_ge_i32 s42, s10
	v_add_f32_e32 v2, v2, v15
	s_cbranch_scc1 .LBB649_20
.LBB649_16:                             ;   Parent Loop BB649_4 Depth=1
                                        ; =>  This Inner Loop Header: Depth=2
	global_load_u16 v15, v[12:13], off
	global_load_u16 v16, v[10:11], off
	s_wait_loadcnt 0x0
	v_dual_lshlrev_b32 v15, 16, v15 :: v_dual_lshlrev_b32 v16, 16, v16
	s_delay_alu instid0(VALU_DEP_1) | instskip(NEXT) | instid1(VALU_DEP_1)
	v_mul_f32_e32 v15, v16, v15
	v_and_b32_e32 v16, 0x7f800000, v15
	s_delay_alu instid0(VALU_DEP_1) | instskip(SKIP_2) | instid1(SALU_CYCLE_1)
	v_cmp_ne_u32_e32 vcc_lo, 0x7f800000, v16
                                        ; implicit-def: $vgpr16
	s_wait_xcnt 0x0
	s_and_saveexec_b32 s43, vcc_lo
	s_xor_b32 s43, exec_lo, s43
; %bb.17:                               ;   in Loop: Header=BB649_16 Depth=2
	v_bfe_u32 v16, v15, 16, 1
	s_delay_alu instid0(VALU_DEP_1)
	v_add3_u32 v16, v15, v16, 0x7fff
                                        ; implicit-def: $vgpr15
; %bb.18:                               ;   in Loop: Header=BB649_16 Depth=2
	s_and_not1_saveexec_b32 s43, s43
	s_cbranch_execz .LBB649_15
; %bb.19:                               ;   in Loop: Header=BB649_16 Depth=2
	v_and_b32_e32 v16, 0xffff, v15
	v_or_b32_e32 v17, 0x10000, v15
	s_delay_alu instid0(VALU_DEP_2) | instskip(NEXT) | instid1(VALU_DEP_2)
	v_cmp_eq_u32_e32 vcc_lo, 0, v16
	v_cndmask_b32_e32 v16, v17, v15, vcc_lo
	s_branch .LBB649_15
.LBB649_20:                             ;   in Loop: Header=BB649_4 Depth=1
	s_and_saveexec_b32 s42, s1
	s_cbranch_execz .LBB649_26
; %bb.21:                               ;   in Loop: Header=BB649_4 Depth=1
	s_mul_u64 s[44:45], s[12:13], s[24:25]
	s_mul_u64 s[46:47], s[20:21], s[24:25]
	v_lshl_add_u64 v[10:11], s[44:45], 1, v[6:7]
	s_lshl_b64 s[44:45], s[46:47], 1
	s_delay_alu instid0(SALU_CYCLE_1) | instskip(NEXT) | instid1(SALU_CYCLE_1)
	s_add_nc_u64 s[44:45], s[14:15], s[44:45]
	v_lshl_add_u64 v[12:13], v[4:5], 1, s[44:45]
	s_delay_alu instid0(VALU_DEP_2)
	v_lshl_add_u64 v[10:11], s[10:11], 1, v[10:11]
	global_load_u16 v15, v[10:11], off
	global_load_u16 v16, v[12:13], off
	s_wait_loadcnt 0x0
	s_wait_xcnt 0x1
	v_dual_lshlrev_b32 v10, 16, v15 :: v_dual_lshlrev_b32 v11, 16, v16
	s_delay_alu instid0(VALU_DEP_1) | instskip(NEXT) | instid1(VALU_DEP_1)
	v_mul_f32_e32 v10, v11, v10
	v_and_b32_e32 v11, 0x7f800000, v10
	s_delay_alu instid0(VALU_DEP_1) | instskip(SKIP_2) | instid1(SALU_CYCLE_1)
	v_cmp_ne_u32_e32 vcc_lo, 0x7f800000, v11
                                        ; implicit-def: $vgpr11
	s_wait_xcnt 0x0
	s_and_saveexec_b32 s43, vcc_lo
	s_xor_b32 s43, exec_lo, s43
; %bb.22:                               ;   in Loop: Header=BB649_4 Depth=1
	v_bfe_u32 v11, v10, 16, 1
	s_delay_alu instid0(VALU_DEP_1)
	v_add3_u32 v11, v10, v11, 0x7fff
                                        ; implicit-def: $vgpr10
; %bb.23:                               ;   in Loop: Header=BB649_4 Depth=1
	s_and_not1_saveexec_b32 s43, s43
; %bb.24:                               ;   in Loop: Header=BB649_4 Depth=1
	v_and_b32_e32 v11, 0xffff, v10
	v_or_b32_e32 v12, 0x10000, v10
	s_delay_alu instid0(VALU_DEP_2) | instskip(NEXT) | instid1(VALU_DEP_2)
	v_cmp_eq_u32_e32 vcc_lo, 0, v11
	v_cndmask_b32_e32 v11, v12, v10, vcc_lo
; %bb.25:                               ;   in Loop: Header=BB649_4 Depth=1
	s_or_b32 exec_lo, exec_lo, s43
	s_delay_alu instid0(VALU_DEP_1) | instskip(NEXT) | instid1(VALU_DEP_1)
	v_and_b32_e32 v10, 0xffff0000, v11
	v_add_f32_e32 v2, v2, v10
.LBB649_26:                             ;   in Loop: Header=BB649_4 Depth=1
	s_or_b32 exec_lo, exec_lo, s42
	ds_store_b32 v14, v2
	s_wait_dscnt 0x0
	s_barrier_signal -1
	s_barrier_wait -1
	s_and_saveexec_b32 s42, s2
	s_cbranch_execz .LBB649_28
; %bb.27:                               ;   in Loop: Header=BB649_4 Depth=1
	ds_load_2addr_stride64_b32 v[10:11], v14 offset1:2
	s_wait_dscnt 0x0
	v_add_f32_e32 v2, v11, v10
	ds_store_b32 v14, v2
.LBB649_28:                             ;   in Loop: Header=BB649_4 Depth=1
	s_or_b32 exec_lo, exec_lo, s42
	s_wait_dscnt 0x0
	s_barrier_signal -1
	s_barrier_wait -1
	s_and_saveexec_b32 s42, s3
	s_cbranch_execz .LBB649_30
; %bb.29:                               ;   in Loop: Header=BB649_4 Depth=1
	ds_load_2addr_stride64_b32 v[10:11], v14 offset1:1
	s_wait_dscnt 0x0
	v_add_f32_e32 v2, v11, v10
	ds_store_b32 v14, v2
.LBB649_30:                             ;   in Loop: Header=BB649_4 Depth=1
	s_or_b32 exec_lo, exec_lo, s42
	s_wait_dscnt 0x0
	s_barrier_signal -1
	s_barrier_wait -1
	s_and_saveexec_b32 s42, s4
	s_cbranch_execz .LBB649_32
; %bb.31:                               ;   in Loop: Header=BB649_4 Depth=1
	ds_load_2addr_b32 v[10:11], v14 offset1:32
	s_wait_dscnt 0x0
	v_add_f32_e32 v2, v11, v10
	ds_store_b32 v14, v2
.LBB649_32:                             ;   in Loop: Header=BB649_4 Depth=1
	s_or_b32 exec_lo, exec_lo, s42
	s_wait_dscnt 0x0
	s_barrier_signal -1
	s_barrier_wait -1
	s_and_saveexec_b32 s42, s5
	s_cbranch_execz .LBB649_34
; %bb.33:                               ;   in Loop: Header=BB649_4 Depth=1
	ds_load_2addr_b32 v[10:11], v14 offset1:16
	s_wait_dscnt 0x0
	v_add_f32_e32 v2, v11, v10
	ds_store_b32 v14, v2
.LBB649_34:                             ;   in Loop: Header=BB649_4 Depth=1
	;; [unrolled: 12-line block ×5, first 2 shown]
	s_or_b32 exec_lo, exec_lo, s42
	s_wait_dscnt 0x0
	s_barrier_signal -1
	s_barrier_wait -1
	s_and_saveexec_b32 s42, s0
	s_cbranch_execz .LBB649_42
; %bb.41:                               ;   in Loop: Header=BB649_4 Depth=1
	ds_load_b64 v[10:11], v3
	s_wait_dscnt 0x0
	v_add_f32_e32 v2, v11, v10
	ds_store_b32 v3, v2
.LBB649_42:                             ;   in Loop: Header=BB649_4 Depth=1
	s_or_b32 exec_lo, exec_lo, s42
	s_wait_dscnt 0x0
	s_barrier_signal -1
	s_barrier_wait -1
                                        ; implicit-def: $vgpr2
	s_and_saveexec_b32 s42, s0
	s_cbranch_execz .LBB649_46
; %bb.43:                               ;   in Loop: Header=BB649_4 Depth=1
	ds_load_b32 v2, v3
	s_and_not1_b32 vcc_lo, exec_lo, s39
	s_wait_dscnt 0x0
	v_mul_f32_e32 v2, s33, v2
	s_cbranch_vccnz .LBB649_45
; %bb.44:                               ;   in Loop: Header=BB649_4 Depth=1
	s_add_nc_u64 s[44:45], s[36:37], s[34:35]
	global_load_b32 v10, v3, s[44:45]
	s_wait_loadcnt 0x0
	v_fmac_f32_e32 v2, s22, v10
.LBB649_45:                             ;   in Loop: Header=BB649_4 Depth=1
	s_or_b32 s41, s41, exec_lo
.LBB649_46:                             ;   in Loop: Header=BB649_4 Depth=1
	s_wait_xcnt 0x0
	s_or_b32 exec_lo, exec_lo, s42
.LBB649_47:                             ;   in Loop: Header=BB649_4 Depth=1
	s_and_saveexec_b32 s42, s41
	s_cbranch_execz .LBB649_2
; %bb.48:                               ;   in Loop: Header=BB649_4 Depth=1
	s_add_nc_u64 s[36:37], s[36:37], s[34:35]
	global_store_b32 v3, v2, s[36:37]
	s_branch .LBB649_2
.LBB649_49:
	s_endpgm
	.section	.rodata,"a",@progbits
	.p2align	6, 0x0
	.amdhsa_kernel _ZL20rocblas_gemvt_kernelILb0ELi256E16rocblas_bfloat16ffEviiT2_lPKT1_lilS4_lilS1_lPT3_lili
		.amdhsa_group_segment_fixed_size 1024
		.amdhsa_private_segment_fixed_size 0
		.amdhsa_kernarg_size 140
		.amdhsa_user_sgpr_count 2
		.amdhsa_user_sgpr_dispatch_ptr 0
		.amdhsa_user_sgpr_queue_ptr 0
		.amdhsa_user_sgpr_kernarg_segment_ptr 1
		.amdhsa_user_sgpr_dispatch_id 0
		.amdhsa_user_sgpr_kernarg_preload_length 0
		.amdhsa_user_sgpr_kernarg_preload_offset 0
		.amdhsa_user_sgpr_private_segment_size 0
		.amdhsa_wavefront_size32 1
		.amdhsa_uses_dynamic_stack 0
		.amdhsa_enable_private_segment 0
		.amdhsa_system_sgpr_workgroup_id_x 1
		.amdhsa_system_sgpr_workgroup_id_y 0
		.amdhsa_system_sgpr_workgroup_id_z 1
		.amdhsa_system_sgpr_workgroup_info 0
		.amdhsa_system_vgpr_workitem_id 0
		.amdhsa_next_free_vgpr 18
		.amdhsa_next_free_sgpr 48
		.amdhsa_named_barrier_count 0
		.amdhsa_reserve_vcc 1
		.amdhsa_float_round_mode_32 0
		.amdhsa_float_round_mode_16_64 0
		.amdhsa_float_denorm_mode_32 3
		.amdhsa_float_denorm_mode_16_64 3
		.amdhsa_fp16_overflow 0
		.amdhsa_memory_ordered 1
		.amdhsa_forward_progress 1
		.amdhsa_inst_pref_size 13
		.amdhsa_round_robin_scheduling 0
		.amdhsa_exception_fp_ieee_invalid_op 0
		.amdhsa_exception_fp_denorm_src 0
		.amdhsa_exception_fp_ieee_div_zero 0
		.amdhsa_exception_fp_ieee_overflow 0
		.amdhsa_exception_fp_ieee_underflow 0
		.amdhsa_exception_fp_ieee_inexact 0
		.amdhsa_exception_int_div_zero 0
	.end_amdhsa_kernel
	.section	.text._ZL20rocblas_gemvt_kernelILb0ELi256E16rocblas_bfloat16ffEviiT2_lPKT1_lilS4_lilS1_lPT3_lili,"axG",@progbits,_ZL20rocblas_gemvt_kernelILb0ELi256E16rocblas_bfloat16ffEviiT2_lPKT1_lilS4_lilS1_lPT3_lili,comdat
.Lfunc_end649:
	.size	_ZL20rocblas_gemvt_kernelILb0ELi256E16rocblas_bfloat16ffEviiT2_lPKT1_lilS4_lilS1_lPT3_lili, .Lfunc_end649-_ZL20rocblas_gemvt_kernelILb0ELi256E16rocblas_bfloat16ffEviiT2_lPKT1_lilS4_lilS1_lPT3_lili
                                        ; -- End function
	.set _ZL20rocblas_gemvt_kernelILb0ELi256E16rocblas_bfloat16ffEviiT2_lPKT1_lilS4_lilS1_lPT3_lili.num_vgpr, 18
	.set _ZL20rocblas_gemvt_kernelILb0ELi256E16rocblas_bfloat16ffEviiT2_lPKT1_lilS4_lilS1_lPT3_lili.num_agpr, 0
	.set _ZL20rocblas_gemvt_kernelILb0ELi256E16rocblas_bfloat16ffEviiT2_lPKT1_lilS4_lilS1_lPT3_lili.numbered_sgpr, 48
	.set _ZL20rocblas_gemvt_kernelILb0ELi256E16rocblas_bfloat16ffEviiT2_lPKT1_lilS4_lilS1_lPT3_lili.num_named_barrier, 0
	.set _ZL20rocblas_gemvt_kernelILb0ELi256E16rocblas_bfloat16ffEviiT2_lPKT1_lilS4_lilS1_lPT3_lili.private_seg_size, 0
	.set _ZL20rocblas_gemvt_kernelILb0ELi256E16rocblas_bfloat16ffEviiT2_lPKT1_lilS4_lilS1_lPT3_lili.uses_vcc, 1
	.set _ZL20rocblas_gemvt_kernelILb0ELi256E16rocblas_bfloat16ffEviiT2_lPKT1_lilS4_lilS1_lPT3_lili.uses_flat_scratch, 0
	.set _ZL20rocblas_gemvt_kernelILb0ELi256E16rocblas_bfloat16ffEviiT2_lPKT1_lilS4_lilS1_lPT3_lili.has_dyn_sized_stack, 0
	.set _ZL20rocblas_gemvt_kernelILb0ELi256E16rocblas_bfloat16ffEviiT2_lPKT1_lilS4_lilS1_lPT3_lili.has_recursion, 0
	.set _ZL20rocblas_gemvt_kernelILb0ELi256E16rocblas_bfloat16ffEviiT2_lPKT1_lilS4_lilS1_lPT3_lili.has_indirect_call, 0
	.section	.AMDGPU.csdata,"",@progbits
; Kernel info:
; codeLenInByte = 1656
; TotalNumSgprs: 50
; NumVgprs: 18
; ScratchSize: 0
; MemoryBound: 0
; FloatMode: 240
; IeeeMode: 1
; LDSByteSize: 1024 bytes/workgroup (compile time only)
; SGPRBlocks: 0
; VGPRBlocks: 1
; NumSGPRsForWavesPerEU: 50
; NumVGPRsForWavesPerEU: 18
; NamedBarCnt: 0
; Occupancy: 16
; WaveLimiterHint : 0
; COMPUTE_PGM_RSRC2:SCRATCH_EN: 0
; COMPUTE_PGM_RSRC2:USER_SGPR: 2
; COMPUTE_PGM_RSRC2:TRAP_HANDLER: 0
; COMPUTE_PGM_RSRC2:TGID_X_EN: 1
; COMPUTE_PGM_RSRC2:TGID_Y_EN: 0
; COMPUTE_PGM_RSRC2:TGID_Z_EN: 1
; COMPUTE_PGM_RSRC2:TIDIG_COMP_CNT: 0
	.section	.text._ZL32rocblas_gemvt_warp_reduce_kernelILb0ELi1024Ei16rocblas_bfloat16PKffEviiT3_lPKT2_lT1_lS6_lS7_lS3_lPT4_lS7_li,"axG",@progbits,_ZL32rocblas_gemvt_warp_reduce_kernelILb0ELi1024Ei16rocblas_bfloat16PKffEviiT3_lPKT2_lT1_lS6_lS7_lS3_lPT4_lS7_li,comdat
	.globl	_ZL32rocblas_gemvt_warp_reduce_kernelILb0ELi1024Ei16rocblas_bfloat16PKffEviiT3_lPKT2_lT1_lS6_lS7_lS3_lPT4_lS7_li ; -- Begin function _ZL32rocblas_gemvt_warp_reduce_kernelILb0ELi1024Ei16rocblas_bfloat16PKffEviiT3_lPKT2_lT1_lS6_lS7_lS3_lPT4_lS7_li
	.p2align	8
	.type	_ZL32rocblas_gemvt_warp_reduce_kernelILb0ELi1024Ei16rocblas_bfloat16PKffEviiT3_lPKT2_lT1_lS6_lS7_lS3_lPT4_lS7_li,@function
_ZL32rocblas_gemvt_warp_reduce_kernelILb0ELi1024Ei16rocblas_bfloat16PKffEviiT3_lPKT2_lT1_lS6_lS7_lS3_lPT4_lS7_li: ; @_ZL32rocblas_gemvt_warp_reduce_kernelILb0ELi1024Ei16rocblas_bfloat16PKffEviiT3_lPKT2_lT1_lS6_lS7_lS3_lPT4_lS7_li
; %bb.0:
	s_load_b32 s33, s[0:1], 0x88
	s_bfe_u32 s2, ttmp6, 0x40014
	s_lshr_b32 s3, ttmp7, 16
	s_add_co_i32 s2, s2, 1
	s_bfe_u32 s5, ttmp6, 0x40008
	s_mul_i32 s4, s3, s2
	s_getreg_b32 s2, hwreg(HW_REG_IB_STS2, 6, 4)
	s_add_co_i32 s5, s5, s4
	s_cmp_eq_u32 s2, 0
	s_mov_b32 s35, 0
	s_cselect_b32 s34, s3, s5
	s_wait_kmcnt 0x0
	s_cmp_ge_u32 s34, s33
	s_cbranch_scc1 .LBB650_42
; %bb.1:
	s_clause 0x7
	s_load_b96 s[4:6], s[0:1], 0x40
	s_load_b96 s[28:30], s[0:1], 0x70
	s_load_b256 s[8:15], s[0:1], 0x8
	s_load_b32 s7, s[0:1], 0x0
	s_load_b32 s31, s[0:1], 0x28
	s_load_b128 s[24:27], s[0:1], 0x30
	s_load_b256 s[16:23], s[0:1], 0x50
	s_load_b64 s[36:37], s[0:1], 0x80
	s_wait_xcnt 0x0
	s_bfe_u32 s1, ttmp6, 0x4000c
	s_and_b32 s3, ttmp6, 15
	s_add_co_i32 s1, s1, 1
	v_dual_mov_b32 v3, 0 :: v_dual_bitop2_b32 v8, 31, v0 bitop3:0x40
	s_mul_i32 s1, ttmp9, s1
	v_mbcnt_lo_u32_b32 v13, -1, 0
	s_add_co_i32 s3, s3, s1
	v_cmp_eq_u32_e64 s0, 0, v0
	v_cmp_gt_u32_e64 s1, 32, v0
	s_delay_alu instid0(VALU_DEP_3)
	v_lshl_or_b32 v14, v13, 2, 64
	s_wait_kmcnt 0x0
	s_lshl_b64 s[4:5], s[4:5], 1
	s_lshl_b64 s[28:29], s[28:29], 2
	;; [unrolled: 1-line block ×3, first 2 shown]
	v_cmp_gt_i32_e32 vcc_lo, s7, v0
	s_cmp_eq_u32 s2, 0
	v_lshrrev_b32_e32 v10, 3, v0
	s_cselect_b32 s15, ttmp9, s3
	s_ashr_i32 s2, s7, 31
	v_cndmask_b32_e32 v2, 0, v0, vcc_lo
	s_lshr_b32 s2, s2, 22
	v_lshlrev_b32_e32 v1, 2, v8
	s_add_co_i32 s2, s7, s2
	s_add_nc_u64 s[26:27], s[26:27], s[4:5]
	s_and_b32 s14, s2, 0xfffffc00
	s_delay_alu instid0(SALU_CYCLE_1) | instskip(SKIP_3) | instid1(VALU_DEP_2)
	v_dual_lshlrev_b32 v2, 1, v2 :: v_dual_bitop2_b32 v5, s14, v0 bitop3:0x54
	s_add_nc_u64 s[2:3], s[12:13], s[38:39]
	s_mul_i32 s4, s31, s15
	v_mul_lo_u32 v12, v0, s6
	v_add_nc_u64_e32 v[6:7], s[2:3], v[2:3]
	v_mul_lo_u32 v4, s6, v5
	s_ashr_i32 s5, s4, 31
	s_add_nc_u64 s[22:23], s[22:23], s[28:29]
	s_lshl_b64 s[4:5], s[4:5], 1
	s_mul_i32 s28, s30, s15
	v_cmp_gt_i32_e64 s2, s14, v0
	v_add_nc_u64_e32 v[6:7], s[4:5], v[6:7]
	s_add_nc_u64 s[4:5], s[38:39], s[4:5]
	v_cmp_gt_i32_e64 s3, s7, v5
	s_add_nc_u64 s[12:13], s[12:13], s[4:5]
	v_cmp_eq_u32_e64 s4, 0, v8
	v_add_nc_u64_e32 v[8:9], s[12:13], v[2:3]
	v_ashrrev_i32_e32 v5, 31, v4
	v_and_b32_e32 v2, 0x7c, v10
	s_ashr_i32 s29, s28, 31
	s_ashr_i32 s15, s14, 31
	s_lshl_b32 s38, s6, 10
	s_lshl_b64 s[6:7], s[24:25], 1
	s_lshl_b64 s[12:13], s[28:29], 2
	s_branch .LBB650_4
.LBB650_2:                              ;   in Loop: Header=BB650_4 Depth=1
	s_wait_xcnt 0x0
	s_or_b32 exec_lo, exec_lo, s5
.LBB650_3:                              ;   in Loop: Header=BB650_4 Depth=1
	s_add_co_i32 s34, s34, 0x10000
	s_delay_alu instid0(SALU_CYCLE_1)
	s_cmp_lt_u32 s34, s33
	s_cbranch_scc0 .LBB650_42
.LBB650_4:                              ; =>This Loop Header: Depth=1
                                        ;     Child Loop BB650_24 Depth 2
	s_mul_u64 s[28:29], s[10:11], s[34:35]
	s_wait_xcnt 0x0
	s_mul_u64 s[30:31], s[20:21], s[34:35]
	s_lshl_b64 s[28:29], s[28:29], 2
	s_lshl_b64 s[30:31], s[30:31], 2
	s_add_nc_u64 s[28:29], s[8:9], s[28:29]
	s_add_nc_u64 s[30:31], s[18:19], s[30:31]
	s_clause 0x1
	global_load_b32 v15, v3, s[28:29]
	global_load_b32 v10, v3, s[30:31]
	s_wait_loadcnt 0x1
	v_cmp_eq_f32_e32 vcc_lo, 0, v15
	s_wait_loadcnt 0x0
	v_cmp_eq_f32_e64 s5, 1.0, v10
	s_wait_xcnt 0x1
	s_and_b32 s28, vcc_lo, s5
	v_readfirstlane_b32 s5, v10
	s_and_b32 vcc_lo, exec_lo, s28
	s_cbranch_vccnz .LBB650_3
; %bb.5:                                ;   in Loop: Header=BB650_4 Depth=1
	v_cmp_neq_f32_e32 vcc_lo, 0, v15
	s_mul_u64 s[28:29], s[36:37], s[34:35]
	s_delay_alu instid0(SALU_CYCLE_1) | instskip(NEXT) | instid1(SALU_CYCLE_1)
	s_lshl_b64 s[28:29], s[28:29], 2
	s_add_nc_u64 s[28:29], s[22:23], s[28:29]
	s_cbranch_vccnz .LBB650_9
; %bb.6:                                ;   in Loop: Header=BB650_4 Depth=1
	s_wait_xcnt 0x0
	s_mov_b32 s30, 0
	s_mov_b32 s39, 0
                                        ; implicit-def: $vgpr10
	s_and_saveexec_b32 s31, s0
	s_cbranch_execz .LBB650_10
; %bb.7:                                ;   in Loop: Header=BB650_4 Depth=1
	s_cmp_eq_f32 s5, 0
	s_cbranch_scc1 .LBB650_11
; %bb.8:                                ;   in Loop: Header=BB650_4 Depth=1
	s_add_nc_u64 s[40:41], s[28:29], s[12:13]
	global_load_b32 v10, v3, s[40:41]
	s_wait_loadcnt 0x0
	v_mul_f32_e32 v10, s5, v10
	s_branch .LBB650_12
.LBB650_9:                              ;   in Loop: Header=BB650_4 Depth=1
	s_wait_xcnt 0x0
	s_mov_b32 s39, 0
                                        ; implicit-def: $vgpr10
	s_cbranch_execnz .LBB650_13
	s_branch .LBB650_34
.LBB650_10:                             ;   in Loop: Header=BB650_4 Depth=1
	s_or_b32 exec_lo, exec_lo, s31
	s_delay_alu instid0(SALU_CYCLE_1)
	s_and_b32 vcc_lo, exec_lo, s30
	s_cbranch_vccnz .LBB650_13
	s_branch .LBB650_34
.LBB650_11:                             ;   in Loop: Header=BB650_4 Depth=1
	v_mov_b32_e32 v10, 0
.LBB650_12:                             ;   in Loop: Header=BB650_4 Depth=1
	s_mov_b32 s39, exec_lo
	s_wait_xcnt 0x0
	s_or_b32 exec_lo, exec_lo, s31
	s_delay_alu instid0(SALU_CYCLE_1)
	s_and_b32 vcc_lo, exec_lo, s30
	s_cbranch_vccz .LBB650_34
.LBB650_13:                             ;   in Loop: Header=BB650_4 Depth=1
	s_mul_u64 s[30:31], s[16:17], s[34:35]
	v_mov_b32_e32 v16, 0
	s_lshl_b64 s[30:31], s[30:31], 1
	s_delay_alu instid0(SALU_CYCLE_1)
	s_add_nc_u64 s[30:31], s[26:27], s[30:31]
	s_and_saveexec_b32 s40, s2
	s_cbranch_execnz .LBB650_22
; %bb.14:                               ;   in Loop: Header=BB650_4 Depth=1
	s_or_b32 exec_lo, exec_lo, s40
	s_and_saveexec_b32 s40, s3
	s_cbranch_execnz .LBB650_37
.LBB650_15:                             ;   in Loop: Header=BB650_4 Depth=1
	s_or_b32 exec_lo, exec_lo, s40
	s_and_saveexec_b32 s30, s1
.LBB650_16:                             ;   in Loop: Header=BB650_4 Depth=1
	ds_store_b32 v1, v3
.LBB650_17:                             ;   in Loop: Header=BB650_4 Depth=1
	s_or_b32 exec_lo, exec_lo, s30
	ds_bpermute_b32 v11, v14, v16
	v_cmp_gt_u32_e32 vcc_lo, 24, v13
	s_wait_dscnt 0x0
	s_barrier_signal -1
	s_barrier_wait -1
	v_cndmask_b32_e64 v10, 0, 8, vcc_lo
	v_cmp_gt_u32_e32 vcc_lo, 28, v13
	s_delay_alu instid0(VALU_DEP_2)
	v_add_lshl_u32 v10, v10, v13, 2
	v_add_f32_e32 v16, v16, v11
	v_cndmask_b32_e64 v11, 0, 4, vcc_lo
	v_cmp_gt_u32_e32 vcc_lo, 30, v13
	ds_bpermute_b32 v17, v10, v16
	v_add_lshl_u32 v11, v11, v13, 2
	s_wait_dscnt 0x0
	v_add_f32_e32 v17, v16, v17
	v_cndmask_b32_e64 v16, 0, 2, vcc_lo
	v_cmp_ne_u32_e32 vcc_lo, 31, v13
	ds_bpermute_b32 v18, v11, v17
	v_add_lshl_u32 v16, v16, v13, 2
	v_add_co_ci_u32_e64 v19, null, 0, v13, vcc_lo
	s_wait_dscnt 0x0
	v_add_f32_e32 v17, v17, v18
	ds_bpermute_b32 v18, v16, v17
	s_wait_dscnt 0x0
	v_dual_add_f32 v18, v17, v18 :: v_dual_lshlrev_b32 v17, 2, v19
	ds_bpermute_b32 v19, v17, v18
	s_and_saveexec_b32 s30, s4
	s_cbranch_execz .LBB650_19
; %bb.18:                               ;   in Loop: Header=BB650_4 Depth=1
	s_wait_dscnt 0x0
	v_add_f32_e32 v18, v18, v19
	ds_store_b32 v2, v18
.LBB650_19:                             ;   in Loop: Header=BB650_4 Depth=1
	s_or_b32 exec_lo, exec_lo, s30
	v_mov_b32_e32 v18, 0
	s_wait_dscnt 0x0
	s_barrier_signal -1
	s_barrier_wait -1
	s_and_saveexec_b32 s30, s1
	s_cbranch_execnz .LBB650_28
; %bb.20:                               ;   in Loop: Header=BB650_4 Depth=1
	s_or_b32 exec_lo, exec_lo, s30
	s_and_saveexec_b32 s30, s1
	s_cbranch_execnz .LBB650_29
.LBB650_21:                             ;   in Loop: Header=BB650_4 Depth=1
	s_or_b32 exec_lo, exec_lo, s30
                                        ; implicit-def: $vgpr10
	s_and_saveexec_b32 s30, s0
	s_cbranch_execnz .LBB650_30
	s_branch .LBB650_33
.LBB650_22:                             ;   in Loop: Header=BB650_4 Depth=1
	v_mad_nc_u64_u32 v[10:11], s6, s34, v[8:9]
	v_dual_mov_b32 v16, 0 :: v_dual_mov_b32 v17, v0
	s_wait_dscnt 0x0
	v_mov_b32_e32 v18, v12
	s_mov_b32 s41, 0
	s_delay_alu instid0(VALU_DEP_3)
	v_mad_u32 v11, s7, s34, v11
	s_branch .LBB650_24
.LBB650_23:                             ;   in Loop: Header=BB650_24 Depth=2
	s_or_b32 exec_lo, exec_lo, s42
	s_delay_alu instid0(VALU_DEP_1) | instskip(SKIP_2) | instid1(VALU_DEP_3)
	v_and_b32_e32 v19, 0xffff0000, v19
	v_add_nc_u32_e32 v17, 0x400, v17
	v_add_nc_u64_e32 v[10:11], 0x800, v[10:11]
	v_dual_add_nc_u32 v18, s38, v18 :: v_dual_add_f32 v16, v16, v19
	s_delay_alu instid0(VALU_DEP_3) | instskip(SKIP_1) | instid1(SALU_CYCLE_1)
	v_cmp_le_i32_e32 vcc_lo, s14, v17
	s_or_b32 s41, vcc_lo, s41
	s_and_not1_b32 exec_lo, exec_lo, s41
	s_cbranch_execz .LBB650_36
.LBB650_24:                             ;   Parent Loop BB650_4 Depth=1
                                        ; =>  This Inner Loop Header: Depth=2
	global_load_u16 v19, v[10:11], off
	global_load_u16 v20, v18, s[30:31] scale_offset
	s_wait_loadcnt 0x0
	v_dual_lshlrev_b32 v19, 16, v19 :: v_dual_lshlrev_b32 v20, 16, v20
	s_delay_alu instid0(VALU_DEP_1) | instskip(NEXT) | instid1(VALU_DEP_1)
	v_mul_f32_e32 v20, v20, v19
	v_and_b32_e32 v19, 0x7f800000, v20
	s_delay_alu instid0(VALU_DEP_1) | instskip(SKIP_2) | instid1(SALU_CYCLE_1)
	v_cmp_ne_u32_e32 vcc_lo, 0x7f800000, v19
                                        ; implicit-def: $vgpr19
	s_wait_xcnt 0x0
	s_and_saveexec_b32 s42, vcc_lo
	s_xor_b32 s42, exec_lo, s42
; %bb.25:                               ;   in Loop: Header=BB650_24 Depth=2
	v_bfe_u32 v19, v20, 16, 1
	s_delay_alu instid0(VALU_DEP_1)
	v_add3_u32 v19, v20, v19, 0x7fff
                                        ; implicit-def: $vgpr20
; %bb.26:                               ;   in Loop: Header=BB650_24 Depth=2
	s_and_not1_saveexec_b32 s42, s42
	s_cbranch_execz .LBB650_23
; %bb.27:                               ;   in Loop: Header=BB650_24 Depth=2
	v_and_b32_e32 v19, 0xffff, v20
	v_or_b32_e32 v21, 0x10000, v20
	s_delay_alu instid0(VALU_DEP_2) | instskip(NEXT) | instid1(VALU_DEP_2)
	v_cmp_eq_u32_e32 vcc_lo, 0, v19
	v_cndmask_b32_e32 v19, v21, v20, vcc_lo
	s_branch .LBB650_23
.LBB650_28:                             ;   in Loop: Header=BB650_4 Depth=1
	ds_load_b32 v18, v1
	s_or_b32 exec_lo, exec_lo, s30
	s_and_saveexec_b32 s30, s1
	s_cbranch_execz .LBB650_21
.LBB650_29:                             ;   in Loop: Header=BB650_4 Depth=1
	s_wait_dscnt 0x0
	ds_bpermute_b32 v19, v14, v18
	s_wait_dscnt 0x0
	v_add_f32_e32 v18, v18, v19
	ds_bpermute_b32 v10, v10, v18
	s_wait_dscnt 0x0
	v_add_f32_e32 v10, v18, v10
	;; [unrolled: 3-line block ×5, first 2 shown]
	s_or_b32 exec_lo, exec_lo, s30
                                        ; implicit-def: $vgpr10
	s_and_saveexec_b32 s30, s0
	s_cbranch_execz .LBB650_33
.LBB650_30:                             ;   in Loop: Header=BB650_4 Depth=1
	s_wait_dscnt 0x0
	v_mul_f32_e32 v10, v15, v18
	s_cmp_eq_f32 s5, 0
	s_cbranch_scc1 .LBB650_32
; %bb.31:                               ;   in Loop: Header=BB650_4 Depth=1
	s_add_nc_u64 s[40:41], s[28:29], s[12:13]
	global_load_b32 v11, v3, s[40:41]
	s_wait_loadcnt 0x0
	v_fmac_f32_e32 v10, s5, v11
.LBB650_32:                             ;   in Loop: Header=BB650_4 Depth=1
	s_or_b32 s39, s39, exec_lo
.LBB650_33:                             ;   in Loop: Header=BB650_4 Depth=1
	s_wait_xcnt 0x0
	s_or_b32 exec_lo, exec_lo, s30
.LBB650_34:                             ;   in Loop: Header=BB650_4 Depth=1
	s_and_saveexec_b32 s5, s39
	s_cbranch_execz .LBB650_2
; %bb.35:                               ;   in Loop: Header=BB650_4 Depth=1
	s_add_nc_u64 s[28:29], s[28:29], s[12:13]
	global_store_b32 v3, v10, s[28:29]
	s_branch .LBB650_2
.LBB650_36:                             ;   in Loop: Header=BB650_4 Depth=1
	s_or_b32 exec_lo, exec_lo, s41
	s_delay_alu instid0(SALU_CYCLE_1)
	s_or_b32 exec_lo, exec_lo, s40
	s_and_saveexec_b32 s40, s3
	s_cbranch_execz .LBB650_15
.LBB650_37:                             ;   in Loop: Header=BB650_4 Depth=1
	s_mul_u64 s[42:43], s[24:25], s[34:35]
	s_wait_dscnt 0x0
	v_lshl_add_u64 v[18:19], v[4:5], 1, s[30:31]
	v_lshl_add_u64 v[10:11], s[42:43], 1, v[6:7]
	s_delay_alu instid0(VALU_DEP_1)
	v_lshl_add_u64 v[10:11], s[14:15], 1, v[10:11]
	global_load_u16 v17, v[18:19], off
	global_load_u16 v20, v[10:11], off
	s_wait_loadcnt 0x0
	s_wait_xcnt 0x0
	v_dual_lshlrev_b32 v10, 16, v17 :: v_dual_lshlrev_b32 v11, 16, v20
	s_delay_alu instid0(VALU_DEP_1) | instskip(NEXT) | instid1(VALU_DEP_1)
	v_mul_f32_e32 v10, v10, v11
	v_and_b32_e32 v11, 0x7f800000, v10
	s_delay_alu instid0(VALU_DEP_1) | instskip(SKIP_1) | instid1(SALU_CYCLE_1)
	v_cmp_ne_u32_e32 vcc_lo, 0x7f800000, v11
                                        ; implicit-def: $vgpr11
	s_and_saveexec_b32 s30, vcc_lo
	s_xor_b32 s30, exec_lo, s30
; %bb.38:                               ;   in Loop: Header=BB650_4 Depth=1
	v_bfe_u32 v11, v10, 16, 1
	s_delay_alu instid0(VALU_DEP_1)
	v_add3_u32 v11, v10, v11, 0x7fff
                                        ; implicit-def: $vgpr10
; %bb.39:                               ;   in Loop: Header=BB650_4 Depth=1
	s_and_not1_saveexec_b32 s30, s30
; %bb.40:                               ;   in Loop: Header=BB650_4 Depth=1
	v_and_b32_e32 v11, 0xffff, v10
	v_or_b32_e32 v17, 0x10000, v10
	s_delay_alu instid0(VALU_DEP_2) | instskip(NEXT) | instid1(VALU_DEP_2)
	v_cmp_eq_u32_e32 vcc_lo, 0, v11
	v_cndmask_b32_e32 v11, v17, v10, vcc_lo
; %bb.41:                               ;   in Loop: Header=BB650_4 Depth=1
	s_or_b32 exec_lo, exec_lo, s30
	s_delay_alu instid0(VALU_DEP_1) | instskip(NEXT) | instid1(VALU_DEP_1)
	v_and_b32_e32 v10, 0xffff0000, v11
	v_add_f32_e32 v16, v16, v10
	s_or_b32 exec_lo, exec_lo, s40
	s_and_saveexec_b32 s30, s1
	s_cbranch_execnz .LBB650_16
	s_branch .LBB650_17
.LBB650_42:
	s_endpgm
	.section	.rodata,"a",@progbits
	.p2align	6, 0x0
	.amdhsa_kernel _ZL32rocblas_gemvt_warp_reduce_kernelILb0ELi1024Ei16rocblas_bfloat16PKffEviiT3_lPKT2_lT1_lS6_lS7_lS3_lPT4_lS7_li
		.amdhsa_group_segment_fixed_size 128
		.amdhsa_private_segment_fixed_size 0
		.amdhsa_kernarg_size 140
		.amdhsa_user_sgpr_count 2
		.amdhsa_user_sgpr_dispatch_ptr 0
		.amdhsa_user_sgpr_queue_ptr 0
		.amdhsa_user_sgpr_kernarg_segment_ptr 1
		.amdhsa_user_sgpr_dispatch_id 0
		.amdhsa_user_sgpr_kernarg_preload_length 0
		.amdhsa_user_sgpr_kernarg_preload_offset 0
		.amdhsa_user_sgpr_private_segment_size 0
		.amdhsa_wavefront_size32 1
		.amdhsa_uses_dynamic_stack 0
		.amdhsa_enable_private_segment 0
		.amdhsa_system_sgpr_workgroup_id_x 1
		.amdhsa_system_sgpr_workgroup_id_y 0
		.amdhsa_system_sgpr_workgroup_id_z 1
		.amdhsa_system_sgpr_workgroup_info 0
		.amdhsa_system_vgpr_workitem_id 0
		.amdhsa_next_free_vgpr 22
		.amdhsa_next_free_sgpr 44
		.amdhsa_named_barrier_count 0
		.amdhsa_reserve_vcc 1
		.amdhsa_float_round_mode_32 0
		.amdhsa_float_round_mode_16_64 0
		.amdhsa_float_denorm_mode_32 3
		.amdhsa_float_denorm_mode_16_64 3
		.amdhsa_fp16_overflow 0
		.amdhsa_memory_ordered 1
		.amdhsa_forward_progress 1
		.amdhsa_inst_pref_size 13
		.amdhsa_round_robin_scheduling 0
		.amdhsa_exception_fp_ieee_invalid_op 0
		.amdhsa_exception_fp_denorm_src 0
		.amdhsa_exception_fp_ieee_div_zero 0
		.amdhsa_exception_fp_ieee_overflow 0
		.amdhsa_exception_fp_ieee_underflow 0
		.amdhsa_exception_fp_ieee_inexact 0
		.amdhsa_exception_int_div_zero 0
	.end_amdhsa_kernel
	.section	.text._ZL32rocblas_gemvt_warp_reduce_kernelILb0ELi1024Ei16rocblas_bfloat16PKffEviiT3_lPKT2_lT1_lS6_lS7_lS3_lPT4_lS7_li,"axG",@progbits,_ZL32rocblas_gemvt_warp_reduce_kernelILb0ELi1024Ei16rocblas_bfloat16PKffEviiT3_lPKT2_lT1_lS6_lS7_lS3_lPT4_lS7_li,comdat
.Lfunc_end650:
	.size	_ZL32rocblas_gemvt_warp_reduce_kernelILb0ELi1024Ei16rocblas_bfloat16PKffEviiT3_lPKT2_lT1_lS6_lS7_lS3_lPT4_lS7_li, .Lfunc_end650-_ZL32rocblas_gemvt_warp_reduce_kernelILb0ELi1024Ei16rocblas_bfloat16PKffEviiT3_lPKT2_lT1_lS6_lS7_lS3_lPT4_lS7_li
                                        ; -- End function
	.set _ZL32rocblas_gemvt_warp_reduce_kernelILb0ELi1024Ei16rocblas_bfloat16PKffEviiT3_lPKT2_lT1_lS6_lS7_lS3_lPT4_lS7_li.num_vgpr, 22
	.set _ZL32rocblas_gemvt_warp_reduce_kernelILb0ELi1024Ei16rocblas_bfloat16PKffEviiT3_lPKT2_lT1_lS6_lS7_lS3_lPT4_lS7_li.num_agpr, 0
	.set _ZL32rocblas_gemvt_warp_reduce_kernelILb0ELi1024Ei16rocblas_bfloat16PKffEviiT3_lPKT2_lT1_lS6_lS7_lS3_lPT4_lS7_li.numbered_sgpr, 44
	.set _ZL32rocblas_gemvt_warp_reduce_kernelILb0ELi1024Ei16rocblas_bfloat16PKffEviiT3_lPKT2_lT1_lS6_lS7_lS3_lPT4_lS7_li.num_named_barrier, 0
	.set _ZL32rocblas_gemvt_warp_reduce_kernelILb0ELi1024Ei16rocblas_bfloat16PKffEviiT3_lPKT2_lT1_lS6_lS7_lS3_lPT4_lS7_li.private_seg_size, 0
	.set _ZL32rocblas_gemvt_warp_reduce_kernelILb0ELi1024Ei16rocblas_bfloat16PKffEviiT3_lPKT2_lT1_lS6_lS7_lS3_lPT4_lS7_li.uses_vcc, 1
	.set _ZL32rocblas_gemvt_warp_reduce_kernelILb0ELi1024Ei16rocblas_bfloat16PKffEviiT3_lPKT2_lT1_lS6_lS7_lS3_lPT4_lS7_li.uses_flat_scratch, 0
	.set _ZL32rocblas_gemvt_warp_reduce_kernelILb0ELi1024Ei16rocblas_bfloat16PKffEviiT3_lPKT2_lT1_lS6_lS7_lS3_lPT4_lS7_li.has_dyn_sized_stack, 0
	.set _ZL32rocblas_gemvt_warp_reduce_kernelILb0ELi1024Ei16rocblas_bfloat16PKffEviiT3_lPKT2_lT1_lS6_lS7_lS3_lPT4_lS7_li.has_recursion, 0
	.set _ZL32rocblas_gemvt_warp_reduce_kernelILb0ELi1024Ei16rocblas_bfloat16PKffEviiT3_lPKT2_lT1_lS6_lS7_lS3_lPT4_lS7_li.has_indirect_call, 0
	.section	.AMDGPU.csdata,"",@progbits
; Kernel info:
; codeLenInByte = 1660
; TotalNumSgprs: 46
; NumVgprs: 22
; ScratchSize: 0
; MemoryBound: 0
; FloatMode: 240
; IeeeMode: 1
; LDSByteSize: 128 bytes/workgroup (compile time only)
; SGPRBlocks: 0
; VGPRBlocks: 1
; NumSGPRsForWavesPerEU: 46
; NumVGPRsForWavesPerEU: 22
; NamedBarCnt: 0
; Occupancy: 16
; WaveLimiterHint : 0
; COMPUTE_PGM_RSRC2:SCRATCH_EN: 0
; COMPUTE_PGM_RSRC2:USER_SGPR: 2
; COMPUTE_PGM_RSRC2:TRAP_HANDLER: 0
; COMPUTE_PGM_RSRC2:TGID_X_EN: 1
; COMPUTE_PGM_RSRC2:TGID_Y_EN: 0
; COMPUTE_PGM_RSRC2:TGID_Z_EN: 1
; COMPUTE_PGM_RSRC2:TIDIG_COMP_CNT: 0
	.section	.text._ZL32rocblas_gemvt_warp_reduce_kernelILb0ELi1024El16rocblas_bfloat16PKffEviiT3_lPKT2_lT1_lS6_lS7_lS3_lPT4_lS7_li,"axG",@progbits,_ZL32rocblas_gemvt_warp_reduce_kernelILb0ELi1024El16rocblas_bfloat16PKffEviiT3_lPKT2_lT1_lS6_lS7_lS3_lPT4_lS7_li,comdat
	.globl	_ZL32rocblas_gemvt_warp_reduce_kernelILb0ELi1024El16rocblas_bfloat16PKffEviiT3_lPKT2_lT1_lS6_lS7_lS3_lPT4_lS7_li ; -- Begin function _ZL32rocblas_gemvt_warp_reduce_kernelILb0ELi1024El16rocblas_bfloat16PKffEviiT3_lPKT2_lT1_lS6_lS7_lS3_lPT4_lS7_li
	.p2align	8
	.type	_ZL32rocblas_gemvt_warp_reduce_kernelILb0ELi1024El16rocblas_bfloat16PKffEviiT3_lPKT2_lT1_lS6_lS7_lS3_lPT4_lS7_li,@function
_ZL32rocblas_gemvt_warp_reduce_kernelILb0ELi1024El16rocblas_bfloat16PKffEviiT3_lPKT2_lT1_lS6_lS7_lS3_lPT4_lS7_li: ; @_ZL32rocblas_gemvt_warp_reduce_kernelILb0ELi1024El16rocblas_bfloat16PKffEviiT3_lPKT2_lT1_lS6_lS7_lS3_lPT4_lS7_li
; %bb.0:
	s_load_b32 s30, s[0:1], 0x88
	s_bfe_u32 s2, ttmp6, 0x40014
	s_lshr_b32 s3, ttmp7, 16
	s_add_co_i32 s2, s2, 1
	s_bfe_u32 s5, ttmp6, 0x40008
	s_mul_i32 s4, s3, s2
	s_getreg_b32 s2, hwreg(HW_REG_IB_STS2, 6, 4)
	s_add_co_i32 s5, s5, s4
	s_cmp_eq_u32 s2, 0
	s_mov_b32 s7, 0
	s_cselect_b32 s6, s3, s5
	s_wait_kmcnt 0x0
	s_cmp_ge_u32 s6, s30
	s_cbranch_scc1 .LBB651_42
; %bb.1:
	s_clause 0x2
	s_load_b512 s[8:23], s[0:1], 0x8
	s_load_b512 s[36:51], s[0:1], 0x48
	s_load_b32 s28, s[0:1], 0x0
	s_wait_xcnt 0x0
	s_bfe_u32 s0, ttmp6, 0x4000c
	s_and_b32 s1, ttmp6, 15
	s_add_co_i32 s0, s0, 1
	v_mbcnt_lo_u32_b32 v16, -1, 0
	s_mul_i32 s0, ttmp9, s0
	s_delay_alu instid0(SALU_CYCLE_1)
	s_add_co_i32 s3, s1, s0
	s_wait_kmcnt 0x0
	s_lshl_b64 s[0:1], s[22:23], 1
	s_lshl_b64 s[4:5], s[46:47], 2
	;; [unrolled: 1-line block ×3, first 2 shown]
	s_cmp_eq_u32 s2, 0
	v_cmp_gt_i32_e32 vcc_lo, s28, v0
	s_cselect_b32 s2, ttmp9, s3
	s_ashr_i32 s3, s28, 31
	s_add_nc_u64 s[22:23], s[12:13], s[24:25]
	s_lshr_b32 s3, s3, 22
	s_add_nc_u64 s[20:21], s[20:21], s[0:1]
	s_add_co_i32 s3, s28, s3
	v_cmp_eq_u32_e64 s0, 0, v0
	s_and_b32 s14, s3, 0xfffffc00
	s_delay_alu instid0(SALU_CYCLE_1) | instskip(SKIP_3) | instid1(VALU_DEP_3)
	v_dual_mov_b32 v3, 0 :: v_dual_bitop2_b32 v8, s14, v0 bitop3:0x54
	v_cndmask_b32_e32 v2, 0, v0, vcc_lo
	s_ashr_i32 s3, s2, 31
	v_cmp_gt_i32_e64 s1, s14, v0
	v_dual_mov_b32 v1, v3 :: v_dual_ashrrev_i32 v9, 31, v8
	s_delay_alu instid0(VALU_DEP_3) | instskip(SKIP_2) | instid1(VALU_DEP_2)
	v_lshlrev_b32_e32 v2, 1, v2
	s_mul_u64 s[26:27], s[48:49], s[2:3]
	s_ashr_i32 s15, s14, 31
	v_mul_u64_e32 v[10:11], s[36:37], v[0:1]
	v_mul_u64_e32 v[4:5], s[36:37], v[8:9]
	v_add_nc_u64_e32 v[6:7], s[22:23], v[2:3]
	s_add_nc_u64 s[22:23], s[44:45], s[4:5]
	s_mul_u64 s[4:5], s[16:17], s[2:3]
	v_and_b32_e32 v9, 31, v0
	s_lshl_b64 s[4:5], s[4:5], 1
	v_cmp_gt_i32_e64 s2, s28, v8
	v_lshrrev_b32_e32 v8, 3, v0
	s_add_nc_u64 s[16:17], s[4:5], s[24:25]
	v_add_nc_u64_e32 v[6:7], s[4:5], v[6:7]
	s_add_nc_u64 s[12:13], s[12:13], s[16:17]
	v_lshlrev_b32_e32 v1, 2, v9
	v_cmp_eq_u32_e64 s4, 0, v9
	v_and_b32_e32 v17, 0x7c, v8
	v_add_nc_u64_e32 v[8:9], s[12:13], v[2:3]
	v_cmp_gt_u32_e64 s3, 32, v0
	v_lshl_or_b32 v2, v16, 2, 64
	s_lshl_b64 s[12:13], s[18:19], 1
	s_lshl_b64 s[16:17], s[38:39], 1
	;; [unrolled: 1-line block ×4, first 2 shown]
	v_lshl_add_u64 v[10:11], v[10:11], 1, s[20:21]
	s_branch .LBB651_4
.LBB651_2:                              ;   in Loop: Header=BB651_4 Depth=1
	s_wait_xcnt 0x0
	s_or_b32 exec_lo, exec_lo, s5
.LBB651_3:                              ;   in Loop: Header=BB651_4 Depth=1
	s_add_co_i32 s6, s6, 0x10000
	s_delay_alu instid0(SALU_CYCLE_1)
	s_cmp_lt_u32 s6, s30
	s_cbranch_scc0 .LBB651_42
.LBB651_4:                              ; =>This Loop Header: Depth=1
                                        ;     Child Loop BB651_24 Depth 2
	s_mul_u64 s[28:29], s[10:11], s[6:7]
	s_wait_xcnt 0x0
	s_mul_u64 s[34:35], s[42:43], s[6:7]
	s_lshl_b64 s[28:29], s[28:29], 2
	s_lshl_b64 s[34:35], s[34:35], 2
	s_add_nc_u64 s[28:29], s[8:9], s[28:29]
	s_add_nc_u64 s[34:35], s[40:41], s[34:35]
	s_clause 0x1
	global_load_b32 v18, v3, s[28:29]
	global_load_b32 v12, v3, s[34:35]
	s_wait_loadcnt 0x1
	v_cmp_eq_f32_e32 vcc_lo, 0, v18
	s_wait_loadcnt 0x0
	v_cmp_eq_f32_e64 s5, 1.0, v12
	s_wait_xcnt 0x1
	s_and_b32 s28, vcc_lo, s5
	v_readfirstlane_b32 s5, v12
	s_and_b32 vcc_lo, exec_lo, s28
	s_cbranch_vccnz .LBB651_3
; %bb.5:                                ;   in Loop: Header=BB651_4 Depth=1
	v_cmp_neq_f32_e32 vcc_lo, 0, v18
	s_mul_u64 s[28:29], s[50:51], s[6:7]
	s_delay_alu instid0(SALU_CYCLE_1) | instskip(NEXT) | instid1(SALU_CYCLE_1)
	s_lshl_b64 s[28:29], s[28:29], 2
	s_add_nc_u64 s[28:29], s[22:23], s[28:29]
	s_cbranch_vccnz .LBB651_9
; %bb.6:                                ;   in Loop: Header=BB651_4 Depth=1
	s_mov_b32 s33, 0
	s_mov_b32 s31, 0
                                        ; implicit-def: $vgpr12
	s_wait_xcnt 0x0
	s_and_saveexec_b32 s34, s0
	s_cbranch_execz .LBB651_10
; %bb.7:                                ;   in Loop: Header=BB651_4 Depth=1
	s_cmp_eq_f32 s5, 0
	s_cbranch_scc1 .LBB651_11
; %bb.8:                                ;   in Loop: Header=BB651_4 Depth=1
	s_add_nc_u64 s[36:37], s[28:29], s[26:27]
	global_load_b32 v12, v3, s[36:37]
	s_wait_loadcnt 0x0
	v_mul_f32_e32 v12, s5, v12
	s_branch .LBB651_12
.LBB651_9:                              ;   in Loop: Header=BB651_4 Depth=1
	s_mov_b32 s31, 0
                                        ; implicit-def: $vgpr12
	s_cbranch_execnz .LBB651_13
	s_branch .LBB651_34
.LBB651_10:                             ;   in Loop: Header=BB651_4 Depth=1
	s_or_b32 exec_lo, exec_lo, s34
	s_delay_alu instid0(SALU_CYCLE_1)
	s_and_b32 vcc_lo, exec_lo, s33
	s_cbranch_vccnz .LBB651_13
	s_branch .LBB651_34
.LBB651_11:                             ;   in Loop: Header=BB651_4 Depth=1
	v_mov_b32_e32 v12, 0
.LBB651_12:                             ;   in Loop: Header=BB651_4 Depth=1
	s_mov_b32 s31, exec_lo
	s_wait_xcnt 0x0
	s_or_b32 exec_lo, exec_lo, s34
	s_delay_alu instid0(SALU_CYCLE_1)
	s_and_b32 vcc_lo, exec_lo, s33
	s_cbranch_vccz .LBB651_34
.LBB651_13:                             ;   in Loop: Header=BB651_4 Depth=1
	s_wait_dscnt 0x0
	v_mov_b32_e32 v19, 0
	s_wait_xcnt 0x0
	s_and_saveexec_b32 s33, s1
	s_cbranch_execnz .LBB651_22
; %bb.14:                               ;   in Loop: Header=BB651_4 Depth=1
	s_or_b32 exec_lo, exec_lo, s33
	s_and_saveexec_b32 s33, s2
	s_cbranch_execnz .LBB651_37
.LBB651_15:                             ;   in Loop: Header=BB651_4 Depth=1
	s_or_b32 exec_lo, exec_lo, s33
	s_and_saveexec_b32 s33, s3
.LBB651_16:                             ;   in Loop: Header=BB651_4 Depth=1
	ds_store_b32 v1, v3
.LBB651_17:                             ;   in Loop: Header=BB651_4 Depth=1
	s_or_b32 exec_lo, exec_lo, s33
	ds_bpermute_b32 v13, v2, v19
	v_cmp_gt_u32_e32 vcc_lo, 24, v16
	s_wait_dscnt 0x0
	s_barrier_signal -1
	s_barrier_wait -1
	v_cndmask_b32_e64 v12, 0, 8, vcc_lo
	v_cmp_gt_u32_e32 vcc_lo, 28, v16
	s_delay_alu instid0(VALU_DEP_2)
	v_add_lshl_u32 v12, v12, v16, 2
	v_add_f32_e32 v14, v19, v13
	v_cndmask_b32_e64 v13, 0, 4, vcc_lo
	v_cmp_gt_u32_e32 vcc_lo, 30, v16
	ds_bpermute_b32 v15, v12, v14
	v_add_lshl_u32 v13, v13, v16, 2
	s_wait_dscnt 0x0
	v_add_f32_e32 v15, v14, v15
	v_cndmask_b32_e64 v14, 0, 2, vcc_lo
	v_cmp_ne_u32_e32 vcc_lo, 31, v16
	ds_bpermute_b32 v19, v13, v15
	v_add_lshl_u32 v14, v14, v16, 2
	v_add_co_ci_u32_e64 v20, null, 0, v16, vcc_lo
	s_wait_dscnt 0x0
	v_add_f32_e32 v15, v15, v19
	ds_bpermute_b32 v19, v14, v15
	s_wait_dscnt 0x0
	v_dual_add_f32 v19, v15, v19 :: v_dual_lshlrev_b32 v15, 2, v20
	ds_bpermute_b32 v20, v15, v19
	s_and_saveexec_b32 s33, s4
	s_cbranch_execz .LBB651_19
; %bb.18:                               ;   in Loop: Header=BB651_4 Depth=1
	s_wait_dscnt 0x0
	v_add_f32_e32 v19, v19, v20
	ds_store_b32 v17, v19
.LBB651_19:                             ;   in Loop: Header=BB651_4 Depth=1
	s_or_b32 exec_lo, exec_lo, s33
	v_mov_b32_e32 v19, 0
	s_wait_dscnt 0x0
	s_barrier_signal -1
	s_barrier_wait -1
	s_and_saveexec_b32 s33, s3
	s_cbranch_execnz .LBB651_28
; %bb.20:                               ;   in Loop: Header=BB651_4 Depth=1
	s_or_b32 exec_lo, exec_lo, s33
	s_and_saveexec_b32 s33, s3
	s_cbranch_execnz .LBB651_29
.LBB651_21:                             ;   in Loop: Header=BB651_4 Depth=1
	s_or_b32 exec_lo, exec_lo, s33
                                        ; implicit-def: $vgpr12
	s_and_saveexec_b32 s33, s0
	s_cbranch_execnz .LBB651_30
	s_branch .LBB651_33
.LBB651_22:                             ;   in Loop: Header=BB651_4 Depth=1
	v_mad_nc_u64_u32 v[12:13], s12, s6, v[8:9]
	v_mad_nc_u64_u32 v[14:15], s16, s6, v[10:11]
	v_dual_mov_b32 v19, 0 :: v_dual_mov_b32 v20, v0
	s_mov_b32 s34, 0
	s_delay_alu instid0(VALU_DEP_3) | instskip(NEXT) | instid1(VALU_DEP_3)
	v_mad_u32 v13, s13, s6, v13
	v_mad_u32 v15, s17, s6, v15
	s_branch .LBB651_24
.LBB651_23:                             ;   in Loop: Header=BB651_24 Depth=2
	s_or_b32 exec_lo, exec_lo, s35
	s_delay_alu instid0(VALU_DEP_1) | instskip(SKIP_3) | instid1(VALU_DEP_4)
	v_and_b32_e32 v21, 0xffff0000, v22
	v_add_nc_u32_e32 v20, 0x400, v20
	v_add_nc_u64_e32 v[12:13], 0x800, v[12:13]
	v_add_nc_u64_e32 v[14:15], s[24:25], v[14:15]
	v_add_f32_e32 v19, v19, v21
	s_delay_alu instid0(VALU_DEP_4) | instskip(SKIP_1) | instid1(SALU_CYCLE_1)
	v_cmp_le_i32_e32 vcc_lo, s14, v20
	s_or_b32 s34, vcc_lo, s34
	s_and_not1_b32 exec_lo, exec_lo, s34
	s_cbranch_execz .LBB651_36
.LBB651_24:                             ;   Parent Loop BB651_4 Depth=1
                                        ; =>  This Inner Loop Header: Depth=2
	global_load_u16 v21, v[12:13], off
	global_load_u16 v22, v[14:15], off
	s_wait_loadcnt 0x0
	v_dual_lshlrev_b32 v21, 16, v21 :: v_dual_lshlrev_b32 v22, 16, v22
	s_delay_alu instid0(VALU_DEP_1) | instskip(NEXT) | instid1(VALU_DEP_1)
	v_mul_f32_e32 v21, v22, v21
	v_and_b32_e32 v22, 0x7f800000, v21
	s_delay_alu instid0(VALU_DEP_1) | instskip(SKIP_2) | instid1(SALU_CYCLE_1)
	v_cmp_ne_u32_e32 vcc_lo, 0x7f800000, v22
                                        ; implicit-def: $vgpr22
	s_wait_xcnt 0x0
	s_and_saveexec_b32 s35, vcc_lo
	s_xor_b32 s35, exec_lo, s35
; %bb.25:                               ;   in Loop: Header=BB651_24 Depth=2
	v_bfe_u32 v22, v21, 16, 1
	s_delay_alu instid0(VALU_DEP_1)
	v_add3_u32 v22, v21, v22, 0x7fff
                                        ; implicit-def: $vgpr21
; %bb.26:                               ;   in Loop: Header=BB651_24 Depth=2
	s_and_not1_saveexec_b32 s35, s35
	s_cbranch_execz .LBB651_23
; %bb.27:                               ;   in Loop: Header=BB651_24 Depth=2
	v_and_b32_e32 v22, 0xffff, v21
	v_or_b32_e32 v23, 0x10000, v21
	s_delay_alu instid0(VALU_DEP_2) | instskip(NEXT) | instid1(VALU_DEP_2)
	v_cmp_eq_u32_e32 vcc_lo, 0, v22
	v_cndmask_b32_e32 v22, v23, v21, vcc_lo
	s_branch .LBB651_23
.LBB651_28:                             ;   in Loop: Header=BB651_4 Depth=1
	ds_load_b32 v19, v1
	s_or_b32 exec_lo, exec_lo, s33
	s_and_saveexec_b32 s33, s3
	s_cbranch_execz .LBB651_21
.LBB651_29:                             ;   in Loop: Header=BB651_4 Depth=1
	s_wait_dscnt 0x0
	ds_bpermute_b32 v20, v2, v19
	s_wait_dscnt 0x0
	v_add_f32_e32 v19, v19, v20
	ds_bpermute_b32 v12, v12, v19
	s_wait_dscnt 0x0
	v_add_f32_e32 v12, v19, v12
	;; [unrolled: 3-line block ×5, first 2 shown]
	s_or_b32 exec_lo, exec_lo, s33
                                        ; implicit-def: $vgpr12
	s_and_saveexec_b32 s33, s0
	s_cbranch_execz .LBB651_33
.LBB651_30:                             ;   in Loop: Header=BB651_4 Depth=1
	s_wait_dscnt 0x0
	v_mul_f32_e32 v12, v18, v19
	s_cmp_eq_f32 s5, 0
	s_cbranch_scc1 .LBB651_32
; %bb.31:                               ;   in Loop: Header=BB651_4 Depth=1
	s_add_nc_u64 s[34:35], s[28:29], s[26:27]
	global_load_b32 v13, v3, s[34:35]
	s_wait_loadcnt 0x0
	v_fmac_f32_e32 v12, s5, v13
.LBB651_32:                             ;   in Loop: Header=BB651_4 Depth=1
	s_or_b32 s31, s31, exec_lo
.LBB651_33:                             ;   in Loop: Header=BB651_4 Depth=1
	s_wait_xcnt 0x0
	s_or_b32 exec_lo, exec_lo, s33
.LBB651_34:                             ;   in Loop: Header=BB651_4 Depth=1
	s_wait_xcnt 0x0
	s_and_saveexec_b32 s5, s31
	s_cbranch_execz .LBB651_2
; %bb.35:                               ;   in Loop: Header=BB651_4 Depth=1
	s_add_nc_u64 s[28:29], s[28:29], s[26:27]
	global_store_b32 v3, v12, s[28:29]
	s_branch .LBB651_2
.LBB651_36:                             ;   in Loop: Header=BB651_4 Depth=1
	s_or_b32 exec_lo, exec_lo, s34
	s_delay_alu instid0(SALU_CYCLE_1)
	s_or_b32 exec_lo, exec_lo, s33
	s_and_saveexec_b32 s33, s2
	s_cbranch_execz .LBB651_15
.LBB651_37:                             ;   in Loop: Header=BB651_4 Depth=1
	s_mul_u64 s[34:35], s[18:19], s[6:7]
	s_mul_u64 s[36:37], s[38:39], s[6:7]
	v_lshl_add_u64 v[12:13], s[34:35], 1, v[6:7]
	s_lshl_b64 s[34:35], s[36:37], 1
	s_delay_alu instid0(SALU_CYCLE_1) | instskip(NEXT) | instid1(SALU_CYCLE_1)
	s_add_nc_u64 s[34:35], s[20:21], s[34:35]
	v_lshl_add_u64 v[14:15], v[4:5], 1, s[34:35]
	s_delay_alu instid0(VALU_DEP_2)
	v_lshl_add_u64 v[12:13], s[14:15], 1, v[12:13]
	global_load_u16 v20, v[12:13], off
	global_load_u16 v21, v[14:15], off
	s_wait_loadcnt 0x0
	s_wait_xcnt 0x1
	v_dual_lshlrev_b32 v12, 16, v20 :: v_dual_lshlrev_b32 v13, 16, v21
	s_delay_alu instid0(VALU_DEP_1) | instskip(NEXT) | instid1(VALU_DEP_1)
	v_mul_f32_e32 v12, v13, v12
	v_and_b32_e32 v13, 0x7f800000, v12
	s_delay_alu instid0(VALU_DEP_1) | instskip(SKIP_2) | instid1(SALU_CYCLE_1)
	v_cmp_ne_u32_e32 vcc_lo, 0x7f800000, v13
                                        ; implicit-def: $vgpr13
	s_wait_xcnt 0x0
	s_and_saveexec_b32 s34, vcc_lo
	s_xor_b32 s34, exec_lo, s34
; %bb.38:                               ;   in Loop: Header=BB651_4 Depth=1
	v_bfe_u32 v13, v12, 16, 1
	s_delay_alu instid0(VALU_DEP_1)
	v_add3_u32 v13, v12, v13, 0x7fff
                                        ; implicit-def: $vgpr12
; %bb.39:                               ;   in Loop: Header=BB651_4 Depth=1
	s_and_not1_saveexec_b32 s34, s34
; %bb.40:                               ;   in Loop: Header=BB651_4 Depth=1
	v_and_b32_e32 v13, 0xffff, v12
	v_or_b32_e32 v14, 0x10000, v12
	s_delay_alu instid0(VALU_DEP_2) | instskip(NEXT) | instid1(VALU_DEP_2)
	v_cmp_eq_u32_e32 vcc_lo, 0, v13
	v_cndmask_b32_e32 v13, v14, v12, vcc_lo
; %bb.41:                               ;   in Loop: Header=BB651_4 Depth=1
	s_or_b32 exec_lo, exec_lo, s34
	s_delay_alu instid0(VALU_DEP_1) | instskip(NEXT) | instid1(VALU_DEP_1)
	v_and_b32_e32 v12, 0xffff0000, v13
	v_add_f32_e32 v19, v19, v12
	s_or_b32 exec_lo, exec_lo, s33
	s_and_saveexec_b32 s33, s3
	s_cbranch_execnz .LBB651_16
	s_branch .LBB651_17
.LBB651_42:
	s_endpgm
	.section	.rodata,"a",@progbits
	.p2align	6, 0x0
	.amdhsa_kernel _ZL32rocblas_gemvt_warp_reduce_kernelILb0ELi1024El16rocblas_bfloat16PKffEviiT3_lPKT2_lT1_lS6_lS7_lS3_lPT4_lS7_li
		.amdhsa_group_segment_fixed_size 128
		.amdhsa_private_segment_fixed_size 0
		.amdhsa_kernarg_size 140
		.amdhsa_user_sgpr_count 2
		.amdhsa_user_sgpr_dispatch_ptr 0
		.amdhsa_user_sgpr_queue_ptr 0
		.amdhsa_user_sgpr_kernarg_segment_ptr 1
		.amdhsa_user_sgpr_dispatch_id 0
		.amdhsa_user_sgpr_kernarg_preload_length 0
		.amdhsa_user_sgpr_kernarg_preload_offset 0
		.amdhsa_user_sgpr_private_segment_size 0
		.amdhsa_wavefront_size32 1
		.amdhsa_uses_dynamic_stack 0
		.amdhsa_enable_private_segment 0
		.amdhsa_system_sgpr_workgroup_id_x 1
		.amdhsa_system_sgpr_workgroup_id_y 0
		.amdhsa_system_sgpr_workgroup_id_z 1
		.amdhsa_system_sgpr_workgroup_info 0
		.amdhsa_system_vgpr_workitem_id 0
		.amdhsa_next_free_vgpr 24
		.amdhsa_next_free_sgpr 52
		.amdhsa_named_barrier_count 0
		.amdhsa_reserve_vcc 1
		.amdhsa_float_round_mode_32 0
		.amdhsa_float_round_mode_16_64 0
		.amdhsa_float_denorm_mode_32 3
		.amdhsa_float_denorm_mode_16_64 3
		.amdhsa_fp16_overflow 0
		.amdhsa_memory_ordered 1
		.amdhsa_forward_progress 1
		.amdhsa_inst_pref_size 13
		.amdhsa_round_robin_scheduling 0
		.amdhsa_exception_fp_ieee_invalid_op 0
		.amdhsa_exception_fp_denorm_src 0
		.amdhsa_exception_fp_ieee_div_zero 0
		.amdhsa_exception_fp_ieee_overflow 0
		.amdhsa_exception_fp_ieee_underflow 0
		.amdhsa_exception_fp_ieee_inexact 0
		.amdhsa_exception_int_div_zero 0
	.end_amdhsa_kernel
	.section	.text._ZL32rocblas_gemvt_warp_reduce_kernelILb0ELi1024El16rocblas_bfloat16PKffEviiT3_lPKT2_lT1_lS6_lS7_lS3_lPT4_lS7_li,"axG",@progbits,_ZL32rocblas_gemvt_warp_reduce_kernelILb0ELi1024El16rocblas_bfloat16PKffEviiT3_lPKT2_lT1_lS6_lS7_lS3_lPT4_lS7_li,comdat
.Lfunc_end651:
	.size	_ZL32rocblas_gemvt_warp_reduce_kernelILb0ELi1024El16rocblas_bfloat16PKffEviiT3_lPKT2_lT1_lS6_lS7_lS3_lPT4_lS7_li, .Lfunc_end651-_ZL32rocblas_gemvt_warp_reduce_kernelILb0ELi1024El16rocblas_bfloat16PKffEviiT3_lPKT2_lT1_lS6_lS7_lS3_lPT4_lS7_li
                                        ; -- End function
	.set _ZL32rocblas_gemvt_warp_reduce_kernelILb0ELi1024El16rocblas_bfloat16PKffEviiT3_lPKT2_lT1_lS6_lS7_lS3_lPT4_lS7_li.num_vgpr, 24
	.set _ZL32rocblas_gemvt_warp_reduce_kernelILb0ELi1024El16rocblas_bfloat16PKffEviiT3_lPKT2_lT1_lS6_lS7_lS3_lPT4_lS7_li.num_agpr, 0
	.set _ZL32rocblas_gemvt_warp_reduce_kernelILb0ELi1024El16rocblas_bfloat16PKffEviiT3_lPKT2_lT1_lS6_lS7_lS3_lPT4_lS7_li.numbered_sgpr, 52
	.set _ZL32rocblas_gemvt_warp_reduce_kernelILb0ELi1024El16rocblas_bfloat16PKffEviiT3_lPKT2_lT1_lS6_lS7_lS3_lPT4_lS7_li.num_named_barrier, 0
	.set _ZL32rocblas_gemvt_warp_reduce_kernelILb0ELi1024El16rocblas_bfloat16PKffEviiT3_lPKT2_lT1_lS6_lS7_lS3_lPT4_lS7_li.private_seg_size, 0
	.set _ZL32rocblas_gemvt_warp_reduce_kernelILb0ELi1024El16rocblas_bfloat16PKffEviiT3_lPKT2_lT1_lS6_lS7_lS3_lPT4_lS7_li.uses_vcc, 1
	.set _ZL32rocblas_gemvt_warp_reduce_kernelILb0ELi1024El16rocblas_bfloat16PKffEviiT3_lPKT2_lT1_lS6_lS7_lS3_lPT4_lS7_li.uses_flat_scratch, 0
	.set _ZL32rocblas_gemvt_warp_reduce_kernelILb0ELi1024El16rocblas_bfloat16PKffEviiT3_lPKT2_lT1_lS6_lS7_lS3_lPT4_lS7_li.has_dyn_sized_stack, 0
	.set _ZL32rocblas_gemvt_warp_reduce_kernelILb0ELi1024El16rocblas_bfloat16PKffEviiT3_lPKT2_lT1_lS6_lS7_lS3_lPT4_lS7_li.has_recursion, 0
	.set _ZL32rocblas_gemvt_warp_reduce_kernelILb0ELi1024El16rocblas_bfloat16PKffEviiT3_lPKT2_lT1_lS6_lS7_lS3_lPT4_lS7_li.has_indirect_call, 0
	.section	.AMDGPU.csdata,"",@progbits
; Kernel info:
; codeLenInByte = 1644
; TotalNumSgprs: 54
; NumVgprs: 24
; ScratchSize: 0
; MemoryBound: 0
; FloatMode: 240
; IeeeMode: 1
; LDSByteSize: 128 bytes/workgroup (compile time only)
; SGPRBlocks: 0
; VGPRBlocks: 1
; NumSGPRsForWavesPerEU: 54
; NumVGPRsForWavesPerEU: 24
; NamedBarCnt: 0
; Occupancy: 16
; WaveLimiterHint : 0
; COMPUTE_PGM_RSRC2:SCRATCH_EN: 0
; COMPUTE_PGM_RSRC2:USER_SGPR: 2
; COMPUTE_PGM_RSRC2:TRAP_HANDLER: 0
; COMPUTE_PGM_RSRC2:TGID_X_EN: 1
; COMPUTE_PGM_RSRC2:TGID_Y_EN: 0
; COMPUTE_PGM_RSRC2:TGID_Z_EN: 1
; COMPUTE_PGM_RSRC2:TIDIG_COMP_CNT: 0
	.section	.text._ZL32rocblas_gemvt_warp_reduce_kernelILb0ELi1024Ei16rocblas_bfloat16ffEviiT3_lPKT2_lT1_lS4_lS5_lS1_lPT4_lS5_li,"axG",@progbits,_ZL32rocblas_gemvt_warp_reduce_kernelILb0ELi1024Ei16rocblas_bfloat16ffEviiT3_lPKT2_lT1_lS4_lS5_lS1_lPT4_lS5_li,comdat
	.globl	_ZL32rocblas_gemvt_warp_reduce_kernelILb0ELi1024Ei16rocblas_bfloat16ffEviiT3_lPKT2_lT1_lS4_lS5_lS1_lPT4_lS5_li ; -- Begin function _ZL32rocblas_gemvt_warp_reduce_kernelILb0ELi1024Ei16rocblas_bfloat16ffEviiT3_lPKT2_lT1_lS4_lS5_lS1_lPT4_lS5_li
	.p2align	8
	.type	_ZL32rocblas_gemvt_warp_reduce_kernelILb0ELi1024Ei16rocblas_bfloat16ffEviiT3_lPKT2_lT1_lS4_lS5_lS1_lPT4_lS5_li,@function
_ZL32rocblas_gemvt_warp_reduce_kernelILb0ELi1024Ei16rocblas_bfloat16ffEviiT3_lPKT2_lT1_lS4_lS5_lS1_lPT4_lS5_li: ; @_ZL32rocblas_gemvt_warp_reduce_kernelILb0ELi1024Ei16rocblas_bfloat16ffEviiT3_lPKT2_lT1_lS4_lS5_lS1_lPT4_lS5_li
; %bb.0:
	s_load_b32 s19, s[0:1], 0x88
	s_bfe_u32 s2, ttmp6, 0x40014
	s_lshr_b32 s4, ttmp7, 16
	s_add_co_i32 s2, s2, 1
	s_bfe_u32 s5, ttmp6, 0x40008
	s_mul_i32 s2, s4, s2
	s_getreg_b32 s3, hwreg(HW_REG_IB_STS2, 6, 4)
	s_add_co_i32 s5, s5, s2
	s_cmp_eq_u32 s3, 0
	s_mov_b32 s25, 0
	s_cselect_b32 s24, s4, s5
	s_wait_kmcnt 0x0
	s_cmp_ge_u32 s24, s19
	s_cbranch_scc1 .LBB652_42
; %bb.1:
	s_clause 0x7
	s_load_b96 s[20:22], s[0:1], 0x40
	s_load_b128 s[12:15], s[0:1], 0x68
	s_load_b128 s[4:7], s[0:1], 0x18
	s_load_b32 s30, s[0:1], 0x8
	s_load_b96 s[16:18], s[0:1], 0x50
	s_load_b128 s[8:11], s[0:1], 0x30
	s_load_b32 s23, s[0:1], 0x0
	s_load_b32 s28, s[0:1], 0x28
	v_dual_mov_b32 v3, 0 :: v_dual_bitop2_b32 v2, 31, v0 bitop3:0x40
	v_lshrrev_b32_e32 v4, 3, v0
	v_mbcnt_lo_u32_b32 v1, -1, 0
	s_delay_alu instid0(VALU_DEP_3) | instskip(SKIP_1) | instid1(VALU_DEP_4)
	v_lshlrev_b32_e32 v12, 2, v2
	v_cmp_eq_u32_e64 s2, 0, v2
	v_and_b32_e32 v13, 0x7c, v4
	s_wait_kmcnt 0x0
	s_lshl_b64 s[26:27], s[20:21], 1
	s_lshl_b64 s[14:15], s[14:15], 2
	;; [unrolled: 1-line block ×3, first 2 shown]
	s_cmp_eq_f32 s30, 0
	s_add_nc_u64 s[12:13], s[12:13], s[14:15]
	s_clause 0x1
	s_load_b32 s29, s[0:1], 0x78
	s_load_b64 s[6:7], s[0:1], 0x80
	v_cmp_gt_i32_e32 vcc_lo, s23, v0
	s_cselect_b32 s31, -1, 0
	s_cmp_neq_f32 s30, 0
	s_add_nc_u64 s[10:11], s[10:11], s[26:27]
	s_add_nc_u64 s[26:27], s[4:5], s[20:21]
	v_mul_lo_u32 v14, v0, s22
	s_cselect_b32 s33, -1, 0
	s_cmp_neq_f32 s18, 1.0
	s_wait_xcnt 0x0
	v_cmp_eq_u32_e64 s0, 0, v0
	v_cmp_gt_u32_e64 s1, 32, v0
	s_cselect_b32 s34, -1, 0
	s_delay_alu instid0(SALU_CYCLE_1)
	s_or_b32 s33, s33, s34
	s_cmp_neq_f32 s18, 0
	s_cselect_b32 s34, -1, 0
	s_bfe_u32 s35, ttmp6, 0x4000c
	s_and_b32 s36, ttmp6, 15
	s_add_co_i32 s35, s35, 1
	s_delay_alu instid0(SALU_CYCLE_1) | instskip(NEXT) | instid1(SALU_CYCLE_1)
	s_mul_i32 s35, ttmp9, s35
	s_add_co_i32 s36, s36, s35
	s_cmp_eq_u32 s3, 0
	s_cselect_b32 s3, ttmp9, s36
	s_ashr_i32 s14, s23, 31
	s_delay_alu instid0(SALU_CYCLE_1) | instskip(NEXT) | instid1(SALU_CYCLE_1)
	s_lshr_b32 s14, s14, 22
	s_add_co_i32 s14, s23, s14
	s_delay_alu instid0(SALU_CYCLE_1) | instskip(NEXT) | instid1(SALU_CYCLE_1)
	s_and_b32 s14, s14, 0xfffffc00
	v_dual_cndmask_b32 v2, 0, v0, vcc_lo :: v_dual_bitop2_b32 v5, s14, v0 bitop3:0x54
	s_ashr_i32 s15, s14, 31
	s_delay_alu instid0(VALU_DEP_1) | instskip(NEXT) | instid1(VALU_DEP_2)
	v_mul_lo_u32 v4, s22, v5
	v_lshlrev_b32_e32 v2, 1, v2
	s_delay_alu instid0(VALU_DEP_1)
	v_add_nc_u64_e32 v[6:7], s[26:27], v[2:3]
	s_mul_i32 s26, s28, s3
	s_wait_kmcnt 0x0
	s_mul_i32 s28, s29, s3
	s_ashr_i32 s27, s26, 31
	v_cmp_gt_i32_e64 s3, s14, v0
	s_lshl_b64 s[26:27], s[26:27], 1
	s_ashr_i32 s29, s28, 31
	s_add_nc_u64 s[20:21], s[20:21], s[26:27]
	v_add_nc_u64_e32 v[6:7], s[26:27], v[6:7]
	s_add_nc_u64 s[4:5], s[4:5], s[20:21]
	s_lshl_b64 s[20:21], s[8:9], 1
	v_add_nc_u64_e32 v[8:9], s[4:5], v[2:3]
	v_cmp_gt_i32_e64 s4, s23, v5
	v_ashrrev_i32_e32 v5, 31, v4
	v_lshl_or_b32 v2, v1, 2, 64
	s_lshl_b32 s5, s22, 10
	s_lshl_b64 s[22:23], s[28:29], 2
	s_branch .LBB652_4
.LBB652_2:                              ;   in Loop: Header=BB652_4 Depth=1
	s_wait_xcnt 0x0
	s_or_b32 exec_lo, exec_lo, s28
.LBB652_3:                              ;   in Loop: Header=BB652_4 Depth=1
	s_add_co_i32 s24, s24, 0x10000
	s_delay_alu instid0(SALU_CYCLE_1)
	s_cmp_lt_u32 s24, s19
	s_cbranch_scc0 .LBB652_42
.LBB652_4:                              ; =>This Loop Header: Depth=1
                                        ;     Child Loop BB652_24 Depth 2
	s_and_not1_b32 vcc_lo, exec_lo, s33
	s_cbranch_vccnz .LBB652_3
; %bb.5:                                ;   in Loop: Header=BB652_4 Depth=1
	s_mul_u64 s[26:27], s[6:7], s[24:25]
	s_and_not1_b32 vcc_lo, exec_lo, s31
	s_lshl_b64 s[26:27], s[26:27], 2
	s_delay_alu instid0(SALU_CYCLE_1)
	s_add_nc_u64 s[26:27], s[12:13], s[26:27]
	s_cbranch_vccnz .LBB652_9
; %bb.6:                                ;   in Loop: Header=BB652_4 Depth=1
	s_mov_b32 s28, 0
	s_mov_b32 s35, 0
                                        ; implicit-def: $vgpr10
	s_and_saveexec_b32 s29, s0
	s_cbranch_execz .LBB652_10
; %bb.7:                                ;   in Loop: Header=BB652_4 Depth=1
	s_and_not1_b32 vcc_lo, exec_lo, s34
	s_cbranch_vccnz .LBB652_11
; %bb.8:                                ;   in Loop: Header=BB652_4 Depth=1
	s_add_nc_u64 s[36:37], s[26:27], s[22:23]
	global_load_b32 v10, v3, s[36:37]
	s_wait_loadcnt 0x0
	v_mul_f32_e32 v10, s18, v10
	s_branch .LBB652_12
.LBB652_9:                              ;   in Loop: Header=BB652_4 Depth=1
	s_mov_b32 s35, 0
                                        ; implicit-def: $vgpr10
	s_cbranch_execnz .LBB652_13
	s_branch .LBB652_34
.LBB652_10:                             ;   in Loop: Header=BB652_4 Depth=1
	s_or_b32 exec_lo, exec_lo, s29
	s_delay_alu instid0(SALU_CYCLE_1)
	s_and_b32 vcc_lo, exec_lo, s28
	s_cbranch_vccnz .LBB652_13
	s_branch .LBB652_34
.LBB652_11:                             ;   in Loop: Header=BB652_4 Depth=1
	v_mov_b32_e32 v10, 0
.LBB652_12:                             ;   in Loop: Header=BB652_4 Depth=1
	s_mov_b32 s35, exec_lo
	s_wait_xcnt 0x0
	s_or_b32 exec_lo, exec_lo, s29
	s_delay_alu instid0(SALU_CYCLE_1)
	s_and_b32 vcc_lo, exec_lo, s28
	s_cbranch_vccz .LBB652_34
.LBB652_13:                             ;   in Loop: Header=BB652_4 Depth=1
	s_mul_u64 s[28:29], s[16:17], s[24:25]
	v_mov_b32_e32 v15, 0
	s_lshl_b64 s[28:29], s[28:29], 1
	s_delay_alu instid0(SALU_CYCLE_1)
	s_add_nc_u64 s[28:29], s[10:11], s[28:29]
	s_and_saveexec_b32 s36, s3
	s_cbranch_execnz .LBB652_22
; %bb.14:                               ;   in Loop: Header=BB652_4 Depth=1
	s_or_b32 exec_lo, exec_lo, s36
	s_and_saveexec_b32 s36, s4
	s_cbranch_execnz .LBB652_37
.LBB652_15:                             ;   in Loop: Header=BB652_4 Depth=1
	s_or_b32 exec_lo, exec_lo, s36
	s_and_saveexec_b32 s28, s1
.LBB652_16:                             ;   in Loop: Header=BB652_4 Depth=1
	ds_store_b32 v12, v3
.LBB652_17:                             ;   in Loop: Header=BB652_4 Depth=1
	s_or_b32 exec_lo, exec_lo, s28
	ds_bpermute_b32 v11, v2, v15
	v_cmp_gt_u32_e32 vcc_lo, 24, v1
	s_wait_dscnt 0x0
	s_barrier_signal -1
	s_barrier_wait -1
	v_cndmask_b32_e64 v10, 0, 8, vcc_lo
	v_cmp_gt_u32_e32 vcc_lo, 28, v1
	s_delay_alu instid0(VALU_DEP_2)
	v_add_lshl_u32 v10, v10, v1, 2
	v_add_f32_e32 v15, v15, v11
	v_cndmask_b32_e64 v11, 0, 4, vcc_lo
	v_cmp_gt_u32_e32 vcc_lo, 30, v1
	ds_bpermute_b32 v16, v10, v15
	v_add_lshl_u32 v11, v11, v1, 2
	s_wait_dscnt 0x0
	v_add_f32_e32 v16, v15, v16
	v_cndmask_b32_e64 v15, 0, 2, vcc_lo
	v_cmp_ne_u32_e32 vcc_lo, 31, v1
	ds_bpermute_b32 v17, v11, v16
	v_add_lshl_u32 v15, v15, v1, 2
	v_add_co_ci_u32_e64 v18, null, 0, v1, vcc_lo
	s_wait_dscnt 0x0
	v_add_f32_e32 v16, v16, v17
	ds_bpermute_b32 v17, v15, v16
	s_wait_dscnt 0x0
	v_dual_add_f32 v17, v16, v17 :: v_dual_lshlrev_b32 v16, 2, v18
	ds_bpermute_b32 v18, v16, v17
	s_and_saveexec_b32 s28, s2
	s_cbranch_execz .LBB652_19
; %bb.18:                               ;   in Loop: Header=BB652_4 Depth=1
	s_wait_dscnt 0x0
	v_add_f32_e32 v17, v17, v18
	ds_store_b32 v13, v17
.LBB652_19:                             ;   in Loop: Header=BB652_4 Depth=1
	s_or_b32 exec_lo, exec_lo, s28
	v_mov_b32_e32 v17, 0
	s_wait_dscnt 0x0
	s_barrier_signal -1
	s_barrier_wait -1
	s_and_saveexec_b32 s28, s1
	s_cbranch_execnz .LBB652_28
; %bb.20:                               ;   in Loop: Header=BB652_4 Depth=1
	s_or_b32 exec_lo, exec_lo, s28
	s_and_saveexec_b32 s28, s1
	s_cbranch_execnz .LBB652_29
.LBB652_21:                             ;   in Loop: Header=BB652_4 Depth=1
	s_or_b32 exec_lo, exec_lo, s28
                                        ; implicit-def: $vgpr10
	s_and_saveexec_b32 s28, s0
	s_cbranch_execnz .LBB652_30
	s_branch .LBB652_33
.LBB652_22:                             ;   in Loop: Header=BB652_4 Depth=1
	v_mad_nc_u64_u32 v[10:11], s20, s24, v[8:9]
	v_dual_mov_b32 v15, 0 :: v_dual_mov_b32 v16, v0
	s_wait_dscnt 0x0
	v_mov_b32_e32 v17, v14
	s_mov_b32 s37, 0
	s_delay_alu instid0(VALU_DEP_3)
	v_mad_u32 v11, s21, s24, v11
	s_branch .LBB652_24
.LBB652_23:                             ;   in Loop: Header=BB652_24 Depth=2
	s_or_b32 exec_lo, exec_lo, s38
	s_delay_alu instid0(VALU_DEP_1) | instskip(SKIP_2) | instid1(VALU_DEP_3)
	v_and_b32_e32 v18, 0xffff0000, v18
	v_add_nc_u32_e32 v16, 0x400, v16
	v_add_nc_u64_e32 v[10:11], 0x800, v[10:11]
	v_dual_add_nc_u32 v17, s5, v17 :: v_dual_add_f32 v15, v15, v18
	s_delay_alu instid0(VALU_DEP_3) | instskip(SKIP_1) | instid1(SALU_CYCLE_1)
	v_cmp_le_i32_e32 vcc_lo, s14, v16
	s_or_b32 s37, vcc_lo, s37
	s_and_not1_b32 exec_lo, exec_lo, s37
	s_cbranch_execz .LBB652_36
.LBB652_24:                             ;   Parent Loop BB652_4 Depth=1
                                        ; =>  This Inner Loop Header: Depth=2
	global_load_u16 v18, v[10:11], off
	global_load_u16 v19, v17, s[28:29] scale_offset
	s_wait_loadcnt 0x0
	v_dual_lshlrev_b32 v18, 16, v18 :: v_dual_lshlrev_b32 v19, 16, v19
	s_delay_alu instid0(VALU_DEP_1) | instskip(NEXT) | instid1(VALU_DEP_1)
	v_mul_f32_e32 v19, v19, v18
	v_and_b32_e32 v18, 0x7f800000, v19
	s_delay_alu instid0(VALU_DEP_1) | instskip(SKIP_2) | instid1(SALU_CYCLE_1)
	v_cmp_ne_u32_e32 vcc_lo, 0x7f800000, v18
                                        ; implicit-def: $vgpr18
	s_wait_xcnt 0x0
	s_and_saveexec_b32 s38, vcc_lo
	s_xor_b32 s38, exec_lo, s38
; %bb.25:                               ;   in Loop: Header=BB652_24 Depth=2
	v_bfe_u32 v18, v19, 16, 1
	s_delay_alu instid0(VALU_DEP_1)
	v_add3_u32 v18, v19, v18, 0x7fff
                                        ; implicit-def: $vgpr19
; %bb.26:                               ;   in Loop: Header=BB652_24 Depth=2
	s_and_not1_saveexec_b32 s38, s38
	s_cbranch_execz .LBB652_23
; %bb.27:                               ;   in Loop: Header=BB652_24 Depth=2
	v_and_b32_e32 v18, 0xffff, v19
	v_or_b32_e32 v20, 0x10000, v19
	s_delay_alu instid0(VALU_DEP_2) | instskip(NEXT) | instid1(VALU_DEP_2)
	v_cmp_eq_u32_e32 vcc_lo, 0, v18
	v_cndmask_b32_e32 v18, v20, v19, vcc_lo
	s_branch .LBB652_23
.LBB652_28:                             ;   in Loop: Header=BB652_4 Depth=1
	ds_load_b32 v17, v12
	s_or_b32 exec_lo, exec_lo, s28
	s_and_saveexec_b32 s28, s1
	s_cbranch_execz .LBB652_21
.LBB652_29:                             ;   in Loop: Header=BB652_4 Depth=1
	s_wait_dscnt 0x0
	ds_bpermute_b32 v18, v2, v17
	s_wait_dscnt 0x0
	v_add_f32_e32 v17, v17, v18
	ds_bpermute_b32 v10, v10, v17
	s_wait_dscnt 0x0
	v_add_f32_e32 v10, v17, v10
	;; [unrolled: 3-line block ×5, first 2 shown]
	s_or_b32 exec_lo, exec_lo, s28
                                        ; implicit-def: $vgpr10
	s_and_saveexec_b32 s28, s0
	s_cbranch_execz .LBB652_33
.LBB652_30:                             ;   in Loop: Header=BB652_4 Depth=1
	s_wait_dscnt 0x0
	v_mul_f32_e32 v10, s30, v17
	s_and_not1_b32 vcc_lo, exec_lo, s34
	s_cbranch_vccnz .LBB652_32
; %bb.31:                               ;   in Loop: Header=BB652_4 Depth=1
	s_add_nc_u64 s[36:37], s[26:27], s[22:23]
	global_load_b32 v11, v3, s[36:37]
	s_wait_loadcnt 0x0
	v_fmac_f32_e32 v10, s18, v11
.LBB652_32:                             ;   in Loop: Header=BB652_4 Depth=1
	s_or_b32 s35, s35, exec_lo
.LBB652_33:                             ;   in Loop: Header=BB652_4 Depth=1
	s_wait_xcnt 0x0
	s_or_b32 exec_lo, exec_lo, s28
.LBB652_34:                             ;   in Loop: Header=BB652_4 Depth=1
	s_and_saveexec_b32 s28, s35
	s_cbranch_execz .LBB652_2
; %bb.35:                               ;   in Loop: Header=BB652_4 Depth=1
	s_add_nc_u64 s[26:27], s[26:27], s[22:23]
	global_store_b32 v3, v10, s[26:27]
	s_branch .LBB652_2
.LBB652_36:                             ;   in Loop: Header=BB652_4 Depth=1
	s_or_b32 exec_lo, exec_lo, s37
	s_delay_alu instid0(SALU_CYCLE_1)
	s_or_b32 exec_lo, exec_lo, s36
	s_and_saveexec_b32 s36, s4
	s_cbranch_execz .LBB652_15
.LBB652_37:                             ;   in Loop: Header=BB652_4 Depth=1
	s_mul_u64 s[38:39], s[8:9], s[24:25]
	s_wait_dscnt 0x0
	v_lshl_add_u64 v[16:17], v[4:5], 1, s[28:29]
	v_lshl_add_u64 v[10:11], s[38:39], 1, v[6:7]
	s_delay_alu instid0(VALU_DEP_1)
	v_lshl_add_u64 v[10:11], s[14:15], 1, v[10:11]
	global_load_u16 v18, v[16:17], off
	global_load_u16 v19, v[10:11], off
	s_wait_loadcnt 0x0
	s_wait_xcnt 0x0
	v_dual_lshlrev_b32 v10, 16, v18 :: v_dual_lshlrev_b32 v11, 16, v19
	s_delay_alu instid0(VALU_DEP_1) | instskip(NEXT) | instid1(VALU_DEP_1)
	v_mul_f32_e32 v10, v10, v11
	v_and_b32_e32 v11, 0x7f800000, v10
	s_delay_alu instid0(VALU_DEP_1) | instskip(SKIP_1) | instid1(SALU_CYCLE_1)
	v_cmp_ne_u32_e32 vcc_lo, 0x7f800000, v11
                                        ; implicit-def: $vgpr11
	s_and_saveexec_b32 s28, vcc_lo
	s_xor_b32 s28, exec_lo, s28
; %bb.38:                               ;   in Loop: Header=BB652_4 Depth=1
	v_bfe_u32 v11, v10, 16, 1
	s_delay_alu instid0(VALU_DEP_1)
	v_add3_u32 v11, v10, v11, 0x7fff
                                        ; implicit-def: $vgpr10
; %bb.39:                               ;   in Loop: Header=BB652_4 Depth=1
	s_and_not1_saveexec_b32 s28, s28
; %bb.40:                               ;   in Loop: Header=BB652_4 Depth=1
	v_and_b32_e32 v11, 0xffff, v10
	v_or_b32_e32 v16, 0x10000, v10
	s_delay_alu instid0(VALU_DEP_2) | instskip(NEXT) | instid1(VALU_DEP_2)
	v_cmp_eq_u32_e32 vcc_lo, 0, v11
	v_cndmask_b32_e32 v11, v16, v10, vcc_lo
; %bb.41:                               ;   in Loop: Header=BB652_4 Depth=1
	s_or_b32 exec_lo, exec_lo, s28
	s_delay_alu instid0(VALU_DEP_1) | instskip(NEXT) | instid1(VALU_DEP_1)
	v_and_b32_e32 v10, 0xffff0000, v11
	v_add_f32_e32 v15, v15, v10
	s_or_b32 exec_lo, exec_lo, s36
	s_and_saveexec_b32 s28, s1
	s_cbranch_execnz .LBB652_16
	s_branch .LBB652_17
.LBB652_42:
	s_endpgm
	.section	.rodata,"a",@progbits
	.p2align	6, 0x0
	.amdhsa_kernel _ZL32rocblas_gemvt_warp_reduce_kernelILb0ELi1024Ei16rocblas_bfloat16ffEviiT3_lPKT2_lT1_lS4_lS5_lS1_lPT4_lS5_li
		.amdhsa_group_segment_fixed_size 128
		.amdhsa_private_segment_fixed_size 0
		.amdhsa_kernarg_size 140
		.amdhsa_user_sgpr_count 2
		.amdhsa_user_sgpr_dispatch_ptr 0
		.amdhsa_user_sgpr_queue_ptr 0
		.amdhsa_user_sgpr_kernarg_segment_ptr 1
		.amdhsa_user_sgpr_dispatch_id 0
		.amdhsa_user_sgpr_kernarg_preload_length 0
		.amdhsa_user_sgpr_kernarg_preload_offset 0
		.amdhsa_user_sgpr_private_segment_size 0
		.amdhsa_wavefront_size32 1
		.amdhsa_uses_dynamic_stack 0
		.amdhsa_enable_private_segment 0
		.amdhsa_system_sgpr_workgroup_id_x 1
		.amdhsa_system_sgpr_workgroup_id_y 0
		.amdhsa_system_sgpr_workgroup_id_z 1
		.amdhsa_system_sgpr_workgroup_info 0
		.amdhsa_system_vgpr_workitem_id 0
		.amdhsa_next_free_vgpr 21
		.amdhsa_next_free_sgpr 40
		.amdhsa_named_barrier_count 0
		.amdhsa_reserve_vcc 1
		.amdhsa_float_round_mode_32 0
		.amdhsa_float_round_mode_16_64 0
		.amdhsa_float_denorm_mode_32 3
		.amdhsa_float_denorm_mode_16_64 3
		.amdhsa_fp16_overflow 0
		.amdhsa_memory_ordered 1
		.amdhsa_forward_progress 1
		.amdhsa_inst_pref_size 13
		.amdhsa_round_robin_scheduling 0
		.amdhsa_exception_fp_ieee_invalid_op 0
		.amdhsa_exception_fp_denorm_src 0
		.amdhsa_exception_fp_ieee_div_zero 0
		.amdhsa_exception_fp_ieee_overflow 0
		.amdhsa_exception_fp_ieee_underflow 0
		.amdhsa_exception_fp_ieee_inexact 0
		.amdhsa_exception_int_div_zero 0
	.end_amdhsa_kernel
	.section	.text._ZL32rocblas_gemvt_warp_reduce_kernelILb0ELi1024Ei16rocblas_bfloat16ffEviiT3_lPKT2_lT1_lS4_lS5_lS1_lPT4_lS5_li,"axG",@progbits,_ZL32rocblas_gemvt_warp_reduce_kernelILb0ELi1024Ei16rocblas_bfloat16ffEviiT3_lPKT2_lT1_lS4_lS5_lS1_lPT4_lS5_li,comdat
.Lfunc_end652:
	.size	_ZL32rocblas_gemvt_warp_reduce_kernelILb0ELi1024Ei16rocblas_bfloat16ffEviiT3_lPKT2_lT1_lS4_lS5_lS1_lPT4_lS5_li, .Lfunc_end652-_ZL32rocblas_gemvt_warp_reduce_kernelILb0ELi1024Ei16rocblas_bfloat16ffEviiT3_lPKT2_lT1_lS4_lS5_lS1_lPT4_lS5_li
                                        ; -- End function
	.set _ZL32rocblas_gemvt_warp_reduce_kernelILb0ELi1024Ei16rocblas_bfloat16ffEviiT3_lPKT2_lT1_lS4_lS5_lS1_lPT4_lS5_li.num_vgpr, 21
	.set _ZL32rocblas_gemvt_warp_reduce_kernelILb0ELi1024Ei16rocblas_bfloat16ffEviiT3_lPKT2_lT1_lS4_lS5_lS1_lPT4_lS5_li.num_agpr, 0
	.set _ZL32rocblas_gemvt_warp_reduce_kernelILb0ELi1024Ei16rocblas_bfloat16ffEviiT3_lPKT2_lT1_lS4_lS5_lS1_lPT4_lS5_li.numbered_sgpr, 40
	.set _ZL32rocblas_gemvt_warp_reduce_kernelILb0ELi1024Ei16rocblas_bfloat16ffEviiT3_lPKT2_lT1_lS4_lS5_lS1_lPT4_lS5_li.num_named_barrier, 0
	.set _ZL32rocblas_gemvt_warp_reduce_kernelILb0ELi1024Ei16rocblas_bfloat16ffEviiT3_lPKT2_lT1_lS4_lS5_lS1_lPT4_lS5_li.private_seg_size, 0
	.set _ZL32rocblas_gemvt_warp_reduce_kernelILb0ELi1024Ei16rocblas_bfloat16ffEviiT3_lPKT2_lT1_lS4_lS5_lS1_lPT4_lS5_li.uses_vcc, 1
	.set _ZL32rocblas_gemvt_warp_reduce_kernelILb0ELi1024Ei16rocblas_bfloat16ffEviiT3_lPKT2_lT1_lS4_lS5_lS1_lPT4_lS5_li.uses_flat_scratch, 0
	.set _ZL32rocblas_gemvt_warp_reduce_kernelILb0ELi1024Ei16rocblas_bfloat16ffEviiT3_lPKT2_lT1_lS4_lS5_lS1_lPT4_lS5_li.has_dyn_sized_stack, 0
	.set _ZL32rocblas_gemvt_warp_reduce_kernelILb0ELi1024Ei16rocblas_bfloat16ffEviiT3_lPKT2_lT1_lS4_lS5_lS1_lPT4_lS5_li.has_recursion, 0
	.set _ZL32rocblas_gemvt_warp_reduce_kernelILb0ELi1024Ei16rocblas_bfloat16ffEviiT3_lPKT2_lT1_lS4_lS5_lS1_lPT4_lS5_li.has_indirect_call, 0
	.section	.AMDGPU.csdata,"",@progbits
; Kernel info:
; codeLenInByte = 1644
; TotalNumSgprs: 42
; NumVgprs: 21
; ScratchSize: 0
; MemoryBound: 0
; FloatMode: 240
; IeeeMode: 1
; LDSByteSize: 128 bytes/workgroup (compile time only)
; SGPRBlocks: 0
; VGPRBlocks: 1
; NumSGPRsForWavesPerEU: 42
; NumVGPRsForWavesPerEU: 21
; NamedBarCnt: 0
; Occupancy: 16
; WaveLimiterHint : 0
; COMPUTE_PGM_RSRC2:SCRATCH_EN: 0
; COMPUTE_PGM_RSRC2:USER_SGPR: 2
; COMPUTE_PGM_RSRC2:TRAP_HANDLER: 0
; COMPUTE_PGM_RSRC2:TGID_X_EN: 1
; COMPUTE_PGM_RSRC2:TGID_Y_EN: 0
; COMPUTE_PGM_RSRC2:TGID_Z_EN: 1
; COMPUTE_PGM_RSRC2:TIDIG_COMP_CNT: 0
	.section	.text._ZL32rocblas_gemvt_warp_reduce_kernelILb0ELi1024El16rocblas_bfloat16ffEviiT3_lPKT2_lT1_lS4_lS5_lS1_lPT4_lS5_li,"axG",@progbits,_ZL32rocblas_gemvt_warp_reduce_kernelILb0ELi1024El16rocblas_bfloat16ffEviiT3_lPKT2_lT1_lS4_lS5_lS1_lPT4_lS5_li,comdat
	.globl	_ZL32rocblas_gemvt_warp_reduce_kernelILb0ELi1024El16rocblas_bfloat16ffEviiT3_lPKT2_lT1_lS4_lS5_lS1_lPT4_lS5_li ; -- Begin function _ZL32rocblas_gemvt_warp_reduce_kernelILb0ELi1024El16rocblas_bfloat16ffEviiT3_lPKT2_lT1_lS4_lS5_lS1_lPT4_lS5_li
	.p2align	8
	.type	_ZL32rocblas_gemvt_warp_reduce_kernelILb0ELi1024El16rocblas_bfloat16ffEviiT3_lPKT2_lT1_lS4_lS5_lS1_lPT4_lS5_li,@function
_ZL32rocblas_gemvt_warp_reduce_kernelILb0ELi1024El16rocblas_bfloat16ffEviiT3_lPKT2_lT1_lS4_lS5_lS1_lPT4_lS5_li: ; @_ZL32rocblas_gemvt_warp_reduce_kernelILb0ELi1024El16rocblas_bfloat16ffEviiT3_lPKT2_lT1_lS4_lS5_lS1_lPT4_lS5_li
; %bb.0:
	s_load_b32 s5, s[0:1], 0x88
	s_bfe_u32 s2, ttmp6, 0x40014
	s_lshr_b32 s3, ttmp7, 16
	s_add_co_i32 s2, s2, 1
	s_bfe_u32 s6, ttmp6, 0x40008
	s_mul_i32 s4, s3, s2
	s_getreg_b32 s2, hwreg(HW_REG_IB_STS2, 6, 4)
	s_add_co_i32 s6, s6, s4
	s_cmp_eq_u32 s2, 0
	s_mov_b32 s7, 0
	s_cselect_b32 s6, s3, s6
	s_wait_kmcnt 0x0
	s_cmp_ge_u32 s6, s5
	s_cbranch_scc1 .LBB653_42
; %bb.1:
	s_clause 0x4
	s_load_b512 s[8:23], s[0:1], 0x18
	s_load_b256 s[24:31], s[0:1], 0x68
	s_load_b32 s33, s[0:1], 0x8
	s_load_b32 s34, s[0:1], 0x58
	;; [unrolled: 1-line block ×3, first 2 shown]
	s_wait_kmcnt 0x0
	s_lshl_b64 s[18:19], s[18:19], 1
	s_lshl_b64 s[26:27], s[26:27], 2
	;; [unrolled: 1-line block ×3, first 2 shown]
	s_cmp_eq_f32 s33, 0
	v_cmp_gt_i32_e32 vcc_lo, s4, v0
	v_mov_b32_e32 v3, 0
	s_add_nc_u64 s[16:17], s[16:17], s[18:19]
	s_cselect_b32 s35, -1, 0
	s_cmp_neq_f32 s33, 0
	v_cndmask_b32_e32 v2, 0, v0, vcc_lo
	s_add_nc_u64 s[18:19], s[24:25], s[26:27]
	s_cselect_b32 s3, -1, 0
	s_cmp_neq_f32 s34, 1.0
	s_delay_alu instid0(VALU_DEP_1) | instskip(SKIP_1) | instid1(SALU_CYCLE_1)
	v_lshlrev_b32_e32 v2, 1, v2
	s_cselect_b32 s0, -1, 0
	s_or_b32 s36, s3, s0
	s_cmp_neq_f32 s34, 0
	s_cselect_b32 s37, -1, 0
	s_bfe_u32 s0, ttmp6, 0x4000c
	s_and_b32 s1, ttmp6, 15
	s_add_co_i32 s0, s0, 1
	s_delay_alu instid0(SALU_CYCLE_1) | instskip(NEXT) | instid1(SALU_CYCLE_1)
	s_mul_i32 s0, ttmp9, s0
	s_add_co_i32 s1, s1, s0
	s_cmp_eq_u32 s2, 0
	s_cselect_b32 s2, ttmp9, s1
	s_ashr_i32 s0, s4, 31
	s_ashr_i32 s3, s2, 31
	s_lshr_b32 s0, s0, 22
	s_mul_u64 s[12:13], s[12:13], s[2:3]
	s_add_co_i32 s0, s4, s0
	s_lshl_b64 s[12:13], s[12:13], 1
	s_and_b32 s10, s0, 0xfffffc00
	s_delay_alu instid0(SALU_CYCLE_1) | instskip(SKIP_3) | instid1(VALU_DEP_2)
	v_dual_mov_b32 v1, v3 :: v_dual_bitop2_b32 v8, s10, v0 bitop3:0x54
	s_add_nc_u64 s[0:1], s[8:9], s[38:39]
	s_mul_u64 s[24:25], s[28:29], s[2:3]
	v_cmp_gt_u32_e64 s3, 32, v0
	v_mul_u64_e32 v[10:11], s[20:21], v[0:1]
	v_ashrrev_i32_e32 v9, 31, v8
	v_add_nc_u64_e32 v[6:7], s[0:1], v[2:3]
	v_cmp_gt_i32_e64 s2, s4, v8
	v_cmp_eq_u32_e64 s0, 0, v0
	v_cmp_gt_i32_e64 s1, s10, v0
	v_mul_u64_e32 v[4:5], s[20:21], v[8:9]
	v_dual_lshrrev_b32 v8, 3, v0 :: v_dual_bitop2_b32 v9, 31, v0 bitop3:0x40
	v_add_nc_u64_e32 v[6:7], s[12:13], v[6:7]
	s_add_nc_u64 s[12:13], s[12:13], s[38:39]
	s_ashr_i32 s11, s10, 31
	s_add_nc_u64 s[8:9], s[8:9], s[12:13]
	v_lshlrev_b32_e32 v1, 2, v9
	v_cmp_eq_u32_e64 s4, 0, v9
	v_and_b32_e32 v16, 0x7c, v8
	v_add_nc_u64_e32 v[8:9], s[8:9], v[2:3]
	v_mbcnt_lo_u32_b32 v2, -1, 0
	s_lshl_b64 s[8:9], s[14:15], 1
	s_lshl_b64 s[12:13], s[22:23], 1
	;; [unrolled: 1-line block ×4, first 2 shown]
	v_lshl_or_b32 v17, v2, 2, 64
	v_lshl_add_u64 v[10:11], v[10:11], 1, s[16:17]
	s_branch .LBB653_4
.LBB653_2:                              ;   in Loop: Header=BB653_4 Depth=1
	s_wait_xcnt 0x0
	s_or_b32 exec_lo, exec_lo, s29
.LBB653_3:                              ;   in Loop: Header=BB653_4 Depth=1
	s_add_co_i32 s6, s6, 0x10000
	s_delay_alu instid0(SALU_CYCLE_1)
	s_cmp_lt_u32 s6, s5
	s_cbranch_scc0 .LBB653_42
.LBB653_4:                              ; =>This Loop Header: Depth=1
                                        ;     Child Loop BB653_24 Depth 2
	s_and_not1_b32 vcc_lo, exec_lo, s36
	s_cbranch_vccnz .LBB653_3
; %bb.5:                                ;   in Loop: Header=BB653_4 Depth=1
	s_mul_u64 s[26:27], s[30:31], s[6:7]
	s_and_not1_b32 vcc_lo, exec_lo, s35
	s_lshl_b64 s[26:27], s[26:27], 2
	s_delay_alu instid0(SALU_CYCLE_1)
	s_add_nc_u64 s[26:27], s[18:19], s[26:27]
	s_cbranch_vccnz .LBB653_9
; %bb.6:                                ;   in Loop: Header=BB653_4 Depth=1
	s_mov_b32 s29, 0
	s_mov_b32 s28, 0
                                        ; implicit-def: $vgpr12
	s_and_saveexec_b32 s38, s0
	s_cbranch_execz .LBB653_10
; %bb.7:                                ;   in Loop: Header=BB653_4 Depth=1
	s_and_not1_b32 vcc_lo, exec_lo, s37
	s_cbranch_vccnz .LBB653_11
; %bb.8:                                ;   in Loop: Header=BB653_4 Depth=1
	s_add_nc_u64 s[40:41], s[26:27], s[24:25]
	global_load_b32 v12, v3, s[40:41]
	s_wait_loadcnt 0x0
	v_mul_f32_e32 v12, s34, v12
	s_branch .LBB653_12
.LBB653_9:                              ;   in Loop: Header=BB653_4 Depth=1
	s_mov_b32 s28, 0
                                        ; implicit-def: $vgpr12
	s_cbranch_execnz .LBB653_13
	s_branch .LBB653_34
.LBB653_10:                             ;   in Loop: Header=BB653_4 Depth=1
	s_or_b32 exec_lo, exec_lo, s38
	s_delay_alu instid0(SALU_CYCLE_1)
	s_and_b32 vcc_lo, exec_lo, s29
	s_cbranch_vccnz .LBB653_13
	s_branch .LBB653_34
.LBB653_11:                             ;   in Loop: Header=BB653_4 Depth=1
	v_mov_b32_e32 v12, 0
.LBB653_12:                             ;   in Loop: Header=BB653_4 Depth=1
	s_mov_b32 s28, exec_lo
	s_wait_xcnt 0x0
	s_or_b32 exec_lo, exec_lo, s38
	s_delay_alu instid0(SALU_CYCLE_1)
	s_and_b32 vcc_lo, exec_lo, s29
	s_cbranch_vccz .LBB653_34
.LBB653_13:                             ;   in Loop: Header=BB653_4 Depth=1
	s_wait_dscnt 0x0
	v_mov_b32_e32 v18, 0
	s_and_saveexec_b32 s29, s1
	s_cbranch_execnz .LBB653_22
; %bb.14:                               ;   in Loop: Header=BB653_4 Depth=1
	s_or_b32 exec_lo, exec_lo, s29
	s_and_saveexec_b32 s29, s2
	s_cbranch_execnz .LBB653_37
.LBB653_15:                             ;   in Loop: Header=BB653_4 Depth=1
	s_or_b32 exec_lo, exec_lo, s29
	s_and_saveexec_b32 s29, s3
.LBB653_16:                             ;   in Loop: Header=BB653_4 Depth=1
	ds_store_b32 v1, v3
.LBB653_17:                             ;   in Loop: Header=BB653_4 Depth=1
	s_or_b32 exec_lo, exec_lo, s29
	ds_bpermute_b32 v13, v17, v18
	v_cmp_gt_u32_e32 vcc_lo, 24, v2
	s_wait_dscnt 0x0
	s_barrier_signal -1
	s_barrier_wait -1
	v_cndmask_b32_e64 v12, 0, 8, vcc_lo
	v_cmp_gt_u32_e32 vcc_lo, 28, v2
	s_delay_alu instid0(VALU_DEP_2)
	v_add_lshl_u32 v12, v12, v2, 2
	v_add_f32_e32 v14, v18, v13
	v_cndmask_b32_e64 v13, 0, 4, vcc_lo
	v_cmp_gt_u32_e32 vcc_lo, 30, v2
	ds_bpermute_b32 v15, v12, v14
	v_add_lshl_u32 v13, v13, v2, 2
	s_wait_dscnt 0x0
	v_add_f32_e32 v15, v14, v15
	v_cndmask_b32_e64 v14, 0, 2, vcc_lo
	v_cmp_ne_u32_e32 vcc_lo, 31, v2
	ds_bpermute_b32 v18, v13, v15
	v_add_lshl_u32 v14, v14, v2, 2
	v_add_co_ci_u32_e64 v19, null, 0, v2, vcc_lo
	s_wait_dscnt 0x0
	v_add_f32_e32 v15, v15, v18
	ds_bpermute_b32 v18, v14, v15
	s_wait_dscnt 0x0
	v_dual_add_f32 v18, v15, v18 :: v_dual_lshlrev_b32 v15, 2, v19
	ds_bpermute_b32 v19, v15, v18
	s_and_saveexec_b32 s29, s4
	s_cbranch_execz .LBB653_19
; %bb.18:                               ;   in Loop: Header=BB653_4 Depth=1
	s_wait_dscnt 0x0
	v_add_f32_e32 v18, v18, v19
	ds_store_b32 v16, v18
.LBB653_19:                             ;   in Loop: Header=BB653_4 Depth=1
	s_or_b32 exec_lo, exec_lo, s29
	v_mov_b32_e32 v18, 0
	s_wait_dscnt 0x0
	s_barrier_signal -1
	s_barrier_wait -1
	s_and_saveexec_b32 s29, s3
	s_cbranch_execnz .LBB653_28
; %bb.20:                               ;   in Loop: Header=BB653_4 Depth=1
	s_or_b32 exec_lo, exec_lo, s29
	s_and_saveexec_b32 s29, s3
	s_cbranch_execnz .LBB653_29
.LBB653_21:                             ;   in Loop: Header=BB653_4 Depth=1
	s_or_b32 exec_lo, exec_lo, s29
                                        ; implicit-def: $vgpr12
	s_and_saveexec_b32 s29, s0
	s_cbranch_execnz .LBB653_30
	s_branch .LBB653_33
.LBB653_22:                             ;   in Loop: Header=BB653_4 Depth=1
	v_mad_nc_u64_u32 v[12:13], s8, s6, v[8:9]
	v_mad_nc_u64_u32 v[14:15], s12, s6, v[10:11]
	v_dual_mov_b32 v18, 0 :: v_dual_mov_b32 v19, v0
	s_mov_b32 s38, 0
	s_delay_alu instid0(VALU_DEP_3) | instskip(NEXT) | instid1(VALU_DEP_3)
	v_mad_u32 v13, s9, s6, v13
	v_mad_u32 v15, s13, s6, v15
	s_branch .LBB653_24
.LBB653_23:                             ;   in Loop: Header=BB653_24 Depth=2
	s_or_b32 exec_lo, exec_lo, s39
	s_delay_alu instid0(VALU_DEP_1) | instskip(SKIP_3) | instid1(VALU_DEP_4)
	v_and_b32_e32 v20, 0xffff0000, v21
	v_add_nc_u32_e32 v19, 0x400, v19
	v_add_nc_u64_e32 v[12:13], 0x800, v[12:13]
	v_add_nc_u64_e32 v[14:15], s[20:21], v[14:15]
	v_add_f32_e32 v18, v18, v20
	s_delay_alu instid0(VALU_DEP_4) | instskip(SKIP_1) | instid1(SALU_CYCLE_1)
	v_cmp_le_i32_e32 vcc_lo, s10, v19
	s_or_b32 s38, vcc_lo, s38
	s_and_not1_b32 exec_lo, exec_lo, s38
	s_cbranch_execz .LBB653_36
.LBB653_24:                             ;   Parent Loop BB653_4 Depth=1
                                        ; =>  This Inner Loop Header: Depth=2
	global_load_u16 v20, v[12:13], off
	global_load_u16 v21, v[14:15], off
	s_wait_loadcnt 0x0
	v_dual_lshlrev_b32 v20, 16, v20 :: v_dual_lshlrev_b32 v21, 16, v21
	s_delay_alu instid0(VALU_DEP_1) | instskip(NEXT) | instid1(VALU_DEP_1)
	v_mul_f32_e32 v20, v21, v20
	v_and_b32_e32 v21, 0x7f800000, v20
	s_delay_alu instid0(VALU_DEP_1) | instskip(SKIP_2) | instid1(SALU_CYCLE_1)
	v_cmp_ne_u32_e32 vcc_lo, 0x7f800000, v21
                                        ; implicit-def: $vgpr21
	s_wait_xcnt 0x0
	s_and_saveexec_b32 s39, vcc_lo
	s_xor_b32 s39, exec_lo, s39
; %bb.25:                               ;   in Loop: Header=BB653_24 Depth=2
	v_bfe_u32 v21, v20, 16, 1
	s_delay_alu instid0(VALU_DEP_1)
	v_add3_u32 v21, v20, v21, 0x7fff
                                        ; implicit-def: $vgpr20
; %bb.26:                               ;   in Loop: Header=BB653_24 Depth=2
	s_and_not1_saveexec_b32 s39, s39
	s_cbranch_execz .LBB653_23
; %bb.27:                               ;   in Loop: Header=BB653_24 Depth=2
	v_and_b32_e32 v21, 0xffff, v20
	v_or_b32_e32 v22, 0x10000, v20
	s_delay_alu instid0(VALU_DEP_2) | instskip(NEXT) | instid1(VALU_DEP_2)
	v_cmp_eq_u32_e32 vcc_lo, 0, v21
	v_cndmask_b32_e32 v21, v22, v20, vcc_lo
	s_branch .LBB653_23
.LBB653_28:                             ;   in Loop: Header=BB653_4 Depth=1
	ds_load_b32 v18, v1
	s_or_b32 exec_lo, exec_lo, s29
	s_and_saveexec_b32 s29, s3
	s_cbranch_execz .LBB653_21
.LBB653_29:                             ;   in Loop: Header=BB653_4 Depth=1
	s_wait_dscnt 0x0
	ds_bpermute_b32 v19, v17, v18
	s_wait_dscnt 0x0
	v_add_f32_e32 v18, v18, v19
	ds_bpermute_b32 v12, v12, v18
	s_wait_dscnt 0x0
	v_add_f32_e32 v12, v18, v12
	;; [unrolled: 3-line block ×5, first 2 shown]
	s_or_b32 exec_lo, exec_lo, s29
                                        ; implicit-def: $vgpr12
	s_and_saveexec_b32 s29, s0
	s_cbranch_execz .LBB653_33
.LBB653_30:                             ;   in Loop: Header=BB653_4 Depth=1
	s_wait_dscnt 0x0
	v_mul_f32_e32 v12, s33, v18
	s_and_not1_b32 vcc_lo, exec_lo, s37
	s_cbranch_vccnz .LBB653_32
; %bb.31:                               ;   in Loop: Header=BB653_4 Depth=1
	s_add_nc_u64 s[38:39], s[26:27], s[24:25]
	global_load_b32 v13, v3, s[38:39]
	s_wait_loadcnt 0x0
	v_fmac_f32_e32 v12, s34, v13
.LBB653_32:                             ;   in Loop: Header=BB653_4 Depth=1
	s_or_b32 s28, s28, exec_lo
.LBB653_33:                             ;   in Loop: Header=BB653_4 Depth=1
	s_wait_xcnt 0x0
	s_or_b32 exec_lo, exec_lo, s29
.LBB653_34:                             ;   in Loop: Header=BB653_4 Depth=1
	s_and_saveexec_b32 s29, s28
	s_cbranch_execz .LBB653_2
; %bb.35:                               ;   in Loop: Header=BB653_4 Depth=1
	s_add_nc_u64 s[26:27], s[26:27], s[24:25]
	global_store_b32 v3, v12, s[26:27]
	s_branch .LBB653_2
.LBB653_36:                             ;   in Loop: Header=BB653_4 Depth=1
	s_or_b32 exec_lo, exec_lo, s38
	s_delay_alu instid0(SALU_CYCLE_1)
	s_or_b32 exec_lo, exec_lo, s29
	s_and_saveexec_b32 s29, s2
	s_cbranch_execz .LBB653_15
.LBB653_37:                             ;   in Loop: Header=BB653_4 Depth=1
	s_mul_u64 s[38:39], s[14:15], s[6:7]
	s_mul_u64 s[40:41], s[22:23], s[6:7]
	v_lshl_add_u64 v[12:13], s[38:39], 1, v[6:7]
	s_lshl_b64 s[38:39], s[40:41], 1
	s_delay_alu instid0(SALU_CYCLE_1) | instskip(NEXT) | instid1(SALU_CYCLE_1)
	s_add_nc_u64 s[38:39], s[16:17], s[38:39]
	v_lshl_add_u64 v[14:15], v[4:5], 1, s[38:39]
	s_delay_alu instid0(VALU_DEP_2)
	v_lshl_add_u64 v[12:13], s[10:11], 1, v[12:13]
	global_load_u16 v19, v[12:13], off
	global_load_u16 v20, v[14:15], off
	s_wait_loadcnt 0x0
	s_wait_xcnt 0x1
	v_dual_lshlrev_b32 v12, 16, v19 :: v_dual_lshlrev_b32 v13, 16, v20
	s_delay_alu instid0(VALU_DEP_1) | instskip(NEXT) | instid1(VALU_DEP_1)
	v_mul_f32_e32 v12, v13, v12
	v_and_b32_e32 v13, 0x7f800000, v12
	s_delay_alu instid0(VALU_DEP_1) | instskip(SKIP_2) | instid1(SALU_CYCLE_1)
	v_cmp_ne_u32_e32 vcc_lo, 0x7f800000, v13
                                        ; implicit-def: $vgpr13
	s_wait_xcnt 0x0
	s_and_saveexec_b32 s38, vcc_lo
	s_xor_b32 s38, exec_lo, s38
; %bb.38:                               ;   in Loop: Header=BB653_4 Depth=1
	v_bfe_u32 v13, v12, 16, 1
	s_delay_alu instid0(VALU_DEP_1)
	v_add3_u32 v13, v12, v13, 0x7fff
                                        ; implicit-def: $vgpr12
; %bb.39:                               ;   in Loop: Header=BB653_4 Depth=1
	s_and_not1_saveexec_b32 s38, s38
; %bb.40:                               ;   in Loop: Header=BB653_4 Depth=1
	v_and_b32_e32 v13, 0xffff, v12
	v_or_b32_e32 v14, 0x10000, v12
	s_delay_alu instid0(VALU_DEP_2) | instskip(NEXT) | instid1(VALU_DEP_2)
	v_cmp_eq_u32_e32 vcc_lo, 0, v13
	v_cndmask_b32_e32 v13, v14, v12, vcc_lo
; %bb.41:                               ;   in Loop: Header=BB653_4 Depth=1
	s_or_b32 exec_lo, exec_lo, s38
	s_delay_alu instid0(VALU_DEP_1) | instskip(NEXT) | instid1(VALU_DEP_1)
	v_and_b32_e32 v12, 0xffff0000, v13
	v_add_f32_e32 v18, v18, v12
	s_or_b32 exec_lo, exec_lo, s29
	s_and_saveexec_b32 s29, s3
	s_cbranch_execnz .LBB653_16
	s_branch .LBB653_17
.LBB653_42:
	s_endpgm
	.section	.rodata,"a",@progbits
	.p2align	6, 0x0
	.amdhsa_kernel _ZL32rocblas_gemvt_warp_reduce_kernelILb0ELi1024El16rocblas_bfloat16ffEviiT3_lPKT2_lT1_lS4_lS5_lS1_lPT4_lS5_li
		.amdhsa_group_segment_fixed_size 128
		.amdhsa_private_segment_fixed_size 0
		.amdhsa_kernarg_size 140
		.amdhsa_user_sgpr_count 2
		.amdhsa_user_sgpr_dispatch_ptr 0
		.amdhsa_user_sgpr_queue_ptr 0
		.amdhsa_user_sgpr_kernarg_segment_ptr 1
		.amdhsa_user_sgpr_dispatch_id 0
		.amdhsa_user_sgpr_kernarg_preload_length 0
		.amdhsa_user_sgpr_kernarg_preload_offset 0
		.amdhsa_user_sgpr_private_segment_size 0
		.amdhsa_wavefront_size32 1
		.amdhsa_uses_dynamic_stack 0
		.amdhsa_enable_private_segment 0
		.amdhsa_system_sgpr_workgroup_id_x 1
		.amdhsa_system_sgpr_workgroup_id_y 0
		.amdhsa_system_sgpr_workgroup_id_z 1
		.amdhsa_system_sgpr_workgroup_info 0
		.amdhsa_system_vgpr_workitem_id 0
		.amdhsa_next_free_vgpr 23
		.amdhsa_next_free_sgpr 42
		.amdhsa_named_barrier_count 0
		.amdhsa_reserve_vcc 1
		.amdhsa_float_round_mode_32 0
		.amdhsa_float_round_mode_16_64 0
		.amdhsa_float_denorm_mode_32 3
		.amdhsa_float_denorm_mode_16_64 3
		.amdhsa_fp16_overflow 0
		.amdhsa_memory_ordered 1
		.amdhsa_forward_progress 1
		.amdhsa_inst_pref_size 13
		.amdhsa_round_robin_scheduling 0
		.amdhsa_exception_fp_ieee_invalid_op 0
		.amdhsa_exception_fp_denorm_src 0
		.amdhsa_exception_fp_ieee_div_zero 0
		.amdhsa_exception_fp_ieee_overflow 0
		.amdhsa_exception_fp_ieee_underflow 0
		.amdhsa_exception_fp_ieee_inexact 0
		.amdhsa_exception_int_div_zero 0
	.end_amdhsa_kernel
	.section	.text._ZL32rocblas_gemvt_warp_reduce_kernelILb0ELi1024El16rocblas_bfloat16ffEviiT3_lPKT2_lT1_lS4_lS5_lS1_lPT4_lS5_li,"axG",@progbits,_ZL32rocblas_gemvt_warp_reduce_kernelILb0ELi1024El16rocblas_bfloat16ffEviiT3_lPKT2_lT1_lS4_lS5_lS1_lPT4_lS5_li,comdat
.Lfunc_end653:
	.size	_ZL32rocblas_gemvt_warp_reduce_kernelILb0ELi1024El16rocblas_bfloat16ffEviiT3_lPKT2_lT1_lS4_lS5_lS1_lPT4_lS5_li, .Lfunc_end653-_ZL32rocblas_gemvt_warp_reduce_kernelILb0ELi1024El16rocblas_bfloat16ffEviiT3_lPKT2_lT1_lS4_lS5_lS1_lPT4_lS5_li
                                        ; -- End function
	.set _ZL32rocblas_gemvt_warp_reduce_kernelILb0ELi1024El16rocblas_bfloat16ffEviiT3_lPKT2_lT1_lS4_lS5_lS1_lPT4_lS5_li.num_vgpr, 23
	.set _ZL32rocblas_gemvt_warp_reduce_kernelILb0ELi1024El16rocblas_bfloat16ffEviiT3_lPKT2_lT1_lS4_lS5_lS1_lPT4_lS5_li.num_agpr, 0
	.set _ZL32rocblas_gemvt_warp_reduce_kernelILb0ELi1024El16rocblas_bfloat16ffEviiT3_lPKT2_lT1_lS4_lS5_lS1_lPT4_lS5_li.numbered_sgpr, 42
	.set _ZL32rocblas_gemvt_warp_reduce_kernelILb0ELi1024El16rocblas_bfloat16ffEviiT3_lPKT2_lT1_lS4_lS5_lS1_lPT4_lS5_li.num_named_barrier, 0
	.set _ZL32rocblas_gemvt_warp_reduce_kernelILb0ELi1024El16rocblas_bfloat16ffEviiT3_lPKT2_lT1_lS4_lS5_lS1_lPT4_lS5_li.private_seg_size, 0
	.set _ZL32rocblas_gemvt_warp_reduce_kernelILb0ELi1024El16rocblas_bfloat16ffEviiT3_lPKT2_lT1_lS4_lS5_lS1_lPT4_lS5_li.uses_vcc, 1
	.set _ZL32rocblas_gemvt_warp_reduce_kernelILb0ELi1024El16rocblas_bfloat16ffEviiT3_lPKT2_lT1_lS4_lS5_lS1_lPT4_lS5_li.uses_flat_scratch, 0
	.set _ZL32rocblas_gemvt_warp_reduce_kernelILb0ELi1024El16rocblas_bfloat16ffEviiT3_lPKT2_lT1_lS4_lS5_lS1_lPT4_lS5_li.has_dyn_sized_stack, 0
	.set _ZL32rocblas_gemvt_warp_reduce_kernelILb0ELi1024El16rocblas_bfloat16ffEviiT3_lPKT2_lT1_lS4_lS5_lS1_lPT4_lS5_li.has_recursion, 0
	.set _ZL32rocblas_gemvt_warp_reduce_kernelILb0ELi1024El16rocblas_bfloat16ffEviiT3_lPKT2_lT1_lS4_lS5_lS1_lPT4_lS5_li.has_indirect_call, 0
	.section	.AMDGPU.csdata,"",@progbits
; Kernel info:
; codeLenInByte = 1588
; TotalNumSgprs: 44
; NumVgprs: 23
; ScratchSize: 0
; MemoryBound: 0
; FloatMode: 240
; IeeeMode: 1
; LDSByteSize: 128 bytes/workgroup (compile time only)
; SGPRBlocks: 0
; VGPRBlocks: 1
; NumSGPRsForWavesPerEU: 44
; NumVGPRsForWavesPerEU: 23
; NamedBarCnt: 0
; Occupancy: 16
; WaveLimiterHint : 0
; COMPUTE_PGM_RSRC2:SCRATCH_EN: 0
; COMPUTE_PGM_RSRC2:USER_SGPR: 2
; COMPUTE_PGM_RSRC2:TRAP_HANDLER: 0
; COMPUTE_PGM_RSRC2:TGID_X_EN: 1
; COMPUTE_PGM_RSRC2:TGID_Y_EN: 0
; COMPUTE_PGM_RSRC2:TGID_Z_EN: 1
; COMPUTE_PGM_RSRC2:TIDIG_COMP_CNT: 0
	.section	.text._ZL22rocblas_gemvtsm_kernelILb1ELi256E16rocblas_bfloat16PKffEviiT2_lPKT1_lilS6_lilS3_lPT3_lil,"axG",@progbits,_ZL22rocblas_gemvtsm_kernelILb1ELi256E16rocblas_bfloat16PKffEviiT2_lPKT1_lilS6_lilS3_lPT3_lil,comdat
	.globl	_ZL22rocblas_gemvtsm_kernelILb1ELi256E16rocblas_bfloat16PKffEviiT2_lPKT1_lilS6_lilS3_lPT3_lil ; -- Begin function _ZL22rocblas_gemvtsm_kernelILb1ELi256E16rocblas_bfloat16PKffEviiT2_lPKT1_lilS6_lilS3_lPT3_lil
	.p2align	8
	.type	_ZL22rocblas_gemvtsm_kernelILb1ELi256E16rocblas_bfloat16PKffEviiT2_lPKT1_lilS6_lilS3_lPT3_lil,@function
_ZL22rocblas_gemvtsm_kernelILb1ELi256E16rocblas_bfloat16PKffEviiT2_lPKT1_lilS6_lilS3_lPT3_lil: ; @_ZL22rocblas_gemvtsm_kernelILb1ELi256E16rocblas_bfloat16PKffEviiT2_lPKT1_lilS6_lilS3_lPT3_lil
; %bb.0:
	s_clause 0x1
	s_load_b256 s[4:11], s[0:1], 0x8
	s_load_b256 s[12:19], s[0:1], 0x50
	s_bfe_u32 s2, ttmp6, 0x4000c
	s_and_b32 s3, ttmp6, 15
	s_add_co_i32 s2, s2, 1
	s_getreg_b32 s20, hwreg(HW_REG_IB_STS2, 6, 4)
	s_mul_i32 s2, ttmp9, s2
	s_mov_b32 s25, 0
	s_add_co_i32 s3, s3, s2
	s_cmp_eq_u32 s20, 0
	s_cselect_b32 s24, ttmp9, s3
	s_wait_kmcnt 0x0
	s_mul_u64 s[2:3], s[6:7], s[24:25]
	s_delay_alu instid0(SALU_CYCLE_1) | instskip(NEXT) | instid1(SALU_CYCLE_1)
	s_lshl_b64 s[2:3], s[2:3], 2
	s_add_nc_u64 s[2:3], s[4:5], s[2:3]
	s_mul_u64 s[4:5], s[16:17], s[24:25]
	s_load_b32 s26, s[2:3], 0x0
	s_wait_xcnt 0x0
	s_lshl_b64 s[2:3], s[4:5], 2
	s_delay_alu instid0(SALU_CYCLE_1)
	s_add_nc_u64 s[2:3], s[14:15], s[2:3]
	s_load_b32 s23, s[2:3], 0x0
	s_wait_kmcnt 0x0
	s_cmp_eq_f32 s26, 0
	s_cselect_b32 s2, -1, 0
	s_cmp_eq_f32 s23, 1.0
	s_cselect_b32 s3, -1, 0
	s_delay_alu instid0(SALU_CYCLE_1) | instskip(NEXT) | instid1(SALU_CYCLE_1)
	s_and_b32 s2, s2, s3
	s_and_b32 vcc_lo, exec_lo, s2
	s_cbranch_vccnz .LBB654_58
; %bb.1:
	s_clause 0x2
	s_load_b64 s[4:5], s[0:1], 0x80
	s_load_b96 s[20:22], s[0:1], 0x70
	s_load_b64 s[2:3], s[0:1], 0x0
	s_cmp_neq_f32 s26, 0
	s_wait_kmcnt 0x0
	s_mul_u64 s[14:15], s[4:5], s[24:25]
	s_cbranch_scc1 .LBB654_9
; %bb.2:
	s_cmp_gt_i32 s3, 0
	s_cselect_b32 s6, -1, 0
	s_cmp_neq_f32 s23, 0
	v_cndmask_b32_e64 v1, 0, 1, s6
	s_delay_alu instid0(VALU_DEP_1)
	v_cmp_ne_u32_e32 vcc_lo, 1, v1
	s_cbranch_scc1 .LBB654_10
; %bb.3:
	s_and_b32 vcc_lo, exec_lo, vcc_lo
	s_cbranch_vccnz .LBB654_8
; %bb.4:
	v_mov_b32_e32 v1, 0
	s_ashr_i32 s5, s22, 31
	s_mov_b32 s4, s22
	s_lshl_b64 s[16:17], s[20:21], 2
	s_lshl_b64 s[28:29], s[14:15], 2
	v_mul_u64_e32 v[2:3], s[4:5], v[0:1]
	s_add_nc_u64 s[16:17], s[18:19], s[16:17]
	s_lshl_b64 s[4:5], s[4:5], 10
	s_add_nc_u64 s[16:17], s[16:17], s[28:29]
	s_mov_b32 s7, 0
	s_delay_alu instid0(VALU_DEP_1)
	v_lshl_add_u64 v[2:3], v[2:3], 2, s[16:17]
	s_branch .LBB654_6
.LBB654_5:                              ;   in Loop: Header=BB654_6 Depth=1
	s_wait_xcnt 0x0
	s_or_b32 exec_lo, exec_lo, s16
	v_add_nc_u64_e32 v[2:3], s[4:5], v[2:3]
	s_addk_co_i32 s7, 0x100
	s_delay_alu instid0(SALU_CYCLE_1)
	s_cmp_ge_i32 s7, s3
	s_cbranch_scc1 .LBB654_8
.LBB654_6:                              ; =>This Inner Loop Header: Depth=1
	v_add_nc_u32_e32 v4, s7, v0
	s_mov_b32 s16, exec_lo
	s_delay_alu instid0(VALU_DEP_1)
	v_cmpx_gt_i32_e64 s3, v4
	s_cbranch_execz .LBB654_5
; %bb.7:                                ;   in Loop: Header=BB654_6 Depth=1
	global_store_b32 v[2:3], v1, off
	s_branch .LBB654_5
.LBB654_8:
	s_cbranch_execz .LBB654_11
	s_branch .LBB654_16
.LBB654_9:
	s_branch .LBB654_17
.LBB654_10:
.LBB654_11:
	s_and_not1_b32 vcc_lo, exec_lo, s6
	s_cbranch_vccnz .LBB654_16
; %bb.12:
	v_mov_b32_e32 v1, 0
	s_ashr_i32 s5, s22, 31
	s_mov_b32 s4, s22
	s_lshl_b64 s[6:7], s[20:21], 2
	s_lshl_b64 s[16:17], s[14:15], 2
	v_mul_u64_e32 v[2:3], s[4:5], v[0:1]
	s_add_nc_u64 s[6:7], s[18:19], s[6:7]
	s_lshl_b64 s[4:5], s[4:5], 10
	s_add_nc_u64 s[6:7], s[6:7], s[16:17]
	s_delay_alu instid0(VALU_DEP_1) | instid1(SALU_CYCLE_1)
	v_lshl_add_u64 v[2:3], v[2:3], 2, s[6:7]
	s_mov_b32 s6, 0
	s_branch .LBB654_14
.LBB654_13:                             ;   in Loop: Header=BB654_14 Depth=1
	s_wait_xcnt 0x0
	s_or_b32 exec_lo, exec_lo, s7
	v_add_nc_u64_e32 v[2:3], s[4:5], v[2:3]
	s_addk_co_i32 s6, 0x100
	s_delay_alu instid0(SALU_CYCLE_1)
	s_cmp_ge_i32 s6, s3
	s_cbranch_scc1 .LBB654_16
.LBB654_14:                             ; =>This Inner Loop Header: Depth=1
	v_add_nc_u32_e32 v1, s6, v0
	s_mov_b32 s7, exec_lo
	s_delay_alu instid0(VALU_DEP_1)
	v_cmpx_gt_i32_e64 s3, v1
	s_cbranch_execz .LBB654_13
; %bb.15:                               ;   in Loop: Header=BB654_14 Depth=1
	global_load_b32 v1, v[2:3], off
	s_wait_loadcnt 0x0
	v_mul_f32_e32 v1, s23, v1
	global_store_b32 v[2:3], v1, off
	s_branch .LBB654_13
.LBB654_16:
	s_cbranch_execnz .LBB654_58
.LBB654_17:
	s_clause 0x1
	s_load_b128 s[4:7], s[0:1], 0x30
	s_load_b64 s[16:17], s[0:1], 0x40
	s_mov_b32 s27, exec_lo
	v_cmpx_gt_i32_e64 s2, v0
	s_cbranch_execz .LBB654_23
; %bb.18:
	s_load_b32 s28, s[0:1], 0x48
	v_mov_b32_e32 v1, 0
	s_mul_u64 s[12:13], s[12:13], s[24:25]
	s_delay_alu instid0(SALU_CYCLE_1) | instskip(SKIP_3) | instid1(SALU_CYCLE_1)
	s_lshl_b64 s[12:13], s[12:13], 1
	s_wait_kmcnt 0x0
	s_add_nc_u64 s[6:7], s[6:7], s[12:13]
	s_lshl_b64 s[12:13], s[16:17], 1
	s_add_nc_u64 s[6:7], s[6:7], s[12:13]
	s_ashr_i32 s29, s28, 31
	s_delay_alu instid0(SALU_CYCLE_1) | instskip(NEXT) | instid1(VALU_DEP_1)
	v_mul_u64_e32 v[2:3], s[28:29], v[0:1]
	v_lshl_add_u64 v[2:3], v[2:3], 1, s[6:7]
	global_load_u16 v1, v[2:3], off
	s_wait_loadcnt 0x0
	v_lshlrev_b32_e32 v1, 16, v1
	s_delay_alu instid0(VALU_DEP_1) | instskip(SKIP_1) | instid1(VALU_DEP_1)
	v_mul_f32_e32 v1, s26, v1
	s_wait_xcnt 0x0
	v_and_b32_e32 v2, 0x7f800000, v1
	s_delay_alu instid0(VALU_DEP_1) | instskip(SKIP_1) | instid1(SALU_CYCLE_1)
	v_cmp_ne_u32_e32 vcc_lo, 0x7f800000, v2
                                        ; implicit-def: $vgpr2
	s_and_saveexec_b32 s6, vcc_lo
	s_xor_b32 s6, exec_lo, s6
; %bb.19:
	v_bfe_u32 v2, v1, 16, 1
	s_delay_alu instid0(VALU_DEP_1)
	v_add3_u32 v2, v1, v2, 0x7fff
                                        ; implicit-def: $vgpr1
; %bb.20:
	s_and_not1_saveexec_b32 s6, s6
; %bb.21:
	v_and_b32_e32 v2, 0xffff, v1
	v_or_b32_e32 v3, 0x10000, v1
	s_delay_alu instid0(VALU_DEP_2) | instskip(NEXT) | instid1(VALU_DEP_2)
	v_cmp_eq_u32_e32 vcc_lo, 0, v2
	v_cndmask_b32_e32 v2, v3, v1, vcc_lo
; %bb.22:
	s_or_b32 exec_lo, exec_lo, s6
	s_delay_alu instid0(VALU_DEP_1)
	v_and_b32_e32 v1, 0xffff0000, v2
	v_lshlrev_b32_e32 v2, 2, v0
	ds_store_b32 v2, v1
.LBB654_23:
	s_or_b32 exec_lo, exec_lo, s27
	s_cmp_lt_i32 s3, 1
	s_wait_storecnt_dscnt 0x0
	s_barrier_signal -1
	s_barrier_wait -1
	s_cbranch_scc1 .LBB654_58
; %bb.24:
	s_load_b32 s26, s[0:1], 0x28
	v_mov_b32_e32 v3, 0
	s_wait_kmcnt 0x0
	s_lshl_b64 s[6:7], s[14:15], 2
	s_lshl_b64 s[20:21], s[20:21], 2
	s_ashr_i32 s1, s22, 31
	s_mul_u64 s[4:5], s[4:5], s[24:25]
	v_mov_b32_e32 v1, v3
	s_mov_b32 s0, s22
	s_ashr_i32 s27, s26, 31
	s_cmp_neq_f32 s23, 0
	s_delay_alu instid0(VALU_DEP_1)
	v_mul_u64_e32 v[4:5], s[26:27], v[0:1]
	s_cselect_b32 s12, -1, 0
	s_cmp_gt_i32 s2, 0
	s_cselect_b32 s13, -1, 0
	s_and_b32 s14, s2, 3
	s_cmp_gt_u32 s2, 3
	s_cselect_b32 s15, -1, 0
	s_and_b32 s2, s2, 0x7ffffffc
	s_cmp_lg_u32 s14, 0
	s_cselect_b32 s16, -1, 0
	s_lshl_b64 s[10:11], s[10:11], 1
	s_lshl_b64 s[4:5], s[4:5], 1
	s_add_nc_u64 s[8:9], s[8:9], s[10:11]
	s_mov_b32 s10, 0
	s_add_nc_u64 s[4:5], s[8:9], s[4:5]
	s_lshl_b64 s[8:9], s[26:27], 9
	s_delay_alu instid0(VALU_DEP_1) | instskip(SKIP_3) | instid1(VALU_DEP_1)
	v_lshl_add_u64 v[4:5], v[4:5], 1, s[4:5]
	s_add_nc_u64 s[4:5], s[18:19], s[6:7]
	s_mov_b32 s7, 0
	s_add_nc_u64 s[4:5], s[4:5], s[20:21]
	v_add_nc_u64_e32 v[6:7], 4, v[4:5]
	s_branch .LBB654_27
.LBB654_25:                             ;   in Loop: Header=BB654_27 Depth=1
	global_store_b32 v[8:9], v1, off
.LBB654_26:                             ;   in Loop: Header=BB654_27 Depth=1
	s_wait_xcnt 0x0
	s_or_b32 exec_lo, exec_lo, s11
	v_add_nc_u64_e32 v[6:7], s[8:9], v[6:7]
	v_add_nc_u64_e32 v[4:5], s[8:9], v[4:5]
	s_addk_co_i32 s10, 0x100
	s_delay_alu instid0(SALU_CYCLE_1)
	s_cmp_ge_i32 s10, s3
	s_cbranch_scc1 .LBB654_58
.LBB654_27:                             ; =>This Loop Header: Depth=1
                                        ;     Child Loop BB654_34 Depth 2
                                        ;     Child Loop BB654_54 Depth 2
	v_add_nc_u32_e32 v2, s10, v0
	s_mov_b32 s11, exec_lo
	s_delay_alu instid0(VALU_DEP_1)
	v_cmpx_gt_i32_e64 s3, v2
	s_cbranch_execz .LBB654_26
; %bb.28:                               ;   in Loop: Header=BB654_27 Depth=1
	v_mul_u64_e32 v[8:9], s[0:1], v[2:3]
	s_and_not1_b32 vcc_lo, exec_lo, s12
	s_delay_alu instid0(VALU_DEP_1)
	v_lshl_add_u64 v[8:9], v[8:9], 2, s[4:5]
	s_cbranch_vccnz .LBB654_30
; %bb.29:                               ;   in Loop: Header=BB654_27 Depth=1
	global_load_b32 v1, v[8:9], off
	s_wait_loadcnt 0x0
	v_mul_f32_e32 v1, s23, v1
	s_and_not1_b32 vcc_lo, exec_lo, s13
	s_cbranch_vccz .LBB654_31
	s_branch .LBB654_25
.LBB654_30:                             ;   in Loop: Header=BB654_27 Depth=1
	v_mov_b32_e32 v1, 0
	s_and_not1_b32 vcc_lo, exec_lo, s13
	s_cbranch_vccnz .LBB654_25
.LBB654_31:                             ;   in Loop: Header=BB654_27 Depth=1
	s_and_not1_b32 vcc_lo, exec_lo, s15
	s_mov_b32 s17, 0
	s_cbranch_vccnz .LBB654_51
; %bb.32:                               ;   in Loop: Header=BB654_27 Depth=1
	v_mov_b64_e32 v[10:11], v[6:7]
	s_mov_b32 s6, 0
	s_branch .LBB654_34
.LBB654_33:                             ;   in Loop: Header=BB654_34 Depth=2
	s_or_b32 exec_lo, exec_lo, s18
	v_and_b32_e32 v2, 0xffff0000, v2
	v_and_b32_e32 v12, 0xffff0000, v12
	v_add_nc_u64_e32 v[10:11], 8, v[10:11]
	s_add_co_i32 s17, s17, 4
	s_add_co_i32 s6, s6, 16
	v_add_f32_e32 v1, v1, v2
	v_and_b32_e32 v2, 0xffff0000, v13
	s_cmp_eq_u32 s2, s17
	s_delay_alu instid0(VALU_DEP_2) | instskip(SKIP_1) | instid1(VALU_DEP_2)
	v_add_f32_e32 v1, v1, v12
	v_and_b32_e32 v12, 0xffff0000, v14
	v_add_f32_e32 v1, v1, v2
	s_delay_alu instid0(VALU_DEP_1)
	v_add_f32_e32 v1, v1, v12
	s_cbranch_scc1 .LBB654_50
.LBB654_34:                             ;   Parent Loop BB654_27 Depth=1
                                        ; =>  This Inner Loop Header: Depth=2
	global_load_u16 v2, v[10:11], off offset:-4
	s_wait_loadcnt 0x0
	v_dual_mov_b32 v12, s6 :: v_dual_lshlrev_b32 v2, 16, v2
	ds_load_b32 v12, v12
	s_wait_dscnt 0x0
	v_mul_f32_e32 v12, v12, v2
	s_delay_alu instid0(VALU_DEP_1) | instskip(NEXT) | instid1(VALU_DEP_1)
	v_and_b32_e32 v2, 0x7f800000, v12
	v_cmp_ne_u32_e32 vcc_lo, 0x7f800000, v2
                                        ; implicit-def: $vgpr2
	s_wait_xcnt 0x0
	s_and_saveexec_b32 s18, vcc_lo
	s_delay_alu instid0(SALU_CYCLE_1)
	s_xor_b32 s18, exec_lo, s18
; %bb.35:                               ;   in Loop: Header=BB654_34 Depth=2
	v_bfe_u32 v2, v12, 16, 1
	s_delay_alu instid0(VALU_DEP_1)
	v_add3_u32 v2, v12, v2, 0x7fff
                                        ; implicit-def: $vgpr12
; %bb.36:                               ;   in Loop: Header=BB654_34 Depth=2
	s_and_not1_saveexec_b32 s18, s18
; %bb.37:                               ;   in Loop: Header=BB654_34 Depth=2
	v_and_b32_e32 v2, 0xffff, v12
	v_or_b32_e32 v13, 0x10000, v12
	s_delay_alu instid0(VALU_DEP_2) | instskip(NEXT) | instid1(VALU_DEP_2)
	v_cmp_eq_u32_e32 vcc_lo, 0, v2
	v_cndmask_b32_e32 v2, v13, v12, vcc_lo
; %bb.38:                               ;   in Loop: Header=BB654_34 Depth=2
	s_or_b32 exec_lo, exec_lo, s18
	global_load_u16 v12, v[10:11], off offset:-2
	s_wait_loadcnt 0x0
	v_dual_mov_b32 v13, s6 :: v_dual_lshlrev_b32 v12, 16, v12
	ds_load_b32 v13, v13 offset:4
	s_wait_dscnt 0x0
	v_mul_f32_e32 v13, v13, v12
	s_delay_alu instid0(VALU_DEP_1) | instskip(NEXT) | instid1(VALU_DEP_1)
	v_and_b32_e32 v12, 0x7f800000, v13
	v_cmp_ne_u32_e32 vcc_lo, 0x7f800000, v12
                                        ; implicit-def: $vgpr12
	s_wait_xcnt 0x0
	s_and_saveexec_b32 s18, vcc_lo
	s_delay_alu instid0(SALU_CYCLE_1)
	s_xor_b32 s18, exec_lo, s18
; %bb.39:                               ;   in Loop: Header=BB654_34 Depth=2
	v_bfe_u32 v12, v13, 16, 1
	s_delay_alu instid0(VALU_DEP_1)
	v_add3_u32 v12, v13, v12, 0x7fff
                                        ; implicit-def: $vgpr13
; %bb.40:                               ;   in Loop: Header=BB654_34 Depth=2
	s_and_not1_saveexec_b32 s18, s18
; %bb.41:                               ;   in Loop: Header=BB654_34 Depth=2
	v_and_b32_e32 v12, 0xffff, v13
	v_or_b32_e32 v14, 0x10000, v13
	s_delay_alu instid0(VALU_DEP_2) | instskip(NEXT) | instid1(VALU_DEP_2)
	v_cmp_eq_u32_e32 vcc_lo, 0, v12
	v_cndmask_b32_e32 v12, v14, v13, vcc_lo
; %bb.42:                               ;   in Loop: Header=BB654_34 Depth=2
	s_or_b32 exec_lo, exec_lo, s18
	global_load_u16 v13, v[10:11], off
	s_wait_loadcnt 0x0
	v_dual_mov_b32 v14, s6 :: v_dual_lshlrev_b32 v13, 16, v13
	ds_load_b32 v14, v14 offset:8
	s_wait_dscnt 0x0
	v_mul_f32_e32 v14, v14, v13
	s_delay_alu instid0(VALU_DEP_1) | instskip(NEXT) | instid1(VALU_DEP_1)
	v_and_b32_e32 v13, 0x7f800000, v14
	v_cmp_ne_u32_e32 vcc_lo, 0x7f800000, v13
                                        ; implicit-def: $vgpr13
	s_wait_xcnt 0x0
	s_and_saveexec_b32 s18, vcc_lo
	s_delay_alu instid0(SALU_CYCLE_1)
	s_xor_b32 s18, exec_lo, s18
; %bb.43:                               ;   in Loop: Header=BB654_34 Depth=2
	v_bfe_u32 v13, v14, 16, 1
	s_delay_alu instid0(VALU_DEP_1)
	v_add3_u32 v13, v14, v13, 0x7fff
                                        ; implicit-def: $vgpr14
; %bb.44:                               ;   in Loop: Header=BB654_34 Depth=2
	s_and_not1_saveexec_b32 s18, s18
; %bb.45:                               ;   in Loop: Header=BB654_34 Depth=2
	v_and_b32_e32 v13, 0xffff, v14
	v_or_b32_e32 v15, 0x10000, v14
	s_delay_alu instid0(VALU_DEP_2) | instskip(NEXT) | instid1(VALU_DEP_2)
	v_cmp_eq_u32_e32 vcc_lo, 0, v13
	v_cndmask_b32_e32 v13, v15, v14, vcc_lo
; %bb.46:                               ;   in Loop: Header=BB654_34 Depth=2
	s_or_b32 exec_lo, exec_lo, s18
	global_load_u16 v14, v[10:11], off offset:2
	s_wait_loadcnt 0x0
	v_dual_mov_b32 v15, s6 :: v_dual_lshlrev_b32 v14, 16, v14
	ds_load_b32 v15, v15 offset:12
	s_wait_dscnt 0x0
	v_mul_f32_e32 v15, v15, v14
	s_delay_alu instid0(VALU_DEP_1) | instskip(NEXT) | instid1(VALU_DEP_1)
	v_and_b32_e32 v14, 0x7f800000, v15
	v_cmp_ne_u32_e32 vcc_lo, 0x7f800000, v14
                                        ; implicit-def: $vgpr14
	s_wait_xcnt 0x0
	s_and_saveexec_b32 s18, vcc_lo
	s_delay_alu instid0(SALU_CYCLE_1)
	s_xor_b32 s18, exec_lo, s18
; %bb.47:                               ;   in Loop: Header=BB654_34 Depth=2
	v_bfe_u32 v14, v15, 16, 1
	s_delay_alu instid0(VALU_DEP_1)
	v_add3_u32 v14, v15, v14, 0x7fff
                                        ; implicit-def: $vgpr15
; %bb.48:                               ;   in Loop: Header=BB654_34 Depth=2
	s_and_not1_saveexec_b32 s18, s18
	s_cbranch_execz .LBB654_33
; %bb.49:                               ;   in Loop: Header=BB654_34 Depth=2
	v_and_b32_e32 v14, 0xffff, v15
	v_or_b32_e32 v16, 0x10000, v15
	s_delay_alu instid0(VALU_DEP_2) | instskip(NEXT) | instid1(VALU_DEP_2)
	v_cmp_eq_u32_e32 vcc_lo, 0, v14
	v_cndmask_b32_e32 v14, v16, v15, vcc_lo
	s_branch .LBB654_33
.LBB654_50:                             ;   in Loop: Header=BB654_27 Depth=1
	s_mov_b32 s17, s2
.LBB654_51:                             ;   in Loop: Header=BB654_27 Depth=1
	s_and_not1_b32 vcc_lo, exec_lo, s16
	s_cbranch_vccnz .LBB654_25
; %bb.52:                               ;   in Loop: Header=BB654_27 Depth=1
	s_lshl_b32 s6, s17, 1
	s_delay_alu instid0(SALU_CYCLE_1)
	v_add_nc_u64_e32 v[10:11], s[6:7], v[4:5]
	s_lshl_b32 s6, s17, 2
	s_mov_b32 s17, s14
	s_branch .LBB654_54
.LBB654_53:                             ;   in Loop: Header=BB654_54 Depth=2
	s_or_b32 exec_lo, exec_lo, s18
	s_delay_alu instid0(VALU_DEP_1)
	v_and_b32_e32 v2, 0xffff0000, v12
	v_add_nc_u64_e32 v[10:11], 2, v[10:11]
	s_add_co_i32 s17, s17, -1
	s_add_co_i32 s6, s6, 4
	s_cmp_lg_u32 s17, 0
	v_add_f32_e32 v1, v1, v2
	s_cbranch_scc0 .LBB654_25
.LBB654_54:                             ;   Parent Loop BB654_27 Depth=1
                                        ; =>  This Inner Loop Header: Depth=2
	global_load_u16 v2, v[10:11], off
	s_wait_loadcnt 0x0
	v_dual_mov_b32 v12, s6 :: v_dual_lshlrev_b32 v2, 16, v2
	ds_load_b32 v12, v12
	s_wait_dscnt 0x0
	v_mul_f32_e32 v2, v12, v2
	s_delay_alu instid0(VALU_DEP_1) | instskip(NEXT) | instid1(VALU_DEP_1)
	v_and_b32_e32 v12, 0x7f800000, v2
	v_cmp_ne_u32_e32 vcc_lo, 0x7f800000, v12
                                        ; implicit-def: $vgpr12
	s_wait_xcnt 0x0
	s_and_saveexec_b32 s18, vcc_lo
	s_delay_alu instid0(SALU_CYCLE_1)
	s_xor_b32 s18, exec_lo, s18
; %bb.55:                               ;   in Loop: Header=BB654_54 Depth=2
	v_bfe_u32 v12, v2, 16, 1
	s_delay_alu instid0(VALU_DEP_1)
	v_add3_u32 v12, v2, v12, 0x7fff
                                        ; implicit-def: $vgpr2
; %bb.56:                               ;   in Loop: Header=BB654_54 Depth=2
	s_and_not1_saveexec_b32 s18, s18
	s_cbranch_execz .LBB654_53
; %bb.57:                               ;   in Loop: Header=BB654_54 Depth=2
	v_and_b32_e32 v12, 0xffff, v2
	v_or_b32_e32 v13, 0x10000, v2
	s_delay_alu instid0(VALU_DEP_2) | instskip(NEXT) | instid1(VALU_DEP_2)
	v_cmp_eq_u32_e32 vcc_lo, 0, v12
	v_cndmask_b32_e32 v12, v13, v2, vcc_lo
	s_branch .LBB654_53
.LBB654_58:
	s_endpgm
	.section	.rodata,"a",@progbits
	.p2align	6, 0x0
	.amdhsa_kernel _ZL22rocblas_gemvtsm_kernelILb1ELi256E16rocblas_bfloat16PKffEviiT2_lPKT1_lilS6_lilS3_lPT3_lil
		.amdhsa_group_segment_fixed_size 256
		.amdhsa_private_segment_fixed_size 0
		.amdhsa_kernarg_size 136
		.amdhsa_user_sgpr_count 2
		.amdhsa_user_sgpr_dispatch_ptr 0
		.amdhsa_user_sgpr_queue_ptr 0
		.amdhsa_user_sgpr_kernarg_segment_ptr 1
		.amdhsa_user_sgpr_dispatch_id 0
		.amdhsa_user_sgpr_kernarg_preload_length 0
		.amdhsa_user_sgpr_kernarg_preload_offset 0
		.amdhsa_user_sgpr_private_segment_size 0
		.amdhsa_wavefront_size32 1
		.amdhsa_uses_dynamic_stack 0
		.amdhsa_enable_private_segment 0
		.amdhsa_system_sgpr_workgroup_id_x 1
		.amdhsa_system_sgpr_workgroup_id_y 0
		.amdhsa_system_sgpr_workgroup_id_z 0
		.amdhsa_system_sgpr_workgroup_info 0
		.amdhsa_system_vgpr_workitem_id 0
		.amdhsa_next_free_vgpr 17
		.amdhsa_next_free_sgpr 30
		.amdhsa_named_barrier_count 0
		.amdhsa_reserve_vcc 1
		.amdhsa_float_round_mode_32 0
		.amdhsa_float_round_mode_16_64 0
		.amdhsa_float_denorm_mode_32 3
		.amdhsa_float_denorm_mode_16_64 3
		.amdhsa_fp16_overflow 0
		.amdhsa_memory_ordered 1
		.amdhsa_forward_progress 1
		.amdhsa_inst_pref_size 16
		.amdhsa_round_robin_scheduling 0
		.amdhsa_exception_fp_ieee_invalid_op 0
		.amdhsa_exception_fp_denorm_src 0
		.amdhsa_exception_fp_ieee_div_zero 0
		.amdhsa_exception_fp_ieee_overflow 0
		.amdhsa_exception_fp_ieee_underflow 0
		.amdhsa_exception_fp_ieee_inexact 0
		.amdhsa_exception_int_div_zero 0
	.end_amdhsa_kernel
	.section	.text._ZL22rocblas_gemvtsm_kernelILb1ELi256E16rocblas_bfloat16PKffEviiT2_lPKT1_lilS6_lilS3_lPT3_lil,"axG",@progbits,_ZL22rocblas_gemvtsm_kernelILb1ELi256E16rocblas_bfloat16PKffEviiT2_lPKT1_lilS6_lilS3_lPT3_lil,comdat
.Lfunc_end654:
	.size	_ZL22rocblas_gemvtsm_kernelILb1ELi256E16rocblas_bfloat16PKffEviiT2_lPKT1_lilS6_lilS3_lPT3_lil, .Lfunc_end654-_ZL22rocblas_gemvtsm_kernelILb1ELi256E16rocblas_bfloat16PKffEviiT2_lPKT1_lilS6_lilS3_lPT3_lil
                                        ; -- End function
	.set _ZL22rocblas_gemvtsm_kernelILb1ELi256E16rocblas_bfloat16PKffEviiT2_lPKT1_lilS6_lilS3_lPT3_lil.num_vgpr, 17
	.set _ZL22rocblas_gemvtsm_kernelILb1ELi256E16rocblas_bfloat16PKffEviiT2_lPKT1_lilS6_lilS3_lPT3_lil.num_agpr, 0
	.set _ZL22rocblas_gemvtsm_kernelILb1ELi256E16rocblas_bfloat16PKffEviiT2_lPKT1_lilS6_lilS3_lPT3_lil.numbered_sgpr, 30
	.set _ZL22rocblas_gemvtsm_kernelILb1ELi256E16rocblas_bfloat16PKffEviiT2_lPKT1_lilS6_lilS3_lPT3_lil.num_named_barrier, 0
	.set _ZL22rocblas_gemvtsm_kernelILb1ELi256E16rocblas_bfloat16PKffEviiT2_lPKT1_lilS6_lilS3_lPT3_lil.private_seg_size, 0
	.set _ZL22rocblas_gemvtsm_kernelILb1ELi256E16rocblas_bfloat16PKffEviiT2_lPKT1_lilS6_lilS3_lPT3_lil.uses_vcc, 1
	.set _ZL22rocblas_gemvtsm_kernelILb1ELi256E16rocblas_bfloat16PKffEviiT2_lPKT1_lilS6_lilS3_lPT3_lil.uses_flat_scratch, 0
	.set _ZL22rocblas_gemvtsm_kernelILb1ELi256E16rocblas_bfloat16PKffEviiT2_lPKT1_lilS6_lilS3_lPT3_lil.has_dyn_sized_stack, 0
	.set _ZL22rocblas_gemvtsm_kernelILb1ELi256E16rocblas_bfloat16PKffEviiT2_lPKT1_lilS6_lilS3_lPT3_lil.has_recursion, 0
	.set _ZL22rocblas_gemvtsm_kernelILb1ELi256E16rocblas_bfloat16PKffEviiT2_lPKT1_lilS6_lilS3_lPT3_lil.has_indirect_call, 0
	.section	.AMDGPU.csdata,"",@progbits
; Kernel info:
; codeLenInByte = 1960
; TotalNumSgprs: 32
; NumVgprs: 17
; ScratchSize: 0
; MemoryBound: 0
; FloatMode: 240
; IeeeMode: 1
; LDSByteSize: 256 bytes/workgroup (compile time only)
; SGPRBlocks: 0
; VGPRBlocks: 1
; NumSGPRsForWavesPerEU: 32
; NumVGPRsForWavesPerEU: 17
; NamedBarCnt: 0
; Occupancy: 16
; WaveLimiterHint : 1
; COMPUTE_PGM_RSRC2:SCRATCH_EN: 0
; COMPUTE_PGM_RSRC2:USER_SGPR: 2
; COMPUTE_PGM_RSRC2:TRAP_HANDLER: 0
; COMPUTE_PGM_RSRC2:TGID_X_EN: 1
; COMPUTE_PGM_RSRC2:TGID_Y_EN: 0
; COMPUTE_PGM_RSRC2:TGID_Z_EN: 0
; COMPUTE_PGM_RSRC2:TIDIG_COMP_CNT: 0
	.section	.text._ZL22rocblas_gemvtsm_kernelILb1ELi256E16rocblas_bfloat16ffEviiT2_lPKT1_lilS4_lilS1_lPT3_lil,"axG",@progbits,_ZL22rocblas_gemvtsm_kernelILb1ELi256E16rocblas_bfloat16ffEviiT2_lPKT1_lilS4_lilS1_lPT3_lil,comdat
	.globl	_ZL22rocblas_gemvtsm_kernelILb1ELi256E16rocblas_bfloat16ffEviiT2_lPKT1_lilS4_lilS1_lPT3_lil ; -- Begin function _ZL22rocblas_gemvtsm_kernelILb1ELi256E16rocblas_bfloat16ffEviiT2_lPKT1_lilS4_lilS1_lPT3_lil
	.p2align	8
	.type	_ZL22rocblas_gemvtsm_kernelILb1ELi256E16rocblas_bfloat16ffEviiT2_lPKT1_lilS4_lilS1_lPT3_lil,@function
_ZL22rocblas_gemvtsm_kernelILb1ELi256E16rocblas_bfloat16ffEviiT2_lPKT1_lilS4_lilS1_lPT3_lil: ; @_ZL22rocblas_gemvtsm_kernelILb1ELi256E16rocblas_bfloat16ffEviiT2_lPKT1_lilS4_lilS1_lPT3_lil
; %bb.0:
	s_clause 0x1
	s_load_b96 s[12:14], s[0:1], 0x0
	s_load_b32 s15, s[0:1], 0x58
	s_mov_b32 s17, 0
	s_wait_kmcnt 0x0
	s_cmp_eq_f32 s14, 0
	s_cselect_b32 s2, -1, 0
	s_cmp_eq_f32 s15, 1.0
	s_cselect_b32 s3, -1, 0
	s_delay_alu instid0(SALU_CYCLE_1) | instskip(NEXT) | instid1(SALU_CYCLE_1)
	s_and_b32 s2, s2, s3
	s_and_b32 vcc_lo, exec_lo, s2
	s_cbranch_vccnz .LBB655_58
; %bb.1:
	s_clause 0x2
	s_load_b64 s[8:9], s[0:1], 0x80
	s_load_b128 s[4:7], s[0:1], 0x68
	s_load_b32 s2, s[0:1], 0x78
	s_bfe_u32 s3, ttmp6, 0x4000c
	s_and_b32 s10, ttmp6, 15
	s_add_co_i32 s3, s3, 1
	s_getreg_b32 s11, hwreg(HW_REG_IB_STS2, 6, 4)
	s_mul_i32 s3, ttmp9, s3
	s_delay_alu instid0(SALU_CYCLE_1)
	s_add_co_i32 s10, s10, s3
	s_cmp_eq_u32 s11, 0
	s_cselect_b32 s16, ttmp9, s10
	s_cmp_neq_f32 s14, 0
	s_wait_kmcnt 0x0
	s_mul_u64 s[18:19], s[8:9], s[16:17]
	s_cbranch_scc1 .LBB655_9
; %bb.2:
	s_cmp_gt_i32 s13, 0
	s_cselect_b32 s10, -1, 0
	s_cmp_neq_f32 s15, 0
	v_cndmask_b32_e64 v1, 0, 1, s10
	s_delay_alu instid0(VALU_DEP_1)
	v_cmp_ne_u32_e32 vcc_lo, 1, v1
	s_cbranch_scc1 .LBB655_10
; %bb.3:
	s_and_b32 vcc_lo, exec_lo, vcc_lo
	s_cbranch_vccnz .LBB655_8
; %bb.4:
	v_mov_b32_e32 v1, 0
	s_ashr_i32 s3, s2, 31
	s_lshl_b64 s[8:9], s[6:7], 2
	s_lshl_b64 s[20:21], s[18:19], 2
	s_add_nc_u64 s[8:9], s[4:5], s[8:9]
	v_mul_u64_e32 v[2:3], s[2:3], v[0:1]
	s_add_nc_u64 s[8:9], s[8:9], s[20:21]
	s_delay_alu instid0(VALU_DEP_1) | instid1(SALU_CYCLE_1)
	v_lshl_add_u64 v[2:3], v[2:3], 2, s[8:9]
	s_lshl_b64 s[8:9], s[2:3], 10
	s_mov_b32 s3, 0
	s_branch .LBB655_6
.LBB655_5:                              ;   in Loop: Header=BB655_6 Depth=1
	s_wait_xcnt 0x0
	s_or_b32 exec_lo, exec_lo, s11
	v_add_nc_u64_e32 v[2:3], s[8:9], v[2:3]
	s_addk_co_i32 s3, 0x100
	s_delay_alu instid0(SALU_CYCLE_1)
	s_cmp_ge_i32 s3, s13
	s_cbranch_scc1 .LBB655_8
.LBB655_6:                              ; =>This Inner Loop Header: Depth=1
	v_add_nc_u32_e32 v4, s3, v0
	s_mov_b32 s11, exec_lo
	s_delay_alu instid0(VALU_DEP_1)
	v_cmpx_gt_i32_e64 s13, v4
	s_cbranch_execz .LBB655_5
; %bb.7:                                ;   in Loop: Header=BB655_6 Depth=1
	global_store_b32 v[2:3], v1, off
	s_branch .LBB655_5
.LBB655_8:
	s_cbranch_execz .LBB655_11
	s_branch .LBB655_16
.LBB655_9:
	s_branch .LBB655_17
.LBB655_10:
.LBB655_11:
	s_and_not1_b32 vcc_lo, exec_lo, s10
	s_cbranch_vccnz .LBB655_16
; %bb.12:
	v_mov_b32_e32 v1, 0
	s_ashr_i32 s3, s2, 31
	s_lshl_b64 s[8:9], s[6:7], 2
	s_lshl_b64 s[10:11], s[18:19], 2
	s_add_nc_u64 s[8:9], s[4:5], s[8:9]
	v_mul_u64_e32 v[2:3], s[2:3], v[0:1]
	s_add_nc_u64 s[8:9], s[8:9], s[10:11]
	s_delay_alu instid0(VALU_DEP_1) | instid1(SALU_CYCLE_1)
	v_lshl_add_u64 v[2:3], v[2:3], 2, s[8:9]
	s_lshl_b64 s[8:9], s[2:3], 10
	s_mov_b32 s3, 0
	s_branch .LBB655_14
.LBB655_13:                             ;   in Loop: Header=BB655_14 Depth=1
	s_wait_xcnt 0x0
	s_or_b32 exec_lo, exec_lo, s10
	v_add_nc_u64_e32 v[2:3], s[8:9], v[2:3]
	s_addk_co_i32 s3, 0x100
	s_delay_alu instid0(SALU_CYCLE_1)
	s_cmp_ge_i32 s3, s13
	s_cbranch_scc1 .LBB655_16
.LBB655_14:                             ; =>This Inner Loop Header: Depth=1
	v_add_nc_u32_e32 v1, s3, v0
	s_mov_b32 s10, exec_lo
	s_delay_alu instid0(VALU_DEP_1)
	v_cmpx_gt_i32_e64 s13, v1
	s_cbranch_execz .LBB655_13
; %bb.15:                               ;   in Loop: Header=BB655_14 Depth=1
	global_load_b32 v1, v[2:3], off
	s_wait_loadcnt 0x0
	v_mul_f32_e32 v1, s15, v1
	global_store_b32 v[2:3], v1, off
	s_branch .LBB655_13
.LBB655_16:
	s_cbranch_execnz .LBB655_58
.LBB655_17:
	s_clause 0x1
	s_load_b128 s[8:11], s[0:1], 0x30
	s_load_b64 s[20:21], s[0:1], 0x40
	s_mov_b32 s3, exec_lo
	v_cmpx_gt_i32_e64 s12, v0
	s_cbranch_execz .LBB655_23
; %bb.18:
	s_clause 0x1
	s_load_b32 s22, s[0:1], 0x48
	s_load_b64 s[24:25], s[0:1], 0x50
	v_mov_b32_e32 v1, 0
	s_wait_kmcnt 0x0
	s_lshl_b64 s[20:21], s[20:21], 1
	s_ashr_i32 s23, s22, 31
	s_delay_alu instid0(VALU_DEP_1) | instid1(SALU_CYCLE_1)
	v_mul_u64_e32 v[2:3], s[22:23], v[0:1]
	s_mul_u64 s[22:23], s[24:25], s[16:17]
	s_delay_alu instid0(SALU_CYCLE_1) | instskip(NEXT) | instid1(SALU_CYCLE_1)
	s_lshl_b64 s[22:23], s[22:23], 1
	s_add_nc_u64 s[10:11], s[10:11], s[22:23]
	s_delay_alu instid0(SALU_CYCLE_1)
	s_add_nc_u64 s[10:11], s[10:11], s[20:21]
	s_delay_alu instid0(VALU_DEP_1) | instid1(SALU_CYCLE_1)
	v_lshl_add_u64 v[2:3], v[2:3], 1, s[10:11]
	global_load_u16 v1, v[2:3], off
	s_wait_loadcnt 0x0
	v_lshlrev_b32_e32 v1, 16, v1
	s_delay_alu instid0(VALU_DEP_1) | instskip(SKIP_1) | instid1(VALU_DEP_1)
	v_mul_f32_e32 v1, s14, v1
	s_wait_xcnt 0x0
	v_and_b32_e32 v2, 0x7f800000, v1
	s_delay_alu instid0(VALU_DEP_1) | instskip(SKIP_1) | instid1(SALU_CYCLE_1)
	v_cmp_ne_u32_e32 vcc_lo, 0x7f800000, v2
                                        ; implicit-def: $vgpr2
	s_and_saveexec_b32 s10, vcc_lo
	s_xor_b32 s10, exec_lo, s10
; %bb.19:
	v_bfe_u32 v2, v1, 16, 1
	s_delay_alu instid0(VALU_DEP_1)
	v_add3_u32 v2, v1, v2, 0x7fff
                                        ; implicit-def: $vgpr1
; %bb.20:
	s_and_not1_saveexec_b32 s10, s10
; %bb.21:
	v_and_b32_e32 v2, 0xffff, v1
	v_or_b32_e32 v3, 0x10000, v1
	s_delay_alu instid0(VALU_DEP_2) | instskip(NEXT) | instid1(VALU_DEP_2)
	v_cmp_eq_u32_e32 vcc_lo, 0, v2
	v_cndmask_b32_e32 v2, v3, v1, vcc_lo
; %bb.22:
	s_or_b32 exec_lo, exec_lo, s10
	s_delay_alu instid0(VALU_DEP_1)
	v_and_b32_e32 v1, 0xffff0000, v2
	v_lshlrev_b32_e32 v2, 2, v0
	ds_store_b32 v2, v1
.LBB655_23:
	s_or_b32 exec_lo, exec_lo, s3
	s_cmp_lt_i32 s13, 1
	s_wait_storecnt_dscnt 0x0
	s_barrier_signal -1
	s_barrier_wait -1
	s_cbranch_scc1 .LBB655_58
; %bb.24:
	s_load_b32 s24, s[0:1], 0x28
	s_wait_kmcnt 0x0
	s_load_b128 s[20:23], s[0:1], 0x18
	v_mov_b32_e32 v3, 0
	s_wait_xcnt 0x0
	s_lshl_b64 s[0:1], s[18:19], 2
	s_lshl_b64 s[6:7], s[6:7], 2
	s_ashr_i32 s3, s2, 31
	s_mul_u64 s[16:17], s[8:9], s[16:17]
	v_mov_b32_e32 v1, v3
	s_add_nc_u64 s[0:1], s[4:5], s[0:1]
	s_mov_b32 s5, 0
	s_add_nc_u64 s[0:1], s[0:1], s[6:7]
	s_mov_b32 s9, 0
	s_ashr_i32 s25, s24, 31
	s_cmp_neq_f32 s15, 0
	v_mul_u64_e32 v[4:5], s[24:25], v[0:1]
	s_cselect_b32 s10, -1, 0
	s_cmp_gt_i32 s12, 0
	s_cselect_b32 s11, -1, 0
	s_and_b32 s14, s12, 3
	s_cmp_gt_u32 s12, 3
	s_cselect_b32 s18, -1, 0
	s_and_b32 s12, s12, 0x7ffffffc
	s_cmp_lg_u32 s14, 0
	s_cselect_b32 s8, -1, 0
	s_wait_kmcnt 0x0
	s_lshl_b64 s[22:23], s[22:23], 1
	s_lshl_b64 s[16:17], s[16:17], 1
	s_add_nc_u64 s[20:21], s[20:21], s[22:23]
	s_lshl_b64 s[6:7], s[24:25], 9
	s_add_nc_u64 s[16:17], s[20:21], s[16:17]
	s_delay_alu instid0(VALU_DEP_1) | instid1(SALU_CYCLE_1)
	v_lshl_add_u64 v[4:5], v[4:5], 1, s[16:17]
	s_delay_alu instid0(VALU_DEP_1)
	v_add_nc_u64_e32 v[6:7], 4, v[4:5]
	s_branch .LBB655_27
.LBB655_25:                             ;   in Loop: Header=BB655_27 Depth=1
	global_store_b32 v[8:9], v1, off
.LBB655_26:                             ;   in Loop: Header=BB655_27 Depth=1
	s_wait_xcnt 0x0
	s_or_b32 exec_lo, exec_lo, s16
	v_add_nc_u64_e32 v[6:7], s[6:7], v[6:7]
	v_add_nc_u64_e32 v[4:5], s[6:7], v[4:5]
	s_addk_co_i32 s9, 0x100
	s_delay_alu instid0(SALU_CYCLE_1)
	s_cmp_ge_i32 s9, s13
	s_cbranch_scc1 .LBB655_58
.LBB655_27:                             ; =>This Loop Header: Depth=1
                                        ;     Child Loop BB655_34 Depth 2
                                        ;     Child Loop BB655_54 Depth 2
	v_add_nc_u32_e32 v2, s9, v0
	s_mov_b32 s16, exec_lo
	s_delay_alu instid0(VALU_DEP_1)
	v_cmpx_gt_i32_e64 s13, v2
	s_cbranch_execz .LBB655_26
; %bb.28:                               ;   in Loop: Header=BB655_27 Depth=1
	v_mul_u64_e32 v[8:9], s[2:3], v[2:3]
	s_and_not1_b32 vcc_lo, exec_lo, s10
	s_delay_alu instid0(VALU_DEP_1)
	v_lshl_add_u64 v[8:9], v[8:9], 2, s[0:1]
	s_cbranch_vccnz .LBB655_30
; %bb.29:                               ;   in Loop: Header=BB655_27 Depth=1
	global_load_b32 v1, v[8:9], off
	s_wait_loadcnt 0x0
	v_mul_f32_e32 v1, s15, v1
	s_and_not1_b32 vcc_lo, exec_lo, s11
	s_cbranch_vccz .LBB655_31
	s_branch .LBB655_25
.LBB655_30:                             ;   in Loop: Header=BB655_27 Depth=1
	v_mov_b32_e32 v1, 0
	s_and_not1_b32 vcc_lo, exec_lo, s11
	s_cbranch_vccnz .LBB655_25
.LBB655_31:                             ;   in Loop: Header=BB655_27 Depth=1
	s_and_not1_b32 vcc_lo, exec_lo, s18
	s_mov_b32 s17, 0
	s_cbranch_vccnz .LBB655_51
; %bb.32:                               ;   in Loop: Header=BB655_27 Depth=1
	v_mov_b64_e32 v[10:11], v[6:7]
	s_mov_b32 s4, 0
	s_branch .LBB655_34
.LBB655_33:                             ;   in Loop: Header=BB655_34 Depth=2
	s_or_b32 exec_lo, exec_lo, s19
	v_and_b32_e32 v2, 0xffff0000, v2
	v_and_b32_e32 v12, 0xffff0000, v12
	v_add_nc_u64_e32 v[10:11], 8, v[10:11]
	s_add_co_i32 s17, s17, 4
	s_add_co_i32 s4, s4, 16
	v_add_f32_e32 v1, v1, v2
	v_and_b32_e32 v2, 0xffff0000, v13
	s_cmp_eq_u32 s12, s17
	s_delay_alu instid0(VALU_DEP_2) | instskip(SKIP_1) | instid1(VALU_DEP_2)
	v_add_f32_e32 v1, v1, v12
	v_and_b32_e32 v12, 0xffff0000, v14
	v_add_f32_e32 v1, v1, v2
	s_delay_alu instid0(VALU_DEP_1)
	v_add_f32_e32 v1, v1, v12
	s_cbranch_scc1 .LBB655_50
.LBB655_34:                             ;   Parent Loop BB655_27 Depth=1
                                        ; =>  This Inner Loop Header: Depth=2
	global_load_u16 v2, v[10:11], off offset:-4
	s_wait_loadcnt 0x0
	v_dual_mov_b32 v12, s4 :: v_dual_lshlrev_b32 v2, 16, v2
	ds_load_b32 v12, v12
	s_wait_dscnt 0x0
	v_mul_f32_e32 v12, v12, v2
	s_delay_alu instid0(VALU_DEP_1) | instskip(NEXT) | instid1(VALU_DEP_1)
	v_and_b32_e32 v2, 0x7f800000, v12
	v_cmp_ne_u32_e32 vcc_lo, 0x7f800000, v2
                                        ; implicit-def: $vgpr2
	s_wait_xcnt 0x0
	s_and_saveexec_b32 s19, vcc_lo
	s_delay_alu instid0(SALU_CYCLE_1)
	s_xor_b32 s19, exec_lo, s19
; %bb.35:                               ;   in Loop: Header=BB655_34 Depth=2
	v_bfe_u32 v2, v12, 16, 1
	s_delay_alu instid0(VALU_DEP_1)
	v_add3_u32 v2, v12, v2, 0x7fff
                                        ; implicit-def: $vgpr12
; %bb.36:                               ;   in Loop: Header=BB655_34 Depth=2
	s_and_not1_saveexec_b32 s19, s19
; %bb.37:                               ;   in Loop: Header=BB655_34 Depth=2
	v_and_b32_e32 v2, 0xffff, v12
	v_or_b32_e32 v13, 0x10000, v12
	s_delay_alu instid0(VALU_DEP_2) | instskip(NEXT) | instid1(VALU_DEP_2)
	v_cmp_eq_u32_e32 vcc_lo, 0, v2
	v_cndmask_b32_e32 v2, v13, v12, vcc_lo
; %bb.38:                               ;   in Loop: Header=BB655_34 Depth=2
	s_or_b32 exec_lo, exec_lo, s19
	global_load_u16 v12, v[10:11], off offset:-2
	s_wait_loadcnt 0x0
	v_dual_mov_b32 v13, s4 :: v_dual_lshlrev_b32 v12, 16, v12
	ds_load_b32 v13, v13 offset:4
	s_wait_dscnt 0x0
	v_mul_f32_e32 v13, v13, v12
	s_delay_alu instid0(VALU_DEP_1) | instskip(NEXT) | instid1(VALU_DEP_1)
	v_and_b32_e32 v12, 0x7f800000, v13
	v_cmp_ne_u32_e32 vcc_lo, 0x7f800000, v12
                                        ; implicit-def: $vgpr12
	s_wait_xcnt 0x0
	s_and_saveexec_b32 s19, vcc_lo
	s_delay_alu instid0(SALU_CYCLE_1)
	s_xor_b32 s19, exec_lo, s19
; %bb.39:                               ;   in Loop: Header=BB655_34 Depth=2
	v_bfe_u32 v12, v13, 16, 1
	s_delay_alu instid0(VALU_DEP_1)
	v_add3_u32 v12, v13, v12, 0x7fff
                                        ; implicit-def: $vgpr13
; %bb.40:                               ;   in Loop: Header=BB655_34 Depth=2
	s_and_not1_saveexec_b32 s19, s19
; %bb.41:                               ;   in Loop: Header=BB655_34 Depth=2
	v_and_b32_e32 v12, 0xffff, v13
	v_or_b32_e32 v14, 0x10000, v13
	s_delay_alu instid0(VALU_DEP_2) | instskip(NEXT) | instid1(VALU_DEP_2)
	v_cmp_eq_u32_e32 vcc_lo, 0, v12
	v_cndmask_b32_e32 v12, v14, v13, vcc_lo
; %bb.42:                               ;   in Loop: Header=BB655_34 Depth=2
	s_or_b32 exec_lo, exec_lo, s19
	global_load_u16 v13, v[10:11], off
	s_wait_loadcnt 0x0
	v_dual_mov_b32 v14, s4 :: v_dual_lshlrev_b32 v13, 16, v13
	ds_load_b32 v14, v14 offset:8
	s_wait_dscnt 0x0
	v_mul_f32_e32 v14, v14, v13
	s_delay_alu instid0(VALU_DEP_1) | instskip(NEXT) | instid1(VALU_DEP_1)
	v_and_b32_e32 v13, 0x7f800000, v14
	v_cmp_ne_u32_e32 vcc_lo, 0x7f800000, v13
                                        ; implicit-def: $vgpr13
	s_wait_xcnt 0x0
	s_and_saveexec_b32 s19, vcc_lo
	s_delay_alu instid0(SALU_CYCLE_1)
	s_xor_b32 s19, exec_lo, s19
; %bb.43:                               ;   in Loop: Header=BB655_34 Depth=2
	v_bfe_u32 v13, v14, 16, 1
	s_delay_alu instid0(VALU_DEP_1)
	v_add3_u32 v13, v14, v13, 0x7fff
                                        ; implicit-def: $vgpr14
; %bb.44:                               ;   in Loop: Header=BB655_34 Depth=2
	s_and_not1_saveexec_b32 s19, s19
; %bb.45:                               ;   in Loop: Header=BB655_34 Depth=2
	v_and_b32_e32 v13, 0xffff, v14
	v_or_b32_e32 v15, 0x10000, v14
	s_delay_alu instid0(VALU_DEP_2) | instskip(NEXT) | instid1(VALU_DEP_2)
	v_cmp_eq_u32_e32 vcc_lo, 0, v13
	v_cndmask_b32_e32 v13, v15, v14, vcc_lo
; %bb.46:                               ;   in Loop: Header=BB655_34 Depth=2
	s_or_b32 exec_lo, exec_lo, s19
	global_load_u16 v14, v[10:11], off offset:2
	s_wait_loadcnt 0x0
	v_dual_mov_b32 v15, s4 :: v_dual_lshlrev_b32 v14, 16, v14
	ds_load_b32 v15, v15 offset:12
	s_wait_dscnt 0x0
	v_mul_f32_e32 v15, v15, v14
	s_delay_alu instid0(VALU_DEP_1) | instskip(NEXT) | instid1(VALU_DEP_1)
	v_and_b32_e32 v14, 0x7f800000, v15
	v_cmp_ne_u32_e32 vcc_lo, 0x7f800000, v14
                                        ; implicit-def: $vgpr14
	s_wait_xcnt 0x0
	s_and_saveexec_b32 s19, vcc_lo
	s_delay_alu instid0(SALU_CYCLE_1)
	s_xor_b32 s19, exec_lo, s19
; %bb.47:                               ;   in Loop: Header=BB655_34 Depth=2
	v_bfe_u32 v14, v15, 16, 1
	s_delay_alu instid0(VALU_DEP_1)
	v_add3_u32 v14, v15, v14, 0x7fff
                                        ; implicit-def: $vgpr15
; %bb.48:                               ;   in Loop: Header=BB655_34 Depth=2
	s_and_not1_saveexec_b32 s19, s19
	s_cbranch_execz .LBB655_33
; %bb.49:                               ;   in Loop: Header=BB655_34 Depth=2
	v_and_b32_e32 v14, 0xffff, v15
	v_or_b32_e32 v16, 0x10000, v15
	s_delay_alu instid0(VALU_DEP_2) | instskip(NEXT) | instid1(VALU_DEP_2)
	v_cmp_eq_u32_e32 vcc_lo, 0, v14
	v_cndmask_b32_e32 v14, v16, v15, vcc_lo
	s_branch .LBB655_33
.LBB655_50:                             ;   in Loop: Header=BB655_27 Depth=1
	s_mov_b32 s17, s12
.LBB655_51:                             ;   in Loop: Header=BB655_27 Depth=1
	s_and_not1_b32 vcc_lo, exec_lo, s8
	s_cbranch_vccnz .LBB655_25
; %bb.52:                               ;   in Loop: Header=BB655_27 Depth=1
	s_lshl_b32 s4, s17, 1
	s_delay_alu instid0(SALU_CYCLE_1)
	v_add_nc_u64_e32 v[10:11], s[4:5], v[4:5]
	s_lshl_b32 s4, s17, 2
	s_mov_b32 s17, s14
	s_branch .LBB655_54
.LBB655_53:                             ;   in Loop: Header=BB655_54 Depth=2
	s_or_b32 exec_lo, exec_lo, s19
	s_delay_alu instid0(VALU_DEP_1)
	v_and_b32_e32 v2, 0xffff0000, v12
	v_add_nc_u64_e32 v[10:11], 2, v[10:11]
	s_add_co_i32 s17, s17, -1
	s_add_co_i32 s4, s4, 4
	s_cmp_lg_u32 s17, 0
	v_add_f32_e32 v1, v1, v2
	s_cbranch_scc0 .LBB655_25
.LBB655_54:                             ;   Parent Loop BB655_27 Depth=1
                                        ; =>  This Inner Loop Header: Depth=2
	global_load_u16 v2, v[10:11], off
	s_wait_loadcnt 0x0
	v_dual_mov_b32 v12, s4 :: v_dual_lshlrev_b32 v2, 16, v2
	ds_load_b32 v12, v12
	s_wait_dscnt 0x0
	v_mul_f32_e32 v2, v12, v2
	s_delay_alu instid0(VALU_DEP_1) | instskip(NEXT) | instid1(VALU_DEP_1)
	v_and_b32_e32 v12, 0x7f800000, v2
	v_cmp_ne_u32_e32 vcc_lo, 0x7f800000, v12
                                        ; implicit-def: $vgpr12
	s_wait_xcnt 0x0
	s_and_saveexec_b32 s19, vcc_lo
	s_delay_alu instid0(SALU_CYCLE_1)
	s_xor_b32 s19, exec_lo, s19
; %bb.55:                               ;   in Loop: Header=BB655_54 Depth=2
	v_bfe_u32 v12, v2, 16, 1
	s_delay_alu instid0(VALU_DEP_1)
	v_add3_u32 v12, v2, v12, 0x7fff
                                        ; implicit-def: $vgpr2
; %bb.56:                               ;   in Loop: Header=BB655_54 Depth=2
	s_and_not1_saveexec_b32 s19, s19
	s_cbranch_execz .LBB655_53
; %bb.57:                               ;   in Loop: Header=BB655_54 Depth=2
	v_and_b32_e32 v12, 0xffff, v2
	v_or_b32_e32 v13, 0x10000, v2
	s_delay_alu instid0(VALU_DEP_2) | instskip(NEXT) | instid1(VALU_DEP_2)
	v_cmp_eq_u32_e32 vcc_lo, 0, v12
	v_cndmask_b32_e32 v12, v13, v2, vcc_lo
	s_branch .LBB655_53
.LBB655_58:
	s_endpgm
	.section	.rodata,"a",@progbits
	.p2align	6, 0x0
	.amdhsa_kernel _ZL22rocblas_gemvtsm_kernelILb1ELi256E16rocblas_bfloat16ffEviiT2_lPKT1_lilS4_lilS1_lPT3_lil
		.amdhsa_group_segment_fixed_size 256
		.amdhsa_private_segment_fixed_size 0
		.amdhsa_kernarg_size 136
		.amdhsa_user_sgpr_count 2
		.amdhsa_user_sgpr_dispatch_ptr 0
		.amdhsa_user_sgpr_queue_ptr 0
		.amdhsa_user_sgpr_kernarg_segment_ptr 1
		.amdhsa_user_sgpr_dispatch_id 0
		.amdhsa_user_sgpr_kernarg_preload_length 0
		.amdhsa_user_sgpr_kernarg_preload_offset 0
		.amdhsa_user_sgpr_private_segment_size 0
		.amdhsa_wavefront_size32 1
		.amdhsa_uses_dynamic_stack 0
		.amdhsa_enable_private_segment 0
		.amdhsa_system_sgpr_workgroup_id_x 1
		.amdhsa_system_sgpr_workgroup_id_y 0
		.amdhsa_system_sgpr_workgroup_id_z 0
		.amdhsa_system_sgpr_workgroup_info 0
		.amdhsa_system_vgpr_workitem_id 0
		.amdhsa_next_free_vgpr 17
		.amdhsa_next_free_sgpr 26
		.amdhsa_named_barrier_count 0
		.amdhsa_reserve_vcc 1
		.amdhsa_float_round_mode_32 0
		.amdhsa_float_round_mode_16_64 0
		.amdhsa_float_denorm_mode_32 3
		.amdhsa_float_denorm_mode_16_64 3
		.amdhsa_fp16_overflow 0
		.amdhsa_memory_ordered 1
		.amdhsa_forward_progress 1
		.amdhsa_inst_pref_size 16
		.amdhsa_round_robin_scheduling 0
		.amdhsa_exception_fp_ieee_invalid_op 0
		.amdhsa_exception_fp_denorm_src 0
		.amdhsa_exception_fp_ieee_div_zero 0
		.amdhsa_exception_fp_ieee_overflow 0
		.amdhsa_exception_fp_ieee_underflow 0
		.amdhsa_exception_fp_ieee_inexact 0
		.amdhsa_exception_int_div_zero 0
	.end_amdhsa_kernel
	.section	.text._ZL22rocblas_gemvtsm_kernelILb1ELi256E16rocblas_bfloat16ffEviiT2_lPKT1_lilS4_lilS1_lPT3_lil,"axG",@progbits,_ZL22rocblas_gemvtsm_kernelILb1ELi256E16rocblas_bfloat16ffEviiT2_lPKT1_lilS4_lilS1_lPT3_lil,comdat
.Lfunc_end655:
	.size	_ZL22rocblas_gemvtsm_kernelILb1ELi256E16rocblas_bfloat16ffEviiT2_lPKT1_lilS4_lilS1_lPT3_lil, .Lfunc_end655-_ZL22rocblas_gemvtsm_kernelILb1ELi256E16rocblas_bfloat16ffEviiT2_lPKT1_lilS4_lilS1_lPT3_lil
                                        ; -- End function
	.set _ZL22rocblas_gemvtsm_kernelILb1ELi256E16rocblas_bfloat16ffEviiT2_lPKT1_lilS4_lilS1_lPT3_lil.num_vgpr, 17
	.set _ZL22rocblas_gemvtsm_kernelILb1ELi256E16rocblas_bfloat16ffEviiT2_lPKT1_lilS4_lilS1_lPT3_lil.num_agpr, 0
	.set _ZL22rocblas_gemvtsm_kernelILb1ELi256E16rocblas_bfloat16ffEviiT2_lPKT1_lilS4_lilS1_lPT3_lil.numbered_sgpr, 26
	.set _ZL22rocblas_gemvtsm_kernelILb1ELi256E16rocblas_bfloat16ffEviiT2_lPKT1_lilS4_lilS1_lPT3_lil.num_named_barrier, 0
	.set _ZL22rocblas_gemvtsm_kernelILb1ELi256E16rocblas_bfloat16ffEviiT2_lPKT1_lilS4_lilS1_lPT3_lil.private_seg_size, 0
	.set _ZL22rocblas_gemvtsm_kernelILb1ELi256E16rocblas_bfloat16ffEviiT2_lPKT1_lilS4_lilS1_lPT3_lil.uses_vcc, 1
	.set _ZL22rocblas_gemvtsm_kernelILb1ELi256E16rocblas_bfloat16ffEviiT2_lPKT1_lilS4_lilS1_lPT3_lil.uses_flat_scratch, 0
	.set _ZL22rocblas_gemvtsm_kernelILb1ELi256E16rocblas_bfloat16ffEviiT2_lPKT1_lilS4_lilS1_lPT3_lil.has_dyn_sized_stack, 0
	.set _ZL22rocblas_gemvtsm_kernelILb1ELi256E16rocblas_bfloat16ffEviiT2_lPKT1_lilS4_lilS1_lPT3_lil.has_recursion, 0
	.set _ZL22rocblas_gemvtsm_kernelILb1ELi256E16rocblas_bfloat16ffEviiT2_lPKT1_lilS4_lilS1_lPT3_lil.has_indirect_call, 0
	.section	.AMDGPU.csdata,"",@progbits
; Kernel info:
; codeLenInByte = 1932
; TotalNumSgprs: 28
; NumVgprs: 17
; ScratchSize: 0
; MemoryBound: 0
; FloatMode: 240
; IeeeMode: 1
; LDSByteSize: 256 bytes/workgroup (compile time only)
; SGPRBlocks: 0
; VGPRBlocks: 1
; NumSGPRsForWavesPerEU: 28
; NumVGPRsForWavesPerEU: 17
; NamedBarCnt: 0
; Occupancy: 16
; WaveLimiterHint : 1
; COMPUTE_PGM_RSRC2:SCRATCH_EN: 0
; COMPUTE_PGM_RSRC2:USER_SGPR: 2
; COMPUTE_PGM_RSRC2:TRAP_HANDLER: 0
; COMPUTE_PGM_RSRC2:TGID_X_EN: 1
; COMPUTE_PGM_RSRC2:TGID_Y_EN: 0
; COMPUTE_PGM_RSRC2:TGID_Z_EN: 0
; COMPUTE_PGM_RSRC2:TIDIG_COMP_CNT: 0
	.section	.text._ZL20rocblas_gemvt_kernelILb1ELi256E16rocblas_bfloat16PKffEviiT2_lPKT1_lilS6_lilS3_lPT3_lili,"axG",@progbits,_ZL20rocblas_gemvt_kernelILb1ELi256E16rocblas_bfloat16PKffEviiT2_lPKT1_lilS6_lilS3_lPT3_lili,comdat
	.globl	_ZL20rocblas_gemvt_kernelILb1ELi256E16rocblas_bfloat16PKffEviiT2_lPKT1_lilS6_lilS3_lPT3_lili ; -- Begin function _ZL20rocblas_gemvt_kernelILb1ELi256E16rocblas_bfloat16PKffEviiT2_lPKT1_lilS6_lilS3_lPT3_lili
	.p2align	8
	.type	_ZL20rocblas_gemvt_kernelILb1ELi256E16rocblas_bfloat16PKffEviiT2_lPKT1_lilS6_lilS3_lPT3_lili,@function
_ZL20rocblas_gemvt_kernelILb1ELi256E16rocblas_bfloat16PKffEviiT2_lPKT1_lilS6_lilS3_lPT3_lili: ; @_ZL20rocblas_gemvt_kernelILb1ELi256E16rocblas_bfloat16PKffEviiT2_lPKT1_lilS6_lilS3_lPT3_lili
; %bb.0:
	s_load_b32 s33, s[0:1], 0x88
	s_bfe_u32 s2, ttmp6, 0x40014
	s_lshr_b32 s3, ttmp7, 16
	s_add_co_i32 s2, s2, 1
	s_bfe_u32 s4, ttmp6, 0x40008
	s_mul_i32 s2, s3, s2
	s_getreg_b32 s7, hwreg(HW_REG_IB_STS2, 6, 4)
	s_add_co_i32 s4, s4, s2
	s_cmp_eq_u32 s7, 0
	s_mov_b32 s35, 0
	s_cselect_b32 s34, s3, s4
	s_wait_kmcnt 0x0
	s_cmp_ge_u32 s34, s33
	s_cbranch_scc1 .LBB656_49
; %bb.1:
	s_clause 0x4
	s_load_b32 s2, s[0:1], 0x28
	s_load_b96 s[4:6], s[0:1], 0x40
	s_load_b96 s[8:10], s[0:1], 0x70
	s_load_b256 s[12:19], s[0:1], 0x8
	s_load_b32 s46, s[0:1], 0x0
	s_bfe_u32 s3, ttmp6, 0x4000c
	s_and_b32 s11, ttmp6, 15
	s_add_co_i32 s3, s3, 1
	s_load_b128 s[28:31], s[0:1], 0x30
	s_mul_i32 s3, ttmp9, s3
	s_load_b64 s[36:37], s[0:1], 0x80
	s_add_co_i32 s11, s11, s3
	s_load_b256 s[20:27], s[0:1], 0x50
	v_lshlrev_b32_e32 v14, 2, v0
	s_wait_kmcnt 0x0
	s_ashr_i32 s3, s2, 31
	s_ashr_i32 s39, s6, 31
	;; [unrolled: 1-line block ×3, first 2 shown]
	s_lshl_b64 s[4:5], s[4:5], 1
	s_lshl_b64 s[8:9], s[8:9], 2
	;; [unrolled: 1-line block ×3, first 2 shown]
	s_cmp_eq_u32 s7, 0
	s_mov_b32 s38, s6
	s_cselect_b32 s44, ttmp9, s11
	s_ashr_i32 s7, s46, 31
	v_cmp_gt_i32_e32 vcc_lo, s46, v0
	s_lshr_b32 s0, s7, 24
	s_ashr_i32 s45, s44, 31
	s_add_co_i32 s0, s46, s0
	s_mul_u64 s[2:3], s[2:3], s[44:45]
	s_and_b32 s18, s0, 0xffffff00
	s_delay_alu instid0(SALU_CYCLE_1) | instskip(SKIP_3) | instid1(VALU_DEP_1)
	v_dual_mov_b32 v3, 0 :: v_dual_bitop2_b32 v8, s18, v0 bitop3:0x54
	s_add_nc_u64 s[0:1], s[16:17], s[42:43]
	s_add_nc_u64 s[26:27], s[26:27], s[8:9]
	s_lshl_b64 s[8:9], s[2:3], 1
	v_dual_mov_b32 v1, v3 :: v_dual_ashrrev_i32 v9, 31, v8
	s_mov_b32 s40, s10
	s_add_nc_u64 s[10:11], s[30:31], s[4:5]
	s_add_nc_u64 s[30:31], s[8:9], s[42:43]
	s_delay_alu instid0(VALU_DEP_1)
	v_mul_u64_e32 v[10:11], s[38:39], v[0:1]
	v_mul_u64_e32 v[4:5], s[38:39], v[8:9]
	v_cndmask_b32_e32 v1, 0, v0, vcc_lo
	s_add_nc_u64 s[16:17], s[16:17], s[30:31]
	v_cmp_gt_u32_e64 s2, 0x80, v0
	v_cmp_gt_u32_e64 s3, 64, v0
	;; [unrolled: 1-line block ×3, first 2 shown]
	v_lshlrev_b32_e32 v2, 1, v1
	v_cmp_gt_u32_e64 s5, 16, v0
	v_cmp_gt_u32_e64 s6, 8, v0
	;; [unrolled: 1-line block ×3, first 2 shown]
	s_mul_u64 s[40:41], s[40:41], s[44:45]
	v_add_nc_u64_e32 v[6:7], s[0:1], v[2:3]
	v_cmp_gt_i32_e64 s1, s46, v8
	v_add_nc_u64_e32 v[8:9], s[16:17], v[2:3]
	v_cmp_eq_u32_e64 s0, 0, v0
	s_cmp_gt_i32 s46, 0xff
	s_cselect_b32 s44, -1, 0
	v_add_nc_u64_e32 v[6:7], s[8:9], v[6:7]
	v_cmp_gt_u32_e64 s8, 2, v0
	s_ashr_i32 s19, s18, 31
	s_lshl_b64 s[16:17], s[20:21], 1
	s_lshl_b64 s[30:31], s[38:39], 9
	;; [unrolled: 1-line block ×4, first 2 shown]
	v_lshl_add_u64 v[0:1], v[10:11], 1, s[10:11]
	s_branch .LBB656_4
.LBB656_2:                              ;   in Loop: Header=BB656_4 Depth=1
	s_wait_xcnt 0x0
	s_or_b32 exec_lo, exec_lo, s45
.LBB656_3:                              ;   in Loop: Header=BB656_4 Depth=1
	s_add_co_i32 s34, s34, 0x10000
	s_delay_alu instid0(SALU_CYCLE_1)
	s_cmp_lt_u32 s34, s33
	s_cbranch_scc0 .LBB656_49
.LBB656_4:                              ; =>This Loop Header: Depth=1
                                        ;     Child Loop BB656_16 Depth 2
	s_wait_xcnt 0x1
	s_mul_u64 s[42:43], s[14:15], s[34:35]
	s_wait_xcnt 0x0
	s_mul_u64 s[46:47], s[24:25], s[34:35]
	s_lshl_b64 s[42:43], s[42:43], 2
	s_lshl_b64 s[46:47], s[46:47], 2
	s_add_nc_u64 s[42:43], s[12:13], s[42:43]
	s_add_nc_u64 s[46:47], s[22:23], s[46:47]
	s_clause 0x1
	global_load_b32 v15, v3, s[42:43]
	global_load_b32 v2, v3, s[46:47]
	s_wait_loadcnt 0x1
	v_cmp_eq_f32_e32 vcc_lo, 0, v15
	s_wait_loadcnt 0x0
	v_cmp_eq_f32_e64 s9, 1.0, v2
	s_and_b32 s9, vcc_lo, s9
	s_delay_alu instid0(SALU_CYCLE_1)
	s_and_b32 vcc_lo, exec_lo, s9
	s_cbranch_vccnz .LBB656_3
; %bb.5:                                ;   in Loop: Header=BB656_4 Depth=1
	v_cmp_neq_f32_e32 vcc_lo, 0, v15
	s_wait_xcnt 0x1
	s_mul_u64 s[42:43], s[36:37], s[34:35]
	s_delay_alu instid0(SALU_CYCLE_1) | instskip(NEXT) | instid1(SALU_CYCLE_1)
	s_lshl_b64 s[42:43], s[42:43], 2
	s_add_nc_u64 s[42:43], s[26:27], s[42:43]
	s_cbranch_vccnz .LBB656_9
; %bb.6:                                ;   in Loop: Header=BB656_4 Depth=1
	s_mov_b32 s45, 0
	s_mov_b32 s9, 0
                                        ; implicit-def: $vgpr10
	s_wait_xcnt 0x0
	s_and_saveexec_b32 s46, s0
	s_cbranch_execz .LBB656_10
; %bb.7:                                ;   in Loop: Header=BB656_4 Depth=1
	v_cmp_eq_f32_e32 vcc_lo, 0, v2
	s_cbranch_vccnz .LBB656_11
; %bb.8:                                ;   in Loop: Header=BB656_4 Depth=1
	s_add_nc_u64 s[48:49], s[42:43], s[40:41]
	global_load_b32 v10, v3, s[48:49]
	s_wait_loadcnt 0x0
	v_mul_f32_e32 v10, v2, v10
	s_branch .LBB656_12
.LBB656_9:                              ;   in Loop: Header=BB656_4 Depth=1
	s_mov_b32 s9, 0
                                        ; implicit-def: $vgpr10
	s_cbranch_execnz .LBB656_13
	s_branch .LBB656_47
.LBB656_10:                             ;   in Loop: Header=BB656_4 Depth=1
	s_or_b32 exec_lo, exec_lo, s46
	s_delay_alu instid0(SALU_CYCLE_1)
	s_and_b32 vcc_lo, exec_lo, s45
	s_cbranch_vccnz .LBB656_13
	s_branch .LBB656_47
.LBB656_11:                             ;   in Loop: Header=BB656_4 Depth=1
	v_mov_b32_e32 v10, 0
.LBB656_12:                             ;   in Loop: Header=BB656_4 Depth=1
	s_mov_b32 s9, exec_lo
	s_wait_xcnt 0x0
	s_or_b32 exec_lo, exec_lo, s46
	s_delay_alu instid0(SALU_CYCLE_1)
	s_and_b32 vcc_lo, exec_lo, s45
	s_cbranch_vccz .LBB656_47
.LBB656_13:                             ;   in Loop: Header=BB656_4 Depth=1
	v_mov_b32_e32 v16, 0
	s_and_not1_b32 vcc_lo, exec_lo, s44
	s_cbranch_vccnz .LBB656_20
; %bb.14:                               ;   in Loop: Header=BB656_4 Depth=1
	v_mad_nc_u64_u32 v[10:11], s16, s34, v[0:1]
	v_mad_nc_u64_u32 v[12:13], s38, s34, v[8:9]
	v_mov_b32_e32 v16, 0
	s_mov_b32 s45, 0
	s_delay_alu instid0(VALU_DEP_3) | instskip(NEXT) | instid1(VALU_DEP_3)
	v_mad_u32 v11, s17, s34, v11
	v_mad_u32 v13, s39, s34, v13
	s_branch .LBB656_16
.LBB656_15:                             ;   in Loop: Header=BB656_16 Depth=2
	s_or_b32 exec_lo, exec_lo, s46
	s_delay_alu instid0(VALU_DEP_1) | instskip(SKIP_3) | instid1(SALU_CYCLE_1)
	v_and_b32_e32 v17, 0xffff0000, v18
	v_add_nc_u64_e32 v[10:11], s[30:31], v[10:11]
	v_add_nc_u64_e32 v[12:13], 0x200, v[12:13]
	s_addk_co_i32 s45, 0x100
	s_cmp_ge_i32 s45, s18
	v_add_f32_e32 v16, v16, v17
	s_cbranch_scc1 .LBB656_20
.LBB656_16:                             ;   Parent Loop BB656_4 Depth=1
                                        ; =>  This Inner Loop Header: Depth=2
	global_load_u16 v17, v[12:13], off
	global_load_u16 v18, v[10:11], off
	s_wait_loadcnt 0x0
	v_dual_lshlrev_b32 v17, 16, v17 :: v_dual_lshlrev_b32 v18, 16, v18
	s_delay_alu instid0(VALU_DEP_1) | instskip(NEXT) | instid1(VALU_DEP_1)
	v_mul_f32_e32 v17, v18, v17
	v_and_b32_e32 v18, 0x7f800000, v17
	s_delay_alu instid0(VALU_DEP_1) | instskip(SKIP_2) | instid1(SALU_CYCLE_1)
	v_cmp_ne_u32_e32 vcc_lo, 0x7f800000, v18
                                        ; implicit-def: $vgpr18
	s_wait_xcnt 0x0
	s_and_saveexec_b32 s46, vcc_lo
	s_xor_b32 s46, exec_lo, s46
; %bb.17:                               ;   in Loop: Header=BB656_16 Depth=2
	v_bfe_u32 v18, v17, 16, 1
	s_delay_alu instid0(VALU_DEP_1)
	v_add3_u32 v18, v17, v18, 0x7fff
                                        ; implicit-def: $vgpr17
; %bb.18:                               ;   in Loop: Header=BB656_16 Depth=2
	s_and_not1_saveexec_b32 s46, s46
	s_cbranch_execz .LBB656_15
; %bb.19:                               ;   in Loop: Header=BB656_16 Depth=2
	v_and_b32_e32 v18, 0xffff, v17
	v_or_b32_e32 v19, 0x10000, v17
	s_delay_alu instid0(VALU_DEP_2) | instskip(NEXT) | instid1(VALU_DEP_2)
	v_cmp_eq_u32_e32 vcc_lo, 0, v18
	v_cndmask_b32_e32 v18, v19, v17, vcc_lo
	s_branch .LBB656_15
.LBB656_20:                             ;   in Loop: Header=BB656_4 Depth=1
	s_wait_xcnt 0x0
	s_and_saveexec_b32 s45, s1
	s_cbranch_execz .LBB656_26
; %bb.21:                               ;   in Loop: Header=BB656_4 Depth=1
	s_mul_u64 s[46:47], s[28:29], s[34:35]
	s_mul_u64 s[48:49], s[20:21], s[34:35]
	v_lshl_add_u64 v[10:11], s[46:47], 1, v[6:7]
	s_lshl_b64 s[46:47], s[48:49], 1
	s_delay_alu instid0(SALU_CYCLE_1) | instskip(NEXT) | instid1(SALU_CYCLE_1)
	s_add_nc_u64 s[46:47], s[10:11], s[46:47]
	v_lshl_add_u64 v[12:13], v[4:5], 1, s[46:47]
	s_delay_alu instid0(VALU_DEP_2)
	v_lshl_add_u64 v[10:11], s[18:19], 1, v[10:11]
	global_load_u16 v17, v[10:11], off
	global_load_u16 v18, v[12:13], off
	s_wait_loadcnt 0x0
	s_wait_xcnt 0x1
	v_dual_lshlrev_b32 v10, 16, v17 :: v_dual_lshlrev_b32 v11, 16, v18
	s_delay_alu instid0(VALU_DEP_1) | instskip(NEXT) | instid1(VALU_DEP_1)
	v_mul_f32_e32 v10, v11, v10
	v_and_b32_e32 v11, 0x7f800000, v10
	s_delay_alu instid0(VALU_DEP_1) | instskip(SKIP_2) | instid1(SALU_CYCLE_1)
	v_cmp_ne_u32_e32 vcc_lo, 0x7f800000, v11
                                        ; implicit-def: $vgpr11
	s_wait_xcnt 0x0
	s_and_saveexec_b32 s46, vcc_lo
	s_xor_b32 s46, exec_lo, s46
; %bb.22:                               ;   in Loop: Header=BB656_4 Depth=1
	v_bfe_u32 v11, v10, 16, 1
	s_delay_alu instid0(VALU_DEP_1)
	v_add3_u32 v11, v10, v11, 0x7fff
                                        ; implicit-def: $vgpr10
; %bb.23:                               ;   in Loop: Header=BB656_4 Depth=1
	s_and_not1_saveexec_b32 s46, s46
; %bb.24:                               ;   in Loop: Header=BB656_4 Depth=1
	v_and_b32_e32 v11, 0xffff, v10
	v_or_b32_e32 v12, 0x10000, v10
	s_delay_alu instid0(VALU_DEP_2) | instskip(NEXT) | instid1(VALU_DEP_2)
	v_cmp_eq_u32_e32 vcc_lo, 0, v11
	v_cndmask_b32_e32 v11, v12, v10, vcc_lo
; %bb.25:                               ;   in Loop: Header=BB656_4 Depth=1
	s_or_b32 exec_lo, exec_lo, s46
	s_delay_alu instid0(VALU_DEP_1) | instskip(NEXT) | instid1(VALU_DEP_1)
	v_and_b32_e32 v10, 0xffff0000, v11
	v_add_f32_e32 v16, v16, v10
.LBB656_26:                             ;   in Loop: Header=BB656_4 Depth=1
	s_or_b32 exec_lo, exec_lo, s45
	ds_store_b32 v14, v16
	s_wait_dscnt 0x0
	s_barrier_signal -1
	s_barrier_wait -1
	s_and_saveexec_b32 s45, s2
	s_cbranch_execz .LBB656_28
; %bb.27:                               ;   in Loop: Header=BB656_4 Depth=1
	ds_load_2addr_stride64_b32 v[10:11], v14 offset1:2
	s_wait_dscnt 0x0
	v_add_f32_e32 v10, v11, v10
	ds_store_b32 v14, v10
.LBB656_28:                             ;   in Loop: Header=BB656_4 Depth=1
	s_or_b32 exec_lo, exec_lo, s45
	s_wait_dscnt 0x0
	s_barrier_signal -1
	s_barrier_wait -1
	s_and_saveexec_b32 s45, s3
	s_cbranch_execz .LBB656_30
; %bb.29:                               ;   in Loop: Header=BB656_4 Depth=1
	ds_load_2addr_stride64_b32 v[10:11], v14 offset1:1
	s_wait_dscnt 0x0
	v_add_f32_e32 v10, v11, v10
	ds_store_b32 v14, v10
.LBB656_30:                             ;   in Loop: Header=BB656_4 Depth=1
	s_or_b32 exec_lo, exec_lo, s45
	s_wait_dscnt 0x0
	s_barrier_signal -1
	s_barrier_wait -1
	s_and_saveexec_b32 s45, s4
	s_cbranch_execz .LBB656_32
; %bb.31:                               ;   in Loop: Header=BB656_4 Depth=1
	ds_load_2addr_b32 v[10:11], v14 offset1:32
	s_wait_dscnt 0x0
	v_add_f32_e32 v10, v11, v10
	ds_store_b32 v14, v10
.LBB656_32:                             ;   in Loop: Header=BB656_4 Depth=1
	s_or_b32 exec_lo, exec_lo, s45
	s_wait_dscnt 0x0
	s_barrier_signal -1
	s_barrier_wait -1
	s_and_saveexec_b32 s45, s5
	s_cbranch_execz .LBB656_34
; %bb.33:                               ;   in Loop: Header=BB656_4 Depth=1
	ds_load_2addr_b32 v[10:11], v14 offset1:16
	s_wait_dscnt 0x0
	v_add_f32_e32 v10, v11, v10
	ds_store_b32 v14, v10
.LBB656_34:                             ;   in Loop: Header=BB656_4 Depth=1
	;; [unrolled: 12-line block ×5, first 2 shown]
	s_or_b32 exec_lo, exec_lo, s45
	s_wait_dscnt 0x0
	s_barrier_signal -1
	s_barrier_wait -1
	s_and_saveexec_b32 s45, s0
	s_cbranch_execz .LBB656_42
; %bb.41:                               ;   in Loop: Header=BB656_4 Depth=1
	ds_load_b64 v[10:11], v3
	s_wait_dscnt 0x0
	v_add_f32_e32 v10, v11, v10
	ds_store_b32 v3, v10
.LBB656_42:                             ;   in Loop: Header=BB656_4 Depth=1
	s_or_b32 exec_lo, exec_lo, s45
	s_wait_dscnt 0x0
	s_barrier_signal -1
	s_barrier_wait -1
                                        ; implicit-def: $vgpr10
	s_and_saveexec_b32 s45, s0
	s_cbranch_execz .LBB656_46
; %bb.43:                               ;   in Loop: Header=BB656_4 Depth=1
	ds_load_b32 v10, v3
	v_cmp_eq_f32_e32 vcc_lo, 0, v2
	s_wait_dscnt 0x0
	v_mul_f32_e32 v10, v15, v10
	s_cbranch_vccnz .LBB656_45
; %bb.44:                               ;   in Loop: Header=BB656_4 Depth=1
	s_add_nc_u64 s[46:47], s[42:43], s[40:41]
	global_load_b32 v11, v3, s[46:47]
	s_wait_loadcnt 0x0
	v_fmac_f32_e32 v10, v2, v11
.LBB656_45:                             ;   in Loop: Header=BB656_4 Depth=1
	s_or_b32 s9, s9, exec_lo
.LBB656_46:                             ;   in Loop: Header=BB656_4 Depth=1
	s_wait_xcnt 0x0
	s_or_b32 exec_lo, exec_lo, s45
.LBB656_47:                             ;   in Loop: Header=BB656_4 Depth=1
	s_wait_xcnt 0x0
	s_and_saveexec_b32 s45, s9
	s_cbranch_execz .LBB656_2
; %bb.48:                               ;   in Loop: Header=BB656_4 Depth=1
	s_add_nc_u64 s[42:43], s[42:43], s[40:41]
	global_store_b32 v3, v10, s[42:43]
	s_branch .LBB656_2
.LBB656_49:
	s_endpgm
	.section	.rodata,"a",@progbits
	.p2align	6, 0x0
	.amdhsa_kernel _ZL20rocblas_gemvt_kernelILb1ELi256E16rocblas_bfloat16PKffEviiT2_lPKT1_lilS6_lilS3_lPT3_lili
		.amdhsa_group_segment_fixed_size 1024
		.amdhsa_private_segment_fixed_size 0
		.amdhsa_kernarg_size 140
		.amdhsa_user_sgpr_count 2
		.amdhsa_user_sgpr_dispatch_ptr 0
		.amdhsa_user_sgpr_queue_ptr 0
		.amdhsa_user_sgpr_kernarg_segment_ptr 1
		.amdhsa_user_sgpr_dispatch_id 0
		.amdhsa_user_sgpr_kernarg_preload_length 0
		.amdhsa_user_sgpr_kernarg_preload_offset 0
		.amdhsa_user_sgpr_private_segment_size 0
		.amdhsa_wavefront_size32 1
		.amdhsa_uses_dynamic_stack 0
		.amdhsa_enable_private_segment 0
		.amdhsa_system_sgpr_workgroup_id_x 1
		.amdhsa_system_sgpr_workgroup_id_y 0
		.amdhsa_system_sgpr_workgroup_id_z 1
		.amdhsa_system_sgpr_workgroup_info 0
		.amdhsa_system_vgpr_workitem_id 0
		.amdhsa_next_free_vgpr 20
		.amdhsa_next_free_sgpr 50
		.amdhsa_named_barrier_count 0
		.amdhsa_reserve_vcc 1
		.amdhsa_float_round_mode_32 0
		.amdhsa_float_round_mode_16_64 0
		.amdhsa_float_denorm_mode_32 3
		.amdhsa_float_denorm_mode_16_64 3
		.amdhsa_fp16_overflow 0
		.amdhsa_memory_ordered 1
		.amdhsa_forward_progress 1
		.amdhsa_inst_pref_size 14
		.amdhsa_round_robin_scheduling 0
		.amdhsa_exception_fp_ieee_invalid_op 0
		.amdhsa_exception_fp_denorm_src 0
		.amdhsa_exception_fp_ieee_div_zero 0
		.amdhsa_exception_fp_ieee_overflow 0
		.amdhsa_exception_fp_ieee_underflow 0
		.amdhsa_exception_fp_ieee_inexact 0
		.amdhsa_exception_int_div_zero 0
	.end_amdhsa_kernel
	.section	.text._ZL20rocblas_gemvt_kernelILb1ELi256E16rocblas_bfloat16PKffEviiT2_lPKT1_lilS6_lilS3_lPT3_lili,"axG",@progbits,_ZL20rocblas_gemvt_kernelILb1ELi256E16rocblas_bfloat16PKffEviiT2_lPKT1_lilS6_lilS3_lPT3_lili,comdat
.Lfunc_end656:
	.size	_ZL20rocblas_gemvt_kernelILb1ELi256E16rocblas_bfloat16PKffEviiT2_lPKT1_lilS6_lilS3_lPT3_lili, .Lfunc_end656-_ZL20rocblas_gemvt_kernelILb1ELi256E16rocblas_bfloat16PKffEviiT2_lPKT1_lilS6_lilS3_lPT3_lili
                                        ; -- End function
	.set _ZL20rocblas_gemvt_kernelILb1ELi256E16rocblas_bfloat16PKffEviiT2_lPKT1_lilS6_lilS3_lPT3_lili.num_vgpr, 20
	.set _ZL20rocblas_gemvt_kernelILb1ELi256E16rocblas_bfloat16PKffEviiT2_lPKT1_lilS6_lilS3_lPT3_lili.num_agpr, 0
	.set _ZL20rocblas_gemvt_kernelILb1ELi256E16rocblas_bfloat16PKffEviiT2_lPKT1_lilS6_lilS3_lPT3_lili.numbered_sgpr, 50
	.set _ZL20rocblas_gemvt_kernelILb1ELi256E16rocblas_bfloat16PKffEviiT2_lPKT1_lilS6_lilS3_lPT3_lili.num_named_barrier, 0
	.set _ZL20rocblas_gemvt_kernelILb1ELi256E16rocblas_bfloat16PKffEviiT2_lPKT1_lilS6_lilS3_lPT3_lili.private_seg_size, 0
	.set _ZL20rocblas_gemvt_kernelILb1ELi256E16rocblas_bfloat16PKffEviiT2_lPKT1_lilS6_lilS3_lPT3_lili.uses_vcc, 1
	.set _ZL20rocblas_gemvt_kernelILb1ELi256E16rocblas_bfloat16PKffEviiT2_lPKT1_lilS6_lilS3_lPT3_lili.uses_flat_scratch, 0
	.set _ZL20rocblas_gemvt_kernelILb1ELi256E16rocblas_bfloat16PKffEviiT2_lPKT1_lilS6_lilS3_lPT3_lili.has_dyn_sized_stack, 0
	.set _ZL20rocblas_gemvt_kernelILb1ELi256E16rocblas_bfloat16PKffEviiT2_lPKT1_lilS6_lilS3_lPT3_lili.has_recursion, 0
	.set _ZL20rocblas_gemvt_kernelILb1ELi256E16rocblas_bfloat16PKffEviiT2_lPKT1_lilS6_lilS3_lPT3_lili.has_indirect_call, 0
	.section	.AMDGPU.csdata,"",@progbits
; Kernel info:
; codeLenInByte = 1696
; TotalNumSgprs: 52
; NumVgprs: 20
; ScratchSize: 0
; MemoryBound: 0
; FloatMode: 240
; IeeeMode: 1
; LDSByteSize: 1024 bytes/workgroup (compile time only)
; SGPRBlocks: 0
; VGPRBlocks: 1
; NumSGPRsForWavesPerEU: 52
; NumVGPRsForWavesPerEU: 20
; NamedBarCnt: 0
; Occupancy: 16
; WaveLimiterHint : 0
; COMPUTE_PGM_RSRC2:SCRATCH_EN: 0
; COMPUTE_PGM_RSRC2:USER_SGPR: 2
; COMPUTE_PGM_RSRC2:TRAP_HANDLER: 0
; COMPUTE_PGM_RSRC2:TGID_X_EN: 1
; COMPUTE_PGM_RSRC2:TGID_Y_EN: 0
; COMPUTE_PGM_RSRC2:TGID_Z_EN: 1
; COMPUTE_PGM_RSRC2:TIDIG_COMP_CNT: 0
	.section	.text._ZL20rocblas_gemvt_kernelILb1ELi256E16rocblas_bfloat16ffEviiT2_lPKT1_lilS4_lilS1_lPT3_lili,"axG",@progbits,_ZL20rocblas_gemvt_kernelILb1ELi256E16rocblas_bfloat16ffEviiT2_lPKT1_lilS4_lilS1_lPT3_lili,comdat
	.globl	_ZL20rocblas_gemvt_kernelILb1ELi256E16rocblas_bfloat16ffEviiT2_lPKT1_lilS4_lilS1_lPT3_lili ; -- Begin function _ZL20rocblas_gemvt_kernelILb1ELi256E16rocblas_bfloat16ffEviiT2_lPKT1_lilS4_lilS1_lPT3_lili
	.p2align	8
	.type	_ZL20rocblas_gemvt_kernelILb1ELi256E16rocblas_bfloat16ffEviiT2_lPKT1_lilS4_lilS1_lPT3_lili,@function
_ZL20rocblas_gemvt_kernelILb1ELi256E16rocblas_bfloat16ffEviiT2_lPKT1_lilS4_lilS1_lPT3_lili: ; @_ZL20rocblas_gemvt_kernelILb1ELi256E16rocblas_bfloat16ffEviiT2_lPKT1_lilS4_lilS1_lPT3_lili
; %bb.0:
	s_load_b32 s23, s[0:1], 0x88
	s_bfe_u32 s2, ttmp6, 0x40014
	s_lshr_b32 s3, ttmp7, 16
	s_add_co_i32 s2, s2, 1
	s_bfe_u32 s4, ttmp6, 0x40008
	s_mul_i32 s2, s3, s2
	s_getreg_b32 s11, hwreg(HW_REG_IB_STS2, 6, 4)
	s_add_co_i32 s4, s4, s2
	s_cmp_eq_u32 s11, 0
	s_mov_b32 s25, 0
	s_cselect_b32 s24, s3, s4
	s_wait_kmcnt 0x0
	s_cmp_ge_u32 s24, s23
	s_cbranch_scc1 .LBB657_49
; %bb.1:
	s_clause 0x8
	s_load_b32 s2, s[0:1], 0x28
	s_load_b96 s[8:10], s[0:1], 0x40
	s_load_b32 s30, s[0:1], 0x78
	s_load_b128 s[4:7], s[0:1], 0x68
	s_load_b128 s[16:19], s[0:1], 0x18
	s_load_b32 s33, s[0:1], 0x8
	s_load_b96 s[20:22], s[0:1], 0x50
	s_load_b64 s[26:27], s[0:1], 0x80
	s_load_b32 s42, s[0:1], 0x0
	v_lshlrev_b32_e32 v14, 2, v0
	s_wait_kmcnt 0x0
	s_ashr_i32 s3, s2, 31
	s_ashr_i32 s29, s10, 31
	;; [unrolled: 1-line block ×3, first 2 shown]
	s_lshl_b64 s[34:35], s[8:9], 1
	s_lshl_b64 s[6:7], s[6:7], 2
	;; [unrolled: 1-line block ×3, first 2 shown]
	s_cmp_eq_f32 s33, 0
	s_mov_b32 s28, s10
	s_cselect_b32 s9, -1, 0
	s_cmp_neq_f32 s33, 0
	s_cselect_b32 s8, -1, 0
	s_cmp_neq_f32 s22, 1.0
	s_cselect_b32 s12, -1, 0
	s_delay_alu instid0(SALU_CYCLE_1)
	s_or_b32 s38, s8, s12
	s_cmp_neq_f32 s22, 0
	s_load_b128 s[12:15], s[0:1], 0x30
	v_cmp_gt_i32_e32 vcc_lo, s42, v0
	v_mov_b32_e32 v3, 0
	s_cselect_b32 s39, -1, 0
	s_bfe_u32 s8, ttmp6, 0x4000c
	s_and_b32 s18, ttmp6, 15
	s_add_co_i32 s8, s8, 1
	s_delay_alu instid0(SALU_CYCLE_1) | instskip(NEXT) | instid1(SALU_CYCLE_1)
	s_mul_i32 s8, ttmp9, s8
	s_add_co_i32 s18, s18, s8
	s_cmp_eq_u32 s11, 0
	v_cmp_gt_u32_e64 s8, 2, v0
	s_cselect_b32 s40, ttmp9, s18
	s_wait_xcnt 0x0
	s_ashr_i32 s0, s42, 31
	s_ashr_i32 s41, s40, 31
	s_lshr_b32 s0, s0, 24
	s_mul_u64 s[2:3], s[2:3], s[40:41]
	s_add_co_i32 s0, s42, s0
	s_add_nc_u64 s[18:19], s[4:5], s[6:7]
	s_and_b32 s10, s0, 0xffffff00
	s_delay_alu instid0(SALU_CYCLE_1)
	v_dual_mov_b32 v1, v3 :: v_dual_bitop2_b32 v10, s10, v0 bitop3:0x54
	s_add_nc_u64 s[0:1], s[16:17], s[36:37]
	s_wait_kmcnt 0x0
	s_add_nc_u64 s[14:15], s[14:15], s[34:35]
	s_mul_u64 s[34:35], s[30:31], s[40:41]
	v_mul_u64_e32 v[8:9], s[28:29], v[0:1]
	v_dual_cndmask_b32 v1, 0, v0, vcc_lo :: v_dual_ashrrev_i32 v11, 31, v10
	s_lshl_b64 s[30:31], s[2:3], 1
	v_cmp_gt_u32_e64 s2, 0x80, v0
	v_cmp_gt_u32_e64 s3, 64, v0
	s_delay_alu instid0(VALU_DEP_3)
	v_lshlrev_b32_e32 v2, 1, v1
	v_mul_u64_e32 v[4:5], s[28:29], v[10:11]
	v_cmp_gt_u32_e64 s4, 32, v0
	v_cmp_gt_u32_e64 s5, 16, v0
	v_cmp_gt_u32_e64 s6, 8, v0
	v_add_nc_u64_e32 v[6:7], s[0:1], v[2:3]
	v_cmp_eq_u32_e64 s0, 0, v0
	v_cmp_gt_u32_e64 s7, 4, v0
	v_cmp_gt_i32_e64 s1, s42, v10
	s_cmp_gt_i32 s42, 0xff
	s_cselect_b32 s40, -1, 0
	v_add_nc_u64_e32 v[6:7], s[30:31], v[6:7]
	s_add_nc_u64 s[30:31], s[30:31], s[36:37]
	s_ashr_i32 s11, s10, 31
	s_add_nc_u64 s[30:31], s[16:17], s[30:31]
	s_lshl_b64 s[16:17], s[20:21], 1
	s_lshl_b64 s[28:29], s[28:29], 9
	;; [unrolled: 1-line block ×3, first 2 shown]
	v_lshl_add_u64 v[0:1], v[8:9], 1, s[14:15]
	v_add_nc_u64_e32 v[8:9], s[30:31], v[2:3]
	s_lshl_b64 s[30:31], s[12:13], 1
	s_branch .LBB657_4
.LBB657_2:                              ;   in Loop: Header=BB657_4 Depth=1
	s_wait_xcnt 0x0
	s_or_b32 exec_lo, exec_lo, s42
.LBB657_3:                              ;   in Loop: Header=BB657_4 Depth=1
	s_add_co_i32 s24, s24, 0x10000
	s_delay_alu instid0(SALU_CYCLE_1)
	s_cmp_lt_u32 s24, s23
	s_cbranch_scc0 .LBB657_49
.LBB657_4:                              ; =>This Loop Header: Depth=1
                                        ;     Child Loop BB657_16 Depth 2
	s_and_not1_b32 vcc_lo, exec_lo, s38
	s_cbranch_vccnz .LBB657_3
; %bb.5:                                ;   in Loop: Header=BB657_4 Depth=1
	s_mul_u64 s[36:37], s[26:27], s[24:25]
	s_and_not1_b32 vcc_lo, exec_lo, s9
	s_lshl_b64 s[36:37], s[36:37], 2
	s_delay_alu instid0(SALU_CYCLE_1)
	s_add_nc_u64 s[36:37], s[18:19], s[36:37]
	s_cbranch_vccnz .LBB657_9
; %bb.6:                                ;   in Loop: Header=BB657_4 Depth=1
	s_mov_b32 s42, 0
	s_mov_b32 s41, 0
                                        ; implicit-def: $vgpr2
	s_and_saveexec_b32 s43, s0
	s_cbranch_execz .LBB657_10
; %bb.7:                                ;   in Loop: Header=BB657_4 Depth=1
	s_and_not1_b32 vcc_lo, exec_lo, s39
	s_cbranch_vccnz .LBB657_11
; %bb.8:                                ;   in Loop: Header=BB657_4 Depth=1
	s_add_nc_u64 s[44:45], s[36:37], s[34:35]
	global_load_b32 v2, v3, s[44:45]
	s_wait_loadcnt 0x0
	v_mul_f32_e32 v2, s22, v2
	s_branch .LBB657_12
.LBB657_9:                              ;   in Loop: Header=BB657_4 Depth=1
	s_mov_b32 s41, 0
                                        ; implicit-def: $vgpr2
	s_cbranch_execnz .LBB657_13
	s_branch .LBB657_47
.LBB657_10:                             ;   in Loop: Header=BB657_4 Depth=1
	s_or_b32 exec_lo, exec_lo, s43
	s_delay_alu instid0(SALU_CYCLE_1)
	s_and_b32 vcc_lo, exec_lo, s42
	s_cbranch_vccnz .LBB657_13
	s_branch .LBB657_47
.LBB657_11:                             ;   in Loop: Header=BB657_4 Depth=1
	v_mov_b32_e32 v2, 0
.LBB657_12:                             ;   in Loop: Header=BB657_4 Depth=1
	s_mov_b32 s41, exec_lo
	s_wait_xcnt 0x0
	s_or_b32 exec_lo, exec_lo, s43
	s_delay_alu instid0(SALU_CYCLE_1)
	s_and_b32 vcc_lo, exec_lo, s42
	s_cbranch_vccz .LBB657_47
.LBB657_13:                             ;   in Loop: Header=BB657_4 Depth=1
	v_mov_b32_e32 v2, 0
	s_and_not1_b32 vcc_lo, exec_lo, s40
	s_cbranch_vccnz .LBB657_20
; %bb.14:                               ;   in Loop: Header=BB657_4 Depth=1
	v_mad_nc_u64_u32 v[10:11], s16, s24, v[0:1]
	v_mad_nc_u64_u32 v[12:13], s30, s24, v[8:9]
	v_mov_b32_e32 v2, 0
	s_mov_b32 s42, 0
	s_delay_alu instid0(VALU_DEP_3) | instskip(NEXT) | instid1(VALU_DEP_3)
	v_mad_u32 v11, s17, s24, v11
	v_mad_u32 v13, s31, s24, v13
	s_branch .LBB657_16
.LBB657_15:                             ;   in Loop: Header=BB657_16 Depth=2
	s_or_b32 exec_lo, exec_lo, s43
	s_delay_alu instid0(VALU_DEP_1) | instskip(SKIP_3) | instid1(SALU_CYCLE_1)
	v_and_b32_e32 v15, 0xffff0000, v16
	v_add_nc_u64_e32 v[10:11], s[28:29], v[10:11]
	v_add_nc_u64_e32 v[12:13], 0x200, v[12:13]
	s_addk_co_i32 s42, 0x100
	s_cmp_ge_i32 s42, s10
	v_add_f32_e32 v2, v2, v15
	s_cbranch_scc1 .LBB657_20
.LBB657_16:                             ;   Parent Loop BB657_4 Depth=1
                                        ; =>  This Inner Loop Header: Depth=2
	global_load_u16 v15, v[12:13], off
	global_load_u16 v16, v[10:11], off
	s_wait_loadcnt 0x0
	v_dual_lshlrev_b32 v15, 16, v15 :: v_dual_lshlrev_b32 v16, 16, v16
	s_delay_alu instid0(VALU_DEP_1) | instskip(NEXT) | instid1(VALU_DEP_1)
	v_mul_f32_e32 v15, v16, v15
	v_and_b32_e32 v16, 0x7f800000, v15
	s_delay_alu instid0(VALU_DEP_1) | instskip(SKIP_2) | instid1(SALU_CYCLE_1)
	v_cmp_ne_u32_e32 vcc_lo, 0x7f800000, v16
                                        ; implicit-def: $vgpr16
	s_wait_xcnt 0x0
	s_and_saveexec_b32 s43, vcc_lo
	s_xor_b32 s43, exec_lo, s43
; %bb.17:                               ;   in Loop: Header=BB657_16 Depth=2
	v_bfe_u32 v16, v15, 16, 1
	s_delay_alu instid0(VALU_DEP_1)
	v_add3_u32 v16, v15, v16, 0x7fff
                                        ; implicit-def: $vgpr15
; %bb.18:                               ;   in Loop: Header=BB657_16 Depth=2
	s_and_not1_saveexec_b32 s43, s43
	s_cbranch_execz .LBB657_15
; %bb.19:                               ;   in Loop: Header=BB657_16 Depth=2
	v_and_b32_e32 v16, 0xffff, v15
	v_or_b32_e32 v17, 0x10000, v15
	s_delay_alu instid0(VALU_DEP_2) | instskip(NEXT) | instid1(VALU_DEP_2)
	v_cmp_eq_u32_e32 vcc_lo, 0, v16
	v_cndmask_b32_e32 v16, v17, v15, vcc_lo
	s_branch .LBB657_15
.LBB657_20:                             ;   in Loop: Header=BB657_4 Depth=1
	s_and_saveexec_b32 s42, s1
	s_cbranch_execz .LBB657_26
; %bb.21:                               ;   in Loop: Header=BB657_4 Depth=1
	s_mul_u64 s[44:45], s[12:13], s[24:25]
	s_mul_u64 s[46:47], s[20:21], s[24:25]
	v_lshl_add_u64 v[10:11], s[44:45], 1, v[6:7]
	s_lshl_b64 s[44:45], s[46:47], 1
	s_delay_alu instid0(SALU_CYCLE_1) | instskip(NEXT) | instid1(SALU_CYCLE_1)
	s_add_nc_u64 s[44:45], s[14:15], s[44:45]
	v_lshl_add_u64 v[12:13], v[4:5], 1, s[44:45]
	s_delay_alu instid0(VALU_DEP_2)
	v_lshl_add_u64 v[10:11], s[10:11], 1, v[10:11]
	global_load_u16 v15, v[10:11], off
	global_load_u16 v16, v[12:13], off
	s_wait_loadcnt 0x0
	s_wait_xcnt 0x1
	v_dual_lshlrev_b32 v10, 16, v15 :: v_dual_lshlrev_b32 v11, 16, v16
	s_delay_alu instid0(VALU_DEP_1) | instskip(NEXT) | instid1(VALU_DEP_1)
	v_mul_f32_e32 v10, v11, v10
	v_and_b32_e32 v11, 0x7f800000, v10
	s_delay_alu instid0(VALU_DEP_1) | instskip(SKIP_2) | instid1(SALU_CYCLE_1)
	v_cmp_ne_u32_e32 vcc_lo, 0x7f800000, v11
                                        ; implicit-def: $vgpr11
	s_wait_xcnt 0x0
	s_and_saveexec_b32 s43, vcc_lo
	s_xor_b32 s43, exec_lo, s43
; %bb.22:                               ;   in Loop: Header=BB657_4 Depth=1
	v_bfe_u32 v11, v10, 16, 1
	s_delay_alu instid0(VALU_DEP_1)
	v_add3_u32 v11, v10, v11, 0x7fff
                                        ; implicit-def: $vgpr10
; %bb.23:                               ;   in Loop: Header=BB657_4 Depth=1
	s_and_not1_saveexec_b32 s43, s43
; %bb.24:                               ;   in Loop: Header=BB657_4 Depth=1
	v_and_b32_e32 v11, 0xffff, v10
	v_or_b32_e32 v12, 0x10000, v10
	s_delay_alu instid0(VALU_DEP_2) | instskip(NEXT) | instid1(VALU_DEP_2)
	v_cmp_eq_u32_e32 vcc_lo, 0, v11
	v_cndmask_b32_e32 v11, v12, v10, vcc_lo
; %bb.25:                               ;   in Loop: Header=BB657_4 Depth=1
	s_or_b32 exec_lo, exec_lo, s43
	s_delay_alu instid0(VALU_DEP_1) | instskip(NEXT) | instid1(VALU_DEP_1)
	v_and_b32_e32 v10, 0xffff0000, v11
	v_add_f32_e32 v2, v2, v10
.LBB657_26:                             ;   in Loop: Header=BB657_4 Depth=1
	s_or_b32 exec_lo, exec_lo, s42
	ds_store_b32 v14, v2
	s_wait_dscnt 0x0
	s_barrier_signal -1
	s_barrier_wait -1
	s_and_saveexec_b32 s42, s2
	s_cbranch_execz .LBB657_28
; %bb.27:                               ;   in Loop: Header=BB657_4 Depth=1
	ds_load_2addr_stride64_b32 v[10:11], v14 offset1:2
	s_wait_dscnt 0x0
	v_add_f32_e32 v2, v11, v10
	ds_store_b32 v14, v2
.LBB657_28:                             ;   in Loop: Header=BB657_4 Depth=1
	s_or_b32 exec_lo, exec_lo, s42
	s_wait_dscnt 0x0
	s_barrier_signal -1
	s_barrier_wait -1
	s_and_saveexec_b32 s42, s3
	s_cbranch_execz .LBB657_30
; %bb.29:                               ;   in Loop: Header=BB657_4 Depth=1
	ds_load_2addr_stride64_b32 v[10:11], v14 offset1:1
	s_wait_dscnt 0x0
	v_add_f32_e32 v2, v11, v10
	ds_store_b32 v14, v2
.LBB657_30:                             ;   in Loop: Header=BB657_4 Depth=1
	s_or_b32 exec_lo, exec_lo, s42
	s_wait_dscnt 0x0
	s_barrier_signal -1
	s_barrier_wait -1
	s_and_saveexec_b32 s42, s4
	s_cbranch_execz .LBB657_32
; %bb.31:                               ;   in Loop: Header=BB657_4 Depth=1
	ds_load_2addr_b32 v[10:11], v14 offset1:32
	s_wait_dscnt 0x0
	v_add_f32_e32 v2, v11, v10
	ds_store_b32 v14, v2
.LBB657_32:                             ;   in Loop: Header=BB657_4 Depth=1
	s_or_b32 exec_lo, exec_lo, s42
	s_wait_dscnt 0x0
	s_barrier_signal -1
	s_barrier_wait -1
	s_and_saveexec_b32 s42, s5
	s_cbranch_execz .LBB657_34
; %bb.33:                               ;   in Loop: Header=BB657_4 Depth=1
	ds_load_2addr_b32 v[10:11], v14 offset1:16
	s_wait_dscnt 0x0
	v_add_f32_e32 v2, v11, v10
	ds_store_b32 v14, v2
.LBB657_34:                             ;   in Loop: Header=BB657_4 Depth=1
	;; [unrolled: 12-line block ×5, first 2 shown]
	s_or_b32 exec_lo, exec_lo, s42
	s_wait_dscnt 0x0
	s_barrier_signal -1
	s_barrier_wait -1
	s_and_saveexec_b32 s42, s0
	s_cbranch_execz .LBB657_42
; %bb.41:                               ;   in Loop: Header=BB657_4 Depth=1
	ds_load_b64 v[10:11], v3
	s_wait_dscnt 0x0
	v_add_f32_e32 v2, v11, v10
	ds_store_b32 v3, v2
.LBB657_42:                             ;   in Loop: Header=BB657_4 Depth=1
	s_or_b32 exec_lo, exec_lo, s42
	s_wait_dscnt 0x0
	s_barrier_signal -1
	s_barrier_wait -1
                                        ; implicit-def: $vgpr2
	s_and_saveexec_b32 s42, s0
	s_cbranch_execz .LBB657_46
; %bb.43:                               ;   in Loop: Header=BB657_4 Depth=1
	ds_load_b32 v2, v3
	s_and_not1_b32 vcc_lo, exec_lo, s39
	s_wait_dscnt 0x0
	v_mul_f32_e32 v2, s33, v2
	s_cbranch_vccnz .LBB657_45
; %bb.44:                               ;   in Loop: Header=BB657_4 Depth=1
	s_add_nc_u64 s[44:45], s[36:37], s[34:35]
	global_load_b32 v10, v3, s[44:45]
	s_wait_loadcnt 0x0
	v_fmac_f32_e32 v2, s22, v10
.LBB657_45:                             ;   in Loop: Header=BB657_4 Depth=1
	s_or_b32 s41, s41, exec_lo
.LBB657_46:                             ;   in Loop: Header=BB657_4 Depth=1
	s_wait_xcnt 0x0
	s_or_b32 exec_lo, exec_lo, s42
.LBB657_47:                             ;   in Loop: Header=BB657_4 Depth=1
	s_and_saveexec_b32 s42, s41
	s_cbranch_execz .LBB657_2
; %bb.48:                               ;   in Loop: Header=BB657_4 Depth=1
	s_add_nc_u64 s[36:37], s[36:37], s[34:35]
	global_store_b32 v3, v2, s[36:37]
	s_branch .LBB657_2
.LBB657_49:
	s_endpgm
	.section	.rodata,"a",@progbits
	.p2align	6, 0x0
	.amdhsa_kernel _ZL20rocblas_gemvt_kernelILb1ELi256E16rocblas_bfloat16ffEviiT2_lPKT1_lilS4_lilS1_lPT3_lili
		.amdhsa_group_segment_fixed_size 1024
		.amdhsa_private_segment_fixed_size 0
		.amdhsa_kernarg_size 140
		.amdhsa_user_sgpr_count 2
		.amdhsa_user_sgpr_dispatch_ptr 0
		.amdhsa_user_sgpr_queue_ptr 0
		.amdhsa_user_sgpr_kernarg_segment_ptr 1
		.amdhsa_user_sgpr_dispatch_id 0
		.amdhsa_user_sgpr_kernarg_preload_length 0
		.amdhsa_user_sgpr_kernarg_preload_offset 0
		.amdhsa_user_sgpr_private_segment_size 0
		.amdhsa_wavefront_size32 1
		.amdhsa_uses_dynamic_stack 0
		.amdhsa_enable_private_segment 0
		.amdhsa_system_sgpr_workgroup_id_x 1
		.amdhsa_system_sgpr_workgroup_id_y 0
		.amdhsa_system_sgpr_workgroup_id_z 1
		.amdhsa_system_sgpr_workgroup_info 0
		.amdhsa_system_vgpr_workitem_id 0
		.amdhsa_next_free_vgpr 18
		.amdhsa_next_free_sgpr 48
		.amdhsa_named_barrier_count 0
		.amdhsa_reserve_vcc 1
		.amdhsa_float_round_mode_32 0
		.amdhsa_float_round_mode_16_64 0
		.amdhsa_float_denorm_mode_32 3
		.amdhsa_float_denorm_mode_16_64 3
		.amdhsa_fp16_overflow 0
		.amdhsa_memory_ordered 1
		.amdhsa_forward_progress 1
		.amdhsa_inst_pref_size 13
		.amdhsa_round_robin_scheduling 0
		.amdhsa_exception_fp_ieee_invalid_op 0
		.amdhsa_exception_fp_denorm_src 0
		.amdhsa_exception_fp_ieee_div_zero 0
		.amdhsa_exception_fp_ieee_overflow 0
		.amdhsa_exception_fp_ieee_underflow 0
		.amdhsa_exception_fp_ieee_inexact 0
		.amdhsa_exception_int_div_zero 0
	.end_amdhsa_kernel
	.section	.text._ZL20rocblas_gemvt_kernelILb1ELi256E16rocblas_bfloat16ffEviiT2_lPKT1_lilS4_lilS1_lPT3_lili,"axG",@progbits,_ZL20rocblas_gemvt_kernelILb1ELi256E16rocblas_bfloat16ffEviiT2_lPKT1_lilS4_lilS1_lPT3_lili,comdat
.Lfunc_end657:
	.size	_ZL20rocblas_gemvt_kernelILb1ELi256E16rocblas_bfloat16ffEviiT2_lPKT1_lilS4_lilS1_lPT3_lili, .Lfunc_end657-_ZL20rocblas_gemvt_kernelILb1ELi256E16rocblas_bfloat16ffEviiT2_lPKT1_lilS4_lilS1_lPT3_lili
                                        ; -- End function
	.set _ZL20rocblas_gemvt_kernelILb1ELi256E16rocblas_bfloat16ffEviiT2_lPKT1_lilS4_lilS1_lPT3_lili.num_vgpr, 18
	.set _ZL20rocblas_gemvt_kernelILb1ELi256E16rocblas_bfloat16ffEviiT2_lPKT1_lilS4_lilS1_lPT3_lili.num_agpr, 0
	.set _ZL20rocblas_gemvt_kernelILb1ELi256E16rocblas_bfloat16ffEviiT2_lPKT1_lilS4_lilS1_lPT3_lili.numbered_sgpr, 48
	.set _ZL20rocblas_gemvt_kernelILb1ELi256E16rocblas_bfloat16ffEviiT2_lPKT1_lilS4_lilS1_lPT3_lili.num_named_barrier, 0
	.set _ZL20rocblas_gemvt_kernelILb1ELi256E16rocblas_bfloat16ffEviiT2_lPKT1_lilS4_lilS1_lPT3_lili.private_seg_size, 0
	.set _ZL20rocblas_gemvt_kernelILb1ELi256E16rocblas_bfloat16ffEviiT2_lPKT1_lilS4_lilS1_lPT3_lili.uses_vcc, 1
	.set _ZL20rocblas_gemvt_kernelILb1ELi256E16rocblas_bfloat16ffEviiT2_lPKT1_lilS4_lilS1_lPT3_lili.uses_flat_scratch, 0
	.set _ZL20rocblas_gemvt_kernelILb1ELi256E16rocblas_bfloat16ffEviiT2_lPKT1_lilS4_lilS1_lPT3_lili.has_dyn_sized_stack, 0
	.set _ZL20rocblas_gemvt_kernelILb1ELi256E16rocblas_bfloat16ffEviiT2_lPKT1_lilS4_lilS1_lPT3_lili.has_recursion, 0
	.set _ZL20rocblas_gemvt_kernelILb1ELi256E16rocblas_bfloat16ffEviiT2_lPKT1_lilS4_lilS1_lPT3_lili.has_indirect_call, 0
	.section	.AMDGPU.csdata,"",@progbits
; Kernel info:
; codeLenInByte = 1656
; TotalNumSgprs: 50
; NumVgprs: 18
; ScratchSize: 0
; MemoryBound: 0
; FloatMode: 240
; IeeeMode: 1
; LDSByteSize: 1024 bytes/workgroup (compile time only)
; SGPRBlocks: 0
; VGPRBlocks: 1
; NumSGPRsForWavesPerEU: 50
; NumVGPRsForWavesPerEU: 18
; NamedBarCnt: 0
; Occupancy: 16
; WaveLimiterHint : 0
; COMPUTE_PGM_RSRC2:SCRATCH_EN: 0
; COMPUTE_PGM_RSRC2:USER_SGPR: 2
; COMPUTE_PGM_RSRC2:TRAP_HANDLER: 0
; COMPUTE_PGM_RSRC2:TGID_X_EN: 1
; COMPUTE_PGM_RSRC2:TGID_Y_EN: 0
; COMPUTE_PGM_RSRC2:TGID_Z_EN: 1
; COMPUTE_PGM_RSRC2:TIDIG_COMP_CNT: 0
	.section	.text._ZL32rocblas_gemvt_warp_reduce_kernelILb1ELi1024Ei16rocblas_bfloat16PKffEviiT3_lPKT2_lT1_lS6_lS7_lS3_lPT4_lS7_li,"axG",@progbits,_ZL32rocblas_gemvt_warp_reduce_kernelILb1ELi1024Ei16rocblas_bfloat16PKffEviiT3_lPKT2_lT1_lS6_lS7_lS3_lPT4_lS7_li,comdat
	.globl	_ZL32rocblas_gemvt_warp_reduce_kernelILb1ELi1024Ei16rocblas_bfloat16PKffEviiT3_lPKT2_lT1_lS6_lS7_lS3_lPT4_lS7_li ; -- Begin function _ZL32rocblas_gemvt_warp_reduce_kernelILb1ELi1024Ei16rocblas_bfloat16PKffEviiT3_lPKT2_lT1_lS6_lS7_lS3_lPT4_lS7_li
	.p2align	8
	.type	_ZL32rocblas_gemvt_warp_reduce_kernelILb1ELi1024Ei16rocblas_bfloat16PKffEviiT3_lPKT2_lT1_lS6_lS7_lS3_lPT4_lS7_li,@function
_ZL32rocblas_gemvt_warp_reduce_kernelILb1ELi1024Ei16rocblas_bfloat16PKffEviiT3_lPKT2_lT1_lS6_lS7_lS3_lPT4_lS7_li: ; @_ZL32rocblas_gemvt_warp_reduce_kernelILb1ELi1024Ei16rocblas_bfloat16PKffEviiT3_lPKT2_lT1_lS6_lS7_lS3_lPT4_lS7_li
; %bb.0:
	s_load_b32 s33, s[0:1], 0x88
	s_bfe_u32 s2, ttmp6, 0x40014
	s_lshr_b32 s3, ttmp7, 16
	s_add_co_i32 s2, s2, 1
	s_bfe_u32 s5, ttmp6, 0x40008
	s_mul_i32 s4, s3, s2
	s_getreg_b32 s2, hwreg(HW_REG_IB_STS2, 6, 4)
	s_add_co_i32 s5, s5, s4
	s_cmp_eq_u32 s2, 0
	s_mov_b32 s35, 0
	s_cselect_b32 s34, s3, s5
	s_wait_kmcnt 0x0
	s_cmp_ge_u32 s34, s33
	s_cbranch_scc1 .LBB658_42
; %bb.1:
	s_clause 0x7
	s_load_b96 s[4:6], s[0:1], 0x40
	s_load_b96 s[28:30], s[0:1], 0x70
	s_load_b256 s[8:15], s[0:1], 0x8
	s_load_b32 s7, s[0:1], 0x0
	s_load_b32 s31, s[0:1], 0x28
	s_load_b128 s[24:27], s[0:1], 0x30
	s_load_b256 s[16:23], s[0:1], 0x50
	s_load_b64 s[36:37], s[0:1], 0x80
	s_wait_xcnt 0x0
	s_bfe_u32 s1, ttmp6, 0x4000c
	s_and_b32 s3, ttmp6, 15
	s_add_co_i32 s1, s1, 1
	v_dual_mov_b32 v3, 0 :: v_dual_bitop2_b32 v8, 31, v0 bitop3:0x40
	s_mul_i32 s1, ttmp9, s1
	v_mbcnt_lo_u32_b32 v13, -1, 0
	s_add_co_i32 s3, s3, s1
	v_cmp_eq_u32_e64 s0, 0, v0
	v_cmp_gt_u32_e64 s1, 32, v0
	s_delay_alu instid0(VALU_DEP_3)
	v_lshl_or_b32 v14, v13, 2, 64
	s_wait_kmcnt 0x0
	s_lshl_b64 s[4:5], s[4:5], 1
	s_lshl_b64 s[28:29], s[28:29], 2
	;; [unrolled: 1-line block ×3, first 2 shown]
	v_cmp_gt_i32_e32 vcc_lo, s7, v0
	s_cmp_eq_u32 s2, 0
	v_lshrrev_b32_e32 v10, 3, v0
	s_cselect_b32 s15, ttmp9, s3
	s_ashr_i32 s2, s7, 31
	v_cndmask_b32_e32 v2, 0, v0, vcc_lo
	s_lshr_b32 s2, s2, 22
	v_lshlrev_b32_e32 v1, 2, v8
	s_add_co_i32 s2, s7, s2
	s_add_nc_u64 s[26:27], s[26:27], s[4:5]
	s_and_b32 s14, s2, 0xfffffc00
	s_delay_alu instid0(SALU_CYCLE_1) | instskip(SKIP_3) | instid1(VALU_DEP_2)
	v_dual_lshlrev_b32 v2, 1, v2 :: v_dual_bitop2_b32 v5, s14, v0 bitop3:0x54
	s_add_nc_u64 s[2:3], s[12:13], s[38:39]
	s_mul_i32 s4, s31, s15
	v_mul_lo_u32 v12, v0, s6
	v_add_nc_u64_e32 v[6:7], s[2:3], v[2:3]
	v_mul_lo_u32 v4, s6, v5
	s_ashr_i32 s5, s4, 31
	s_add_nc_u64 s[22:23], s[22:23], s[28:29]
	s_lshl_b64 s[4:5], s[4:5], 1
	s_mul_i32 s28, s30, s15
	v_cmp_gt_i32_e64 s2, s14, v0
	v_add_nc_u64_e32 v[6:7], s[4:5], v[6:7]
	s_add_nc_u64 s[4:5], s[38:39], s[4:5]
	v_cmp_gt_i32_e64 s3, s7, v5
	s_add_nc_u64 s[12:13], s[12:13], s[4:5]
	v_cmp_eq_u32_e64 s4, 0, v8
	v_add_nc_u64_e32 v[8:9], s[12:13], v[2:3]
	v_ashrrev_i32_e32 v5, 31, v4
	v_and_b32_e32 v2, 0x7c, v10
	s_ashr_i32 s29, s28, 31
	s_ashr_i32 s15, s14, 31
	s_lshl_b32 s38, s6, 10
	s_lshl_b64 s[6:7], s[24:25], 1
	s_lshl_b64 s[12:13], s[28:29], 2
	s_branch .LBB658_4
.LBB658_2:                              ;   in Loop: Header=BB658_4 Depth=1
	s_wait_xcnt 0x0
	s_or_b32 exec_lo, exec_lo, s5
.LBB658_3:                              ;   in Loop: Header=BB658_4 Depth=1
	s_add_co_i32 s34, s34, 0x10000
	s_delay_alu instid0(SALU_CYCLE_1)
	s_cmp_lt_u32 s34, s33
	s_cbranch_scc0 .LBB658_42
.LBB658_4:                              ; =>This Loop Header: Depth=1
                                        ;     Child Loop BB658_24 Depth 2
	s_mul_u64 s[28:29], s[10:11], s[34:35]
	s_wait_xcnt 0x0
	s_mul_u64 s[30:31], s[20:21], s[34:35]
	s_lshl_b64 s[28:29], s[28:29], 2
	s_lshl_b64 s[30:31], s[30:31], 2
	s_add_nc_u64 s[28:29], s[8:9], s[28:29]
	s_add_nc_u64 s[30:31], s[18:19], s[30:31]
	s_clause 0x1
	global_load_b32 v15, v3, s[28:29]
	global_load_b32 v10, v3, s[30:31]
	s_wait_loadcnt 0x1
	v_cmp_eq_f32_e32 vcc_lo, 0, v15
	s_wait_loadcnt 0x0
	v_cmp_eq_f32_e64 s5, 1.0, v10
	s_wait_xcnt 0x1
	s_and_b32 s28, vcc_lo, s5
	v_readfirstlane_b32 s5, v10
	s_and_b32 vcc_lo, exec_lo, s28
	s_cbranch_vccnz .LBB658_3
; %bb.5:                                ;   in Loop: Header=BB658_4 Depth=1
	v_cmp_neq_f32_e32 vcc_lo, 0, v15
	s_mul_u64 s[28:29], s[36:37], s[34:35]
	s_delay_alu instid0(SALU_CYCLE_1) | instskip(NEXT) | instid1(SALU_CYCLE_1)
	s_lshl_b64 s[28:29], s[28:29], 2
	s_add_nc_u64 s[28:29], s[22:23], s[28:29]
	s_cbranch_vccnz .LBB658_9
; %bb.6:                                ;   in Loop: Header=BB658_4 Depth=1
	s_wait_xcnt 0x0
	s_mov_b32 s30, 0
	s_mov_b32 s39, 0
                                        ; implicit-def: $vgpr10
	s_and_saveexec_b32 s31, s0
	s_cbranch_execz .LBB658_10
; %bb.7:                                ;   in Loop: Header=BB658_4 Depth=1
	s_cmp_eq_f32 s5, 0
	s_cbranch_scc1 .LBB658_11
; %bb.8:                                ;   in Loop: Header=BB658_4 Depth=1
	s_add_nc_u64 s[40:41], s[28:29], s[12:13]
	global_load_b32 v10, v3, s[40:41]
	s_wait_loadcnt 0x0
	v_mul_f32_e32 v10, s5, v10
	s_branch .LBB658_12
.LBB658_9:                              ;   in Loop: Header=BB658_4 Depth=1
	s_wait_xcnt 0x0
	s_mov_b32 s39, 0
                                        ; implicit-def: $vgpr10
	s_cbranch_execnz .LBB658_13
	s_branch .LBB658_34
.LBB658_10:                             ;   in Loop: Header=BB658_4 Depth=1
	s_or_b32 exec_lo, exec_lo, s31
	s_delay_alu instid0(SALU_CYCLE_1)
	s_and_b32 vcc_lo, exec_lo, s30
	s_cbranch_vccnz .LBB658_13
	s_branch .LBB658_34
.LBB658_11:                             ;   in Loop: Header=BB658_4 Depth=1
	v_mov_b32_e32 v10, 0
.LBB658_12:                             ;   in Loop: Header=BB658_4 Depth=1
	s_mov_b32 s39, exec_lo
	s_wait_xcnt 0x0
	s_or_b32 exec_lo, exec_lo, s31
	s_delay_alu instid0(SALU_CYCLE_1)
	s_and_b32 vcc_lo, exec_lo, s30
	s_cbranch_vccz .LBB658_34
.LBB658_13:                             ;   in Loop: Header=BB658_4 Depth=1
	s_mul_u64 s[30:31], s[16:17], s[34:35]
	v_mov_b32_e32 v16, 0
	s_lshl_b64 s[30:31], s[30:31], 1
	s_delay_alu instid0(SALU_CYCLE_1)
	s_add_nc_u64 s[30:31], s[26:27], s[30:31]
	s_and_saveexec_b32 s40, s2
	s_cbranch_execnz .LBB658_22
; %bb.14:                               ;   in Loop: Header=BB658_4 Depth=1
	s_or_b32 exec_lo, exec_lo, s40
	s_and_saveexec_b32 s40, s3
	s_cbranch_execnz .LBB658_37
.LBB658_15:                             ;   in Loop: Header=BB658_4 Depth=1
	s_or_b32 exec_lo, exec_lo, s40
	s_and_saveexec_b32 s30, s1
.LBB658_16:                             ;   in Loop: Header=BB658_4 Depth=1
	ds_store_b32 v1, v3
.LBB658_17:                             ;   in Loop: Header=BB658_4 Depth=1
	s_or_b32 exec_lo, exec_lo, s30
	ds_bpermute_b32 v11, v14, v16
	v_cmp_gt_u32_e32 vcc_lo, 24, v13
	s_wait_dscnt 0x0
	s_barrier_signal -1
	s_barrier_wait -1
	v_cndmask_b32_e64 v10, 0, 8, vcc_lo
	v_cmp_gt_u32_e32 vcc_lo, 28, v13
	s_delay_alu instid0(VALU_DEP_2)
	v_add_lshl_u32 v10, v10, v13, 2
	v_add_f32_e32 v16, v16, v11
	v_cndmask_b32_e64 v11, 0, 4, vcc_lo
	v_cmp_gt_u32_e32 vcc_lo, 30, v13
	ds_bpermute_b32 v17, v10, v16
	v_add_lshl_u32 v11, v11, v13, 2
	s_wait_dscnt 0x0
	v_add_f32_e32 v17, v16, v17
	v_cndmask_b32_e64 v16, 0, 2, vcc_lo
	v_cmp_ne_u32_e32 vcc_lo, 31, v13
	ds_bpermute_b32 v18, v11, v17
	v_add_lshl_u32 v16, v16, v13, 2
	v_add_co_ci_u32_e64 v19, null, 0, v13, vcc_lo
	s_wait_dscnt 0x0
	v_add_f32_e32 v17, v17, v18
	ds_bpermute_b32 v18, v16, v17
	s_wait_dscnt 0x0
	v_dual_add_f32 v18, v17, v18 :: v_dual_lshlrev_b32 v17, 2, v19
	ds_bpermute_b32 v19, v17, v18
	s_and_saveexec_b32 s30, s4
	s_cbranch_execz .LBB658_19
; %bb.18:                               ;   in Loop: Header=BB658_4 Depth=1
	s_wait_dscnt 0x0
	v_add_f32_e32 v18, v18, v19
	ds_store_b32 v2, v18
.LBB658_19:                             ;   in Loop: Header=BB658_4 Depth=1
	s_or_b32 exec_lo, exec_lo, s30
	v_mov_b32_e32 v18, 0
	s_wait_dscnt 0x0
	s_barrier_signal -1
	s_barrier_wait -1
	s_and_saveexec_b32 s30, s1
	s_cbranch_execnz .LBB658_28
; %bb.20:                               ;   in Loop: Header=BB658_4 Depth=1
	s_or_b32 exec_lo, exec_lo, s30
	s_and_saveexec_b32 s30, s1
	s_cbranch_execnz .LBB658_29
.LBB658_21:                             ;   in Loop: Header=BB658_4 Depth=1
	s_or_b32 exec_lo, exec_lo, s30
                                        ; implicit-def: $vgpr10
	s_and_saveexec_b32 s30, s0
	s_cbranch_execnz .LBB658_30
	s_branch .LBB658_33
.LBB658_22:                             ;   in Loop: Header=BB658_4 Depth=1
	v_mad_nc_u64_u32 v[10:11], s6, s34, v[8:9]
	v_dual_mov_b32 v16, 0 :: v_dual_mov_b32 v17, v0
	s_wait_dscnt 0x0
	v_mov_b32_e32 v18, v12
	s_mov_b32 s41, 0
	s_delay_alu instid0(VALU_DEP_3)
	v_mad_u32 v11, s7, s34, v11
	s_branch .LBB658_24
.LBB658_23:                             ;   in Loop: Header=BB658_24 Depth=2
	s_or_b32 exec_lo, exec_lo, s42
	s_delay_alu instid0(VALU_DEP_1) | instskip(SKIP_2) | instid1(VALU_DEP_3)
	v_and_b32_e32 v19, 0xffff0000, v19
	v_add_nc_u32_e32 v17, 0x400, v17
	v_add_nc_u64_e32 v[10:11], 0x800, v[10:11]
	v_dual_add_nc_u32 v18, s38, v18 :: v_dual_add_f32 v16, v16, v19
	s_delay_alu instid0(VALU_DEP_3) | instskip(SKIP_1) | instid1(SALU_CYCLE_1)
	v_cmp_le_i32_e32 vcc_lo, s14, v17
	s_or_b32 s41, vcc_lo, s41
	s_and_not1_b32 exec_lo, exec_lo, s41
	s_cbranch_execz .LBB658_36
.LBB658_24:                             ;   Parent Loop BB658_4 Depth=1
                                        ; =>  This Inner Loop Header: Depth=2
	global_load_u16 v19, v[10:11], off
	global_load_u16 v20, v18, s[30:31] scale_offset
	s_wait_loadcnt 0x0
	v_dual_lshlrev_b32 v19, 16, v19 :: v_dual_lshlrev_b32 v20, 16, v20
	s_delay_alu instid0(VALU_DEP_1) | instskip(NEXT) | instid1(VALU_DEP_1)
	v_mul_f32_e32 v20, v20, v19
	v_and_b32_e32 v19, 0x7f800000, v20
	s_delay_alu instid0(VALU_DEP_1) | instskip(SKIP_2) | instid1(SALU_CYCLE_1)
	v_cmp_ne_u32_e32 vcc_lo, 0x7f800000, v19
                                        ; implicit-def: $vgpr19
	s_wait_xcnt 0x0
	s_and_saveexec_b32 s42, vcc_lo
	s_xor_b32 s42, exec_lo, s42
; %bb.25:                               ;   in Loop: Header=BB658_24 Depth=2
	v_bfe_u32 v19, v20, 16, 1
	s_delay_alu instid0(VALU_DEP_1)
	v_add3_u32 v19, v20, v19, 0x7fff
                                        ; implicit-def: $vgpr20
; %bb.26:                               ;   in Loop: Header=BB658_24 Depth=2
	s_and_not1_saveexec_b32 s42, s42
	s_cbranch_execz .LBB658_23
; %bb.27:                               ;   in Loop: Header=BB658_24 Depth=2
	v_and_b32_e32 v19, 0xffff, v20
	v_or_b32_e32 v21, 0x10000, v20
	s_delay_alu instid0(VALU_DEP_2) | instskip(NEXT) | instid1(VALU_DEP_2)
	v_cmp_eq_u32_e32 vcc_lo, 0, v19
	v_cndmask_b32_e32 v19, v21, v20, vcc_lo
	s_branch .LBB658_23
.LBB658_28:                             ;   in Loop: Header=BB658_4 Depth=1
	ds_load_b32 v18, v1
	s_or_b32 exec_lo, exec_lo, s30
	s_and_saveexec_b32 s30, s1
	s_cbranch_execz .LBB658_21
.LBB658_29:                             ;   in Loop: Header=BB658_4 Depth=1
	s_wait_dscnt 0x0
	ds_bpermute_b32 v19, v14, v18
	s_wait_dscnt 0x0
	v_add_f32_e32 v18, v18, v19
	ds_bpermute_b32 v10, v10, v18
	s_wait_dscnt 0x0
	v_add_f32_e32 v10, v18, v10
	;; [unrolled: 3-line block ×5, first 2 shown]
	s_or_b32 exec_lo, exec_lo, s30
                                        ; implicit-def: $vgpr10
	s_and_saveexec_b32 s30, s0
	s_cbranch_execz .LBB658_33
.LBB658_30:                             ;   in Loop: Header=BB658_4 Depth=1
	s_wait_dscnt 0x0
	v_mul_f32_e32 v10, v15, v18
	s_cmp_eq_f32 s5, 0
	s_cbranch_scc1 .LBB658_32
; %bb.31:                               ;   in Loop: Header=BB658_4 Depth=1
	s_add_nc_u64 s[40:41], s[28:29], s[12:13]
	global_load_b32 v11, v3, s[40:41]
	s_wait_loadcnt 0x0
	v_fmac_f32_e32 v10, s5, v11
.LBB658_32:                             ;   in Loop: Header=BB658_4 Depth=1
	s_or_b32 s39, s39, exec_lo
.LBB658_33:                             ;   in Loop: Header=BB658_4 Depth=1
	s_wait_xcnt 0x0
	s_or_b32 exec_lo, exec_lo, s30
.LBB658_34:                             ;   in Loop: Header=BB658_4 Depth=1
	s_and_saveexec_b32 s5, s39
	s_cbranch_execz .LBB658_2
; %bb.35:                               ;   in Loop: Header=BB658_4 Depth=1
	s_add_nc_u64 s[28:29], s[28:29], s[12:13]
	global_store_b32 v3, v10, s[28:29]
	s_branch .LBB658_2
.LBB658_36:                             ;   in Loop: Header=BB658_4 Depth=1
	s_or_b32 exec_lo, exec_lo, s41
	s_delay_alu instid0(SALU_CYCLE_1)
	s_or_b32 exec_lo, exec_lo, s40
	s_and_saveexec_b32 s40, s3
	s_cbranch_execz .LBB658_15
.LBB658_37:                             ;   in Loop: Header=BB658_4 Depth=1
	s_mul_u64 s[42:43], s[24:25], s[34:35]
	s_wait_dscnt 0x0
	v_lshl_add_u64 v[18:19], v[4:5], 1, s[30:31]
	v_lshl_add_u64 v[10:11], s[42:43], 1, v[6:7]
	s_delay_alu instid0(VALU_DEP_1)
	v_lshl_add_u64 v[10:11], s[14:15], 1, v[10:11]
	global_load_u16 v17, v[18:19], off
	global_load_u16 v20, v[10:11], off
	s_wait_loadcnt 0x0
	s_wait_xcnt 0x0
	v_dual_lshlrev_b32 v10, 16, v17 :: v_dual_lshlrev_b32 v11, 16, v20
	s_delay_alu instid0(VALU_DEP_1) | instskip(NEXT) | instid1(VALU_DEP_1)
	v_mul_f32_e32 v10, v10, v11
	v_and_b32_e32 v11, 0x7f800000, v10
	s_delay_alu instid0(VALU_DEP_1) | instskip(SKIP_1) | instid1(SALU_CYCLE_1)
	v_cmp_ne_u32_e32 vcc_lo, 0x7f800000, v11
                                        ; implicit-def: $vgpr11
	s_and_saveexec_b32 s30, vcc_lo
	s_xor_b32 s30, exec_lo, s30
; %bb.38:                               ;   in Loop: Header=BB658_4 Depth=1
	v_bfe_u32 v11, v10, 16, 1
	s_delay_alu instid0(VALU_DEP_1)
	v_add3_u32 v11, v10, v11, 0x7fff
                                        ; implicit-def: $vgpr10
; %bb.39:                               ;   in Loop: Header=BB658_4 Depth=1
	s_and_not1_saveexec_b32 s30, s30
; %bb.40:                               ;   in Loop: Header=BB658_4 Depth=1
	v_and_b32_e32 v11, 0xffff, v10
	v_or_b32_e32 v17, 0x10000, v10
	s_delay_alu instid0(VALU_DEP_2) | instskip(NEXT) | instid1(VALU_DEP_2)
	v_cmp_eq_u32_e32 vcc_lo, 0, v11
	v_cndmask_b32_e32 v11, v17, v10, vcc_lo
; %bb.41:                               ;   in Loop: Header=BB658_4 Depth=1
	s_or_b32 exec_lo, exec_lo, s30
	s_delay_alu instid0(VALU_DEP_1) | instskip(NEXT) | instid1(VALU_DEP_1)
	v_and_b32_e32 v10, 0xffff0000, v11
	v_add_f32_e32 v16, v16, v10
	s_or_b32 exec_lo, exec_lo, s40
	s_and_saveexec_b32 s30, s1
	s_cbranch_execnz .LBB658_16
	s_branch .LBB658_17
.LBB658_42:
	s_endpgm
	.section	.rodata,"a",@progbits
	.p2align	6, 0x0
	.amdhsa_kernel _ZL32rocblas_gemvt_warp_reduce_kernelILb1ELi1024Ei16rocblas_bfloat16PKffEviiT3_lPKT2_lT1_lS6_lS7_lS3_lPT4_lS7_li
		.amdhsa_group_segment_fixed_size 128
		.amdhsa_private_segment_fixed_size 0
		.amdhsa_kernarg_size 140
		.amdhsa_user_sgpr_count 2
		.amdhsa_user_sgpr_dispatch_ptr 0
		.amdhsa_user_sgpr_queue_ptr 0
		.amdhsa_user_sgpr_kernarg_segment_ptr 1
		.amdhsa_user_sgpr_dispatch_id 0
		.amdhsa_user_sgpr_kernarg_preload_length 0
		.amdhsa_user_sgpr_kernarg_preload_offset 0
		.amdhsa_user_sgpr_private_segment_size 0
		.amdhsa_wavefront_size32 1
		.amdhsa_uses_dynamic_stack 0
		.amdhsa_enable_private_segment 0
		.amdhsa_system_sgpr_workgroup_id_x 1
		.amdhsa_system_sgpr_workgroup_id_y 0
		.amdhsa_system_sgpr_workgroup_id_z 1
		.amdhsa_system_sgpr_workgroup_info 0
		.amdhsa_system_vgpr_workitem_id 0
		.amdhsa_next_free_vgpr 22
		.amdhsa_next_free_sgpr 44
		.amdhsa_named_barrier_count 0
		.amdhsa_reserve_vcc 1
		.amdhsa_float_round_mode_32 0
		.amdhsa_float_round_mode_16_64 0
		.amdhsa_float_denorm_mode_32 3
		.amdhsa_float_denorm_mode_16_64 3
		.amdhsa_fp16_overflow 0
		.amdhsa_memory_ordered 1
		.amdhsa_forward_progress 1
		.amdhsa_inst_pref_size 13
		.amdhsa_round_robin_scheduling 0
		.amdhsa_exception_fp_ieee_invalid_op 0
		.amdhsa_exception_fp_denorm_src 0
		.amdhsa_exception_fp_ieee_div_zero 0
		.amdhsa_exception_fp_ieee_overflow 0
		.amdhsa_exception_fp_ieee_underflow 0
		.amdhsa_exception_fp_ieee_inexact 0
		.amdhsa_exception_int_div_zero 0
	.end_amdhsa_kernel
	.section	.text._ZL32rocblas_gemvt_warp_reduce_kernelILb1ELi1024Ei16rocblas_bfloat16PKffEviiT3_lPKT2_lT1_lS6_lS7_lS3_lPT4_lS7_li,"axG",@progbits,_ZL32rocblas_gemvt_warp_reduce_kernelILb1ELi1024Ei16rocblas_bfloat16PKffEviiT3_lPKT2_lT1_lS6_lS7_lS3_lPT4_lS7_li,comdat
.Lfunc_end658:
	.size	_ZL32rocblas_gemvt_warp_reduce_kernelILb1ELi1024Ei16rocblas_bfloat16PKffEviiT3_lPKT2_lT1_lS6_lS7_lS3_lPT4_lS7_li, .Lfunc_end658-_ZL32rocblas_gemvt_warp_reduce_kernelILb1ELi1024Ei16rocblas_bfloat16PKffEviiT3_lPKT2_lT1_lS6_lS7_lS3_lPT4_lS7_li
                                        ; -- End function
	.set _ZL32rocblas_gemvt_warp_reduce_kernelILb1ELi1024Ei16rocblas_bfloat16PKffEviiT3_lPKT2_lT1_lS6_lS7_lS3_lPT4_lS7_li.num_vgpr, 22
	.set _ZL32rocblas_gemvt_warp_reduce_kernelILb1ELi1024Ei16rocblas_bfloat16PKffEviiT3_lPKT2_lT1_lS6_lS7_lS3_lPT4_lS7_li.num_agpr, 0
	.set _ZL32rocblas_gemvt_warp_reduce_kernelILb1ELi1024Ei16rocblas_bfloat16PKffEviiT3_lPKT2_lT1_lS6_lS7_lS3_lPT4_lS7_li.numbered_sgpr, 44
	.set _ZL32rocblas_gemvt_warp_reduce_kernelILb1ELi1024Ei16rocblas_bfloat16PKffEviiT3_lPKT2_lT1_lS6_lS7_lS3_lPT4_lS7_li.num_named_barrier, 0
	.set _ZL32rocblas_gemvt_warp_reduce_kernelILb1ELi1024Ei16rocblas_bfloat16PKffEviiT3_lPKT2_lT1_lS6_lS7_lS3_lPT4_lS7_li.private_seg_size, 0
	.set _ZL32rocblas_gemvt_warp_reduce_kernelILb1ELi1024Ei16rocblas_bfloat16PKffEviiT3_lPKT2_lT1_lS6_lS7_lS3_lPT4_lS7_li.uses_vcc, 1
	.set _ZL32rocblas_gemvt_warp_reduce_kernelILb1ELi1024Ei16rocblas_bfloat16PKffEviiT3_lPKT2_lT1_lS6_lS7_lS3_lPT4_lS7_li.uses_flat_scratch, 0
	.set _ZL32rocblas_gemvt_warp_reduce_kernelILb1ELi1024Ei16rocblas_bfloat16PKffEviiT3_lPKT2_lT1_lS6_lS7_lS3_lPT4_lS7_li.has_dyn_sized_stack, 0
	.set _ZL32rocblas_gemvt_warp_reduce_kernelILb1ELi1024Ei16rocblas_bfloat16PKffEviiT3_lPKT2_lT1_lS6_lS7_lS3_lPT4_lS7_li.has_recursion, 0
	.set _ZL32rocblas_gemvt_warp_reduce_kernelILb1ELi1024Ei16rocblas_bfloat16PKffEviiT3_lPKT2_lT1_lS6_lS7_lS3_lPT4_lS7_li.has_indirect_call, 0
	.section	.AMDGPU.csdata,"",@progbits
; Kernel info:
; codeLenInByte = 1660
; TotalNumSgprs: 46
; NumVgprs: 22
; ScratchSize: 0
; MemoryBound: 0
; FloatMode: 240
; IeeeMode: 1
; LDSByteSize: 128 bytes/workgroup (compile time only)
; SGPRBlocks: 0
; VGPRBlocks: 1
; NumSGPRsForWavesPerEU: 46
; NumVGPRsForWavesPerEU: 22
; NamedBarCnt: 0
; Occupancy: 16
; WaveLimiterHint : 0
; COMPUTE_PGM_RSRC2:SCRATCH_EN: 0
; COMPUTE_PGM_RSRC2:USER_SGPR: 2
; COMPUTE_PGM_RSRC2:TRAP_HANDLER: 0
; COMPUTE_PGM_RSRC2:TGID_X_EN: 1
; COMPUTE_PGM_RSRC2:TGID_Y_EN: 0
; COMPUTE_PGM_RSRC2:TGID_Z_EN: 1
; COMPUTE_PGM_RSRC2:TIDIG_COMP_CNT: 0
	.section	.text._ZL32rocblas_gemvt_warp_reduce_kernelILb1ELi1024El16rocblas_bfloat16PKffEviiT3_lPKT2_lT1_lS6_lS7_lS3_lPT4_lS7_li,"axG",@progbits,_ZL32rocblas_gemvt_warp_reduce_kernelILb1ELi1024El16rocblas_bfloat16PKffEviiT3_lPKT2_lT1_lS6_lS7_lS3_lPT4_lS7_li,comdat
	.globl	_ZL32rocblas_gemvt_warp_reduce_kernelILb1ELi1024El16rocblas_bfloat16PKffEviiT3_lPKT2_lT1_lS6_lS7_lS3_lPT4_lS7_li ; -- Begin function _ZL32rocblas_gemvt_warp_reduce_kernelILb1ELi1024El16rocblas_bfloat16PKffEviiT3_lPKT2_lT1_lS6_lS7_lS3_lPT4_lS7_li
	.p2align	8
	.type	_ZL32rocblas_gemvt_warp_reduce_kernelILb1ELi1024El16rocblas_bfloat16PKffEviiT3_lPKT2_lT1_lS6_lS7_lS3_lPT4_lS7_li,@function
_ZL32rocblas_gemvt_warp_reduce_kernelILb1ELi1024El16rocblas_bfloat16PKffEviiT3_lPKT2_lT1_lS6_lS7_lS3_lPT4_lS7_li: ; @_ZL32rocblas_gemvt_warp_reduce_kernelILb1ELi1024El16rocblas_bfloat16PKffEviiT3_lPKT2_lT1_lS6_lS7_lS3_lPT4_lS7_li
; %bb.0:
	s_load_b32 s30, s[0:1], 0x88
	s_bfe_u32 s2, ttmp6, 0x40014
	s_lshr_b32 s3, ttmp7, 16
	s_add_co_i32 s2, s2, 1
	s_bfe_u32 s5, ttmp6, 0x40008
	s_mul_i32 s4, s3, s2
	s_getreg_b32 s2, hwreg(HW_REG_IB_STS2, 6, 4)
	s_add_co_i32 s5, s5, s4
	s_cmp_eq_u32 s2, 0
	s_mov_b32 s7, 0
	s_cselect_b32 s6, s3, s5
	s_wait_kmcnt 0x0
	s_cmp_ge_u32 s6, s30
	s_cbranch_scc1 .LBB659_42
; %bb.1:
	s_clause 0x2
	s_load_b512 s[8:23], s[0:1], 0x8
	s_load_b512 s[36:51], s[0:1], 0x48
	s_load_b32 s28, s[0:1], 0x0
	s_wait_xcnt 0x0
	s_bfe_u32 s0, ttmp6, 0x4000c
	s_and_b32 s1, ttmp6, 15
	s_add_co_i32 s0, s0, 1
	v_mbcnt_lo_u32_b32 v16, -1, 0
	s_mul_i32 s0, ttmp9, s0
	s_delay_alu instid0(SALU_CYCLE_1)
	s_add_co_i32 s3, s1, s0
	s_wait_kmcnt 0x0
	s_lshl_b64 s[0:1], s[22:23], 1
	s_lshl_b64 s[4:5], s[46:47], 2
	s_lshl_b64 s[24:25], s[14:15], 1
	s_cmp_eq_u32 s2, 0
	v_cmp_gt_i32_e32 vcc_lo, s28, v0
	s_cselect_b32 s2, ttmp9, s3
	s_ashr_i32 s3, s28, 31
	s_add_nc_u64 s[22:23], s[12:13], s[24:25]
	s_lshr_b32 s3, s3, 22
	s_add_nc_u64 s[20:21], s[20:21], s[0:1]
	s_add_co_i32 s3, s28, s3
	v_cmp_eq_u32_e64 s0, 0, v0
	s_and_b32 s14, s3, 0xfffffc00
	s_delay_alu instid0(SALU_CYCLE_1) | instskip(SKIP_3) | instid1(VALU_DEP_3)
	v_dual_mov_b32 v3, 0 :: v_dual_bitop2_b32 v8, s14, v0 bitop3:0x54
	v_cndmask_b32_e32 v2, 0, v0, vcc_lo
	s_ashr_i32 s3, s2, 31
	v_cmp_gt_i32_e64 s1, s14, v0
	v_dual_mov_b32 v1, v3 :: v_dual_ashrrev_i32 v9, 31, v8
	s_delay_alu instid0(VALU_DEP_3) | instskip(SKIP_2) | instid1(VALU_DEP_2)
	v_lshlrev_b32_e32 v2, 1, v2
	s_mul_u64 s[26:27], s[48:49], s[2:3]
	s_ashr_i32 s15, s14, 31
	v_mul_u64_e32 v[10:11], s[36:37], v[0:1]
	v_mul_u64_e32 v[4:5], s[36:37], v[8:9]
	v_add_nc_u64_e32 v[6:7], s[22:23], v[2:3]
	s_add_nc_u64 s[22:23], s[44:45], s[4:5]
	s_mul_u64 s[4:5], s[16:17], s[2:3]
	v_and_b32_e32 v9, 31, v0
	s_lshl_b64 s[4:5], s[4:5], 1
	v_cmp_gt_i32_e64 s2, s28, v8
	v_lshrrev_b32_e32 v8, 3, v0
	s_add_nc_u64 s[16:17], s[4:5], s[24:25]
	v_add_nc_u64_e32 v[6:7], s[4:5], v[6:7]
	s_add_nc_u64 s[12:13], s[12:13], s[16:17]
	v_lshlrev_b32_e32 v1, 2, v9
	v_cmp_eq_u32_e64 s4, 0, v9
	v_and_b32_e32 v17, 0x7c, v8
	v_add_nc_u64_e32 v[8:9], s[12:13], v[2:3]
	v_cmp_gt_u32_e64 s3, 32, v0
	v_lshl_or_b32 v2, v16, 2, 64
	s_lshl_b64 s[12:13], s[18:19], 1
	s_lshl_b64 s[16:17], s[38:39], 1
	;; [unrolled: 1-line block ×4, first 2 shown]
	v_lshl_add_u64 v[10:11], v[10:11], 1, s[20:21]
	s_branch .LBB659_4
.LBB659_2:                              ;   in Loop: Header=BB659_4 Depth=1
	s_wait_xcnt 0x0
	s_or_b32 exec_lo, exec_lo, s5
.LBB659_3:                              ;   in Loop: Header=BB659_4 Depth=1
	s_add_co_i32 s6, s6, 0x10000
	s_delay_alu instid0(SALU_CYCLE_1)
	s_cmp_lt_u32 s6, s30
	s_cbranch_scc0 .LBB659_42
.LBB659_4:                              ; =>This Loop Header: Depth=1
                                        ;     Child Loop BB659_24 Depth 2
	s_mul_u64 s[28:29], s[10:11], s[6:7]
	s_wait_xcnt 0x0
	s_mul_u64 s[34:35], s[42:43], s[6:7]
	s_lshl_b64 s[28:29], s[28:29], 2
	s_lshl_b64 s[34:35], s[34:35], 2
	s_add_nc_u64 s[28:29], s[8:9], s[28:29]
	s_add_nc_u64 s[34:35], s[40:41], s[34:35]
	s_clause 0x1
	global_load_b32 v18, v3, s[28:29]
	global_load_b32 v12, v3, s[34:35]
	s_wait_loadcnt 0x1
	v_cmp_eq_f32_e32 vcc_lo, 0, v18
	s_wait_loadcnt 0x0
	v_cmp_eq_f32_e64 s5, 1.0, v12
	s_wait_xcnt 0x1
	s_and_b32 s28, vcc_lo, s5
	v_readfirstlane_b32 s5, v12
	s_and_b32 vcc_lo, exec_lo, s28
	s_cbranch_vccnz .LBB659_3
; %bb.5:                                ;   in Loop: Header=BB659_4 Depth=1
	v_cmp_neq_f32_e32 vcc_lo, 0, v18
	s_mul_u64 s[28:29], s[50:51], s[6:7]
	s_delay_alu instid0(SALU_CYCLE_1) | instskip(NEXT) | instid1(SALU_CYCLE_1)
	s_lshl_b64 s[28:29], s[28:29], 2
	s_add_nc_u64 s[28:29], s[22:23], s[28:29]
	s_cbranch_vccnz .LBB659_9
; %bb.6:                                ;   in Loop: Header=BB659_4 Depth=1
	s_mov_b32 s33, 0
	s_mov_b32 s31, 0
                                        ; implicit-def: $vgpr12
	s_wait_xcnt 0x0
	s_and_saveexec_b32 s34, s0
	s_cbranch_execz .LBB659_10
; %bb.7:                                ;   in Loop: Header=BB659_4 Depth=1
	s_cmp_eq_f32 s5, 0
	s_cbranch_scc1 .LBB659_11
; %bb.8:                                ;   in Loop: Header=BB659_4 Depth=1
	s_add_nc_u64 s[36:37], s[28:29], s[26:27]
	global_load_b32 v12, v3, s[36:37]
	s_wait_loadcnt 0x0
	v_mul_f32_e32 v12, s5, v12
	s_branch .LBB659_12
.LBB659_9:                              ;   in Loop: Header=BB659_4 Depth=1
	s_mov_b32 s31, 0
                                        ; implicit-def: $vgpr12
	s_cbranch_execnz .LBB659_13
	s_branch .LBB659_34
.LBB659_10:                             ;   in Loop: Header=BB659_4 Depth=1
	s_or_b32 exec_lo, exec_lo, s34
	s_delay_alu instid0(SALU_CYCLE_1)
	s_and_b32 vcc_lo, exec_lo, s33
	s_cbranch_vccnz .LBB659_13
	s_branch .LBB659_34
.LBB659_11:                             ;   in Loop: Header=BB659_4 Depth=1
	v_mov_b32_e32 v12, 0
.LBB659_12:                             ;   in Loop: Header=BB659_4 Depth=1
	s_mov_b32 s31, exec_lo
	s_wait_xcnt 0x0
	s_or_b32 exec_lo, exec_lo, s34
	s_delay_alu instid0(SALU_CYCLE_1)
	s_and_b32 vcc_lo, exec_lo, s33
	s_cbranch_vccz .LBB659_34
.LBB659_13:                             ;   in Loop: Header=BB659_4 Depth=1
	s_wait_dscnt 0x0
	v_mov_b32_e32 v19, 0
	s_wait_xcnt 0x0
	s_and_saveexec_b32 s33, s1
	s_cbranch_execnz .LBB659_22
; %bb.14:                               ;   in Loop: Header=BB659_4 Depth=1
	s_or_b32 exec_lo, exec_lo, s33
	s_and_saveexec_b32 s33, s2
	s_cbranch_execnz .LBB659_37
.LBB659_15:                             ;   in Loop: Header=BB659_4 Depth=1
	s_or_b32 exec_lo, exec_lo, s33
	s_and_saveexec_b32 s33, s3
.LBB659_16:                             ;   in Loop: Header=BB659_4 Depth=1
	ds_store_b32 v1, v3
.LBB659_17:                             ;   in Loop: Header=BB659_4 Depth=1
	s_or_b32 exec_lo, exec_lo, s33
	ds_bpermute_b32 v13, v2, v19
	v_cmp_gt_u32_e32 vcc_lo, 24, v16
	s_wait_dscnt 0x0
	s_barrier_signal -1
	s_barrier_wait -1
	v_cndmask_b32_e64 v12, 0, 8, vcc_lo
	v_cmp_gt_u32_e32 vcc_lo, 28, v16
	s_delay_alu instid0(VALU_DEP_2)
	v_add_lshl_u32 v12, v12, v16, 2
	v_add_f32_e32 v14, v19, v13
	v_cndmask_b32_e64 v13, 0, 4, vcc_lo
	v_cmp_gt_u32_e32 vcc_lo, 30, v16
	ds_bpermute_b32 v15, v12, v14
	v_add_lshl_u32 v13, v13, v16, 2
	s_wait_dscnt 0x0
	v_add_f32_e32 v15, v14, v15
	v_cndmask_b32_e64 v14, 0, 2, vcc_lo
	v_cmp_ne_u32_e32 vcc_lo, 31, v16
	ds_bpermute_b32 v19, v13, v15
	v_add_lshl_u32 v14, v14, v16, 2
	v_add_co_ci_u32_e64 v20, null, 0, v16, vcc_lo
	s_wait_dscnt 0x0
	v_add_f32_e32 v15, v15, v19
	ds_bpermute_b32 v19, v14, v15
	s_wait_dscnt 0x0
	v_dual_add_f32 v19, v15, v19 :: v_dual_lshlrev_b32 v15, 2, v20
	ds_bpermute_b32 v20, v15, v19
	s_and_saveexec_b32 s33, s4
	s_cbranch_execz .LBB659_19
; %bb.18:                               ;   in Loop: Header=BB659_4 Depth=1
	s_wait_dscnt 0x0
	v_add_f32_e32 v19, v19, v20
	ds_store_b32 v17, v19
.LBB659_19:                             ;   in Loop: Header=BB659_4 Depth=1
	s_or_b32 exec_lo, exec_lo, s33
	v_mov_b32_e32 v19, 0
	s_wait_dscnt 0x0
	s_barrier_signal -1
	s_barrier_wait -1
	s_and_saveexec_b32 s33, s3
	s_cbranch_execnz .LBB659_28
; %bb.20:                               ;   in Loop: Header=BB659_4 Depth=1
	s_or_b32 exec_lo, exec_lo, s33
	s_and_saveexec_b32 s33, s3
	s_cbranch_execnz .LBB659_29
.LBB659_21:                             ;   in Loop: Header=BB659_4 Depth=1
	s_or_b32 exec_lo, exec_lo, s33
                                        ; implicit-def: $vgpr12
	s_and_saveexec_b32 s33, s0
	s_cbranch_execnz .LBB659_30
	s_branch .LBB659_33
.LBB659_22:                             ;   in Loop: Header=BB659_4 Depth=1
	v_mad_nc_u64_u32 v[12:13], s12, s6, v[8:9]
	v_mad_nc_u64_u32 v[14:15], s16, s6, v[10:11]
	v_dual_mov_b32 v19, 0 :: v_dual_mov_b32 v20, v0
	s_mov_b32 s34, 0
	s_delay_alu instid0(VALU_DEP_3) | instskip(NEXT) | instid1(VALU_DEP_3)
	v_mad_u32 v13, s13, s6, v13
	v_mad_u32 v15, s17, s6, v15
	s_branch .LBB659_24
.LBB659_23:                             ;   in Loop: Header=BB659_24 Depth=2
	s_or_b32 exec_lo, exec_lo, s35
	s_delay_alu instid0(VALU_DEP_1) | instskip(SKIP_3) | instid1(VALU_DEP_4)
	v_and_b32_e32 v21, 0xffff0000, v22
	v_add_nc_u32_e32 v20, 0x400, v20
	v_add_nc_u64_e32 v[12:13], 0x800, v[12:13]
	v_add_nc_u64_e32 v[14:15], s[24:25], v[14:15]
	v_add_f32_e32 v19, v19, v21
	s_delay_alu instid0(VALU_DEP_4) | instskip(SKIP_1) | instid1(SALU_CYCLE_1)
	v_cmp_le_i32_e32 vcc_lo, s14, v20
	s_or_b32 s34, vcc_lo, s34
	s_and_not1_b32 exec_lo, exec_lo, s34
	s_cbranch_execz .LBB659_36
.LBB659_24:                             ;   Parent Loop BB659_4 Depth=1
                                        ; =>  This Inner Loop Header: Depth=2
	global_load_u16 v21, v[12:13], off
	global_load_u16 v22, v[14:15], off
	s_wait_loadcnt 0x0
	v_dual_lshlrev_b32 v21, 16, v21 :: v_dual_lshlrev_b32 v22, 16, v22
	s_delay_alu instid0(VALU_DEP_1) | instskip(NEXT) | instid1(VALU_DEP_1)
	v_mul_f32_e32 v21, v22, v21
	v_and_b32_e32 v22, 0x7f800000, v21
	s_delay_alu instid0(VALU_DEP_1) | instskip(SKIP_2) | instid1(SALU_CYCLE_1)
	v_cmp_ne_u32_e32 vcc_lo, 0x7f800000, v22
                                        ; implicit-def: $vgpr22
	s_wait_xcnt 0x0
	s_and_saveexec_b32 s35, vcc_lo
	s_xor_b32 s35, exec_lo, s35
; %bb.25:                               ;   in Loop: Header=BB659_24 Depth=2
	v_bfe_u32 v22, v21, 16, 1
	s_delay_alu instid0(VALU_DEP_1)
	v_add3_u32 v22, v21, v22, 0x7fff
                                        ; implicit-def: $vgpr21
; %bb.26:                               ;   in Loop: Header=BB659_24 Depth=2
	s_and_not1_saveexec_b32 s35, s35
	s_cbranch_execz .LBB659_23
; %bb.27:                               ;   in Loop: Header=BB659_24 Depth=2
	v_and_b32_e32 v22, 0xffff, v21
	v_or_b32_e32 v23, 0x10000, v21
	s_delay_alu instid0(VALU_DEP_2) | instskip(NEXT) | instid1(VALU_DEP_2)
	v_cmp_eq_u32_e32 vcc_lo, 0, v22
	v_cndmask_b32_e32 v22, v23, v21, vcc_lo
	s_branch .LBB659_23
.LBB659_28:                             ;   in Loop: Header=BB659_4 Depth=1
	ds_load_b32 v19, v1
	s_or_b32 exec_lo, exec_lo, s33
	s_and_saveexec_b32 s33, s3
	s_cbranch_execz .LBB659_21
.LBB659_29:                             ;   in Loop: Header=BB659_4 Depth=1
	s_wait_dscnt 0x0
	ds_bpermute_b32 v20, v2, v19
	s_wait_dscnt 0x0
	v_add_f32_e32 v19, v19, v20
	ds_bpermute_b32 v12, v12, v19
	s_wait_dscnt 0x0
	v_add_f32_e32 v12, v19, v12
	;; [unrolled: 3-line block ×5, first 2 shown]
	s_or_b32 exec_lo, exec_lo, s33
                                        ; implicit-def: $vgpr12
	s_and_saveexec_b32 s33, s0
	s_cbranch_execz .LBB659_33
.LBB659_30:                             ;   in Loop: Header=BB659_4 Depth=1
	s_wait_dscnt 0x0
	v_mul_f32_e32 v12, v18, v19
	s_cmp_eq_f32 s5, 0
	s_cbranch_scc1 .LBB659_32
; %bb.31:                               ;   in Loop: Header=BB659_4 Depth=1
	s_add_nc_u64 s[34:35], s[28:29], s[26:27]
	global_load_b32 v13, v3, s[34:35]
	s_wait_loadcnt 0x0
	v_fmac_f32_e32 v12, s5, v13
.LBB659_32:                             ;   in Loop: Header=BB659_4 Depth=1
	s_or_b32 s31, s31, exec_lo
.LBB659_33:                             ;   in Loop: Header=BB659_4 Depth=1
	s_wait_xcnt 0x0
	s_or_b32 exec_lo, exec_lo, s33
.LBB659_34:                             ;   in Loop: Header=BB659_4 Depth=1
	s_wait_xcnt 0x0
	s_and_saveexec_b32 s5, s31
	s_cbranch_execz .LBB659_2
; %bb.35:                               ;   in Loop: Header=BB659_4 Depth=1
	s_add_nc_u64 s[28:29], s[28:29], s[26:27]
	global_store_b32 v3, v12, s[28:29]
	s_branch .LBB659_2
.LBB659_36:                             ;   in Loop: Header=BB659_4 Depth=1
	s_or_b32 exec_lo, exec_lo, s34
	s_delay_alu instid0(SALU_CYCLE_1)
	s_or_b32 exec_lo, exec_lo, s33
	s_and_saveexec_b32 s33, s2
	s_cbranch_execz .LBB659_15
.LBB659_37:                             ;   in Loop: Header=BB659_4 Depth=1
	s_mul_u64 s[34:35], s[18:19], s[6:7]
	s_mul_u64 s[36:37], s[38:39], s[6:7]
	v_lshl_add_u64 v[12:13], s[34:35], 1, v[6:7]
	s_lshl_b64 s[34:35], s[36:37], 1
	s_delay_alu instid0(SALU_CYCLE_1) | instskip(NEXT) | instid1(SALU_CYCLE_1)
	s_add_nc_u64 s[34:35], s[20:21], s[34:35]
	v_lshl_add_u64 v[14:15], v[4:5], 1, s[34:35]
	s_delay_alu instid0(VALU_DEP_2)
	v_lshl_add_u64 v[12:13], s[14:15], 1, v[12:13]
	global_load_u16 v20, v[12:13], off
	global_load_u16 v21, v[14:15], off
	s_wait_loadcnt 0x0
	s_wait_xcnt 0x1
	v_dual_lshlrev_b32 v12, 16, v20 :: v_dual_lshlrev_b32 v13, 16, v21
	s_delay_alu instid0(VALU_DEP_1) | instskip(NEXT) | instid1(VALU_DEP_1)
	v_mul_f32_e32 v12, v13, v12
	v_and_b32_e32 v13, 0x7f800000, v12
	s_delay_alu instid0(VALU_DEP_1) | instskip(SKIP_2) | instid1(SALU_CYCLE_1)
	v_cmp_ne_u32_e32 vcc_lo, 0x7f800000, v13
                                        ; implicit-def: $vgpr13
	s_wait_xcnt 0x0
	s_and_saveexec_b32 s34, vcc_lo
	s_xor_b32 s34, exec_lo, s34
; %bb.38:                               ;   in Loop: Header=BB659_4 Depth=1
	v_bfe_u32 v13, v12, 16, 1
	s_delay_alu instid0(VALU_DEP_1)
	v_add3_u32 v13, v12, v13, 0x7fff
                                        ; implicit-def: $vgpr12
; %bb.39:                               ;   in Loop: Header=BB659_4 Depth=1
	s_and_not1_saveexec_b32 s34, s34
; %bb.40:                               ;   in Loop: Header=BB659_4 Depth=1
	v_and_b32_e32 v13, 0xffff, v12
	v_or_b32_e32 v14, 0x10000, v12
	s_delay_alu instid0(VALU_DEP_2) | instskip(NEXT) | instid1(VALU_DEP_2)
	v_cmp_eq_u32_e32 vcc_lo, 0, v13
	v_cndmask_b32_e32 v13, v14, v12, vcc_lo
; %bb.41:                               ;   in Loop: Header=BB659_4 Depth=1
	s_or_b32 exec_lo, exec_lo, s34
	s_delay_alu instid0(VALU_DEP_1) | instskip(NEXT) | instid1(VALU_DEP_1)
	v_and_b32_e32 v12, 0xffff0000, v13
	v_add_f32_e32 v19, v19, v12
	s_or_b32 exec_lo, exec_lo, s33
	s_and_saveexec_b32 s33, s3
	s_cbranch_execnz .LBB659_16
	s_branch .LBB659_17
.LBB659_42:
	s_endpgm
	.section	.rodata,"a",@progbits
	.p2align	6, 0x0
	.amdhsa_kernel _ZL32rocblas_gemvt_warp_reduce_kernelILb1ELi1024El16rocblas_bfloat16PKffEviiT3_lPKT2_lT1_lS6_lS7_lS3_lPT4_lS7_li
		.amdhsa_group_segment_fixed_size 128
		.amdhsa_private_segment_fixed_size 0
		.amdhsa_kernarg_size 140
		.amdhsa_user_sgpr_count 2
		.amdhsa_user_sgpr_dispatch_ptr 0
		.amdhsa_user_sgpr_queue_ptr 0
		.amdhsa_user_sgpr_kernarg_segment_ptr 1
		.amdhsa_user_sgpr_dispatch_id 0
		.amdhsa_user_sgpr_kernarg_preload_length 0
		.amdhsa_user_sgpr_kernarg_preload_offset 0
		.amdhsa_user_sgpr_private_segment_size 0
		.amdhsa_wavefront_size32 1
		.amdhsa_uses_dynamic_stack 0
		.amdhsa_enable_private_segment 0
		.amdhsa_system_sgpr_workgroup_id_x 1
		.amdhsa_system_sgpr_workgroup_id_y 0
		.amdhsa_system_sgpr_workgroup_id_z 1
		.amdhsa_system_sgpr_workgroup_info 0
		.amdhsa_system_vgpr_workitem_id 0
		.amdhsa_next_free_vgpr 24
		.amdhsa_next_free_sgpr 52
		.amdhsa_named_barrier_count 0
		.amdhsa_reserve_vcc 1
		.amdhsa_float_round_mode_32 0
		.amdhsa_float_round_mode_16_64 0
		.amdhsa_float_denorm_mode_32 3
		.amdhsa_float_denorm_mode_16_64 3
		.amdhsa_fp16_overflow 0
		.amdhsa_memory_ordered 1
		.amdhsa_forward_progress 1
		.amdhsa_inst_pref_size 13
		.amdhsa_round_robin_scheduling 0
		.amdhsa_exception_fp_ieee_invalid_op 0
		.amdhsa_exception_fp_denorm_src 0
		.amdhsa_exception_fp_ieee_div_zero 0
		.amdhsa_exception_fp_ieee_overflow 0
		.amdhsa_exception_fp_ieee_underflow 0
		.amdhsa_exception_fp_ieee_inexact 0
		.amdhsa_exception_int_div_zero 0
	.end_amdhsa_kernel
	.section	.text._ZL32rocblas_gemvt_warp_reduce_kernelILb1ELi1024El16rocblas_bfloat16PKffEviiT3_lPKT2_lT1_lS6_lS7_lS3_lPT4_lS7_li,"axG",@progbits,_ZL32rocblas_gemvt_warp_reduce_kernelILb1ELi1024El16rocblas_bfloat16PKffEviiT3_lPKT2_lT1_lS6_lS7_lS3_lPT4_lS7_li,comdat
.Lfunc_end659:
	.size	_ZL32rocblas_gemvt_warp_reduce_kernelILb1ELi1024El16rocblas_bfloat16PKffEviiT3_lPKT2_lT1_lS6_lS7_lS3_lPT4_lS7_li, .Lfunc_end659-_ZL32rocblas_gemvt_warp_reduce_kernelILb1ELi1024El16rocblas_bfloat16PKffEviiT3_lPKT2_lT1_lS6_lS7_lS3_lPT4_lS7_li
                                        ; -- End function
	.set _ZL32rocblas_gemvt_warp_reduce_kernelILb1ELi1024El16rocblas_bfloat16PKffEviiT3_lPKT2_lT1_lS6_lS7_lS3_lPT4_lS7_li.num_vgpr, 24
	.set _ZL32rocblas_gemvt_warp_reduce_kernelILb1ELi1024El16rocblas_bfloat16PKffEviiT3_lPKT2_lT1_lS6_lS7_lS3_lPT4_lS7_li.num_agpr, 0
	.set _ZL32rocblas_gemvt_warp_reduce_kernelILb1ELi1024El16rocblas_bfloat16PKffEviiT3_lPKT2_lT1_lS6_lS7_lS3_lPT4_lS7_li.numbered_sgpr, 52
	.set _ZL32rocblas_gemvt_warp_reduce_kernelILb1ELi1024El16rocblas_bfloat16PKffEviiT3_lPKT2_lT1_lS6_lS7_lS3_lPT4_lS7_li.num_named_barrier, 0
	.set _ZL32rocblas_gemvt_warp_reduce_kernelILb1ELi1024El16rocblas_bfloat16PKffEviiT3_lPKT2_lT1_lS6_lS7_lS3_lPT4_lS7_li.private_seg_size, 0
	.set _ZL32rocblas_gemvt_warp_reduce_kernelILb1ELi1024El16rocblas_bfloat16PKffEviiT3_lPKT2_lT1_lS6_lS7_lS3_lPT4_lS7_li.uses_vcc, 1
	.set _ZL32rocblas_gemvt_warp_reduce_kernelILb1ELi1024El16rocblas_bfloat16PKffEviiT3_lPKT2_lT1_lS6_lS7_lS3_lPT4_lS7_li.uses_flat_scratch, 0
	.set _ZL32rocblas_gemvt_warp_reduce_kernelILb1ELi1024El16rocblas_bfloat16PKffEviiT3_lPKT2_lT1_lS6_lS7_lS3_lPT4_lS7_li.has_dyn_sized_stack, 0
	.set _ZL32rocblas_gemvt_warp_reduce_kernelILb1ELi1024El16rocblas_bfloat16PKffEviiT3_lPKT2_lT1_lS6_lS7_lS3_lPT4_lS7_li.has_recursion, 0
	.set _ZL32rocblas_gemvt_warp_reduce_kernelILb1ELi1024El16rocblas_bfloat16PKffEviiT3_lPKT2_lT1_lS6_lS7_lS3_lPT4_lS7_li.has_indirect_call, 0
	.section	.AMDGPU.csdata,"",@progbits
; Kernel info:
; codeLenInByte = 1644
; TotalNumSgprs: 54
; NumVgprs: 24
; ScratchSize: 0
; MemoryBound: 0
; FloatMode: 240
; IeeeMode: 1
; LDSByteSize: 128 bytes/workgroup (compile time only)
; SGPRBlocks: 0
; VGPRBlocks: 1
; NumSGPRsForWavesPerEU: 54
; NumVGPRsForWavesPerEU: 24
; NamedBarCnt: 0
; Occupancy: 16
; WaveLimiterHint : 0
; COMPUTE_PGM_RSRC2:SCRATCH_EN: 0
; COMPUTE_PGM_RSRC2:USER_SGPR: 2
; COMPUTE_PGM_RSRC2:TRAP_HANDLER: 0
; COMPUTE_PGM_RSRC2:TGID_X_EN: 1
; COMPUTE_PGM_RSRC2:TGID_Y_EN: 0
; COMPUTE_PGM_RSRC2:TGID_Z_EN: 1
; COMPUTE_PGM_RSRC2:TIDIG_COMP_CNT: 0
	.section	.text._ZL32rocblas_gemvt_warp_reduce_kernelILb1ELi1024Ei16rocblas_bfloat16ffEviiT3_lPKT2_lT1_lS4_lS5_lS1_lPT4_lS5_li,"axG",@progbits,_ZL32rocblas_gemvt_warp_reduce_kernelILb1ELi1024Ei16rocblas_bfloat16ffEviiT3_lPKT2_lT1_lS4_lS5_lS1_lPT4_lS5_li,comdat
	.globl	_ZL32rocblas_gemvt_warp_reduce_kernelILb1ELi1024Ei16rocblas_bfloat16ffEviiT3_lPKT2_lT1_lS4_lS5_lS1_lPT4_lS5_li ; -- Begin function _ZL32rocblas_gemvt_warp_reduce_kernelILb1ELi1024Ei16rocblas_bfloat16ffEviiT3_lPKT2_lT1_lS4_lS5_lS1_lPT4_lS5_li
	.p2align	8
	.type	_ZL32rocblas_gemvt_warp_reduce_kernelILb1ELi1024Ei16rocblas_bfloat16ffEviiT3_lPKT2_lT1_lS4_lS5_lS1_lPT4_lS5_li,@function
_ZL32rocblas_gemvt_warp_reduce_kernelILb1ELi1024Ei16rocblas_bfloat16ffEviiT3_lPKT2_lT1_lS4_lS5_lS1_lPT4_lS5_li: ; @_ZL32rocblas_gemvt_warp_reduce_kernelILb1ELi1024Ei16rocblas_bfloat16ffEviiT3_lPKT2_lT1_lS4_lS5_lS1_lPT4_lS5_li
; %bb.0:
	s_load_b32 s19, s[0:1], 0x88
	s_bfe_u32 s2, ttmp6, 0x40014
	s_lshr_b32 s4, ttmp7, 16
	s_add_co_i32 s2, s2, 1
	s_bfe_u32 s5, ttmp6, 0x40008
	s_mul_i32 s2, s4, s2
	s_getreg_b32 s3, hwreg(HW_REG_IB_STS2, 6, 4)
	s_add_co_i32 s5, s5, s2
	s_cmp_eq_u32 s3, 0
	s_mov_b32 s25, 0
	s_cselect_b32 s24, s4, s5
	s_wait_kmcnt 0x0
	s_cmp_ge_u32 s24, s19
	s_cbranch_scc1 .LBB660_42
; %bb.1:
	s_clause 0x7
	s_load_b96 s[20:22], s[0:1], 0x40
	s_load_b128 s[12:15], s[0:1], 0x68
	s_load_b128 s[4:7], s[0:1], 0x18
	s_load_b32 s30, s[0:1], 0x8
	s_load_b96 s[16:18], s[0:1], 0x50
	s_load_b128 s[8:11], s[0:1], 0x30
	s_load_b32 s23, s[0:1], 0x0
	s_load_b32 s28, s[0:1], 0x28
	v_dual_mov_b32 v3, 0 :: v_dual_bitop2_b32 v2, 31, v0 bitop3:0x40
	v_lshrrev_b32_e32 v4, 3, v0
	v_mbcnt_lo_u32_b32 v1, -1, 0
	s_delay_alu instid0(VALU_DEP_3) | instskip(SKIP_1) | instid1(VALU_DEP_4)
	v_lshlrev_b32_e32 v12, 2, v2
	v_cmp_eq_u32_e64 s2, 0, v2
	v_and_b32_e32 v13, 0x7c, v4
	s_wait_kmcnt 0x0
	s_lshl_b64 s[26:27], s[20:21], 1
	s_lshl_b64 s[14:15], s[14:15], 2
	;; [unrolled: 1-line block ×3, first 2 shown]
	s_cmp_eq_f32 s30, 0
	s_add_nc_u64 s[12:13], s[12:13], s[14:15]
	s_clause 0x1
	s_load_b32 s29, s[0:1], 0x78
	s_load_b64 s[6:7], s[0:1], 0x80
	v_cmp_gt_i32_e32 vcc_lo, s23, v0
	s_cselect_b32 s31, -1, 0
	s_cmp_neq_f32 s30, 0
	s_add_nc_u64 s[10:11], s[10:11], s[26:27]
	s_add_nc_u64 s[26:27], s[4:5], s[20:21]
	v_mul_lo_u32 v14, v0, s22
	s_cselect_b32 s33, -1, 0
	s_cmp_neq_f32 s18, 1.0
	s_wait_xcnt 0x0
	v_cmp_eq_u32_e64 s0, 0, v0
	v_cmp_gt_u32_e64 s1, 32, v0
	s_cselect_b32 s34, -1, 0
	s_delay_alu instid0(SALU_CYCLE_1)
	s_or_b32 s33, s33, s34
	s_cmp_neq_f32 s18, 0
	s_cselect_b32 s34, -1, 0
	s_bfe_u32 s35, ttmp6, 0x4000c
	s_and_b32 s36, ttmp6, 15
	s_add_co_i32 s35, s35, 1
	s_delay_alu instid0(SALU_CYCLE_1) | instskip(NEXT) | instid1(SALU_CYCLE_1)
	s_mul_i32 s35, ttmp9, s35
	s_add_co_i32 s36, s36, s35
	s_cmp_eq_u32 s3, 0
	s_cselect_b32 s3, ttmp9, s36
	s_ashr_i32 s14, s23, 31
	s_delay_alu instid0(SALU_CYCLE_1) | instskip(NEXT) | instid1(SALU_CYCLE_1)
	s_lshr_b32 s14, s14, 22
	s_add_co_i32 s14, s23, s14
	s_delay_alu instid0(SALU_CYCLE_1) | instskip(NEXT) | instid1(SALU_CYCLE_1)
	s_and_b32 s14, s14, 0xfffffc00
	v_dual_cndmask_b32 v2, 0, v0, vcc_lo :: v_dual_bitop2_b32 v5, s14, v0 bitop3:0x54
	s_ashr_i32 s15, s14, 31
	s_delay_alu instid0(VALU_DEP_1) | instskip(NEXT) | instid1(VALU_DEP_2)
	v_mul_lo_u32 v4, s22, v5
	v_lshlrev_b32_e32 v2, 1, v2
	s_delay_alu instid0(VALU_DEP_1)
	v_add_nc_u64_e32 v[6:7], s[26:27], v[2:3]
	s_mul_i32 s26, s28, s3
	s_wait_kmcnt 0x0
	s_mul_i32 s28, s29, s3
	s_ashr_i32 s27, s26, 31
	v_cmp_gt_i32_e64 s3, s14, v0
	s_lshl_b64 s[26:27], s[26:27], 1
	s_ashr_i32 s29, s28, 31
	s_add_nc_u64 s[20:21], s[20:21], s[26:27]
	v_add_nc_u64_e32 v[6:7], s[26:27], v[6:7]
	s_add_nc_u64 s[4:5], s[4:5], s[20:21]
	s_lshl_b64 s[20:21], s[8:9], 1
	v_add_nc_u64_e32 v[8:9], s[4:5], v[2:3]
	v_cmp_gt_i32_e64 s4, s23, v5
	v_ashrrev_i32_e32 v5, 31, v4
	v_lshl_or_b32 v2, v1, 2, 64
	s_lshl_b32 s5, s22, 10
	s_lshl_b64 s[22:23], s[28:29], 2
	s_branch .LBB660_4
.LBB660_2:                              ;   in Loop: Header=BB660_4 Depth=1
	s_wait_xcnt 0x0
	s_or_b32 exec_lo, exec_lo, s28
.LBB660_3:                              ;   in Loop: Header=BB660_4 Depth=1
	s_add_co_i32 s24, s24, 0x10000
	s_delay_alu instid0(SALU_CYCLE_1)
	s_cmp_lt_u32 s24, s19
	s_cbranch_scc0 .LBB660_42
.LBB660_4:                              ; =>This Loop Header: Depth=1
                                        ;     Child Loop BB660_24 Depth 2
	s_and_not1_b32 vcc_lo, exec_lo, s33
	s_cbranch_vccnz .LBB660_3
; %bb.5:                                ;   in Loop: Header=BB660_4 Depth=1
	s_mul_u64 s[26:27], s[6:7], s[24:25]
	s_and_not1_b32 vcc_lo, exec_lo, s31
	s_lshl_b64 s[26:27], s[26:27], 2
	s_delay_alu instid0(SALU_CYCLE_1)
	s_add_nc_u64 s[26:27], s[12:13], s[26:27]
	s_cbranch_vccnz .LBB660_9
; %bb.6:                                ;   in Loop: Header=BB660_4 Depth=1
	s_mov_b32 s28, 0
	s_mov_b32 s35, 0
                                        ; implicit-def: $vgpr10
	s_and_saveexec_b32 s29, s0
	s_cbranch_execz .LBB660_10
; %bb.7:                                ;   in Loop: Header=BB660_4 Depth=1
	s_and_not1_b32 vcc_lo, exec_lo, s34
	s_cbranch_vccnz .LBB660_11
; %bb.8:                                ;   in Loop: Header=BB660_4 Depth=1
	s_add_nc_u64 s[36:37], s[26:27], s[22:23]
	global_load_b32 v10, v3, s[36:37]
	s_wait_loadcnt 0x0
	v_mul_f32_e32 v10, s18, v10
	s_branch .LBB660_12
.LBB660_9:                              ;   in Loop: Header=BB660_4 Depth=1
	s_mov_b32 s35, 0
                                        ; implicit-def: $vgpr10
	s_cbranch_execnz .LBB660_13
	s_branch .LBB660_34
.LBB660_10:                             ;   in Loop: Header=BB660_4 Depth=1
	s_or_b32 exec_lo, exec_lo, s29
	s_delay_alu instid0(SALU_CYCLE_1)
	s_and_b32 vcc_lo, exec_lo, s28
	s_cbranch_vccnz .LBB660_13
	s_branch .LBB660_34
.LBB660_11:                             ;   in Loop: Header=BB660_4 Depth=1
	v_mov_b32_e32 v10, 0
.LBB660_12:                             ;   in Loop: Header=BB660_4 Depth=1
	s_mov_b32 s35, exec_lo
	s_wait_xcnt 0x0
	s_or_b32 exec_lo, exec_lo, s29
	s_delay_alu instid0(SALU_CYCLE_1)
	s_and_b32 vcc_lo, exec_lo, s28
	s_cbranch_vccz .LBB660_34
.LBB660_13:                             ;   in Loop: Header=BB660_4 Depth=1
	s_mul_u64 s[28:29], s[16:17], s[24:25]
	v_mov_b32_e32 v15, 0
	s_lshl_b64 s[28:29], s[28:29], 1
	s_delay_alu instid0(SALU_CYCLE_1)
	s_add_nc_u64 s[28:29], s[10:11], s[28:29]
	s_and_saveexec_b32 s36, s3
	s_cbranch_execnz .LBB660_22
; %bb.14:                               ;   in Loop: Header=BB660_4 Depth=1
	s_or_b32 exec_lo, exec_lo, s36
	s_and_saveexec_b32 s36, s4
	s_cbranch_execnz .LBB660_37
.LBB660_15:                             ;   in Loop: Header=BB660_4 Depth=1
	s_or_b32 exec_lo, exec_lo, s36
	s_and_saveexec_b32 s28, s1
.LBB660_16:                             ;   in Loop: Header=BB660_4 Depth=1
	ds_store_b32 v12, v3
.LBB660_17:                             ;   in Loop: Header=BB660_4 Depth=1
	s_or_b32 exec_lo, exec_lo, s28
	ds_bpermute_b32 v11, v2, v15
	v_cmp_gt_u32_e32 vcc_lo, 24, v1
	s_wait_dscnt 0x0
	s_barrier_signal -1
	s_barrier_wait -1
	v_cndmask_b32_e64 v10, 0, 8, vcc_lo
	v_cmp_gt_u32_e32 vcc_lo, 28, v1
	s_delay_alu instid0(VALU_DEP_2)
	v_add_lshl_u32 v10, v10, v1, 2
	v_add_f32_e32 v15, v15, v11
	v_cndmask_b32_e64 v11, 0, 4, vcc_lo
	v_cmp_gt_u32_e32 vcc_lo, 30, v1
	ds_bpermute_b32 v16, v10, v15
	v_add_lshl_u32 v11, v11, v1, 2
	s_wait_dscnt 0x0
	v_add_f32_e32 v16, v15, v16
	v_cndmask_b32_e64 v15, 0, 2, vcc_lo
	v_cmp_ne_u32_e32 vcc_lo, 31, v1
	ds_bpermute_b32 v17, v11, v16
	v_add_lshl_u32 v15, v15, v1, 2
	v_add_co_ci_u32_e64 v18, null, 0, v1, vcc_lo
	s_wait_dscnt 0x0
	v_add_f32_e32 v16, v16, v17
	ds_bpermute_b32 v17, v15, v16
	s_wait_dscnt 0x0
	v_dual_add_f32 v17, v16, v17 :: v_dual_lshlrev_b32 v16, 2, v18
	ds_bpermute_b32 v18, v16, v17
	s_and_saveexec_b32 s28, s2
	s_cbranch_execz .LBB660_19
; %bb.18:                               ;   in Loop: Header=BB660_4 Depth=1
	s_wait_dscnt 0x0
	v_add_f32_e32 v17, v17, v18
	ds_store_b32 v13, v17
.LBB660_19:                             ;   in Loop: Header=BB660_4 Depth=1
	s_or_b32 exec_lo, exec_lo, s28
	v_mov_b32_e32 v17, 0
	s_wait_dscnt 0x0
	s_barrier_signal -1
	s_barrier_wait -1
	s_and_saveexec_b32 s28, s1
	s_cbranch_execnz .LBB660_28
; %bb.20:                               ;   in Loop: Header=BB660_4 Depth=1
	s_or_b32 exec_lo, exec_lo, s28
	s_and_saveexec_b32 s28, s1
	s_cbranch_execnz .LBB660_29
.LBB660_21:                             ;   in Loop: Header=BB660_4 Depth=1
	s_or_b32 exec_lo, exec_lo, s28
                                        ; implicit-def: $vgpr10
	s_and_saveexec_b32 s28, s0
	s_cbranch_execnz .LBB660_30
	s_branch .LBB660_33
.LBB660_22:                             ;   in Loop: Header=BB660_4 Depth=1
	v_mad_nc_u64_u32 v[10:11], s20, s24, v[8:9]
	v_dual_mov_b32 v15, 0 :: v_dual_mov_b32 v16, v0
	s_wait_dscnt 0x0
	v_mov_b32_e32 v17, v14
	s_mov_b32 s37, 0
	s_delay_alu instid0(VALU_DEP_3)
	v_mad_u32 v11, s21, s24, v11
	s_branch .LBB660_24
.LBB660_23:                             ;   in Loop: Header=BB660_24 Depth=2
	s_or_b32 exec_lo, exec_lo, s38
	s_delay_alu instid0(VALU_DEP_1) | instskip(SKIP_2) | instid1(VALU_DEP_3)
	v_and_b32_e32 v18, 0xffff0000, v18
	v_add_nc_u32_e32 v16, 0x400, v16
	v_add_nc_u64_e32 v[10:11], 0x800, v[10:11]
	v_dual_add_nc_u32 v17, s5, v17 :: v_dual_add_f32 v15, v15, v18
	s_delay_alu instid0(VALU_DEP_3) | instskip(SKIP_1) | instid1(SALU_CYCLE_1)
	v_cmp_le_i32_e32 vcc_lo, s14, v16
	s_or_b32 s37, vcc_lo, s37
	s_and_not1_b32 exec_lo, exec_lo, s37
	s_cbranch_execz .LBB660_36
.LBB660_24:                             ;   Parent Loop BB660_4 Depth=1
                                        ; =>  This Inner Loop Header: Depth=2
	global_load_u16 v18, v[10:11], off
	global_load_u16 v19, v17, s[28:29] scale_offset
	s_wait_loadcnt 0x0
	v_dual_lshlrev_b32 v18, 16, v18 :: v_dual_lshlrev_b32 v19, 16, v19
	s_delay_alu instid0(VALU_DEP_1) | instskip(NEXT) | instid1(VALU_DEP_1)
	v_mul_f32_e32 v19, v19, v18
	v_and_b32_e32 v18, 0x7f800000, v19
	s_delay_alu instid0(VALU_DEP_1) | instskip(SKIP_2) | instid1(SALU_CYCLE_1)
	v_cmp_ne_u32_e32 vcc_lo, 0x7f800000, v18
                                        ; implicit-def: $vgpr18
	s_wait_xcnt 0x0
	s_and_saveexec_b32 s38, vcc_lo
	s_xor_b32 s38, exec_lo, s38
; %bb.25:                               ;   in Loop: Header=BB660_24 Depth=2
	v_bfe_u32 v18, v19, 16, 1
	s_delay_alu instid0(VALU_DEP_1)
	v_add3_u32 v18, v19, v18, 0x7fff
                                        ; implicit-def: $vgpr19
; %bb.26:                               ;   in Loop: Header=BB660_24 Depth=2
	s_and_not1_saveexec_b32 s38, s38
	s_cbranch_execz .LBB660_23
; %bb.27:                               ;   in Loop: Header=BB660_24 Depth=2
	v_and_b32_e32 v18, 0xffff, v19
	v_or_b32_e32 v20, 0x10000, v19
	s_delay_alu instid0(VALU_DEP_2) | instskip(NEXT) | instid1(VALU_DEP_2)
	v_cmp_eq_u32_e32 vcc_lo, 0, v18
	v_cndmask_b32_e32 v18, v20, v19, vcc_lo
	s_branch .LBB660_23
.LBB660_28:                             ;   in Loop: Header=BB660_4 Depth=1
	ds_load_b32 v17, v12
	s_or_b32 exec_lo, exec_lo, s28
	s_and_saveexec_b32 s28, s1
	s_cbranch_execz .LBB660_21
.LBB660_29:                             ;   in Loop: Header=BB660_4 Depth=1
	s_wait_dscnt 0x0
	ds_bpermute_b32 v18, v2, v17
	s_wait_dscnt 0x0
	v_add_f32_e32 v17, v17, v18
	ds_bpermute_b32 v10, v10, v17
	s_wait_dscnt 0x0
	v_add_f32_e32 v10, v17, v10
	;; [unrolled: 3-line block ×5, first 2 shown]
	s_or_b32 exec_lo, exec_lo, s28
                                        ; implicit-def: $vgpr10
	s_and_saveexec_b32 s28, s0
	s_cbranch_execz .LBB660_33
.LBB660_30:                             ;   in Loop: Header=BB660_4 Depth=1
	s_wait_dscnt 0x0
	v_mul_f32_e32 v10, s30, v17
	s_and_not1_b32 vcc_lo, exec_lo, s34
	s_cbranch_vccnz .LBB660_32
; %bb.31:                               ;   in Loop: Header=BB660_4 Depth=1
	s_add_nc_u64 s[36:37], s[26:27], s[22:23]
	global_load_b32 v11, v3, s[36:37]
	s_wait_loadcnt 0x0
	v_fmac_f32_e32 v10, s18, v11
.LBB660_32:                             ;   in Loop: Header=BB660_4 Depth=1
	s_or_b32 s35, s35, exec_lo
.LBB660_33:                             ;   in Loop: Header=BB660_4 Depth=1
	s_wait_xcnt 0x0
	s_or_b32 exec_lo, exec_lo, s28
.LBB660_34:                             ;   in Loop: Header=BB660_4 Depth=1
	s_and_saveexec_b32 s28, s35
	s_cbranch_execz .LBB660_2
; %bb.35:                               ;   in Loop: Header=BB660_4 Depth=1
	s_add_nc_u64 s[26:27], s[26:27], s[22:23]
	global_store_b32 v3, v10, s[26:27]
	s_branch .LBB660_2
.LBB660_36:                             ;   in Loop: Header=BB660_4 Depth=1
	s_or_b32 exec_lo, exec_lo, s37
	s_delay_alu instid0(SALU_CYCLE_1)
	s_or_b32 exec_lo, exec_lo, s36
	s_and_saveexec_b32 s36, s4
	s_cbranch_execz .LBB660_15
.LBB660_37:                             ;   in Loop: Header=BB660_4 Depth=1
	s_mul_u64 s[38:39], s[8:9], s[24:25]
	s_wait_dscnt 0x0
	v_lshl_add_u64 v[16:17], v[4:5], 1, s[28:29]
	v_lshl_add_u64 v[10:11], s[38:39], 1, v[6:7]
	s_delay_alu instid0(VALU_DEP_1)
	v_lshl_add_u64 v[10:11], s[14:15], 1, v[10:11]
	global_load_u16 v18, v[16:17], off
	global_load_u16 v19, v[10:11], off
	s_wait_loadcnt 0x0
	s_wait_xcnt 0x0
	v_dual_lshlrev_b32 v10, 16, v18 :: v_dual_lshlrev_b32 v11, 16, v19
	s_delay_alu instid0(VALU_DEP_1) | instskip(NEXT) | instid1(VALU_DEP_1)
	v_mul_f32_e32 v10, v10, v11
	v_and_b32_e32 v11, 0x7f800000, v10
	s_delay_alu instid0(VALU_DEP_1) | instskip(SKIP_1) | instid1(SALU_CYCLE_1)
	v_cmp_ne_u32_e32 vcc_lo, 0x7f800000, v11
                                        ; implicit-def: $vgpr11
	s_and_saveexec_b32 s28, vcc_lo
	s_xor_b32 s28, exec_lo, s28
; %bb.38:                               ;   in Loop: Header=BB660_4 Depth=1
	v_bfe_u32 v11, v10, 16, 1
	s_delay_alu instid0(VALU_DEP_1)
	v_add3_u32 v11, v10, v11, 0x7fff
                                        ; implicit-def: $vgpr10
; %bb.39:                               ;   in Loop: Header=BB660_4 Depth=1
	s_and_not1_saveexec_b32 s28, s28
; %bb.40:                               ;   in Loop: Header=BB660_4 Depth=1
	v_and_b32_e32 v11, 0xffff, v10
	v_or_b32_e32 v16, 0x10000, v10
	s_delay_alu instid0(VALU_DEP_2) | instskip(NEXT) | instid1(VALU_DEP_2)
	v_cmp_eq_u32_e32 vcc_lo, 0, v11
	v_cndmask_b32_e32 v11, v16, v10, vcc_lo
; %bb.41:                               ;   in Loop: Header=BB660_4 Depth=1
	s_or_b32 exec_lo, exec_lo, s28
	s_delay_alu instid0(VALU_DEP_1) | instskip(NEXT) | instid1(VALU_DEP_1)
	v_and_b32_e32 v10, 0xffff0000, v11
	v_add_f32_e32 v15, v15, v10
	s_or_b32 exec_lo, exec_lo, s36
	s_and_saveexec_b32 s28, s1
	s_cbranch_execnz .LBB660_16
	s_branch .LBB660_17
.LBB660_42:
	s_endpgm
	.section	.rodata,"a",@progbits
	.p2align	6, 0x0
	.amdhsa_kernel _ZL32rocblas_gemvt_warp_reduce_kernelILb1ELi1024Ei16rocblas_bfloat16ffEviiT3_lPKT2_lT1_lS4_lS5_lS1_lPT4_lS5_li
		.amdhsa_group_segment_fixed_size 128
		.amdhsa_private_segment_fixed_size 0
		.amdhsa_kernarg_size 140
		.amdhsa_user_sgpr_count 2
		.amdhsa_user_sgpr_dispatch_ptr 0
		.amdhsa_user_sgpr_queue_ptr 0
		.amdhsa_user_sgpr_kernarg_segment_ptr 1
		.amdhsa_user_sgpr_dispatch_id 0
		.amdhsa_user_sgpr_kernarg_preload_length 0
		.amdhsa_user_sgpr_kernarg_preload_offset 0
		.amdhsa_user_sgpr_private_segment_size 0
		.amdhsa_wavefront_size32 1
		.amdhsa_uses_dynamic_stack 0
		.amdhsa_enable_private_segment 0
		.amdhsa_system_sgpr_workgroup_id_x 1
		.amdhsa_system_sgpr_workgroup_id_y 0
		.amdhsa_system_sgpr_workgroup_id_z 1
		.amdhsa_system_sgpr_workgroup_info 0
		.amdhsa_system_vgpr_workitem_id 0
		.amdhsa_next_free_vgpr 21
		.amdhsa_next_free_sgpr 40
		.amdhsa_named_barrier_count 0
		.amdhsa_reserve_vcc 1
		.amdhsa_float_round_mode_32 0
		.amdhsa_float_round_mode_16_64 0
		.amdhsa_float_denorm_mode_32 3
		.amdhsa_float_denorm_mode_16_64 3
		.amdhsa_fp16_overflow 0
		.amdhsa_memory_ordered 1
		.amdhsa_forward_progress 1
		.amdhsa_inst_pref_size 13
		.amdhsa_round_robin_scheduling 0
		.amdhsa_exception_fp_ieee_invalid_op 0
		.amdhsa_exception_fp_denorm_src 0
		.amdhsa_exception_fp_ieee_div_zero 0
		.amdhsa_exception_fp_ieee_overflow 0
		.amdhsa_exception_fp_ieee_underflow 0
		.amdhsa_exception_fp_ieee_inexact 0
		.amdhsa_exception_int_div_zero 0
	.end_amdhsa_kernel
	.section	.text._ZL32rocblas_gemvt_warp_reduce_kernelILb1ELi1024Ei16rocblas_bfloat16ffEviiT3_lPKT2_lT1_lS4_lS5_lS1_lPT4_lS5_li,"axG",@progbits,_ZL32rocblas_gemvt_warp_reduce_kernelILb1ELi1024Ei16rocblas_bfloat16ffEviiT3_lPKT2_lT1_lS4_lS5_lS1_lPT4_lS5_li,comdat
.Lfunc_end660:
	.size	_ZL32rocblas_gemvt_warp_reduce_kernelILb1ELi1024Ei16rocblas_bfloat16ffEviiT3_lPKT2_lT1_lS4_lS5_lS1_lPT4_lS5_li, .Lfunc_end660-_ZL32rocblas_gemvt_warp_reduce_kernelILb1ELi1024Ei16rocblas_bfloat16ffEviiT3_lPKT2_lT1_lS4_lS5_lS1_lPT4_lS5_li
                                        ; -- End function
	.set _ZL32rocblas_gemvt_warp_reduce_kernelILb1ELi1024Ei16rocblas_bfloat16ffEviiT3_lPKT2_lT1_lS4_lS5_lS1_lPT4_lS5_li.num_vgpr, 21
	.set _ZL32rocblas_gemvt_warp_reduce_kernelILb1ELi1024Ei16rocblas_bfloat16ffEviiT3_lPKT2_lT1_lS4_lS5_lS1_lPT4_lS5_li.num_agpr, 0
	.set _ZL32rocblas_gemvt_warp_reduce_kernelILb1ELi1024Ei16rocblas_bfloat16ffEviiT3_lPKT2_lT1_lS4_lS5_lS1_lPT4_lS5_li.numbered_sgpr, 40
	.set _ZL32rocblas_gemvt_warp_reduce_kernelILb1ELi1024Ei16rocblas_bfloat16ffEviiT3_lPKT2_lT1_lS4_lS5_lS1_lPT4_lS5_li.num_named_barrier, 0
	.set _ZL32rocblas_gemvt_warp_reduce_kernelILb1ELi1024Ei16rocblas_bfloat16ffEviiT3_lPKT2_lT1_lS4_lS5_lS1_lPT4_lS5_li.private_seg_size, 0
	.set _ZL32rocblas_gemvt_warp_reduce_kernelILb1ELi1024Ei16rocblas_bfloat16ffEviiT3_lPKT2_lT1_lS4_lS5_lS1_lPT4_lS5_li.uses_vcc, 1
	.set _ZL32rocblas_gemvt_warp_reduce_kernelILb1ELi1024Ei16rocblas_bfloat16ffEviiT3_lPKT2_lT1_lS4_lS5_lS1_lPT4_lS5_li.uses_flat_scratch, 0
	.set _ZL32rocblas_gemvt_warp_reduce_kernelILb1ELi1024Ei16rocblas_bfloat16ffEviiT3_lPKT2_lT1_lS4_lS5_lS1_lPT4_lS5_li.has_dyn_sized_stack, 0
	.set _ZL32rocblas_gemvt_warp_reduce_kernelILb1ELi1024Ei16rocblas_bfloat16ffEviiT3_lPKT2_lT1_lS4_lS5_lS1_lPT4_lS5_li.has_recursion, 0
	.set _ZL32rocblas_gemvt_warp_reduce_kernelILb1ELi1024Ei16rocblas_bfloat16ffEviiT3_lPKT2_lT1_lS4_lS5_lS1_lPT4_lS5_li.has_indirect_call, 0
	.section	.AMDGPU.csdata,"",@progbits
; Kernel info:
; codeLenInByte = 1644
; TotalNumSgprs: 42
; NumVgprs: 21
; ScratchSize: 0
; MemoryBound: 0
; FloatMode: 240
; IeeeMode: 1
; LDSByteSize: 128 bytes/workgroup (compile time only)
; SGPRBlocks: 0
; VGPRBlocks: 1
; NumSGPRsForWavesPerEU: 42
; NumVGPRsForWavesPerEU: 21
; NamedBarCnt: 0
; Occupancy: 16
; WaveLimiterHint : 0
; COMPUTE_PGM_RSRC2:SCRATCH_EN: 0
; COMPUTE_PGM_RSRC2:USER_SGPR: 2
; COMPUTE_PGM_RSRC2:TRAP_HANDLER: 0
; COMPUTE_PGM_RSRC2:TGID_X_EN: 1
; COMPUTE_PGM_RSRC2:TGID_Y_EN: 0
; COMPUTE_PGM_RSRC2:TGID_Z_EN: 1
; COMPUTE_PGM_RSRC2:TIDIG_COMP_CNT: 0
	.section	.text._ZL32rocblas_gemvt_warp_reduce_kernelILb1ELi1024El16rocblas_bfloat16ffEviiT3_lPKT2_lT1_lS4_lS5_lS1_lPT4_lS5_li,"axG",@progbits,_ZL32rocblas_gemvt_warp_reduce_kernelILb1ELi1024El16rocblas_bfloat16ffEviiT3_lPKT2_lT1_lS4_lS5_lS1_lPT4_lS5_li,comdat
	.globl	_ZL32rocblas_gemvt_warp_reduce_kernelILb1ELi1024El16rocblas_bfloat16ffEviiT3_lPKT2_lT1_lS4_lS5_lS1_lPT4_lS5_li ; -- Begin function _ZL32rocblas_gemvt_warp_reduce_kernelILb1ELi1024El16rocblas_bfloat16ffEviiT3_lPKT2_lT1_lS4_lS5_lS1_lPT4_lS5_li
	.p2align	8
	.type	_ZL32rocblas_gemvt_warp_reduce_kernelILb1ELi1024El16rocblas_bfloat16ffEviiT3_lPKT2_lT1_lS4_lS5_lS1_lPT4_lS5_li,@function
_ZL32rocblas_gemvt_warp_reduce_kernelILb1ELi1024El16rocblas_bfloat16ffEviiT3_lPKT2_lT1_lS4_lS5_lS1_lPT4_lS5_li: ; @_ZL32rocblas_gemvt_warp_reduce_kernelILb1ELi1024El16rocblas_bfloat16ffEviiT3_lPKT2_lT1_lS4_lS5_lS1_lPT4_lS5_li
; %bb.0:
	s_load_b32 s5, s[0:1], 0x88
	s_bfe_u32 s2, ttmp6, 0x40014
	s_lshr_b32 s3, ttmp7, 16
	s_add_co_i32 s2, s2, 1
	s_bfe_u32 s6, ttmp6, 0x40008
	s_mul_i32 s4, s3, s2
	s_getreg_b32 s2, hwreg(HW_REG_IB_STS2, 6, 4)
	s_add_co_i32 s6, s6, s4
	s_cmp_eq_u32 s2, 0
	s_mov_b32 s7, 0
	s_cselect_b32 s6, s3, s6
	s_wait_kmcnt 0x0
	s_cmp_ge_u32 s6, s5
	s_cbranch_scc1 .LBB661_42
; %bb.1:
	s_clause 0x4
	s_load_b512 s[8:23], s[0:1], 0x18
	s_load_b256 s[24:31], s[0:1], 0x68
	s_load_b32 s33, s[0:1], 0x8
	s_load_b32 s34, s[0:1], 0x58
	;; [unrolled: 1-line block ×3, first 2 shown]
	s_wait_kmcnt 0x0
	s_lshl_b64 s[18:19], s[18:19], 1
	s_lshl_b64 s[26:27], s[26:27], 2
	;; [unrolled: 1-line block ×3, first 2 shown]
	s_cmp_eq_f32 s33, 0
	v_cmp_gt_i32_e32 vcc_lo, s4, v0
	v_mov_b32_e32 v3, 0
	s_add_nc_u64 s[16:17], s[16:17], s[18:19]
	s_cselect_b32 s35, -1, 0
	s_cmp_neq_f32 s33, 0
	v_cndmask_b32_e32 v2, 0, v0, vcc_lo
	s_add_nc_u64 s[18:19], s[24:25], s[26:27]
	s_cselect_b32 s3, -1, 0
	s_cmp_neq_f32 s34, 1.0
	s_delay_alu instid0(VALU_DEP_1) | instskip(SKIP_1) | instid1(SALU_CYCLE_1)
	v_lshlrev_b32_e32 v2, 1, v2
	s_cselect_b32 s0, -1, 0
	s_or_b32 s36, s3, s0
	s_cmp_neq_f32 s34, 0
	s_cselect_b32 s37, -1, 0
	s_bfe_u32 s0, ttmp6, 0x4000c
	s_and_b32 s1, ttmp6, 15
	s_add_co_i32 s0, s0, 1
	s_delay_alu instid0(SALU_CYCLE_1) | instskip(NEXT) | instid1(SALU_CYCLE_1)
	s_mul_i32 s0, ttmp9, s0
	s_add_co_i32 s1, s1, s0
	s_cmp_eq_u32 s2, 0
	s_cselect_b32 s2, ttmp9, s1
	s_ashr_i32 s0, s4, 31
	s_ashr_i32 s3, s2, 31
	s_lshr_b32 s0, s0, 22
	s_mul_u64 s[12:13], s[12:13], s[2:3]
	s_add_co_i32 s0, s4, s0
	s_lshl_b64 s[12:13], s[12:13], 1
	s_and_b32 s10, s0, 0xfffffc00
	s_delay_alu instid0(SALU_CYCLE_1) | instskip(SKIP_3) | instid1(VALU_DEP_2)
	v_dual_mov_b32 v1, v3 :: v_dual_bitop2_b32 v8, s10, v0 bitop3:0x54
	s_add_nc_u64 s[0:1], s[8:9], s[38:39]
	s_mul_u64 s[24:25], s[28:29], s[2:3]
	v_cmp_gt_u32_e64 s3, 32, v0
	v_mul_u64_e32 v[10:11], s[20:21], v[0:1]
	v_ashrrev_i32_e32 v9, 31, v8
	v_add_nc_u64_e32 v[6:7], s[0:1], v[2:3]
	v_cmp_gt_i32_e64 s2, s4, v8
	v_cmp_eq_u32_e64 s0, 0, v0
	v_cmp_gt_i32_e64 s1, s10, v0
	v_mul_u64_e32 v[4:5], s[20:21], v[8:9]
	v_dual_lshrrev_b32 v8, 3, v0 :: v_dual_bitop2_b32 v9, 31, v0 bitop3:0x40
	v_add_nc_u64_e32 v[6:7], s[12:13], v[6:7]
	s_add_nc_u64 s[12:13], s[12:13], s[38:39]
	s_ashr_i32 s11, s10, 31
	s_add_nc_u64 s[8:9], s[8:9], s[12:13]
	v_lshlrev_b32_e32 v1, 2, v9
	v_cmp_eq_u32_e64 s4, 0, v9
	v_and_b32_e32 v16, 0x7c, v8
	v_add_nc_u64_e32 v[8:9], s[8:9], v[2:3]
	v_mbcnt_lo_u32_b32 v2, -1, 0
	s_lshl_b64 s[8:9], s[14:15], 1
	s_lshl_b64 s[12:13], s[22:23], 1
	;; [unrolled: 1-line block ×4, first 2 shown]
	v_lshl_or_b32 v17, v2, 2, 64
	v_lshl_add_u64 v[10:11], v[10:11], 1, s[16:17]
	s_branch .LBB661_4
.LBB661_2:                              ;   in Loop: Header=BB661_4 Depth=1
	s_wait_xcnt 0x0
	s_or_b32 exec_lo, exec_lo, s29
.LBB661_3:                              ;   in Loop: Header=BB661_4 Depth=1
	s_add_co_i32 s6, s6, 0x10000
	s_delay_alu instid0(SALU_CYCLE_1)
	s_cmp_lt_u32 s6, s5
	s_cbranch_scc0 .LBB661_42
.LBB661_4:                              ; =>This Loop Header: Depth=1
                                        ;     Child Loop BB661_24 Depth 2
	s_and_not1_b32 vcc_lo, exec_lo, s36
	s_cbranch_vccnz .LBB661_3
; %bb.5:                                ;   in Loop: Header=BB661_4 Depth=1
	s_mul_u64 s[26:27], s[30:31], s[6:7]
	s_and_not1_b32 vcc_lo, exec_lo, s35
	s_lshl_b64 s[26:27], s[26:27], 2
	s_delay_alu instid0(SALU_CYCLE_1)
	s_add_nc_u64 s[26:27], s[18:19], s[26:27]
	s_cbranch_vccnz .LBB661_9
; %bb.6:                                ;   in Loop: Header=BB661_4 Depth=1
	s_mov_b32 s29, 0
	s_mov_b32 s28, 0
                                        ; implicit-def: $vgpr12
	s_and_saveexec_b32 s38, s0
	s_cbranch_execz .LBB661_10
; %bb.7:                                ;   in Loop: Header=BB661_4 Depth=1
	s_and_not1_b32 vcc_lo, exec_lo, s37
	s_cbranch_vccnz .LBB661_11
; %bb.8:                                ;   in Loop: Header=BB661_4 Depth=1
	s_add_nc_u64 s[40:41], s[26:27], s[24:25]
	global_load_b32 v12, v3, s[40:41]
	s_wait_loadcnt 0x0
	v_mul_f32_e32 v12, s34, v12
	s_branch .LBB661_12
.LBB661_9:                              ;   in Loop: Header=BB661_4 Depth=1
	s_mov_b32 s28, 0
                                        ; implicit-def: $vgpr12
	s_cbranch_execnz .LBB661_13
	s_branch .LBB661_34
.LBB661_10:                             ;   in Loop: Header=BB661_4 Depth=1
	s_or_b32 exec_lo, exec_lo, s38
	s_delay_alu instid0(SALU_CYCLE_1)
	s_and_b32 vcc_lo, exec_lo, s29
	s_cbranch_vccnz .LBB661_13
	s_branch .LBB661_34
.LBB661_11:                             ;   in Loop: Header=BB661_4 Depth=1
	v_mov_b32_e32 v12, 0
.LBB661_12:                             ;   in Loop: Header=BB661_4 Depth=1
	s_mov_b32 s28, exec_lo
	s_wait_xcnt 0x0
	s_or_b32 exec_lo, exec_lo, s38
	s_delay_alu instid0(SALU_CYCLE_1)
	s_and_b32 vcc_lo, exec_lo, s29
	s_cbranch_vccz .LBB661_34
.LBB661_13:                             ;   in Loop: Header=BB661_4 Depth=1
	s_wait_dscnt 0x0
	v_mov_b32_e32 v18, 0
	s_and_saveexec_b32 s29, s1
	s_cbranch_execnz .LBB661_22
; %bb.14:                               ;   in Loop: Header=BB661_4 Depth=1
	s_or_b32 exec_lo, exec_lo, s29
	s_and_saveexec_b32 s29, s2
	s_cbranch_execnz .LBB661_37
.LBB661_15:                             ;   in Loop: Header=BB661_4 Depth=1
	s_or_b32 exec_lo, exec_lo, s29
	s_and_saveexec_b32 s29, s3
.LBB661_16:                             ;   in Loop: Header=BB661_4 Depth=1
	ds_store_b32 v1, v3
.LBB661_17:                             ;   in Loop: Header=BB661_4 Depth=1
	s_or_b32 exec_lo, exec_lo, s29
	ds_bpermute_b32 v13, v17, v18
	v_cmp_gt_u32_e32 vcc_lo, 24, v2
	s_wait_dscnt 0x0
	s_barrier_signal -1
	s_barrier_wait -1
	v_cndmask_b32_e64 v12, 0, 8, vcc_lo
	v_cmp_gt_u32_e32 vcc_lo, 28, v2
	s_delay_alu instid0(VALU_DEP_2)
	v_add_lshl_u32 v12, v12, v2, 2
	v_add_f32_e32 v14, v18, v13
	v_cndmask_b32_e64 v13, 0, 4, vcc_lo
	v_cmp_gt_u32_e32 vcc_lo, 30, v2
	ds_bpermute_b32 v15, v12, v14
	v_add_lshl_u32 v13, v13, v2, 2
	s_wait_dscnt 0x0
	v_add_f32_e32 v15, v14, v15
	v_cndmask_b32_e64 v14, 0, 2, vcc_lo
	v_cmp_ne_u32_e32 vcc_lo, 31, v2
	ds_bpermute_b32 v18, v13, v15
	v_add_lshl_u32 v14, v14, v2, 2
	v_add_co_ci_u32_e64 v19, null, 0, v2, vcc_lo
	s_wait_dscnt 0x0
	v_add_f32_e32 v15, v15, v18
	ds_bpermute_b32 v18, v14, v15
	s_wait_dscnt 0x0
	v_dual_add_f32 v18, v15, v18 :: v_dual_lshlrev_b32 v15, 2, v19
	ds_bpermute_b32 v19, v15, v18
	s_and_saveexec_b32 s29, s4
	s_cbranch_execz .LBB661_19
; %bb.18:                               ;   in Loop: Header=BB661_4 Depth=1
	s_wait_dscnt 0x0
	v_add_f32_e32 v18, v18, v19
	ds_store_b32 v16, v18
.LBB661_19:                             ;   in Loop: Header=BB661_4 Depth=1
	s_or_b32 exec_lo, exec_lo, s29
	v_mov_b32_e32 v18, 0
	s_wait_dscnt 0x0
	s_barrier_signal -1
	s_barrier_wait -1
	s_and_saveexec_b32 s29, s3
	s_cbranch_execnz .LBB661_28
; %bb.20:                               ;   in Loop: Header=BB661_4 Depth=1
	s_or_b32 exec_lo, exec_lo, s29
	s_and_saveexec_b32 s29, s3
	s_cbranch_execnz .LBB661_29
.LBB661_21:                             ;   in Loop: Header=BB661_4 Depth=1
	s_or_b32 exec_lo, exec_lo, s29
                                        ; implicit-def: $vgpr12
	s_and_saveexec_b32 s29, s0
	s_cbranch_execnz .LBB661_30
	s_branch .LBB661_33
.LBB661_22:                             ;   in Loop: Header=BB661_4 Depth=1
	v_mad_nc_u64_u32 v[12:13], s8, s6, v[8:9]
	v_mad_nc_u64_u32 v[14:15], s12, s6, v[10:11]
	v_dual_mov_b32 v18, 0 :: v_dual_mov_b32 v19, v0
	s_mov_b32 s38, 0
	s_delay_alu instid0(VALU_DEP_3) | instskip(NEXT) | instid1(VALU_DEP_3)
	v_mad_u32 v13, s9, s6, v13
	v_mad_u32 v15, s13, s6, v15
	s_branch .LBB661_24
.LBB661_23:                             ;   in Loop: Header=BB661_24 Depth=2
	s_or_b32 exec_lo, exec_lo, s39
	s_delay_alu instid0(VALU_DEP_1) | instskip(SKIP_3) | instid1(VALU_DEP_4)
	v_and_b32_e32 v20, 0xffff0000, v21
	v_add_nc_u32_e32 v19, 0x400, v19
	v_add_nc_u64_e32 v[12:13], 0x800, v[12:13]
	v_add_nc_u64_e32 v[14:15], s[20:21], v[14:15]
	v_add_f32_e32 v18, v18, v20
	s_delay_alu instid0(VALU_DEP_4) | instskip(SKIP_1) | instid1(SALU_CYCLE_1)
	v_cmp_le_i32_e32 vcc_lo, s10, v19
	s_or_b32 s38, vcc_lo, s38
	s_and_not1_b32 exec_lo, exec_lo, s38
	s_cbranch_execz .LBB661_36
.LBB661_24:                             ;   Parent Loop BB661_4 Depth=1
                                        ; =>  This Inner Loop Header: Depth=2
	global_load_u16 v20, v[12:13], off
	global_load_u16 v21, v[14:15], off
	s_wait_loadcnt 0x0
	v_dual_lshlrev_b32 v20, 16, v20 :: v_dual_lshlrev_b32 v21, 16, v21
	s_delay_alu instid0(VALU_DEP_1) | instskip(NEXT) | instid1(VALU_DEP_1)
	v_mul_f32_e32 v20, v21, v20
	v_and_b32_e32 v21, 0x7f800000, v20
	s_delay_alu instid0(VALU_DEP_1) | instskip(SKIP_2) | instid1(SALU_CYCLE_1)
	v_cmp_ne_u32_e32 vcc_lo, 0x7f800000, v21
                                        ; implicit-def: $vgpr21
	s_wait_xcnt 0x0
	s_and_saveexec_b32 s39, vcc_lo
	s_xor_b32 s39, exec_lo, s39
; %bb.25:                               ;   in Loop: Header=BB661_24 Depth=2
	v_bfe_u32 v21, v20, 16, 1
	s_delay_alu instid0(VALU_DEP_1)
	v_add3_u32 v21, v20, v21, 0x7fff
                                        ; implicit-def: $vgpr20
; %bb.26:                               ;   in Loop: Header=BB661_24 Depth=2
	s_and_not1_saveexec_b32 s39, s39
	s_cbranch_execz .LBB661_23
; %bb.27:                               ;   in Loop: Header=BB661_24 Depth=2
	v_and_b32_e32 v21, 0xffff, v20
	v_or_b32_e32 v22, 0x10000, v20
	s_delay_alu instid0(VALU_DEP_2) | instskip(NEXT) | instid1(VALU_DEP_2)
	v_cmp_eq_u32_e32 vcc_lo, 0, v21
	v_cndmask_b32_e32 v21, v22, v20, vcc_lo
	s_branch .LBB661_23
.LBB661_28:                             ;   in Loop: Header=BB661_4 Depth=1
	ds_load_b32 v18, v1
	s_or_b32 exec_lo, exec_lo, s29
	s_and_saveexec_b32 s29, s3
	s_cbranch_execz .LBB661_21
.LBB661_29:                             ;   in Loop: Header=BB661_4 Depth=1
	s_wait_dscnt 0x0
	ds_bpermute_b32 v19, v17, v18
	s_wait_dscnt 0x0
	v_add_f32_e32 v18, v18, v19
	ds_bpermute_b32 v12, v12, v18
	s_wait_dscnt 0x0
	v_add_f32_e32 v12, v18, v12
	;; [unrolled: 3-line block ×5, first 2 shown]
	s_or_b32 exec_lo, exec_lo, s29
                                        ; implicit-def: $vgpr12
	s_and_saveexec_b32 s29, s0
	s_cbranch_execz .LBB661_33
.LBB661_30:                             ;   in Loop: Header=BB661_4 Depth=1
	s_wait_dscnt 0x0
	v_mul_f32_e32 v12, s33, v18
	s_and_not1_b32 vcc_lo, exec_lo, s37
	s_cbranch_vccnz .LBB661_32
; %bb.31:                               ;   in Loop: Header=BB661_4 Depth=1
	s_add_nc_u64 s[38:39], s[26:27], s[24:25]
	global_load_b32 v13, v3, s[38:39]
	s_wait_loadcnt 0x0
	v_fmac_f32_e32 v12, s34, v13
.LBB661_32:                             ;   in Loop: Header=BB661_4 Depth=1
	s_or_b32 s28, s28, exec_lo
.LBB661_33:                             ;   in Loop: Header=BB661_4 Depth=1
	s_wait_xcnt 0x0
	s_or_b32 exec_lo, exec_lo, s29
.LBB661_34:                             ;   in Loop: Header=BB661_4 Depth=1
	s_and_saveexec_b32 s29, s28
	s_cbranch_execz .LBB661_2
; %bb.35:                               ;   in Loop: Header=BB661_4 Depth=1
	s_add_nc_u64 s[26:27], s[26:27], s[24:25]
	global_store_b32 v3, v12, s[26:27]
	s_branch .LBB661_2
.LBB661_36:                             ;   in Loop: Header=BB661_4 Depth=1
	s_or_b32 exec_lo, exec_lo, s38
	s_delay_alu instid0(SALU_CYCLE_1)
	s_or_b32 exec_lo, exec_lo, s29
	s_and_saveexec_b32 s29, s2
	s_cbranch_execz .LBB661_15
.LBB661_37:                             ;   in Loop: Header=BB661_4 Depth=1
	s_mul_u64 s[38:39], s[14:15], s[6:7]
	s_mul_u64 s[40:41], s[22:23], s[6:7]
	v_lshl_add_u64 v[12:13], s[38:39], 1, v[6:7]
	s_lshl_b64 s[38:39], s[40:41], 1
	s_delay_alu instid0(SALU_CYCLE_1) | instskip(NEXT) | instid1(SALU_CYCLE_1)
	s_add_nc_u64 s[38:39], s[16:17], s[38:39]
	v_lshl_add_u64 v[14:15], v[4:5], 1, s[38:39]
	s_delay_alu instid0(VALU_DEP_2)
	v_lshl_add_u64 v[12:13], s[10:11], 1, v[12:13]
	global_load_u16 v19, v[12:13], off
	global_load_u16 v20, v[14:15], off
	s_wait_loadcnt 0x0
	s_wait_xcnt 0x1
	v_dual_lshlrev_b32 v12, 16, v19 :: v_dual_lshlrev_b32 v13, 16, v20
	s_delay_alu instid0(VALU_DEP_1) | instskip(NEXT) | instid1(VALU_DEP_1)
	v_mul_f32_e32 v12, v13, v12
	v_and_b32_e32 v13, 0x7f800000, v12
	s_delay_alu instid0(VALU_DEP_1) | instskip(SKIP_2) | instid1(SALU_CYCLE_1)
	v_cmp_ne_u32_e32 vcc_lo, 0x7f800000, v13
                                        ; implicit-def: $vgpr13
	s_wait_xcnt 0x0
	s_and_saveexec_b32 s38, vcc_lo
	s_xor_b32 s38, exec_lo, s38
; %bb.38:                               ;   in Loop: Header=BB661_4 Depth=1
	v_bfe_u32 v13, v12, 16, 1
	s_delay_alu instid0(VALU_DEP_1)
	v_add3_u32 v13, v12, v13, 0x7fff
                                        ; implicit-def: $vgpr12
; %bb.39:                               ;   in Loop: Header=BB661_4 Depth=1
	s_and_not1_saveexec_b32 s38, s38
; %bb.40:                               ;   in Loop: Header=BB661_4 Depth=1
	v_and_b32_e32 v13, 0xffff, v12
	v_or_b32_e32 v14, 0x10000, v12
	s_delay_alu instid0(VALU_DEP_2) | instskip(NEXT) | instid1(VALU_DEP_2)
	v_cmp_eq_u32_e32 vcc_lo, 0, v13
	v_cndmask_b32_e32 v13, v14, v12, vcc_lo
; %bb.41:                               ;   in Loop: Header=BB661_4 Depth=1
	s_or_b32 exec_lo, exec_lo, s38
	s_delay_alu instid0(VALU_DEP_1) | instskip(NEXT) | instid1(VALU_DEP_1)
	v_and_b32_e32 v12, 0xffff0000, v13
	v_add_f32_e32 v18, v18, v12
	s_or_b32 exec_lo, exec_lo, s29
	s_and_saveexec_b32 s29, s3
	s_cbranch_execnz .LBB661_16
	s_branch .LBB661_17
.LBB661_42:
	s_endpgm
	.section	.rodata,"a",@progbits
	.p2align	6, 0x0
	.amdhsa_kernel _ZL32rocblas_gemvt_warp_reduce_kernelILb1ELi1024El16rocblas_bfloat16ffEviiT3_lPKT2_lT1_lS4_lS5_lS1_lPT4_lS5_li
		.amdhsa_group_segment_fixed_size 128
		.amdhsa_private_segment_fixed_size 0
		.amdhsa_kernarg_size 140
		.amdhsa_user_sgpr_count 2
		.amdhsa_user_sgpr_dispatch_ptr 0
		.amdhsa_user_sgpr_queue_ptr 0
		.amdhsa_user_sgpr_kernarg_segment_ptr 1
		.amdhsa_user_sgpr_dispatch_id 0
		.amdhsa_user_sgpr_kernarg_preload_length 0
		.amdhsa_user_sgpr_kernarg_preload_offset 0
		.amdhsa_user_sgpr_private_segment_size 0
		.amdhsa_wavefront_size32 1
		.amdhsa_uses_dynamic_stack 0
		.amdhsa_enable_private_segment 0
		.amdhsa_system_sgpr_workgroup_id_x 1
		.amdhsa_system_sgpr_workgroup_id_y 0
		.amdhsa_system_sgpr_workgroup_id_z 1
		.amdhsa_system_sgpr_workgroup_info 0
		.amdhsa_system_vgpr_workitem_id 0
		.amdhsa_next_free_vgpr 23
		.amdhsa_next_free_sgpr 42
		.amdhsa_named_barrier_count 0
		.amdhsa_reserve_vcc 1
		.amdhsa_float_round_mode_32 0
		.amdhsa_float_round_mode_16_64 0
		.amdhsa_float_denorm_mode_32 3
		.amdhsa_float_denorm_mode_16_64 3
		.amdhsa_fp16_overflow 0
		.amdhsa_memory_ordered 1
		.amdhsa_forward_progress 1
		.amdhsa_inst_pref_size 13
		.amdhsa_round_robin_scheduling 0
		.amdhsa_exception_fp_ieee_invalid_op 0
		.amdhsa_exception_fp_denorm_src 0
		.amdhsa_exception_fp_ieee_div_zero 0
		.amdhsa_exception_fp_ieee_overflow 0
		.amdhsa_exception_fp_ieee_underflow 0
		.amdhsa_exception_fp_ieee_inexact 0
		.amdhsa_exception_int_div_zero 0
	.end_amdhsa_kernel
	.section	.text._ZL32rocblas_gemvt_warp_reduce_kernelILb1ELi1024El16rocblas_bfloat16ffEviiT3_lPKT2_lT1_lS4_lS5_lS1_lPT4_lS5_li,"axG",@progbits,_ZL32rocblas_gemvt_warp_reduce_kernelILb1ELi1024El16rocblas_bfloat16ffEviiT3_lPKT2_lT1_lS4_lS5_lS1_lPT4_lS5_li,comdat
.Lfunc_end661:
	.size	_ZL32rocblas_gemvt_warp_reduce_kernelILb1ELi1024El16rocblas_bfloat16ffEviiT3_lPKT2_lT1_lS4_lS5_lS1_lPT4_lS5_li, .Lfunc_end661-_ZL32rocblas_gemvt_warp_reduce_kernelILb1ELi1024El16rocblas_bfloat16ffEviiT3_lPKT2_lT1_lS4_lS5_lS1_lPT4_lS5_li
                                        ; -- End function
	.set _ZL32rocblas_gemvt_warp_reduce_kernelILb1ELi1024El16rocblas_bfloat16ffEviiT3_lPKT2_lT1_lS4_lS5_lS1_lPT4_lS5_li.num_vgpr, 23
	.set _ZL32rocblas_gemvt_warp_reduce_kernelILb1ELi1024El16rocblas_bfloat16ffEviiT3_lPKT2_lT1_lS4_lS5_lS1_lPT4_lS5_li.num_agpr, 0
	.set _ZL32rocblas_gemvt_warp_reduce_kernelILb1ELi1024El16rocblas_bfloat16ffEviiT3_lPKT2_lT1_lS4_lS5_lS1_lPT4_lS5_li.numbered_sgpr, 42
	.set _ZL32rocblas_gemvt_warp_reduce_kernelILb1ELi1024El16rocblas_bfloat16ffEviiT3_lPKT2_lT1_lS4_lS5_lS1_lPT4_lS5_li.num_named_barrier, 0
	.set _ZL32rocblas_gemvt_warp_reduce_kernelILb1ELi1024El16rocblas_bfloat16ffEviiT3_lPKT2_lT1_lS4_lS5_lS1_lPT4_lS5_li.private_seg_size, 0
	.set _ZL32rocblas_gemvt_warp_reduce_kernelILb1ELi1024El16rocblas_bfloat16ffEviiT3_lPKT2_lT1_lS4_lS5_lS1_lPT4_lS5_li.uses_vcc, 1
	.set _ZL32rocblas_gemvt_warp_reduce_kernelILb1ELi1024El16rocblas_bfloat16ffEviiT3_lPKT2_lT1_lS4_lS5_lS1_lPT4_lS5_li.uses_flat_scratch, 0
	.set _ZL32rocblas_gemvt_warp_reduce_kernelILb1ELi1024El16rocblas_bfloat16ffEviiT3_lPKT2_lT1_lS4_lS5_lS1_lPT4_lS5_li.has_dyn_sized_stack, 0
	.set _ZL32rocblas_gemvt_warp_reduce_kernelILb1ELi1024El16rocblas_bfloat16ffEviiT3_lPKT2_lT1_lS4_lS5_lS1_lPT4_lS5_li.has_recursion, 0
	.set _ZL32rocblas_gemvt_warp_reduce_kernelILb1ELi1024El16rocblas_bfloat16ffEviiT3_lPKT2_lT1_lS4_lS5_lS1_lPT4_lS5_li.has_indirect_call, 0
	.section	.AMDGPU.csdata,"",@progbits
; Kernel info:
; codeLenInByte = 1588
; TotalNumSgprs: 44
; NumVgprs: 23
; ScratchSize: 0
; MemoryBound: 0
; FloatMode: 240
; IeeeMode: 1
; LDSByteSize: 128 bytes/workgroup (compile time only)
; SGPRBlocks: 0
; VGPRBlocks: 1
; NumSGPRsForWavesPerEU: 44
; NumVGPRsForWavesPerEU: 23
; NamedBarCnt: 0
; Occupancy: 16
; WaveLimiterHint : 0
; COMPUTE_PGM_RSRC2:SCRATCH_EN: 0
; COMPUTE_PGM_RSRC2:USER_SGPR: 2
; COMPUTE_PGM_RSRC2:TRAP_HANDLER: 0
; COMPUTE_PGM_RSRC2:TGID_X_EN: 1
; COMPUTE_PGM_RSRC2:TGID_Y_EN: 0
; COMPUTE_PGM_RSRC2:TGID_Z_EN: 1
; COMPUTE_PGM_RSRC2:TIDIG_COMP_CNT: 0
	.section	.text._ZL34rocblas_gemvn_sm_mn_batched_kernelILi32ELi24EPK16rocblas_bfloat16PKfKPfEviiT2_lPKT1_lilSA_lilS7_lPT3_lili,"axG",@progbits,_ZL34rocblas_gemvn_sm_mn_batched_kernelILi32ELi24EPK16rocblas_bfloat16PKfKPfEviiT2_lPKT1_lilSA_lilS7_lPT3_lili,comdat
	.globl	_ZL34rocblas_gemvn_sm_mn_batched_kernelILi32ELi24EPK16rocblas_bfloat16PKfKPfEviiT2_lPKT1_lilSA_lilS7_lPT3_lili ; -- Begin function _ZL34rocblas_gemvn_sm_mn_batched_kernelILi32ELi24EPK16rocblas_bfloat16PKfKPfEviiT2_lPKT1_lilSA_lilS7_lPT3_lili
	.p2align	8
	.type	_ZL34rocblas_gemvn_sm_mn_batched_kernelILi32ELi24EPK16rocblas_bfloat16PKfKPfEviiT2_lPKT1_lilSA_lilS7_lPT3_lili,@function
_ZL34rocblas_gemvn_sm_mn_batched_kernelILi32ELi24EPK16rocblas_bfloat16PKfKPfEviiT2_lPKT1_lilSA_lilS7_lPT3_lili: ; @_ZL34rocblas_gemvn_sm_mn_batched_kernelILi32ELi24EPK16rocblas_bfloat16PKfKPfEviiT2_lPKT1_lilSA_lilS7_lPT3_lili
; %bb.0:
	s_endpgm
	.section	.rodata,"a",@progbits
	.p2align	6, 0x0
	.amdhsa_kernel _ZL34rocblas_gemvn_sm_mn_batched_kernelILi32ELi24EPK16rocblas_bfloat16PKfKPfEviiT2_lPKT1_lilSA_lilS7_lPT3_lili
		.amdhsa_group_segment_fixed_size 0
		.amdhsa_private_segment_fixed_size 0
		.amdhsa_kernarg_size 140
		.amdhsa_user_sgpr_count 2
		.amdhsa_user_sgpr_dispatch_ptr 0
		.amdhsa_user_sgpr_queue_ptr 0
		.amdhsa_user_sgpr_kernarg_segment_ptr 1
		.amdhsa_user_sgpr_dispatch_id 0
		.amdhsa_user_sgpr_kernarg_preload_length 0
		.amdhsa_user_sgpr_kernarg_preload_offset 0
		.amdhsa_user_sgpr_private_segment_size 0
		.amdhsa_wavefront_size32 1
		.amdhsa_uses_dynamic_stack 0
		.amdhsa_enable_private_segment 0
		.amdhsa_system_sgpr_workgroup_id_x 1
		.amdhsa_system_sgpr_workgroup_id_y 0
		.amdhsa_system_sgpr_workgroup_id_z 0
		.amdhsa_system_sgpr_workgroup_info 0
		.amdhsa_system_vgpr_workitem_id 0
		.amdhsa_next_free_vgpr 1
		.amdhsa_next_free_sgpr 1
		.amdhsa_named_barrier_count 0
		.amdhsa_reserve_vcc 0
		.amdhsa_float_round_mode_32 0
		.amdhsa_float_round_mode_16_64 0
		.amdhsa_float_denorm_mode_32 3
		.amdhsa_float_denorm_mode_16_64 3
		.amdhsa_fp16_overflow 0
		.amdhsa_memory_ordered 1
		.amdhsa_forward_progress 1
		.amdhsa_inst_pref_size 1
		.amdhsa_round_robin_scheduling 0
		.amdhsa_exception_fp_ieee_invalid_op 0
		.amdhsa_exception_fp_denorm_src 0
		.amdhsa_exception_fp_ieee_div_zero 0
		.amdhsa_exception_fp_ieee_overflow 0
		.amdhsa_exception_fp_ieee_underflow 0
		.amdhsa_exception_fp_ieee_inexact 0
		.amdhsa_exception_int_div_zero 0
	.end_amdhsa_kernel
	.section	.text._ZL34rocblas_gemvn_sm_mn_batched_kernelILi32ELi24EPK16rocblas_bfloat16PKfKPfEviiT2_lPKT1_lilSA_lilS7_lPT3_lili,"axG",@progbits,_ZL34rocblas_gemvn_sm_mn_batched_kernelILi32ELi24EPK16rocblas_bfloat16PKfKPfEviiT2_lPKT1_lilSA_lilS7_lPT3_lili,comdat
.Lfunc_end662:
	.size	_ZL34rocblas_gemvn_sm_mn_batched_kernelILi32ELi24EPK16rocblas_bfloat16PKfKPfEviiT2_lPKT1_lilSA_lilS7_lPT3_lili, .Lfunc_end662-_ZL34rocblas_gemvn_sm_mn_batched_kernelILi32ELi24EPK16rocblas_bfloat16PKfKPfEviiT2_lPKT1_lilSA_lilS7_lPT3_lili
                                        ; -- End function
	.set _ZL34rocblas_gemvn_sm_mn_batched_kernelILi32ELi24EPK16rocblas_bfloat16PKfKPfEviiT2_lPKT1_lilSA_lilS7_lPT3_lili.num_vgpr, 0
	.set _ZL34rocblas_gemvn_sm_mn_batched_kernelILi32ELi24EPK16rocblas_bfloat16PKfKPfEviiT2_lPKT1_lilSA_lilS7_lPT3_lili.num_agpr, 0
	.set _ZL34rocblas_gemvn_sm_mn_batched_kernelILi32ELi24EPK16rocblas_bfloat16PKfKPfEviiT2_lPKT1_lilSA_lilS7_lPT3_lili.numbered_sgpr, 0
	.set _ZL34rocblas_gemvn_sm_mn_batched_kernelILi32ELi24EPK16rocblas_bfloat16PKfKPfEviiT2_lPKT1_lilSA_lilS7_lPT3_lili.num_named_barrier, 0
	.set _ZL34rocblas_gemvn_sm_mn_batched_kernelILi32ELi24EPK16rocblas_bfloat16PKfKPfEviiT2_lPKT1_lilSA_lilS7_lPT3_lili.private_seg_size, 0
	.set _ZL34rocblas_gemvn_sm_mn_batched_kernelILi32ELi24EPK16rocblas_bfloat16PKfKPfEviiT2_lPKT1_lilSA_lilS7_lPT3_lili.uses_vcc, 0
	.set _ZL34rocblas_gemvn_sm_mn_batched_kernelILi32ELi24EPK16rocblas_bfloat16PKfKPfEviiT2_lPKT1_lilSA_lilS7_lPT3_lili.uses_flat_scratch, 0
	.set _ZL34rocblas_gemvn_sm_mn_batched_kernelILi32ELi24EPK16rocblas_bfloat16PKfKPfEviiT2_lPKT1_lilSA_lilS7_lPT3_lili.has_dyn_sized_stack, 0
	.set _ZL34rocblas_gemvn_sm_mn_batched_kernelILi32ELi24EPK16rocblas_bfloat16PKfKPfEviiT2_lPKT1_lilSA_lilS7_lPT3_lili.has_recursion, 0
	.set _ZL34rocblas_gemvn_sm_mn_batched_kernelILi32ELi24EPK16rocblas_bfloat16PKfKPfEviiT2_lPKT1_lilSA_lilS7_lPT3_lili.has_indirect_call, 0
	.section	.AMDGPU.csdata,"",@progbits
; Kernel info:
; codeLenInByte = 4
; TotalNumSgprs: 0
; NumVgprs: 0
; ScratchSize: 0
; MemoryBound: 0
; FloatMode: 240
; IeeeMode: 1
; LDSByteSize: 0 bytes/workgroup (compile time only)
; SGPRBlocks: 0
; VGPRBlocks: 0
; NumSGPRsForWavesPerEU: 1
; NumVGPRsForWavesPerEU: 1
; NamedBarCnt: 0
; Occupancy: 16
; WaveLimiterHint : 0
; COMPUTE_PGM_RSRC2:SCRATCH_EN: 0
; COMPUTE_PGM_RSRC2:USER_SGPR: 2
; COMPUTE_PGM_RSRC2:TRAP_HANDLER: 0
; COMPUTE_PGM_RSRC2:TGID_X_EN: 1
; COMPUTE_PGM_RSRC2:TGID_Y_EN: 0
; COMPUTE_PGM_RSRC2:TGID_Z_EN: 0
; COMPUTE_PGM_RSRC2:TIDIG_COMP_CNT: 0
	.section	.text._ZL34rocblas_gemvn_sm_mn_batched_kernelILi32ELi24EPK16rocblas_bfloat16fKPfEviiT2_lPKT1_lilS8_lilS5_lPT3_lili,"axG",@progbits,_ZL34rocblas_gemvn_sm_mn_batched_kernelILi32ELi24EPK16rocblas_bfloat16fKPfEviiT2_lPKT1_lilS8_lilS5_lPT3_lili,comdat
	.globl	_ZL34rocblas_gemvn_sm_mn_batched_kernelILi32ELi24EPK16rocblas_bfloat16fKPfEviiT2_lPKT1_lilS8_lilS5_lPT3_lili ; -- Begin function _ZL34rocblas_gemvn_sm_mn_batched_kernelILi32ELi24EPK16rocblas_bfloat16fKPfEviiT2_lPKT1_lilS8_lilS5_lPT3_lili
	.p2align	8
	.type	_ZL34rocblas_gemvn_sm_mn_batched_kernelILi32ELi24EPK16rocblas_bfloat16fKPfEviiT2_lPKT1_lilS8_lilS5_lPT3_lili,@function
_ZL34rocblas_gemvn_sm_mn_batched_kernelILi32ELi24EPK16rocblas_bfloat16fKPfEviiT2_lPKT1_lilS8_lilS5_lPT3_lili: ; @_ZL34rocblas_gemvn_sm_mn_batched_kernelILi32ELi24EPK16rocblas_bfloat16fKPfEviiT2_lPKT1_lilS8_lilS5_lPT3_lili
; %bb.0:
	s_endpgm
	.section	.rodata,"a",@progbits
	.p2align	6, 0x0
	.amdhsa_kernel _ZL34rocblas_gemvn_sm_mn_batched_kernelILi32ELi24EPK16rocblas_bfloat16fKPfEviiT2_lPKT1_lilS8_lilS5_lPT3_lili
		.amdhsa_group_segment_fixed_size 0
		.amdhsa_private_segment_fixed_size 0
		.amdhsa_kernarg_size 140
		.amdhsa_user_sgpr_count 2
		.amdhsa_user_sgpr_dispatch_ptr 0
		.amdhsa_user_sgpr_queue_ptr 0
		.amdhsa_user_sgpr_kernarg_segment_ptr 1
		.amdhsa_user_sgpr_dispatch_id 0
		.amdhsa_user_sgpr_kernarg_preload_length 0
		.amdhsa_user_sgpr_kernarg_preload_offset 0
		.amdhsa_user_sgpr_private_segment_size 0
		.amdhsa_wavefront_size32 1
		.amdhsa_uses_dynamic_stack 0
		.amdhsa_enable_private_segment 0
		.amdhsa_system_sgpr_workgroup_id_x 1
		.amdhsa_system_sgpr_workgroup_id_y 0
		.amdhsa_system_sgpr_workgroup_id_z 0
		.amdhsa_system_sgpr_workgroup_info 0
		.amdhsa_system_vgpr_workitem_id 0
		.amdhsa_next_free_vgpr 1
		.amdhsa_next_free_sgpr 1
		.amdhsa_named_barrier_count 0
		.amdhsa_reserve_vcc 0
		.amdhsa_float_round_mode_32 0
		.amdhsa_float_round_mode_16_64 0
		.amdhsa_float_denorm_mode_32 3
		.amdhsa_float_denorm_mode_16_64 3
		.amdhsa_fp16_overflow 0
		.amdhsa_memory_ordered 1
		.amdhsa_forward_progress 1
		.amdhsa_inst_pref_size 1
		.amdhsa_round_robin_scheduling 0
		.amdhsa_exception_fp_ieee_invalid_op 0
		.amdhsa_exception_fp_denorm_src 0
		.amdhsa_exception_fp_ieee_div_zero 0
		.amdhsa_exception_fp_ieee_overflow 0
		.amdhsa_exception_fp_ieee_underflow 0
		.amdhsa_exception_fp_ieee_inexact 0
		.amdhsa_exception_int_div_zero 0
	.end_amdhsa_kernel
	.section	.text._ZL34rocblas_gemvn_sm_mn_batched_kernelILi32ELi24EPK16rocblas_bfloat16fKPfEviiT2_lPKT1_lilS8_lilS5_lPT3_lili,"axG",@progbits,_ZL34rocblas_gemvn_sm_mn_batched_kernelILi32ELi24EPK16rocblas_bfloat16fKPfEviiT2_lPKT1_lilS8_lilS5_lPT3_lili,comdat
.Lfunc_end663:
	.size	_ZL34rocblas_gemvn_sm_mn_batched_kernelILi32ELi24EPK16rocblas_bfloat16fKPfEviiT2_lPKT1_lilS8_lilS5_lPT3_lili, .Lfunc_end663-_ZL34rocblas_gemvn_sm_mn_batched_kernelILi32ELi24EPK16rocblas_bfloat16fKPfEviiT2_lPKT1_lilS8_lilS5_lPT3_lili
                                        ; -- End function
	.set _ZL34rocblas_gemvn_sm_mn_batched_kernelILi32ELi24EPK16rocblas_bfloat16fKPfEviiT2_lPKT1_lilS8_lilS5_lPT3_lili.num_vgpr, 0
	.set _ZL34rocblas_gemvn_sm_mn_batched_kernelILi32ELi24EPK16rocblas_bfloat16fKPfEviiT2_lPKT1_lilS8_lilS5_lPT3_lili.num_agpr, 0
	.set _ZL34rocblas_gemvn_sm_mn_batched_kernelILi32ELi24EPK16rocblas_bfloat16fKPfEviiT2_lPKT1_lilS8_lilS5_lPT3_lili.numbered_sgpr, 0
	.set _ZL34rocblas_gemvn_sm_mn_batched_kernelILi32ELi24EPK16rocblas_bfloat16fKPfEviiT2_lPKT1_lilS8_lilS5_lPT3_lili.num_named_barrier, 0
	.set _ZL34rocblas_gemvn_sm_mn_batched_kernelILi32ELi24EPK16rocblas_bfloat16fKPfEviiT2_lPKT1_lilS8_lilS5_lPT3_lili.private_seg_size, 0
	.set _ZL34rocblas_gemvn_sm_mn_batched_kernelILi32ELi24EPK16rocblas_bfloat16fKPfEviiT2_lPKT1_lilS8_lilS5_lPT3_lili.uses_vcc, 0
	.set _ZL34rocblas_gemvn_sm_mn_batched_kernelILi32ELi24EPK16rocblas_bfloat16fKPfEviiT2_lPKT1_lilS8_lilS5_lPT3_lili.uses_flat_scratch, 0
	.set _ZL34rocblas_gemvn_sm_mn_batched_kernelILi32ELi24EPK16rocblas_bfloat16fKPfEviiT2_lPKT1_lilS8_lilS5_lPT3_lili.has_dyn_sized_stack, 0
	.set _ZL34rocblas_gemvn_sm_mn_batched_kernelILi32ELi24EPK16rocblas_bfloat16fKPfEviiT2_lPKT1_lilS8_lilS5_lPT3_lili.has_recursion, 0
	.set _ZL34rocblas_gemvn_sm_mn_batched_kernelILi32ELi24EPK16rocblas_bfloat16fKPfEviiT2_lPKT1_lilS8_lilS5_lPT3_lili.has_indirect_call, 0
	.section	.AMDGPU.csdata,"",@progbits
; Kernel info:
; codeLenInByte = 4
; TotalNumSgprs: 0
; NumVgprs: 0
; ScratchSize: 0
; MemoryBound: 0
; FloatMode: 240
; IeeeMode: 1
; LDSByteSize: 0 bytes/workgroup (compile time only)
; SGPRBlocks: 0
; VGPRBlocks: 0
; NumSGPRsForWavesPerEU: 1
; NumVGPRsForWavesPerEU: 1
; NamedBarCnt: 0
; Occupancy: 16
; WaveLimiterHint : 0
; COMPUTE_PGM_RSRC2:SCRATCH_EN: 0
; COMPUTE_PGM_RSRC2:USER_SGPR: 2
; COMPUTE_PGM_RSRC2:TRAP_HANDLER: 0
; COMPUTE_PGM_RSRC2:TGID_X_EN: 1
; COMPUTE_PGM_RSRC2:TGID_Y_EN: 0
; COMPUTE_PGM_RSRC2:TGID_Z_EN: 0
; COMPUTE_PGM_RSRC2:TIDIG_COMP_CNT: 0
	.section	.text._ZL20rocblas_gemvn_kernelILi64ELi4EiPK16rocblas_bfloat16PKfKPfEviiT3_lPKT2_lT1_lSA_lSB_lS7_lPT4_lSB_li,"axG",@progbits,_ZL20rocblas_gemvn_kernelILi64ELi4EiPK16rocblas_bfloat16PKfKPfEviiT3_lPKT2_lT1_lSA_lSB_lS7_lPT4_lSB_li,comdat
	.globl	_ZL20rocblas_gemvn_kernelILi64ELi4EiPK16rocblas_bfloat16PKfKPfEviiT3_lPKT2_lT1_lSA_lSB_lS7_lPT4_lSB_li ; -- Begin function _ZL20rocblas_gemvn_kernelILi64ELi4EiPK16rocblas_bfloat16PKfKPfEviiT3_lPKT2_lT1_lSA_lSB_lS7_lPT4_lSB_li
	.p2align	8
	.type	_ZL20rocblas_gemvn_kernelILi64ELi4EiPK16rocblas_bfloat16PKfKPfEviiT3_lPKT2_lT1_lSA_lSB_lS7_lPT4_lSB_li,@function
_ZL20rocblas_gemvn_kernelILi64ELi4EiPK16rocblas_bfloat16PKfKPfEviiT3_lPKT2_lT1_lSA_lSB_lS7_lPT4_lSB_li: ; @_ZL20rocblas_gemvn_kernelILi64ELi4EiPK16rocblas_bfloat16PKfKPfEviiT3_lPKT2_lT1_lSA_lSB_lS7_lPT4_lSB_li
; %bb.0:
	s_clause 0x1
	s_load_b64 s[4:5], s[0:1], 0x9c
	s_load_b32 s33, s[0:1], 0x88
	s_bfe_u32 s2, ttmp6, 0x40014
	s_lshr_b32 s3, ttmp7, 16
	s_add_co_i32 s2, s2, 1
	s_bfe_u32 s6, ttmp6, 0x40008
	s_mul_i32 s7, s3, s2
	s_getreg_b32 s2, hwreg(HW_REG_IB_STS2, 6, 4)
	s_add_co_i32 s6, s6, s7
	s_mov_b32 s11, 0
	s_wait_kmcnt 0x0
	s_lshr_b32 s7, s4, 16
	s_and_b32 s4, s4, 0xffff
	s_and_b32 s5, s5, 0xffff
	s_mul_i32 s4, s7, s4
	s_cmp_eq_u32 s2, 0
	s_mul_i32 s4, s4, s5
	s_cselect_b32 s10, s3, s6
	s_cmp_lg_u32 s4, 0x100
	s_cselect_b32 s3, -1, 0
	s_cmp_ge_u32 s10, s33
	s_cselect_b32 s4, -1, 0
	s_delay_alu instid0(SALU_CYCLE_1) | instskip(NEXT) | instid1(SALU_CYCLE_1)
	s_or_b32 s3, s3, s4
	s_and_b32 vcc_lo, exec_lo, s3
	s_cbranch_vccnz .LBB664_56
; %bb.1:
	s_clause 0x6
	s_load_b32 s4, s[0:1], 0x78
	s_load_b64 s[8:9], s[0:1], 0x0
	s_load_b256 s[12:19], s[0:1], 0x8
	s_load_b32 s34, s[0:1], 0x28
	s_load_b128 s[28:31], s[0:1], 0x38
	s_load_b32 s35, s[0:1], 0x48
	s_load_b256 s[20:27], s[0:1], 0x58
	s_wait_xcnt 0x0
	s_bfe_u32 s0, ttmp6, 0x4000c
	v_and_b32_e32 v6, 0x3ff, v0
	s_add_co_i32 s0, s0, 1
	v_bfe_u32 v7, v0, 10, 10
	s_and_b32 s1, ttmp6, 15
	s_mul_i32 s0, ttmp9, s0
	v_mov_b32_e32 v1, 0
	s_add_co_i32 s1, s1, s0
	v_lshl_add_u32 v5, v7, 6, v6
	v_lshlrev_b32_e32 v26, 2, v7
	s_wait_kmcnt 0x0
	s_ashr_i32 s5, s4, 31
	s_cmp_eq_u32 s2, 0
	s_mov_b32 s2, s8
	s_cselect_b32 s0, ttmp9, s1
	s_ashr_i32 s3, s8, 31
	s_lshl_b32 s36, s0, 8
	s_ashr_i32 s1, s9, 31
	v_dual_add_nc_u32 v0, s36, v5 :: v_dual_bitop2_b32 v27, s36, v6 bitop3:0x54
	v_or_b32_e32 v8, s36, v5
	s_lshr_b32 s0, s1, 28
	v_mul_lo_u32 v11, v7, s34
	s_delay_alu instid0(VALU_DEP_3)
	v_cmp_gt_i64_e32 vcc_lo, s[2:3], v[0:1]
	v_add_nc_u32_e32 v4, 64, v27
	v_add_nc_u32_e32 v9, 0x80, v27
	v_mul_u64_e32 v[2:3], s[4:5], v[0:1]
	v_add_nc_u32_e32 v0, 0xc0, v27
	s_add_co_i32 s0, s9, s0
	v_cmp_gt_i32_e64 s2, s8, v4
	v_mul_lo_u32 v4, s4, v8
	v_cmp_gt_i32_e64 s3, s8, v9
	v_lshlrev_b32_e32 v9, 2, v6
	v_cmp_gt_i32_e64 s4, s8, v0
	v_cmp_gt_u32_e64 s5, 0x100, v5
	s_and_b32 s37, s0, -16
	v_or_b32_e32 v10, 3, v26
	s_sub_co_i32 s6, s9, s37
	v_mad_u32 v31, s35, v26, s35
	s_cmp_gt_i32 s6, 0
	v_cmp_gt_i32_e64 s6, s8, v8
	v_ashrrev_i32_e32 v5, 31, v4
	v_lshl_add_u32 v0, v7, 10, v9
	v_lshl_add_u32 v28, v7, 8, v9
	v_mul_lo_u32 v7, v7, s35
	v_mul_lo_u32 v8, s34, v26
	v_or_b32_e32 v9, 2, v26
	v_mad_u32 v30, s34, v10, v6
	v_mul_lo_u32 v33, s35, v10
	v_cmp_gt_i32_e64 s0, s37, v26
	v_cmp_gt_i32_e64 s1, s8, v27
	v_lshl_add_u32 v35, v11, 2, v6
	s_cselect_b32 s38, -1, 0
	s_and_b32 s39, s5, vcc_lo
	s_lshl_b32 s40, s34, 4
	v_lshlrev_b32_e32 v36, 2, v7
	v_mad_u32 v29, s34, v9, v6
	v_mul_lo_u32 v32, s35, v9
	v_add3_u32 v34, v8, s34, v6
	s_lshl_b32 s41, s35, 4
	s_lshl_b64 s[18:19], s[18:19], 1
	s_lshl_b64 s[30:31], s[30:31], 1
	s_lshl_b64 s[26:27], s[26:27], 2
	s_branch .LBB664_4
.LBB664_2:                              ;   in Loop: Header=BB664_4 Depth=1
	s_wait_xcnt 0x0
	s_or_b32 exec_lo, exec_lo, s7
.LBB664_3:                              ;   in Loop: Header=BB664_4 Depth=1
	s_add_co_i32 s10, s10, 0x10000
	s_delay_alu instid0(SALU_CYCLE_1)
	s_cmp_lt_u32 s10, s33
	s_cbranch_scc0 .LBB664_56
.LBB664_4:                              ; =>This Loop Header: Depth=1
                                        ;     Child Loop BB664_24 Depth 2
	s_mul_u64 s[42:43], s[14:15], s[10:11]
	s_wait_xcnt 0x0
	s_mul_u64 s[44:45], s[22:23], s[10:11]
	s_lshl_b64 s[42:43], s[42:43], 2
	s_lshl_b64 s[44:45], s[44:45], 2
	s_add_nc_u64 s[42:43], s[12:13], s[42:43]
	s_add_nc_u64 s[44:45], s[20:21], s[44:45]
	s_clause 0x1
	global_load_b32 v37, v1, s[42:43]
	global_load_b32 v6, v1, s[44:45]
	s_wait_loadcnt 0x1
	v_cmp_eq_f32_e64 s7, 0, v37
	s_wait_loadcnt 0x0
	v_cmp_eq_f32_e32 vcc_lo, 1.0, v6
	s_wait_xcnt 0x1
	v_readfirstlane_b32 s42, v6
	s_and_b32 s8, s7, vcc_lo
	s_delay_alu instid0(SALU_CYCLE_1)
	s_and_b32 vcc_lo, exec_lo, s8
	s_cbranch_vccnz .LBB664_3
; %bb.5:                                ;   in Loop: Header=BB664_4 Depth=1
	v_mov_b64_e32 v[10:11], 0
	v_mov_b64_e32 v[8:9], 0
	v_cmp_neq_f32_e64 s8, 0, v37
	s_and_b32 vcc_lo, exec_lo, s7
	s_cbranch_vccnz .LBB664_7
; %bb.6:                                ;   in Loop: Header=BB664_4 Depth=1
	s_wait_xcnt 0x0
	s_lshl_b64 s[44:45], s[10:11], 3
	s_delay_alu instid0(SALU_CYCLE_1)
	s_add_nc_u64 s[44:45], s[16:17], s[44:45]
	global_load_b64 v[6:7], v1, s[44:45]
	s_wait_loadcnt 0x0
	v_add_nc_u64_e32 v[8:9], s[18:19], v[6:7]
.LBB664_7:                              ;   in Loop: Header=BB664_4 Depth=1
	s_and_not1_b32 vcc_lo, exec_lo, s8
	s_cbranch_vccnz .LBB664_9
; %bb.8:                                ;   in Loop: Header=BB664_4 Depth=1
	s_wait_xcnt 0x0
	s_lshl_b64 s[44:45], s[10:11], 3
	s_delay_alu instid0(SALU_CYCLE_1)
	s_add_nc_u64 s[44:45], s[28:29], s[44:45]
	global_load_b64 v[6:7], v1, s[44:45]
	s_wait_loadcnt 0x0
	v_add_nc_u64_e32 v[10:11], s[30:31], v[6:7]
.LBB664_9:                              ;   in Loop: Header=BB664_4 Depth=1
	s_wait_xcnt 0x0
	s_lshl_b64 s[44:45], s[10:11], 3
	s_and_not1_b32 vcc_lo, exec_lo, s7
	s_add_nc_u64 s[44:45], s[24:25], s[44:45]
	global_load_b64 v[6:7], v1, s[44:45]
	s_wait_loadcnt 0x0
	v_add_nc_u64_e32 v[6:7], s[26:27], v[6:7]
	s_cbranch_vccnz .LBB664_13
; %bb.10:                               ;   in Loop: Header=BB664_4 Depth=1
	s_mov_b32 s7, 0
	s_mov_b32 s8, 0
                                        ; implicit-def: $vgpr12
	s_wait_xcnt 0x0
	s_and_saveexec_b32 s43, s39
	s_cbranch_execz .LBB664_14
; %bb.11:                               ;   in Loop: Header=BB664_4 Depth=1
	s_cmp_eq_f32 s42, 0
	s_cbranch_scc1 .LBB664_16
; %bb.12:                               ;   in Loop: Header=BB664_4 Depth=1
	v_lshl_add_u64 v[12:13], v[2:3], 2, v[6:7]
	flat_load_b32 v12, v[12:13]
	s_wait_loadcnt_dscnt 0x0
	s_wait_xcnt 0x0
	v_mul_f32_e32 v12, s42, v12
	s_branch .LBB664_17
.LBB664_13:                             ;   in Loop: Header=BB664_4 Depth=1
	s_mov_b32 s8, 0
                                        ; implicit-def: $vgpr12
	s_cbranch_execz .LBB664_15
	s_branch .LBB664_18
.LBB664_14:                             ;   in Loop: Header=BB664_4 Depth=1
	s_or_b32 exec_lo, exec_lo, s43
	s_delay_alu instid0(SALU_CYCLE_1)
	s_and_b32 vcc_lo, exec_lo, s7
	s_cbranch_vccnz .LBB664_18
.LBB664_15:                             ;   in Loop: Header=BB664_4 Depth=1
	v_mov_b64_e32 v[8:9], v[2:3]
	s_wait_xcnt 0x0
	s_and_saveexec_b32 s7, s8
	s_cbranch_execz .LBB664_2
	s_branch .LBB664_55
.LBB664_16:                             ;   in Loop: Header=BB664_4 Depth=1
	v_mov_b32_e32 v12, 0
.LBB664_17:                             ;   in Loop: Header=BB664_4 Depth=1
	s_mov_b32 s8, exec_lo
	s_or_b32 exec_lo, exec_lo, s43
	s_delay_alu instid0(SALU_CYCLE_1)
	s_and_b32 vcc_lo, exec_lo, s7
	s_cbranch_vccz .LBB664_15
.LBB664_18:                             ;   in Loop: Header=BB664_4 Depth=1
	v_dual_mov_b32 v38, 0 :: v_dual_mov_b32 v42, v26
	v_dual_mov_b32 v39, 0 :: v_dual_mov_b32 v40, 0
	v_mov_b32_e32 v41, 0
	s_wait_xcnt 0x0
	s_and_saveexec_b32 s7, s0
	s_cbranch_execz .LBB664_30
; %bb.19:                               ;   in Loop: Header=BB664_4 Depth=1
	v_dual_mov_b32 v38, 0 :: v_dual_mov_b32 v43, v35
	v_dual_mov_b32 v44, v30 :: v_dual_mov_b32 v45, v29
	;; [unrolled: 1-line block ×4, first 2 shown]
	v_mov_b32_e32 v41, 0
	s_mov_b32 s43, 0
	s_mov_b32 s44, 0
	s_branch .LBB664_24
.LBB664_20:                             ;   in Loop: Header=BB664_24 Depth=2
	s_or_b32 exec_lo, exec_lo, s48
	s_wait_loadcnt_dscnt 0x202
	v_dual_lshlrev_b32 v17, 16, v56 :: v_dual_lshlrev_b32 v16, 16, v55
	s_delay_alu instid0(VALU_DEP_1) | instskip(SKIP_1) | instid1(VALU_DEP_1)
	v_pk_mul_f32 v[16:17], v[14:15], v[16:17]
	s_wait_loadcnt_dscnt 0x0
	v_dual_add_f32 v16, v40, v16 :: v_dual_lshlrev_b32 v19, 16, v54
	s_delay_alu instid0(VALU_DEP_1) | instskip(SKIP_1) | instid1(VALU_DEP_1)
	v_add_f32_e32 v20, v16, v17
	v_lshlrev_b32_e32 v18, 16, v53
	v_pk_mul_f32 v[16:17], v[12:13], v[18:19]
	s_delay_alu instid0(VALU_DEP_1) | instskip(NEXT) | instid1(VALU_DEP_1)
	v_add_f32_e32 v16, v20, v16
	v_add_f32_e32 v40, v16, v17
.LBB664_21:                             ;   in Loop: Header=BB664_24 Depth=2
	s_or_b32 exec_lo, exec_lo, s47
	s_wait_loadcnt_dscnt 0x202
	v_dual_lshlrev_b32 v17, 16, v52 :: v_dual_lshlrev_b32 v16, 16, v51
	s_delay_alu instid0(VALU_DEP_1) | instskip(SKIP_1) | instid1(VALU_DEP_1)
	v_pk_mul_f32 v[16:17], v[14:15], v[16:17]
	s_wait_loadcnt_dscnt 0x0
	v_dual_add_f32 v16, v39, v16 :: v_dual_lshlrev_b32 v19, 16, v25
	s_delay_alu instid0(VALU_DEP_1) | instskip(NEXT) | instid1(VALU_DEP_1)
	v_dual_lshlrev_b32 v18, 16, v24 :: v_dual_add_f32 v20, v16, v17
	v_pk_mul_f32 v[16:17], v[12:13], v[18:19]
	s_delay_alu instid0(VALU_DEP_1) | instskip(NEXT) | instid1(VALU_DEP_1)
	v_add_f32_e32 v16, v20, v16
	v_add_f32_e32 v39, v16, v17
.LBB664_22:                             ;   in Loop: Header=BB664_24 Depth=2
	s_or_b32 exec_lo, exec_lo, s46
	s_wait_loadcnt_dscnt 0x202
	v_dual_lshlrev_b32 v17, 16, v50 :: v_dual_lshlrev_b32 v16, 16, v49
	s_delay_alu instid0(VALU_DEP_1) | instskip(SKIP_1) | instid1(VALU_DEP_1)
	v_pk_mul_f32 v[14:15], v[14:15], v[16:17]
	s_wait_loadcnt_dscnt 0x0
	v_dual_add_f32 v14, v38, v14 :: v_dual_lshlrev_b32 v17, 16, v48
	s_delay_alu instid0(VALU_DEP_1) | instskip(SKIP_1) | instid1(VALU_DEP_1)
	v_add_f32_e32 v14, v14, v15
	v_lshlrev_b32_e32 v16, 16, v47
	v_pk_mul_f32 v[12:13], v[12:13], v[16:17]
	s_delay_alu instid0(VALU_DEP_1) | instskip(NEXT) | instid1(VALU_DEP_1)
	v_add_f32_e32 v12, v14, v12
	v_add_f32_e32 v38, v12, v13
.LBB664_23:                             ;   in Loop: Header=BB664_24 Depth=2
	s_or_b32 exec_lo, exec_lo, s45
	v_dual_add_nc_u32 v42, 16, v42 :: v_dual_add_nc_u32 v45, s40, v45
	v_dual_add_nc_u32 v46, s40, v46 :: v_dual_add_nc_u32 v44, s40, v44
	v_add_nc_u32_e32 v43, s40, v43
	s_delay_alu instid0(VALU_DEP_3) | instskip(SKIP_2) | instid1(SALU_CYCLE_1)
	v_cmp_le_i32_e32 vcc_lo, s37, v42
	s_add_co_i32 s44, s44, s41
	s_or_b32 s43, vcc_lo, s43
	s_and_not1_b32 exec_lo, exec_lo, s43
	s_cbranch_execz .LBB664_29
.LBB664_24:                             ;   Parent Loop BB664_4 Depth=1
                                        ; =>  This Inner Loop Header: Depth=2
	s_and_saveexec_b32 s45, s1
	s_cbranch_execz .LBB664_23
; %bb.25:                               ;   in Loop: Header=BB664_24 Depth=2
	v_dual_add_nc_u32 v12, s44, v36 :: v_dual_add_nc_u32 v13, s44, v31
	v_readfirstlane_b32 s46, v10
	v_readfirstlane_b32 s47, v11
	v_dual_add_nc_u32 v14, s44, v32 :: v_dual_add_nc_u32 v15, s44, v33
	s_clause 0x3
	flat_load_u16 v17, v12, s[46:47] scale_offset
	flat_load_u16 v18, v13, s[46:47] scale_offset
	;; [unrolled: 1-line block ×4, first 2 shown]
	v_dual_add_nc_u32 v16, s36, v43 :: v_dual_add_nc_u32 v20, s36, v46
	s_wait_xcnt 0x0
	v_readfirstlane_b32 s46, v8
	v_readfirstlane_b32 s47, v9
	v_dual_add_nc_u32 v24, s36, v45 :: v_dual_add_nc_u32 v22, s36, v44
	s_clause 0x3
	flat_load_u16 v49, v16, s[46:47] scale_offset
	flat_load_u16 v50, v20, s[46:47] scale_offset
	;; [unrolled: 1-line block ×4, first 2 shown]
	s_wait_loadcnt_dscnt 0x606
	v_dual_lshlrev_b32 v14, 16, v17 :: v_dual_lshlrev_b32 v15, 16, v18
	s_wait_loadcnt_dscnt 0x404
	v_dual_lshlrev_b32 v12, 16, v19 :: v_dual_lshlrev_b32 v13, 16, v21
	s_wait_xcnt 0x0
	s_and_saveexec_b32 s46, s2
	s_cbranch_execz .LBB664_22
; %bb.26:                               ;   in Loop: Header=BB664_24 Depth=2
	v_dual_ashrrev_i32 v17, 31, v16 :: v_dual_ashrrev_i32 v23, 31, v22
	v_ashrrev_i32_e32 v21, 31, v20
	v_ashrrev_i32_e32 v25, 31, v24
	s_delay_alu instid0(VALU_DEP_3) | instskip(NEXT) | instid1(VALU_DEP_4)
	v_lshl_add_u64 v[18:19], v[16:17], 1, v[8:9]
	v_lshl_add_u64 v[22:23], v[22:23], 1, v[8:9]
	s_delay_alu instid0(VALU_DEP_4) | instskip(NEXT) | instid1(VALU_DEP_4)
	v_lshl_add_u64 v[16:17], v[20:21], 1, v[8:9]
	v_lshl_add_u64 v[20:21], v[24:25], 1, v[8:9]
	s_clause 0x3
	flat_load_u16 v51, v[18:19] offset:128
	flat_load_u16 v52, v[16:17] offset:128
	;; [unrolled: 1-line block ×4, first 2 shown]
	s_wait_xcnt 0x0
	s_and_saveexec_b32 s47, s3
	s_cbranch_execz .LBB664_21
; %bb.27:                               ;   in Loop: Header=BB664_24 Depth=2
	s_clause 0x3
	flat_load_u16 v55, v[18:19] offset:256
	flat_load_u16 v56, v[16:17] offset:256
	;; [unrolled: 1-line block ×4, first 2 shown]
	s_wait_xcnt 0x0
	s_and_saveexec_b32 s48, s4
	s_cbranch_execz .LBB664_20
; %bb.28:                               ;   in Loop: Header=BB664_24 Depth=2
	s_clause 0x3
	flat_load_u16 v57, v[16:17] offset:384
	flat_load_u16 v58, v[18:19] offset:384
	;; [unrolled: 1-line block ×4, first 2 shown]
	s_wait_loadcnt_dscnt 0x202
	s_wait_xcnt 0x3
	v_dual_lshlrev_b32 v17, 16, v57 :: v_dual_lshlrev_b32 v16, 16, v58
	s_delay_alu instid0(VALU_DEP_1) | instskip(SKIP_2) | instid1(VALU_DEP_1)
	v_pk_mul_f32 v[16:17], v[14:15], v[16:17]
	s_wait_loadcnt_dscnt 0x101
	s_wait_xcnt 0x2
	v_dual_add_f32 v16, v41, v16 :: v_dual_lshlrev_b32 v19, 16, v59
	s_wait_loadcnt_dscnt 0x0
	s_wait_xcnt 0x0
	s_delay_alu instid0(VALU_DEP_1) | instskip(NEXT) | instid1(VALU_DEP_1)
	v_dual_lshlrev_b32 v18, 16, v60 :: v_dual_add_f32 v20, v16, v17
	v_pk_mul_f32 v[16:17], v[12:13], v[18:19]
	s_delay_alu instid0(VALU_DEP_1) | instskip(NEXT) | instid1(VALU_DEP_1)
	v_add_f32_e32 v16, v20, v16
	v_add_f32_e32 v41, v16, v17
	s_branch .LBB664_20
.LBB664_29:                             ;   in Loop: Header=BB664_4 Depth=1
	s_or_b32 exec_lo, exec_lo, s43
.LBB664_30:                             ;   in Loop: Header=BB664_4 Depth=1
	s_delay_alu instid0(SALU_CYCLE_1) | instskip(NEXT) | instid1(SALU_CYCLE_1)
	s_or_b32 exec_lo, exec_lo, s7
	s_and_not1_b32 vcc_lo, exec_lo, s38
	s_cbranch_vccnz .LBB664_48
; %bb.31:                               ;   in Loop: Header=BB664_4 Depth=1
	v_dual_mov_b32 v12, 0 :: v_dual_bitop2_b32 v16, 1, v42 bitop3:0x54
	v_cmp_gt_i32_e32 vcc_lo, s9, v42
	s_delay_alu instid0(VALU_DEP_2)
	v_dual_mov_b32 v13, v12 :: v_dual_mov_b32 v14, v12
	v_mov_b32_e32 v15, v12
	s_and_saveexec_b32 s43, vcc_lo
	s_cbranch_execz .LBB664_39
; %bb.32:                               ;   in Loop: Header=BB664_4 Depth=1
	v_mul_lo_u32 v12, v42, s35
	v_readfirstlane_b32 s44, v10
	v_readfirstlane_b32 s45, v11
	v_dual_mov_b32 v15, 0 :: v_dual_mov_b32 v13, 0
	flat_load_u16 v14, v12, s[44:45] scale_offset
	s_wait_xcnt 0x0
	v_mov_b32_e32 v12, 0
	s_mov_b32 s44, exec_lo
	v_cmpx_gt_i32_e64 s9, v16
	s_cbranch_execz .LBB664_38
; %bb.33:                               ;   in Loop: Header=BB664_4 Depth=1
	v_mul_lo_u32 v12, v16, s35
	v_readfirstlane_b32 s46, v10
	v_readfirstlane_b32 s47, v11
	v_dual_mov_b32 v13, 0 :: v_dual_bitop2_b32 v17, 2, v42 bitop3:0x54
	s_mov_b32 s45, exec_lo
	flat_load_u16 v15, v12, s[46:47] scale_offset
	s_wait_xcnt 0x0
	v_mov_b32_e32 v12, 0
	v_cmpx_gt_i32_e64 s9, v17
	s_cbranch_execz .LBB664_37
; %bb.34:                               ;   in Loop: Header=BB664_4 Depth=1
	v_mul_lo_u32 v12, v17, s35
	v_readfirstlane_b32 s46, v10
	v_readfirstlane_b32 s47, v11
	v_dual_mov_b32 v13, 0 :: v_dual_bitop2_b32 v17, 3, v42 bitop3:0x54
	flat_load_u16 v12, v12, s[46:47] scale_offset
	s_wait_xcnt 0x0
	s_mov_b32 s46, exec_lo
	v_cmpx_gt_i32_e64 s9, v17
	s_cbranch_execz .LBB664_36
; %bb.35:                               ;   in Loop: Header=BB664_4 Depth=1
	v_mul_lo_u32 v13, v17, s35
	v_readfirstlane_b32 s48, v10
	v_readfirstlane_b32 s49, v11
	flat_load_u16 v10, v13, s[48:49] scale_offset
	s_wait_loadcnt_dscnt 0x0
	s_wait_xcnt 0x0
	v_lshlrev_b32_e32 v13, 16, v10
.LBB664_36:                             ;   in Loop: Header=BB664_4 Depth=1
	s_or_b32 exec_lo, exec_lo, s46
	s_wait_loadcnt_dscnt 0x0
	v_lshlrev_b32_e32 v12, 16, v12
.LBB664_37:                             ;   in Loop: Header=BB664_4 Depth=1
	s_or_b32 exec_lo, exec_lo, s45
	s_wait_loadcnt_dscnt 0x0
	v_lshlrev_b32_e32 v15, 16, v15
.LBB664_38:                             ;   in Loop: Header=BB664_4 Depth=1
	s_or_b32 exec_lo, exec_lo, s44
	s_wait_loadcnt_dscnt 0x0
	v_lshlrev_b32_e32 v14, 16, v14
.LBB664_39:                             ;   in Loop: Header=BB664_4 Depth=1
	s_or_b32 exec_lo, exec_lo, s43
	s_and_saveexec_b32 s43, s1
	s_cbranch_execz .LBB664_47
; %bb.40:                               ;   in Loop: Header=BB664_4 Depth=1
	v_mul_lo_u32 v17, v16, s34
	v_cmp_gt_i32_e64 s7, s9, v16
	v_or_b32_e32 v10, 2, v42
	v_mul_lo_u32 v20, v42, s34
	v_or_b32_e32 v11, 3, v42
	v_readfirstlane_b32 s44, v8
	v_readfirstlane_b32 s45, v9
	s_delay_alu instid0(VALU_DEP_3) | instskip(SKIP_3) | instid1(VALU_DEP_1)
	v_mul_lo_u32 v19, v11, s34
	v_cndmask_b32_e64 v16, 0, v17, s7
	v_mul_lo_u32 v18, v10, s34
	v_cmp_gt_i32_e64 s7, s9, v10
	v_cndmask_b32_e64 v17, 0, v18, s7
	v_cmp_gt_i32_e64 s7, s9, v11
	s_delay_alu instid0(VALU_DEP_1) | instskip(NEXT) | instid1(VALU_DEP_3)
	v_dual_cndmask_b32 v11, 0, v19, s7 :: v_dual_cndmask_b32 v19, 0, v20, vcc_lo
	v_dual_add_nc_u32 v10, v16, v27 :: v_dual_add_nc_u32 v18, v17, v27
	s_delay_alu instid0(VALU_DEP_2) | instskip(NEXT) | instid1(VALU_DEP_3)
	v_add_nc_u32_e32 v20, v11, v27
	v_add_nc_u32_e32 v16, v19, v27
	s_clause 0x3
	flat_load_u16 v24, v10, s[44:45] scale_offset
	flat_load_u16 v22, v18, s[44:45] scale_offset
	flat_load_u16 v23, v20, s[44:45] scale_offset
	flat_load_u16 v25, v16, s[44:45] scale_offset
	s_wait_xcnt 0x0
	s_and_saveexec_b32 s7, s2
	s_cbranch_execz .LBB664_46
; %bb.41:                               ;   in Loop: Header=BB664_4 Depth=1
	v_dual_ashrrev_i32 v17, 31, v16 :: v_dual_ashrrev_i32 v11, 31, v10
	v_dual_ashrrev_i32 v19, 31, v18 :: v_dual_ashrrev_i32 v21, 31, v20
	s_delay_alu instid0(VALU_DEP_2) | instskip(NEXT) | instid1(VALU_DEP_3)
	v_lshl_add_u64 v[16:17], v[16:17], 1, v[8:9]
	v_lshl_add_u64 v[10:11], v[10:11], 1, v[8:9]
	s_delay_alu instid0(VALU_DEP_3) | instskip(NEXT) | instid1(VALU_DEP_4)
	v_lshl_add_u64 v[18:19], v[18:19], 1, v[8:9]
	v_lshl_add_u64 v[8:9], v[20:21], 1, v[8:9]
	s_clause 0x3
	flat_load_u16 v42, v[16:17] offset:128
	flat_load_u16 v43, v[10:11] offset:128
	;; [unrolled: 1-line block ×4, first 2 shown]
	s_wait_xcnt 0x0
	s_and_saveexec_b32 s44, s3
	s_cbranch_execz .LBB664_45
; %bb.42:                               ;   in Loop: Header=BB664_4 Depth=1
	s_clause 0x3
	flat_load_u16 v46, v[16:17] offset:256
	flat_load_u16 v47, v[10:11] offset:256
	;; [unrolled: 1-line block ×4, first 2 shown]
	s_wait_xcnt 0x0
	s_and_saveexec_b32 s45, s4
	s_cbranch_execz .LBB664_44
; %bb.43:                               ;   in Loop: Header=BB664_4 Depth=1
	s_clause 0x3
	flat_load_u16 v48, v[10:11] offset:384
	flat_load_u16 v49, v[16:17] offset:384
	;; [unrolled: 1-line block ×4, first 2 shown]
	s_wait_loadcnt_dscnt 0x202
	s_wait_xcnt 0x1
	v_dual_lshlrev_b32 v9, 16, v48 :: v_dual_lshlrev_b32 v8, 16, v49
	s_delay_alu instid0(VALU_DEP_1) | instskip(SKIP_1) | instid1(VALU_DEP_1)
	v_pk_mul_f32 v[8:9], v[14:15], v[8:9]
	s_wait_loadcnt_dscnt 0x101
	v_dual_add_f32 v8, v41, v8 :: v_dual_lshlrev_b32 v11, 16, v50
	s_wait_loadcnt_dscnt 0x0
	s_delay_alu instid0(VALU_DEP_1) | instskip(NEXT) | instid1(VALU_DEP_1)
	v_dual_lshlrev_b32 v10, 16, v51 :: v_dual_add_f32 v16, v8, v9
	v_pk_mul_f32 v[8:9], v[12:13], v[10:11]
	s_delay_alu instid0(VALU_DEP_1) | instskip(NEXT) | instid1(VALU_DEP_1)
	v_add_f32_e32 v8, v16, v8
	v_add_f32_e32 v41, v8, v9
.LBB664_44:                             ;   in Loop: Header=BB664_4 Depth=1
	s_wait_xcnt 0x0
	s_or_b32 exec_lo, exec_lo, s45
	s_wait_loadcnt_dscnt 0x202
	v_dual_lshlrev_b32 v9, 16, v47 :: v_dual_lshlrev_b32 v8, 16, v46
	s_delay_alu instid0(VALU_DEP_1) | instskip(SKIP_1) | instid1(VALU_DEP_1)
	v_pk_mul_f32 v[8:9], v[14:15], v[8:9]
	s_wait_loadcnt_dscnt 0x0
	v_dual_add_f32 v8, v40, v8 :: v_dual_lshlrev_b32 v11, 16, v45
	s_delay_alu instid0(VALU_DEP_1) | instskip(NEXT) | instid1(VALU_DEP_1)
	v_dual_lshlrev_b32 v10, 16, v44 :: v_dual_add_f32 v16, v8, v9
	v_pk_mul_f32 v[8:9], v[12:13], v[10:11]
	s_delay_alu instid0(VALU_DEP_1) | instskip(NEXT) | instid1(VALU_DEP_1)
	v_add_f32_e32 v8, v16, v8
	v_add_f32_e32 v40, v8, v9
.LBB664_45:                             ;   in Loop: Header=BB664_4 Depth=1
	s_or_b32 exec_lo, exec_lo, s44
	s_wait_loadcnt_dscnt 0x202
	v_dual_lshlrev_b32 v9, 16, v43 :: v_dual_lshlrev_b32 v8, 16, v42
	s_delay_alu instid0(VALU_DEP_1) | instskip(SKIP_1) | instid1(VALU_DEP_1)
	v_pk_mul_f32 v[8:9], v[14:15], v[8:9]
	s_wait_loadcnt_dscnt 0x0
	v_dual_add_f32 v8, v39, v8 :: v_dual_lshlrev_b32 v11, 16, v21
	s_delay_alu instid0(VALU_DEP_1) | instskip(NEXT) | instid1(VALU_DEP_1)
	v_dual_lshlrev_b32 v10, 16, v20 :: v_dual_add_f32 v16, v8, v9
	v_pk_mul_f32 v[8:9], v[12:13], v[10:11]
	s_delay_alu instid0(VALU_DEP_1) | instskip(NEXT) | instid1(VALU_DEP_1)
	v_add_f32_e32 v8, v16, v8
	v_add_f32_e32 v39, v8, v9
.LBB664_46:                             ;   in Loop: Header=BB664_4 Depth=1
	s_or_b32 exec_lo, exec_lo, s7
	s_wait_loadcnt_dscnt 0x0
	v_dual_lshlrev_b32 v9, 16, v24 :: v_dual_lshlrev_b32 v8, 16, v25
	s_delay_alu instid0(VALU_DEP_1) | instskip(NEXT) | instid1(VALU_DEP_1)
	v_pk_mul_f32 v[8:9], v[14:15], v[8:9]
	v_dual_add_f32 v8, v38, v8 :: v_dual_lshlrev_b32 v11, 16, v23
	s_delay_alu instid0(VALU_DEP_1) | instskip(NEXT) | instid1(VALU_DEP_1)
	v_dual_lshlrev_b32 v10, 16, v22 :: v_dual_add_f32 v14, v8, v9
	v_pk_mul_f32 v[8:9], v[12:13], v[10:11]
	s_delay_alu instid0(VALU_DEP_1) | instskip(NEXT) | instid1(VALU_DEP_1)
	v_add_f32_e32 v8, v14, v8
	v_add_f32_e32 v38, v8, v9
.LBB664_47:                             ;   in Loop: Header=BB664_4 Depth=1
	s_or_b32 exec_lo, exec_lo, s43
.LBB664_48:                             ;   in Loop: Header=BB664_4 Depth=1
	ds_store_2addr_stride64_b32 v0, v38, v39 offset1:1
	ds_store_2addr_stride64_b32 v0, v40, v41 offset0:2 offset1:3
	s_wait_dscnt 0x0
	s_barrier_signal -1
	s_barrier_wait -1
                                        ; implicit-def: $vgpr12
	s_and_saveexec_b32 s7, s5
	s_cbranch_execz .LBB664_54
; %bb.49:                               ;   in Loop: Header=BB664_4 Depth=1
	ds_load_2addr_stride64_b32 v[8:9], v28 offset1:4
	ds_load_2addr_stride64_b32 v[10:11], v28 offset0:8 offset1:12
	s_mov_b32 s44, s8
                                        ; implicit-def: $vgpr12
	s_wait_dscnt 0x1
	v_add_f32_e32 v8, v8, v9
	s_wait_dscnt 0x0
	s_delay_alu instid0(VALU_DEP_1) | instskip(NEXT) | instid1(VALU_DEP_1)
	v_add_f32_e32 v8, v10, v8
	v_add_f32_e32 v8, v11, v8
	ds_store_b32 v28, v8
	s_and_saveexec_b32 s43, s6
	s_cbranch_execz .LBB664_53
; %bb.50:                               ;   in Loop: Header=BB664_4 Depth=1
	v_mul_f32_e32 v12, v37, v8
	s_cmp_eq_f32 s42, 0
	s_cbranch_scc1 .LBB664_52
; %bb.51:                               ;   in Loop: Header=BB664_4 Depth=1
	v_lshl_add_u64 v[8:9], v[4:5], 2, v[6:7]
	flat_load_b32 v8, v[8:9]
	s_wait_loadcnt_dscnt 0x0
	v_fmac_f32_e32 v12, s42, v8
.LBB664_52:                             ;   in Loop: Header=BB664_4 Depth=1
	s_or_b32 s44, s8, exec_lo
.LBB664_53:                             ;   in Loop: Header=BB664_4 Depth=1
	s_wait_xcnt 0x0
	s_or_b32 exec_lo, exec_lo, s43
	s_delay_alu instid0(SALU_CYCLE_1) | instskip(SKIP_1) | instid1(SALU_CYCLE_1)
	s_and_not1_b32 s8, s8, exec_lo
	s_and_b32 s42, s44, exec_lo
	s_or_b32 s8, s8, s42
.LBB664_54:                             ;   in Loop: Header=BB664_4 Depth=1
	s_or_b32 exec_lo, exec_lo, s7
	v_mov_b64_e32 v[8:9], v[4:5]
	s_and_saveexec_b32 s7, s8
	s_cbranch_execz .LBB664_2
.LBB664_55:                             ;   in Loop: Header=BB664_4 Depth=1
	s_delay_alu instid0(VALU_DEP_1)
	v_lshl_add_u64 v[6:7], v[8:9], 2, v[6:7]
	flat_store_b32 v[6:7], v12
	s_branch .LBB664_2
.LBB664_56:
	s_endpgm
	.section	.rodata,"a",@progbits
	.p2align	6, 0x0
	.amdhsa_kernel _ZL20rocblas_gemvn_kernelILi64ELi4EiPK16rocblas_bfloat16PKfKPfEviiT3_lPKT2_lT1_lSA_lSB_lS7_lPT4_lSB_li
		.amdhsa_group_segment_fixed_size 4096
		.amdhsa_private_segment_fixed_size 0
		.amdhsa_kernarg_size 400
		.amdhsa_user_sgpr_count 2
		.amdhsa_user_sgpr_dispatch_ptr 0
		.amdhsa_user_sgpr_queue_ptr 0
		.amdhsa_user_sgpr_kernarg_segment_ptr 1
		.amdhsa_user_sgpr_dispatch_id 0
		.amdhsa_user_sgpr_kernarg_preload_length 0
		.amdhsa_user_sgpr_kernarg_preload_offset 0
		.amdhsa_user_sgpr_private_segment_size 0
		.amdhsa_wavefront_size32 1
		.amdhsa_uses_dynamic_stack 0
		.amdhsa_enable_private_segment 0
		.amdhsa_system_sgpr_workgroup_id_x 1
		.amdhsa_system_sgpr_workgroup_id_y 0
		.amdhsa_system_sgpr_workgroup_id_z 1
		.amdhsa_system_sgpr_workgroup_info 0
		.amdhsa_system_vgpr_workitem_id 1
		.amdhsa_next_free_vgpr 61
		.amdhsa_next_free_sgpr 50
		.amdhsa_named_barrier_count 0
		.amdhsa_reserve_vcc 1
		.amdhsa_float_round_mode_32 0
		.amdhsa_float_round_mode_16_64 0
		.amdhsa_float_denorm_mode_32 3
		.amdhsa_float_denorm_mode_16_64 3
		.amdhsa_fp16_overflow 0
		.amdhsa_memory_ordered 1
		.amdhsa_forward_progress 1
		.amdhsa_inst_pref_size 26
		.amdhsa_round_robin_scheduling 0
		.amdhsa_exception_fp_ieee_invalid_op 0
		.amdhsa_exception_fp_denorm_src 0
		.amdhsa_exception_fp_ieee_div_zero 0
		.amdhsa_exception_fp_ieee_overflow 0
		.amdhsa_exception_fp_ieee_underflow 0
		.amdhsa_exception_fp_ieee_inexact 0
		.amdhsa_exception_int_div_zero 0
	.end_amdhsa_kernel
	.section	.text._ZL20rocblas_gemvn_kernelILi64ELi4EiPK16rocblas_bfloat16PKfKPfEviiT3_lPKT2_lT1_lSA_lSB_lS7_lPT4_lSB_li,"axG",@progbits,_ZL20rocblas_gemvn_kernelILi64ELi4EiPK16rocblas_bfloat16PKfKPfEviiT3_lPKT2_lT1_lSA_lSB_lS7_lPT4_lSB_li,comdat
.Lfunc_end664:
	.size	_ZL20rocblas_gemvn_kernelILi64ELi4EiPK16rocblas_bfloat16PKfKPfEviiT3_lPKT2_lT1_lSA_lSB_lS7_lPT4_lSB_li, .Lfunc_end664-_ZL20rocblas_gemvn_kernelILi64ELi4EiPK16rocblas_bfloat16PKfKPfEviiT3_lPKT2_lT1_lSA_lSB_lS7_lPT4_lSB_li
                                        ; -- End function
	.set _ZL20rocblas_gemvn_kernelILi64ELi4EiPK16rocblas_bfloat16PKfKPfEviiT3_lPKT2_lT1_lSA_lSB_lS7_lPT4_lSB_li.num_vgpr, 61
	.set _ZL20rocblas_gemvn_kernelILi64ELi4EiPK16rocblas_bfloat16PKfKPfEviiT3_lPKT2_lT1_lSA_lSB_lS7_lPT4_lSB_li.num_agpr, 0
	.set _ZL20rocblas_gemvn_kernelILi64ELi4EiPK16rocblas_bfloat16PKfKPfEviiT3_lPKT2_lT1_lSA_lSB_lS7_lPT4_lSB_li.numbered_sgpr, 50
	.set _ZL20rocblas_gemvn_kernelILi64ELi4EiPK16rocblas_bfloat16PKfKPfEviiT3_lPKT2_lT1_lSA_lSB_lS7_lPT4_lSB_li.num_named_barrier, 0
	.set _ZL20rocblas_gemvn_kernelILi64ELi4EiPK16rocblas_bfloat16PKfKPfEviiT3_lPKT2_lT1_lSA_lSB_lS7_lPT4_lSB_li.private_seg_size, 0
	.set _ZL20rocblas_gemvn_kernelILi64ELi4EiPK16rocblas_bfloat16PKfKPfEviiT3_lPKT2_lT1_lSA_lSB_lS7_lPT4_lSB_li.uses_vcc, 1
	.set _ZL20rocblas_gemvn_kernelILi64ELi4EiPK16rocblas_bfloat16PKfKPfEviiT3_lPKT2_lT1_lSA_lSB_lS7_lPT4_lSB_li.uses_flat_scratch, 1
	.set _ZL20rocblas_gemvn_kernelILi64ELi4EiPK16rocblas_bfloat16PKfKPfEviiT3_lPKT2_lT1_lSA_lSB_lS7_lPT4_lSB_li.has_dyn_sized_stack, 0
	.set _ZL20rocblas_gemvn_kernelILi64ELi4EiPK16rocblas_bfloat16PKfKPfEviiT3_lPKT2_lT1_lSA_lSB_lS7_lPT4_lSB_li.has_recursion, 0
	.set _ZL20rocblas_gemvn_kernelILi64ELi4EiPK16rocblas_bfloat16PKfKPfEviiT3_lPKT2_lT1_lSA_lSB_lS7_lPT4_lSB_li.has_indirect_call, 0
	.section	.AMDGPU.csdata,"",@progbits
; Kernel info:
; codeLenInByte = 3232
; TotalNumSgprs: 52
; NumVgprs: 61
; ScratchSize: 0
; MemoryBound: 0
; FloatMode: 240
; IeeeMode: 1
; LDSByteSize: 4096 bytes/workgroup (compile time only)
; SGPRBlocks: 0
; VGPRBlocks: 3
; NumSGPRsForWavesPerEU: 52
; NumVGPRsForWavesPerEU: 61
; NamedBarCnt: 0
; Occupancy: 16
; WaveLimiterHint : 1
; COMPUTE_PGM_RSRC2:SCRATCH_EN: 0
; COMPUTE_PGM_RSRC2:USER_SGPR: 2
; COMPUTE_PGM_RSRC2:TRAP_HANDLER: 0
; COMPUTE_PGM_RSRC2:TGID_X_EN: 1
; COMPUTE_PGM_RSRC2:TGID_Y_EN: 0
; COMPUTE_PGM_RSRC2:TGID_Z_EN: 1
; COMPUTE_PGM_RSRC2:TIDIG_COMP_CNT: 1
	.section	.text._ZL20rocblas_gemvn_kernelILi64ELi4ElPK16rocblas_bfloat16PKfKPfEviiT3_lPKT2_lT1_lSA_lSB_lS7_lPT4_lSB_li,"axG",@progbits,_ZL20rocblas_gemvn_kernelILi64ELi4ElPK16rocblas_bfloat16PKfKPfEviiT3_lPKT2_lT1_lSA_lSB_lS7_lPT4_lSB_li,comdat
	.globl	_ZL20rocblas_gemvn_kernelILi64ELi4ElPK16rocblas_bfloat16PKfKPfEviiT3_lPKT2_lT1_lSA_lSB_lS7_lPT4_lSB_li ; -- Begin function _ZL20rocblas_gemvn_kernelILi64ELi4ElPK16rocblas_bfloat16PKfKPfEviiT3_lPKT2_lT1_lSA_lSB_lS7_lPT4_lSB_li
	.p2align	8
	.type	_ZL20rocblas_gemvn_kernelILi64ELi4ElPK16rocblas_bfloat16PKfKPfEviiT3_lPKT2_lT1_lSA_lSB_lS7_lPT4_lSB_li,@function
_ZL20rocblas_gemvn_kernelILi64ELi4ElPK16rocblas_bfloat16PKfKPfEviiT3_lPKT2_lT1_lSA_lSB_lS7_lPT4_lSB_li: ; @_ZL20rocblas_gemvn_kernelILi64ELi4ElPK16rocblas_bfloat16PKfKPfEviiT3_lPKT2_lT1_lSA_lSB_lS7_lPT4_lSB_li
; %bb.0:
	s_clause 0x1
	s_load_b64 s[2:3], s[0:1], 0x9c
	s_load_b32 s33, s[0:1], 0x88
	s_bfe_u32 s4, ttmp6, 0x40014
	s_lshr_b32 s5, ttmp7, 16
	s_add_co_i32 s4, s4, 1
	s_bfe_u32 s6, ttmp6, 0x40008
	s_mul_i32 s7, s5, s4
	s_getreg_b32 s4, hwreg(HW_REG_IB_STS2, 6, 4)
	s_add_co_i32 s6, s6, s7
	s_mov_b32 s11, 0
	s_wait_kmcnt 0x0
	s_lshr_b32 s7, s2, 16
	s_and_b32 s2, s2, 0xffff
	s_and_b32 s3, s3, 0xffff
	s_mul_i32 s2, s7, s2
	s_cmp_eq_u32 s4, 0
	s_mul_i32 s2, s2, s3
	s_cselect_b32 s10, s5, s6
	s_cmp_lg_u32 s2, 0x100
	s_cselect_b32 s2, -1, 0
	s_cmp_ge_u32 s10, s33
	s_cselect_b32 s3, -1, 0
	s_delay_alu instid0(SALU_CYCLE_1) | instskip(NEXT) | instid1(SALU_CYCLE_1)
	s_or_b32 s2, s2, s3
	s_and_b32 vcc_lo, exec_lo, s2
	s_cbranch_vccnz .LBB665_56
; %bb.1:
	s_clause 0x2
	s_load_b64 s[34:35], s[0:1], 0x0
	s_load_b64 s[36:37], s[0:1], 0x28
	;; [unrolled: 1-line block ×3, first 2 shown]
	s_bfe_u32 s5, ttmp6, 0x4000c
	v_and_b32_e32 v28, 0x3ff, v0
	s_add_co_i32 s5, s5, 1
	v_bfe_u32 v6, v0, 10, 10
	s_clause 0x1
	s_load_b64 s[38:39], s[0:1], 0x48
	s_load_b128 s[28:31], s[0:1], 0x38
	s_and_b32 s6, ttmp6, 15
	s_mul_i32 s5, ttmp9, s5
	v_lshl_add_u32 v29, v6, 6, v28
	s_add_co_i32 s6, s6, s5
	s_cmp_eq_u32 s4, 0
	s_load_b256 s[12:19], s[0:1], 0x8
	s_cselect_b32 s4, ttmp9, s6
	s_load_b256 s[20:27], s[0:1], 0x58
	s_lshl_b32 s6, s4, 8
	s_delay_alu instid0(SALU_CYCLE_1)
	v_dual_mov_b32 v1, 0 :: v_dual_add_nc_u32 v0, s6, v29
	v_lshlrev_b32_e32 v52, 2, v6
	s_wait_kmcnt 0x0
	s_ashr_i32 s5, s34, 31
	s_mov_b32 s4, s34
	v_mov_b32_e32 v7, v1
	v_mul_u64_e32 v[2:3], s[2:3], v[0:1]
	v_cmp_gt_i64_e32 vcc_lo, s[4:5], v[0:1]
	v_or_b32_e32 v14, s6, v28
	v_or_b32_e32 v0, 3, v52
	;; [unrolled: 1-line block ×3, first 2 shown]
	v_mul_u64_e32 v[8:9], s[38:39], v[6:7]
	v_mul_u64_e32 v[18:19], s[36:37], v[6:7]
	v_ashrrev_i32_e32 v15, 31, v14
	v_mul_u64_e32 v[10:11], s[36:37], v[0:1]
	v_mul_u64_e32 v[12:13], s[38:39], v[0:1]
	v_or_b32_e32 v0, 2, v52
	v_mad_nc_u64_u32 v[24:25], s38, v52, s[38:39]
	v_mad_nc_u64_u32 v[26:27], s36, v52, s[36:37]
	s_ashr_i32 s4, s35, 31
	v_cmp_gt_u32_e64 s5, 0x100, v29
	v_mul_u64_e32 v[20:21], s[36:37], v[0:1]
	v_mul_u64_e32 v[22:23], s[38:39], v[0:1]
	v_dual_add_nc_u32 v0, 64, v14 :: v_dual_ashrrev_i32 v17, 31, v16
	s_lshr_b32 s4, s4, 28
	v_cmp_gt_i32_e64 s6, s34, v16
	s_add_co_i32 s4, s35, s4
	v_mad_u32 v25, s39, v52, v25
	v_mul_u64_e32 v[4:5], s[2:3], v[16:17]
	v_mad_u32 v27, s37, v52, v27
	v_cmp_gt_i32_e64 s2, s34, v0
	v_lshlrev_b32_e32 v0, 2, v28
	v_add_nc_u32_e32 v7, 0x80, v14
	v_add_nc_u32_e32 v17, 0xc0, v14
	s_and_b32 s44, s4, -16
	v_cmp_gt_i32_e64 s1, s34, v14
	s_sub_co_i32 s4, s35, s44
	v_cmp_gt_i32_e64 s3, s34, v7
	s_cmp_gt_i32 s4, 0
	v_cmp_gt_i32_e64 s4, s34, v17
	v_lshl_add_u32 v53, v6, 10, v0
	v_lshl_add_u32 v54, v6, 8, v0
	v_lshlrev_b64_e32 v[6:7], 3, v[8:9]
	v_lshlrev_b64_e32 v[8:9], 1, v[14:15]
	;; [unrolled: 1-line block ×5, first 2 shown]
	v_cmp_gt_i32_e64 s0, s44, v52
	s_cselect_b32 s45, -1, 0
	s_and_b32 s34, s5, vcc_lo
	s_lshl_b64 s[40:41], s[38:39], 5
	s_lshl_b64 s[42:43], s[36:37], 5
	v_lshlrev_b64_e32 v[16:17], 1, v[20:21]
	v_lshlrev_b64_e32 v[18:19], 1, v[22:23]
	;; [unrolled: 1-line block ×4, first 2 shown]
	s_lshl_b64 s[18:19], s[18:19], 1
	s_lshl_b64 s[30:31], s[30:31], 1
	;; [unrolled: 1-line block ×3, first 2 shown]
	s_branch .LBB665_4
.LBB665_2:                              ;   in Loop: Header=BB665_4 Depth=1
	s_wait_xcnt 0x0
	s_or_b32 exec_lo, exec_lo, s7
.LBB665_3:                              ;   in Loop: Header=BB665_4 Depth=1
	s_add_co_i32 s10, s10, 0x10000
	s_delay_alu instid0(SALU_CYCLE_1)
	s_cmp_lt_u32 s10, s33
	s_cbranch_scc0 .LBB665_56
.LBB665_4:                              ; =>This Loop Header: Depth=1
                                        ;     Child Loop BB665_24 Depth 2
	s_mul_u64 s[8:9], s[14:15], s[10:11]
	s_mul_u64 s[46:47], s[22:23], s[10:11]
	s_lshl_b64 s[8:9], s[8:9], 2
	s_lshl_b64 s[46:47], s[46:47], 2
	s_add_nc_u64 s[8:9], s[12:13], s[8:9]
	s_add_nc_u64 s[46:47], s[20:21], s[46:47]
	s_clause 0x1
	global_load_b32 v55, v1, s[8:9]
	global_load_b32 v0, v1, s[46:47]
	s_wait_loadcnt 0x1
	v_cmp_eq_f32_e64 s7, 0, v55
	s_wait_loadcnt 0x0
	v_cmp_eq_f32_e32 vcc_lo, 1.0, v0
	s_wait_xcnt 0x0
	v_readfirstlane_b32 s46, v0
	s_and_b32 s8, s7, vcc_lo
	s_delay_alu instid0(SALU_CYCLE_1)
	s_and_b32 vcc_lo, exec_lo, s8
	s_cbranch_vccnz .LBB665_3
; %bb.5:                                ;   in Loop: Header=BB665_4 Depth=1
	v_mov_b64_e32 v[28:29], 0
	v_mov_b64_e32 v[26:27], 0
	v_cmp_neq_f32_e64 s8, 0, v55
	s_and_b32 vcc_lo, exec_lo, s7
	s_cbranch_vccnz .LBB665_7
; %bb.6:                                ;   in Loop: Header=BB665_4 Depth=1
	s_lshl_b64 s[48:49], s[10:11], 3
	s_delay_alu instid0(SALU_CYCLE_1)
	s_add_nc_u64 s[48:49], s[16:17], s[48:49]
	global_load_b64 v[24:25], v1, s[48:49]
	s_wait_loadcnt 0x0
	v_add_nc_u64_e32 v[26:27], s[18:19], v[24:25]
.LBB665_7:                              ;   in Loop: Header=BB665_4 Depth=1
	s_and_not1_b32 vcc_lo, exec_lo, s8
	s_cbranch_vccnz .LBB665_9
; %bb.8:                                ;   in Loop: Header=BB665_4 Depth=1
	s_lshl_b64 s[8:9], s[10:11], 3
	s_delay_alu instid0(SALU_CYCLE_1)
	s_add_nc_u64 s[8:9], s[28:29], s[8:9]
	global_load_b64 v[24:25], v1, s[8:9]
	s_wait_loadcnt 0x0
	v_add_nc_u64_e32 v[28:29], s[30:31], v[24:25]
.LBB665_9:                              ;   in Loop: Header=BB665_4 Depth=1
	s_wait_xcnt 0x0
	s_lshl_b64 s[8:9], s[10:11], 3
	s_and_not1_b32 vcc_lo, exec_lo, s7
	s_add_nc_u64 s[8:9], s[24:25], s[8:9]
	global_load_b64 v[24:25], v1, s[8:9]
	s_wait_loadcnt 0x0
	v_add_nc_u64_e32 v[24:25], s[26:27], v[24:25]
	s_cbranch_vccnz .LBB665_13
; %bb.10:                               ;   in Loop: Header=BB665_4 Depth=1
	s_mov_b32 s7, 0
	s_mov_b32 s47, 0
                                        ; implicit-def: $vgpr0
	s_wait_xcnt 0x0
	s_and_saveexec_b32 s8, s34
	s_cbranch_execz .LBB665_14
; %bb.11:                               ;   in Loop: Header=BB665_4 Depth=1
	s_cmp_eq_f32 s46, 0
	s_cbranch_scc1 .LBB665_16
; %bb.12:                               ;   in Loop: Header=BB665_4 Depth=1
	v_lshl_add_u64 v[30:31], v[2:3], 2, v[24:25]
	flat_load_b32 v0, v[30:31]
	s_wait_loadcnt_dscnt 0x0
	v_mul_f32_e32 v0, s46, v0
	s_branch .LBB665_17
.LBB665_13:                             ;   in Loop: Header=BB665_4 Depth=1
	s_mov_b32 s47, 0
                                        ; implicit-def: $vgpr0
	s_cbranch_execz .LBB665_15
	s_branch .LBB665_18
.LBB665_14:                             ;   in Loop: Header=BB665_4 Depth=1
	s_or_b32 exec_lo, exec_lo, s8
	s_delay_alu instid0(SALU_CYCLE_1)
	s_and_b32 vcc_lo, exec_lo, s7
	s_cbranch_vccnz .LBB665_18
.LBB665_15:                             ;   in Loop: Header=BB665_4 Depth=1
	v_mov_b64_e32 v[26:27], v[2:3]
	s_wait_xcnt 0x0
	s_and_saveexec_b32 s7, s47
	s_cbranch_execz .LBB665_2
	s_branch .LBB665_55
.LBB665_16:                             ;   in Loop: Header=BB665_4 Depth=1
	v_mov_b32_e32 v0, 0
.LBB665_17:                             ;   in Loop: Header=BB665_4 Depth=1
	s_mov_b32 s47, exec_lo
	s_wait_xcnt 0x0
	s_or_b32 exec_lo, exec_lo, s8
	s_delay_alu instid0(SALU_CYCLE_1)
	s_and_b32 vcc_lo, exec_lo, s7
	s_cbranch_vccz .LBB665_15
.LBB665_18:                             ;   in Loop: Header=BB665_4 Depth=1
	v_dual_mov_b32 v56, 0 :: v_dual_mov_b32 v0, v52
	v_dual_mov_b32 v57, 0 :: v_dual_mov_b32 v58, 0
	v_mov_b32_e32 v59, 0
	s_wait_xcnt 0x0
	s_and_saveexec_b32 s7, s0
	s_cbranch_execz .LBB665_30
; %bb.19:                               ;   in Loop: Header=BB665_4 Depth=1
	v_add_nc_u64_e32 v[30:31], v[26:27], v[10:11]
	v_add_nc_u64_e32 v[32:33], v[26:27], v[14:15]
	;; [unrolled: 1-line block ×4, first 2 shown]
	v_mov_b64_e32 v[38:39], v[28:29]
	v_dual_mov_b32 v56, 0 :: v_dual_mov_b32 v0, v52
	v_dual_mov_b32 v57, 0 :: v_dual_mov_b32 v58, 0
	v_mov_b32_e32 v59, 0
	s_mov_b32 s8, 0
	s_branch .LBB665_24
.LBB665_20:                             ;   in Loop: Header=BB665_24 Depth=2
	s_or_b32 exec_lo, exec_lo, s50
	s_wait_loadcnt_dscnt 0x202
	v_dual_lshlrev_b32 v45, 16, v71 :: v_dual_lshlrev_b32 v44, 16, v70
	s_delay_alu instid0(VALU_DEP_1) | instskip(SKIP_1) | instid1(VALU_DEP_1)
	v_pk_mul_f32 v[44:45], v[42:43], v[44:45]
	s_wait_loadcnt_dscnt 0x0
	v_dual_add_f32 v44, v58, v44 :: v_dual_lshlrev_b32 v47, 16, v69
	s_delay_alu instid0(VALU_DEP_1) | instskip(NEXT) | instid1(VALU_DEP_1)
	v_dual_lshlrev_b32 v46, 16, v68 :: v_dual_add_f32 v48, v44, v45
	v_pk_mul_f32 v[44:45], v[40:41], v[46:47]
	s_delay_alu instid0(VALU_DEP_1) | instskip(NEXT) | instid1(VALU_DEP_1)
	v_add_f32_e32 v44, v48, v44
	v_add_f32_e32 v58, v44, v45
.LBB665_21:                             ;   in Loop: Header=BB665_24 Depth=2
	s_or_b32 exec_lo, exec_lo, s49
	s_wait_loadcnt_dscnt 0x202
	v_dual_lshlrev_b32 v45, 16, v67 :: v_dual_lshlrev_b32 v44, 16, v66
	s_delay_alu instid0(VALU_DEP_1) | instskip(SKIP_1) | instid1(VALU_DEP_1)
	v_pk_mul_f32 v[44:45], v[42:43], v[44:45]
	s_wait_loadcnt_dscnt 0x0
	v_dual_add_f32 v44, v57, v44 :: v_dual_lshlrev_b32 v47, 16, v65
	s_delay_alu instid0(VALU_DEP_1) | instskip(NEXT) | instid1(VALU_DEP_1)
	v_dual_lshlrev_b32 v46, 16, v64 :: v_dual_add_f32 v48, v44, v45
	v_pk_mul_f32 v[44:45], v[40:41], v[46:47]
	s_delay_alu instid0(VALU_DEP_1) | instskip(NEXT) | instid1(VALU_DEP_1)
	v_add_f32_e32 v44, v48, v44
	v_add_f32_e32 v57, v44, v45
.LBB665_22:                             ;   in Loop: Header=BB665_24 Depth=2
	s_or_b32 exec_lo, exec_lo, s48
	s_wait_loadcnt_dscnt 0x202
	v_dual_lshlrev_b32 v45, 16, v63 :: v_dual_lshlrev_b32 v44, 16, v62
	s_delay_alu instid0(VALU_DEP_1) | instskip(SKIP_1) | instid1(VALU_DEP_1)
	v_pk_mul_f32 v[42:43], v[42:43], v[44:45]
	s_wait_loadcnt_dscnt 0x0
	v_dual_add_f32 v42, v56, v42 :: v_dual_lshlrev_b32 v45, 16, v61
	s_delay_alu instid0(VALU_DEP_1) | instskip(NEXT) | instid1(VALU_DEP_1)
	v_dual_lshlrev_b32 v44, 16, v60 :: v_dual_add_f32 v42, v42, v43
	v_pk_mul_f32 v[40:41], v[40:41], v[44:45]
	s_delay_alu instid0(VALU_DEP_1) | instskip(NEXT) | instid1(VALU_DEP_1)
	v_add_f32_e32 v40, v42, v40
	v_add_f32_e32 v56, v40, v41
.LBB665_23:                             ;   in Loop: Header=BB665_24 Depth=2
	s_or_b32 exec_lo, exec_lo, s9
	v_add_nc_u32_e32 v0, 16, v0
	v_add_nc_u64_e32 v[38:39], s[40:41], v[38:39]
	v_add_nc_u64_e32 v[30:31], s[42:43], v[30:31]
	;; [unrolled: 1-line block ×4, first 2 shown]
	v_cmp_le_i32_e32 vcc_lo, s44, v0
	v_add_nc_u64_e32 v[36:37], s[42:43], v[36:37]
	s_or_b32 s8, vcc_lo, s8
	s_delay_alu instid0(SALU_CYCLE_1)
	s_and_not1_b32 exec_lo, exec_lo, s8
	s_cbranch_execz .LBB665_29
.LBB665_24:                             ;   Parent Loop BB665_4 Depth=1
                                        ; =>  This Inner Loop Header: Depth=2
	s_and_saveexec_b32 s9, s1
	s_cbranch_execz .LBB665_23
; %bb.25:                               ;   in Loop: Header=BB665_24 Depth=2
	v_add_nc_u64_e32 v[42:43], v[38:39], v[20:21]
	v_add_nc_u64_e32 v[40:41], v[38:39], v[6:7]
	;; [unrolled: 1-line block ×8, first 2 shown]
	s_clause 0x3
	flat_load_u16 v68, v[42:43]
	flat_load_u16 v69, v[40:41]
	;; [unrolled: 1-line block ×8, first 2 shown]
	s_wait_loadcnt_dscnt 0x606
	s_wait_xcnt 0x7
	v_dual_lshlrev_b32 v43, 16, v68 :: v_dual_lshlrev_b32 v42, 16, v69
	s_wait_loadcnt_dscnt 0x404
	s_wait_xcnt 0x6
	v_dual_lshlrev_b32 v41, 16, v70 :: v_dual_lshlrev_b32 v40, 16, v71
	s_wait_xcnt 0x0
	s_and_saveexec_b32 s48, s2
	s_cbranch_execz .LBB665_22
; %bb.26:                               ;   in Loop: Header=BB665_24 Depth=2
	flat_load_u16 v66, v[44:45] offset:128
	flat_load_u16 v67, v[46:47] offset:128
	flat_load_u16 v64, v[48:49] offset:128
	flat_load_u16 v65, v[50:51] offset:128
	s_wait_xcnt 0x0
	s_and_saveexec_b32 s49, s3
	s_cbranch_execz .LBB665_21
; %bb.27:                               ;   in Loop: Header=BB665_24 Depth=2
	flat_load_u16 v70, v[44:45] offset:256
	flat_load_u16 v71, v[46:47] offset:256
	flat_load_u16 v68, v[48:49] offset:256
	flat_load_u16 v69, v[50:51] offset:256
	;; [unrolled: 8-line block ×3, first 2 shown]
	s_wait_loadcnt_dscnt 0x202
	s_wait_xcnt 0x2
	v_dual_lshlrev_b32 v45, 16, v72 :: v_dual_lshlrev_b32 v44, 16, v73
	s_delay_alu instid0(VALU_DEP_1) | instskip(SKIP_1) | instid1(VALU_DEP_1)
	v_pk_mul_f32 v[44:45], v[42:43], v[44:45]
	s_wait_loadcnt_dscnt 0x101
	v_dual_add_f32 v44, v59, v44 :: v_dual_lshlrev_b32 v47, 16, v74
	s_wait_loadcnt_dscnt 0x0
	s_wait_xcnt 0x0
	s_delay_alu instid0(VALU_DEP_1) | instskip(NEXT) | instid1(VALU_DEP_1)
	v_dual_lshlrev_b32 v46, 16, v75 :: v_dual_add_f32 v48, v44, v45
	v_pk_mul_f32 v[44:45], v[40:41], v[46:47]
	s_delay_alu instid0(VALU_DEP_1) | instskip(NEXT) | instid1(VALU_DEP_1)
	v_add_f32_e32 v44, v48, v44
	v_add_f32_e32 v59, v44, v45
	s_branch .LBB665_20
.LBB665_29:                             ;   in Loop: Header=BB665_4 Depth=1
	s_or_b32 exec_lo, exec_lo, s8
.LBB665_30:                             ;   in Loop: Header=BB665_4 Depth=1
	s_delay_alu instid0(SALU_CYCLE_1) | instskip(NEXT) | instid1(SALU_CYCLE_1)
	s_or_b32 exec_lo, exec_lo, s7
	s_and_not1_b32 vcc_lo, exec_lo, s45
	s_cbranch_vccnz .LBB665_48
; %bb.31:                               ;   in Loop: Header=BB665_4 Depth=1
	v_dual_mov_b32 v30, 0 :: v_dual_bitop2_b32 v34, 1, v0 bitop3:0x54
	v_cmp_gt_i32_e32 vcc_lo, s35, v0
	s_delay_alu instid0(VALU_DEP_2)
	v_dual_mov_b32 v31, v30 :: v_dual_mov_b32 v32, v30
	v_mov_b32_e32 v33, v30
	s_and_saveexec_b32 s8, vcc_lo
	s_cbranch_execz .LBB665_39
; %bb.32:                               ;   in Loop: Header=BB665_4 Depth=1
	v_mul_u64_e32 v[30:31], s[38:39], v[0:1]
	v_mov_b32_e32 v33, 0
	s_mov_b32 s9, exec_lo
	s_delay_alu instid0(VALU_DEP_2)
	v_lshl_add_u64 v[30:31], v[30:31], 1, v[28:29]
	flat_load_u16 v36, v[30:31]
	s_wait_xcnt 0x0
	v_dual_mov_b32 v31, 0 :: v_dual_mov_b32 v30, 0
	v_cmpx_gt_i32_e64 s35, v34
	s_cbranch_execz .LBB665_38
; %bb.33:                               ;   in Loop: Header=BB665_4 Depth=1
	v_dual_mov_b32 v35, v1 :: v_dual_bitop2_b32 v32, 2, v0 bitop3:0x54
	s_mov_b32 s48, exec_lo
	s_delay_alu instid0(VALU_DEP_1) | instskip(NEXT) | instid1(VALU_DEP_1)
	v_mul_u64_e32 v[30:31], s[38:39], v[34:35]
	v_lshl_add_u64 v[30:31], v[30:31], 1, v[28:29]
	flat_load_u16 v35, v[30:31]
	s_wait_xcnt 0x0
	v_dual_mov_b32 v31, 0 :: v_dual_mov_b32 v30, 0
	v_cmpx_gt_i32_e64 s35, v32
	s_cbranch_execz .LBB665_37
; %bb.34:                               ;   in Loop: Header=BB665_4 Depth=1
	v_mov_b32_e32 v33, v1
	s_mov_b32 s49, exec_lo
	s_delay_alu instid0(VALU_DEP_1) | instskip(NEXT) | instid1(VALU_DEP_1)
	v_mul_u64_e32 v[30:31], s[38:39], v[32:33]
	v_lshl_add_u64 v[30:31], v[30:31], 1, v[28:29]
	flat_load_u16 v32, v[30:31]
	s_wait_xcnt 0x0
	v_dual_mov_b32 v31, 0 :: v_dual_bitop2_b32 v30, 3, v0 bitop3:0x54
	s_delay_alu instid0(VALU_DEP_1)
	v_cmpx_gt_i32_e64 s35, v30
	s_cbranch_execz .LBB665_36
; %bb.35:                               ;   in Loop: Header=BB665_4 Depth=1
	v_mov_b32_e32 v31, v1
	s_delay_alu instid0(VALU_DEP_1) | instskip(NEXT) | instid1(VALU_DEP_1)
	v_mul_u64_e32 v[30:31], s[38:39], v[30:31]
	v_lshl_add_u64 v[28:29], v[30:31], 1, v[28:29]
	flat_load_u16 v28, v[28:29]
	s_wait_loadcnt_dscnt 0x0
	v_lshlrev_b32_e32 v31, 16, v28
.LBB665_36:                             ;   in Loop: Header=BB665_4 Depth=1
	s_wait_xcnt 0x0
	s_or_b32 exec_lo, exec_lo, s49
	s_wait_loadcnt_dscnt 0x0
	v_lshlrev_b32_e32 v30, 16, v32
.LBB665_37:                             ;   in Loop: Header=BB665_4 Depth=1
	s_or_b32 exec_lo, exec_lo, s48
	s_wait_loadcnt_dscnt 0x0
	v_lshlrev_b32_e32 v33, 16, v35
.LBB665_38:                             ;   in Loop: Header=BB665_4 Depth=1
	s_or_b32 exec_lo, exec_lo, s9
	s_wait_loadcnt_dscnt 0x0
	v_lshlrev_b32_e32 v32, 16, v36
.LBB665_39:                             ;   in Loop: Header=BB665_4 Depth=1
	s_or_b32 exec_lo, exec_lo, s8
	s_and_saveexec_b32 s48, s1
	s_cbranch_execz .LBB665_47
; %bb.40:                               ;   in Loop: Header=BB665_4 Depth=1
	v_dual_mov_b32 v35, v1 :: v_dual_bitop2_b32 v28, 2, v0 bitop3:0x54
	v_mov_b32_e32 v29, v1
	v_mul_u64_e32 v[36:37], s[36:37], v[0:1]
	v_or_b32_e32 v0, 3, v0
	s_delay_alu instid0(VALU_DEP_4)
	v_mul_u64_e32 v[38:39], s[36:37], v[34:35]
	v_cmp_gt_i32_e64 s7, s35, v34
	v_mul_u64_e32 v[40:41], s[36:37], v[28:29]
	v_cmp_gt_i32_e64 s8, s35, v28
	;; [unrolled: 2-line block ×3, first 2 shown]
	v_dual_cndmask_b32 v29, 0, v37 :: v_dual_cndmask_b32 v28, 0, v36
	v_dual_cndmask_b32 v35, 0, v39, s7 :: v_dual_cndmask_b32 v34, 0, v38, s7
	v_dual_cndmask_b32 v39, 0, v41, s8 :: v_dual_cndmask_b32 v38, 0, v40, s8
	s_delay_alu instid0(VALU_DEP_4) | instskip(NEXT) | instid1(VALU_DEP_3)
	v_dual_cndmask_b32 v41, 0, v43, s9 :: v_dual_cndmask_b32 v40, 0, v42, s9
	v_lshl_add_u64 v[34:35], v[34:35], 1, v[26:27]
	s_delay_alu instid0(VALU_DEP_3) | instskip(NEXT) | instid1(VALU_DEP_3)
	v_lshl_add_u64 v[36:37], v[38:39], 1, v[26:27]
	v_lshl_add_u64 v[38:39], v[40:41], 1, v[26:27]
	;; [unrolled: 1-line block ×3, first 2 shown]
	s_delay_alu instid0(VALU_DEP_4) | instskip(NEXT) | instid1(VALU_DEP_4)
	v_add_nc_u64_e32 v[26:27], v[34:35], v[8:9]
	v_add_nc_u64_e32 v[28:29], v[36:37], v[8:9]
	s_delay_alu instid0(VALU_DEP_4) | instskip(NEXT) | instid1(VALU_DEP_4)
	v_add_nc_u64_e32 v[34:35], v[38:39], v[8:9]
	v_add_nc_u64_e32 v[36:37], v[40:41], v[8:9]
	s_clause 0x3
	flat_load_u16 v39, v[26:27]
	flat_load_u16 v0, v[28:29]
	;; [unrolled: 1-line block ×4, first 2 shown]
	s_wait_xcnt 0x0
	s_and_saveexec_b32 s7, s2
	s_cbranch_execz .LBB665_46
; %bb.41:                               ;   in Loop: Header=BB665_4 Depth=1
	s_clause 0x3
	flat_load_u16 v43, v[36:37] offset:128
	flat_load_u16 v44, v[26:27] offset:128
	flat_load_u16 v41, v[28:29] offset:128
	flat_load_u16 v42, v[34:35] offset:128
	s_wait_xcnt 0x0
	s_and_saveexec_b32 s8, s3
	s_cbranch_execz .LBB665_45
; %bb.42:                               ;   in Loop: Header=BB665_4 Depth=1
	s_clause 0x3
	flat_load_u16 v47, v[36:37] offset:256
	flat_load_u16 v48, v[26:27] offset:256
	flat_load_u16 v45, v[28:29] offset:256
	flat_load_u16 v46, v[34:35] offset:256
	;; [unrolled: 9-line block ×3, first 2 shown]
	s_wait_loadcnt_dscnt 0x202
	s_wait_xcnt 0x3
	v_dual_lshlrev_b32 v27, 16, v49 :: v_dual_lshlrev_b32 v26, 16, v50
	s_delay_alu instid0(VALU_DEP_1) | instskip(SKIP_2) | instid1(VALU_DEP_1)
	v_pk_mul_f32 v[26:27], v[32:33], v[26:27]
	s_wait_loadcnt_dscnt 0x101
	s_wait_xcnt 0x0
	v_dual_add_f32 v26, v59, v26 :: v_dual_lshlrev_b32 v29, 16, v51
	s_wait_loadcnt_dscnt 0x0
	s_delay_alu instid0(VALU_DEP_1) | instskip(NEXT) | instid1(VALU_DEP_1)
	v_dual_lshlrev_b32 v28, 16, v60 :: v_dual_add_f32 v34, v26, v27
	v_pk_mul_f32 v[26:27], v[30:31], v[28:29]
	s_delay_alu instid0(VALU_DEP_1) | instskip(NEXT) | instid1(VALU_DEP_1)
	v_add_f32_e32 v26, v34, v26
	v_add_f32_e32 v59, v26, v27
.LBB665_44:                             ;   in Loop: Header=BB665_4 Depth=1
	s_or_b32 exec_lo, exec_lo, s9
	s_wait_loadcnt_dscnt 0x202
	v_dual_lshlrev_b32 v27, 16, v48 :: v_dual_lshlrev_b32 v26, 16, v47
	s_wait_loadcnt_dscnt 0x0
	v_dual_lshlrev_b32 v29, 16, v46 :: v_dual_lshlrev_b32 v28, 16, v45
	s_delay_alu instid0(VALU_DEP_2) | instskip(NEXT) | instid1(VALU_DEP_1)
	v_pk_mul_f32 v[26:27], v[32:33], v[26:27]
	v_add_f32_e32 v26, v58, v26
	s_delay_alu instid0(VALU_DEP_1) | instskip(NEXT) | instid1(VALU_DEP_4)
	v_add_f32_e32 v34, v26, v27
	v_pk_mul_f32 v[26:27], v[30:31], v[28:29]
	s_delay_alu instid0(VALU_DEP_1) | instskip(NEXT) | instid1(VALU_DEP_1)
	v_add_f32_e32 v26, v34, v26
	v_add_f32_e32 v58, v26, v27
.LBB665_45:                             ;   in Loop: Header=BB665_4 Depth=1
	s_or_b32 exec_lo, exec_lo, s8
	s_wait_loadcnt_dscnt 0x202
	v_dual_lshlrev_b32 v27, 16, v44 :: v_dual_lshlrev_b32 v26, 16, v43
	s_wait_loadcnt_dscnt 0x0
	v_dual_lshlrev_b32 v29, 16, v42 :: v_dual_lshlrev_b32 v28, 16, v41
	s_delay_alu instid0(VALU_DEP_2) | instskip(NEXT) | instid1(VALU_DEP_1)
	v_pk_mul_f32 v[26:27], v[32:33], v[26:27]
	v_add_f32_e32 v26, v57, v26
	s_delay_alu instid0(VALU_DEP_1) | instskip(NEXT) | instid1(VALU_DEP_4)
	v_add_f32_e32 v34, v26, v27
	v_pk_mul_f32 v[26:27], v[30:31], v[28:29]
	s_delay_alu instid0(VALU_DEP_1) | instskip(NEXT) | instid1(VALU_DEP_1)
	v_add_f32_e32 v26, v34, v26
	v_add_f32_e32 v57, v26, v27
.LBB665_46:                             ;   in Loop: Header=BB665_4 Depth=1
	s_or_b32 exec_lo, exec_lo, s7
	s_wait_loadcnt_dscnt 0x0
	v_dual_lshlrev_b32 v27, 16, v39 :: v_dual_lshlrev_b32 v26, 16, v40
	v_dual_lshlrev_b32 v29, 16, v38 :: v_dual_lshlrev_b32 v28, 16, v0
	s_delay_alu instid0(VALU_DEP_2) | instskip(NEXT) | instid1(VALU_DEP_1)
	v_pk_mul_f32 v[26:27], v[32:33], v[26:27]
	v_add_f32_e32 v26, v56, v26
	s_delay_alu instid0(VALU_DEP_1) | instskip(NEXT) | instid1(VALU_DEP_4)
	v_add_f32_e32 v0, v26, v27
	v_pk_mul_f32 v[26:27], v[30:31], v[28:29]
	s_delay_alu instid0(VALU_DEP_1) | instskip(NEXT) | instid1(VALU_DEP_1)
	v_add_f32_e32 v0, v0, v26
	v_add_f32_e32 v56, v0, v27
.LBB665_47:                             ;   in Loop: Header=BB665_4 Depth=1
	s_or_b32 exec_lo, exec_lo, s48
.LBB665_48:                             ;   in Loop: Header=BB665_4 Depth=1
	ds_store_2addr_stride64_b32 v53, v56, v57 offset1:1
	ds_store_2addr_stride64_b32 v53, v58, v59 offset0:2 offset1:3
	s_wait_dscnt 0x0
	s_barrier_signal -1
	s_barrier_wait -1
                                        ; implicit-def: $vgpr0
	s_and_saveexec_b32 s7, s5
	s_cbranch_execz .LBB665_54
; %bb.49:                               ;   in Loop: Header=BB665_4 Depth=1
	ds_load_2addr_stride64_b32 v[26:27], v54 offset1:4
	ds_load_2addr_stride64_b32 v[28:29], v54 offset0:8 offset1:12
	s_mov_b32 s9, s47
	s_wait_dscnt 0x1
	v_add_f32_e32 v0, v26, v27
	s_wait_dscnt 0x0
	s_delay_alu instid0(VALU_DEP_1) | instskip(NEXT) | instid1(VALU_DEP_1)
	v_add_f32_e32 v0, v28, v0
	v_add_f32_e32 v26, v29, v0
                                        ; implicit-def: $vgpr0
	ds_store_b32 v54, v26
	s_and_saveexec_b32 s8, s6
	s_cbranch_execz .LBB665_53
; %bb.50:                               ;   in Loop: Header=BB665_4 Depth=1
	v_mul_f32_e32 v0, v55, v26
	s_cmp_eq_f32 s46, 0
	s_cbranch_scc1 .LBB665_52
; %bb.51:                               ;   in Loop: Header=BB665_4 Depth=1
	v_lshl_add_u64 v[26:27], v[4:5], 2, v[24:25]
	flat_load_b32 v26, v[26:27]
	s_wait_loadcnt_dscnt 0x0
	v_fmac_f32_e32 v0, s46, v26
.LBB665_52:                             ;   in Loop: Header=BB665_4 Depth=1
	s_or_b32 s9, s47, exec_lo
.LBB665_53:                             ;   in Loop: Header=BB665_4 Depth=1
	s_wait_xcnt 0x0
	s_or_b32 exec_lo, exec_lo, s8
	s_delay_alu instid0(SALU_CYCLE_1) | instskip(SKIP_1) | instid1(SALU_CYCLE_1)
	s_and_not1_b32 s8, s47, exec_lo
	s_and_b32 s9, s9, exec_lo
	s_or_b32 s47, s8, s9
.LBB665_54:                             ;   in Loop: Header=BB665_4 Depth=1
	s_or_b32 exec_lo, exec_lo, s7
	v_mov_b64_e32 v[26:27], v[4:5]
	s_and_saveexec_b32 s7, s47
	s_cbranch_execz .LBB665_2
.LBB665_55:                             ;   in Loop: Header=BB665_4 Depth=1
	s_delay_alu instid0(VALU_DEP_1)
	v_lshl_add_u64 v[24:25], v[26:27], 2, v[24:25]
	flat_store_b32 v[24:25], v0
	s_branch .LBB665_2
.LBB665_56:
	s_sendmsg sendmsg(MSG_DEALLOC_VGPRS)
	s_endpgm
	.section	.rodata,"a",@progbits
	.p2align	6, 0x0
	.amdhsa_kernel _ZL20rocblas_gemvn_kernelILi64ELi4ElPK16rocblas_bfloat16PKfKPfEviiT3_lPKT2_lT1_lSA_lSB_lS7_lPT4_lSB_li
		.amdhsa_group_segment_fixed_size 4096
		.amdhsa_private_segment_fixed_size 0
		.amdhsa_kernarg_size 400
		.amdhsa_user_sgpr_count 2
		.amdhsa_user_sgpr_dispatch_ptr 0
		.amdhsa_user_sgpr_queue_ptr 0
		.amdhsa_user_sgpr_kernarg_segment_ptr 1
		.amdhsa_user_sgpr_dispatch_id 0
		.amdhsa_user_sgpr_kernarg_preload_length 0
		.amdhsa_user_sgpr_kernarg_preload_offset 0
		.amdhsa_user_sgpr_private_segment_size 0
		.amdhsa_wavefront_size32 1
		.amdhsa_uses_dynamic_stack 0
		.amdhsa_enable_private_segment 0
		.amdhsa_system_sgpr_workgroup_id_x 1
		.amdhsa_system_sgpr_workgroup_id_y 0
		.amdhsa_system_sgpr_workgroup_id_z 1
		.amdhsa_system_sgpr_workgroup_info 0
		.amdhsa_system_vgpr_workitem_id 1
		.amdhsa_next_free_vgpr 76
		.amdhsa_next_free_sgpr 51
		.amdhsa_named_barrier_count 0
		.amdhsa_reserve_vcc 1
		.amdhsa_float_round_mode_32 0
		.amdhsa_float_round_mode_16_64 0
		.amdhsa_float_denorm_mode_32 3
		.amdhsa_float_denorm_mode_16_64 3
		.amdhsa_fp16_overflow 0
		.amdhsa_memory_ordered 1
		.amdhsa_forward_progress 1
		.amdhsa_inst_pref_size 25
		.amdhsa_round_robin_scheduling 0
		.amdhsa_exception_fp_ieee_invalid_op 0
		.amdhsa_exception_fp_denorm_src 0
		.amdhsa_exception_fp_ieee_div_zero 0
		.amdhsa_exception_fp_ieee_overflow 0
		.amdhsa_exception_fp_ieee_underflow 0
		.amdhsa_exception_fp_ieee_inexact 0
		.amdhsa_exception_int_div_zero 0
	.end_amdhsa_kernel
	.section	.text._ZL20rocblas_gemvn_kernelILi64ELi4ElPK16rocblas_bfloat16PKfKPfEviiT3_lPKT2_lT1_lSA_lSB_lS7_lPT4_lSB_li,"axG",@progbits,_ZL20rocblas_gemvn_kernelILi64ELi4ElPK16rocblas_bfloat16PKfKPfEviiT3_lPKT2_lT1_lSA_lSB_lS7_lPT4_lSB_li,comdat
.Lfunc_end665:
	.size	_ZL20rocblas_gemvn_kernelILi64ELi4ElPK16rocblas_bfloat16PKfKPfEviiT3_lPKT2_lT1_lSA_lSB_lS7_lPT4_lSB_li, .Lfunc_end665-_ZL20rocblas_gemvn_kernelILi64ELi4ElPK16rocblas_bfloat16PKfKPfEviiT3_lPKT2_lT1_lSA_lSB_lS7_lPT4_lSB_li
                                        ; -- End function
	.set _ZL20rocblas_gemvn_kernelILi64ELi4ElPK16rocblas_bfloat16PKfKPfEviiT3_lPKT2_lT1_lSA_lSB_lS7_lPT4_lSB_li.num_vgpr, 76
	.set _ZL20rocblas_gemvn_kernelILi64ELi4ElPK16rocblas_bfloat16PKfKPfEviiT3_lPKT2_lT1_lSA_lSB_lS7_lPT4_lSB_li.num_agpr, 0
	.set _ZL20rocblas_gemvn_kernelILi64ELi4ElPK16rocblas_bfloat16PKfKPfEviiT3_lPKT2_lT1_lSA_lSB_lS7_lPT4_lSB_li.numbered_sgpr, 51
	.set _ZL20rocblas_gemvn_kernelILi64ELi4ElPK16rocblas_bfloat16PKfKPfEviiT3_lPKT2_lT1_lSA_lSB_lS7_lPT4_lSB_li.num_named_barrier, 0
	.set _ZL20rocblas_gemvn_kernelILi64ELi4ElPK16rocblas_bfloat16PKfKPfEviiT3_lPKT2_lT1_lSA_lSB_lS7_lPT4_lSB_li.private_seg_size, 0
	.set _ZL20rocblas_gemvn_kernelILi64ELi4ElPK16rocblas_bfloat16PKfKPfEviiT3_lPKT2_lT1_lSA_lSB_lS7_lPT4_lSB_li.uses_vcc, 1
	.set _ZL20rocblas_gemvn_kernelILi64ELi4ElPK16rocblas_bfloat16PKfKPfEviiT3_lPKT2_lT1_lSA_lSB_lS7_lPT4_lSB_li.uses_flat_scratch, 1
	.set _ZL20rocblas_gemvn_kernelILi64ELi4ElPK16rocblas_bfloat16PKfKPfEviiT3_lPKT2_lT1_lSA_lSB_lS7_lPT4_lSB_li.has_dyn_sized_stack, 0
	.set _ZL20rocblas_gemvn_kernelILi64ELi4ElPK16rocblas_bfloat16PKfKPfEviiT3_lPKT2_lT1_lSA_lSB_lS7_lPT4_lSB_li.has_recursion, 0
	.set _ZL20rocblas_gemvn_kernelILi64ELi4ElPK16rocblas_bfloat16PKfKPfEviiT3_lPKT2_lT1_lSA_lSB_lS7_lPT4_lSB_li.has_indirect_call, 0
	.section	.AMDGPU.csdata,"",@progbits
; Kernel info:
; codeLenInByte = 3112
; TotalNumSgprs: 53
; NumVgprs: 76
; ScratchSize: 0
; MemoryBound: 0
; FloatMode: 240
; IeeeMode: 1
; LDSByteSize: 4096 bytes/workgroup (compile time only)
; SGPRBlocks: 0
; VGPRBlocks: 4
; NumSGPRsForWavesPerEU: 53
; NumVGPRsForWavesPerEU: 76
; NamedBarCnt: 0
; Occupancy: 12
; WaveLimiterHint : 1
; COMPUTE_PGM_RSRC2:SCRATCH_EN: 0
; COMPUTE_PGM_RSRC2:USER_SGPR: 2
; COMPUTE_PGM_RSRC2:TRAP_HANDLER: 0
; COMPUTE_PGM_RSRC2:TGID_X_EN: 1
; COMPUTE_PGM_RSRC2:TGID_Y_EN: 0
; COMPUTE_PGM_RSRC2:TGID_Z_EN: 1
; COMPUTE_PGM_RSRC2:TIDIG_COMP_CNT: 1
	.section	.text._ZL20rocblas_gemvn_kernelILi64ELi4EiPK16rocblas_bfloat16fKPfEviiT3_lPKT2_lT1_lS8_lS9_lS5_lPT4_lS9_li,"axG",@progbits,_ZL20rocblas_gemvn_kernelILi64ELi4EiPK16rocblas_bfloat16fKPfEviiT3_lPKT2_lT1_lS8_lS9_lS5_lPT4_lS9_li,comdat
	.globl	_ZL20rocblas_gemvn_kernelILi64ELi4EiPK16rocblas_bfloat16fKPfEviiT3_lPKT2_lT1_lS8_lS9_lS5_lPT4_lS9_li ; -- Begin function _ZL20rocblas_gemvn_kernelILi64ELi4EiPK16rocblas_bfloat16fKPfEviiT3_lPKT2_lT1_lS8_lS9_lS5_lPT4_lS9_li
	.p2align	8
	.type	_ZL20rocblas_gemvn_kernelILi64ELi4EiPK16rocblas_bfloat16fKPfEviiT3_lPKT2_lT1_lS8_lS9_lS5_lPT4_lS9_li,@function
_ZL20rocblas_gemvn_kernelILi64ELi4EiPK16rocblas_bfloat16fKPfEviiT3_lPKT2_lT1_lS8_lS9_lS5_lPT4_lS9_li: ; @_ZL20rocblas_gemvn_kernelILi64ELi4EiPK16rocblas_bfloat16fKPfEviiT3_lPKT2_lT1_lS8_lS9_lS5_lPT4_lS9_li
; %bb.0:
	s_clause 0x1
	s_load_b64 s[2:3], s[0:1], 0x9c
	s_load_b32 s23, s[0:1], 0x88
	s_bfe_u32 s4, ttmp6, 0x40014
	s_lshr_b32 s5, ttmp7, 16
	s_add_co_i32 s4, s4, 1
	s_bfe_u32 s6, ttmp6, 0x40008
	s_mul_i32 s7, s5, s4
	s_getreg_b32 s4, hwreg(HW_REG_IB_STS2, 6, 4)
	s_add_co_i32 s6, s6, s7
	s_mov_b32 s25, 0
	s_wait_kmcnt 0x0
	s_lshr_b32 s7, s2, 16
	s_and_b32 s2, s2, 0xffff
	s_and_b32 s3, s3, 0xffff
	s_mul_i32 s2, s7, s2
	s_cmp_eq_u32 s4, 0
	s_mul_i32 s2, s2, s3
	s_cselect_b32 s24, s5, s6
	s_cmp_lg_u32 s2, 0x100
	s_cselect_b32 s2, -1, 0
	s_cmp_ge_u32 s24, s23
	s_cselect_b32 s3, -1, 0
	s_delay_alu instid0(SALU_CYCLE_1) | instskip(NEXT) | instid1(SALU_CYCLE_1)
	s_or_b32 s2, s2, s3
	s_and_b32 vcc_lo, exec_lo, s2
	s_cbranch_vccnz .LBB666_58
; %bb.1:
	s_clause 0x7
	s_load_b32 s2, s[0:1], 0x78
	s_load_b96 s[20:22], s[0:1], 0x0
	s_load_b32 s26, s[0:1], 0x58
	s_load_b128 s[8:11], s[0:1], 0x68
	s_load_b32 s27, s[0:1], 0x28
	s_load_b128 s[12:15], s[0:1], 0x38
	;; [unrolled: 2-line block ×3, first 2 shown]
	v_and_b32_e32 v6, 0x3ff, v0
	v_bfe_u32 v7, v0, 10, 10
	s_delay_alu instid0(VALU_DEP_2) | instskip(NEXT) | instid1(VALU_DEP_2)
	v_dual_mov_b32 v1, 0 :: v_dual_lshlrev_b32 v0, 2, v6
	v_lshl_add_u32 v2, v7, 6, v6
	s_delay_alu instid0(VALU_DEP_2)
	v_lshl_add_u32 v25, v7, 10, v0
	v_lshl_add_u32 v26, v7, 8, v0
	s_wait_kmcnt 0x0
	s_ashr_i32 s3, s2, 31
	s_cmp_eq_f32 s22, 0
	v_cmp_gt_u32_e64 s0, 0x100, v2
	s_mov_b32 s6, s20
	s_cselect_b32 s29, -1, 0
	s_cmp_neq_f32 s26, 1.0
	s_cselect_b32 s1, -1, 0
	s_cmp_neq_f32 s22, 0
	s_cselect_b32 s5, -1, 0
	s_bfe_u32 s7, ttmp6, 0x4000c
	s_and_b32 s31, ttmp6, 15
	s_add_co_i32 s7, s7, 1
	s_or_b32 s30, s5, s1
	s_mul_i32 s7, ttmp9, s7
	v_cndmask_b32_e64 v27, 0, 1, s5
	s_add_co_i32 s31, s31, s7
	s_cmp_eq_u32 s4, 0
	s_cselect_b32 s1, ttmp9, s31
	s_ashr_i32 s7, s20, 31
	s_lshl_b32 s31, s1, 8
	s_delay_alu instid0(SALU_CYCLE_1) | instskip(SKIP_2) | instid1(VALU_DEP_2)
	v_dual_lshlrev_b32 v24, 2, v7 :: v_dual_add_nc_u32 v0, s31, v2
	v_or_b32_e32 v5, s31, v2
	s_cmp_neq_f32 s26, 0
	v_mul_lo_u32 v9, s27, v24
	s_delay_alu instid0(VALU_DEP_3) | instskip(NEXT) | instid1(VALU_DEP_3)
	v_mul_u64_e32 v[2:3], s[2:3], v[0:1]
	v_mul_lo_u32 v4, s2, v5
	v_or_b32_e32 v28, s31, v6
	v_cmp_gt_i32_e64 s2, s20, v5
	s_cselect_b32 s33, -1, 0
	s_ashr_i32 s1, s21, 31
	v_mad_u32 v31, s28, v24, s28
	s_lshr_b32 s3, s1, 28
	v_cmp_gt_i64_e32 vcc_lo, s[6:7], v[0:1]
	s_add_co_i32 s3, s21, s3
	s_delay_alu instid0(SALU_CYCLE_1)
	s_and_b32 s34, s3, -16
	v_ashrrev_i32_e32 v5, 31, v4
	v_add_nc_u32_e32 v10, 0x80, v28
	v_add_nc_u32_e32 v11, 0xc0, v28
	;; [unrolled: 1-line block ×3, first 2 shown]
	s_sub_co_i32 s6, s21, s34
	v_cmp_gt_i32_e64 s1, s20, v28
	v_cmp_gt_i32_e64 s4, s20, v10
	v_mul_lo_u32 v10, v7, s27
	v_mul_lo_u32 v7, v7, s28
	v_or_b32_e32 v8, 2, v24
	v_cmp_gt_i32_e64 s5, s20, v11
	v_or_b32_e32 v11, 3, v24
	v_cmp_gt_i32_e64 s3, s20, v0
	s_cmp_gt_i32 s6, 0
	v_cmp_gt_i32_e64 s6, s34, v24
	v_add3_u32 v0, v9, s27, v6
	v_mad_u32 v30, s27, v11, v6
	v_mul_lo_u32 v33, s28, v11
	v_lshl_add_u32 v34, v10, 2, v6
	v_lshlrev_b32_e32 v35, 2, v7
	v_mad_u32 v29, s27, v8, v6
	v_mul_lo_u32 v32, s28, v8
	s_cselect_b32 s20, -1, 0
	s_and_b32 s35, s0, vcc_lo
	s_lshl_b32 s36, s27, 4
	s_lshl_b32 s37, s28, 4
	s_lshl_b64 s[18:19], s[18:19], 1
	s_lshl_b64 s[14:15], s[14:15], 1
	;; [unrolled: 1-line block ×3, first 2 shown]
	s_branch .LBB666_4
.LBB666_2:                              ;   in Loop: Header=BB666_4 Depth=1
	s_wait_xcnt 0x0
	s_or_b32 exec_lo, exec_lo, s7
.LBB666_3:                              ;   in Loop: Header=BB666_4 Depth=1
	s_add_co_i32 s24, s24, 0x10000
	s_delay_alu instid0(SALU_CYCLE_1)
	s_cmp_lt_u32 s24, s23
	s_cbranch_scc0 .LBB666_58
.LBB666_4:                              ; =>This Loop Header: Depth=1
                                        ;     Child Loop BB666_26 Depth 2
	s_and_not1_b32 vcc_lo, exec_lo, s30
	s_cbranch_vccnz .LBB666_3
; %bb.5:                                ;   in Loop: Header=BB666_4 Depth=1
	s_and_not1_b32 vcc_lo, exec_lo, s29
	s_cbranch_vccnz .LBB666_7
; %bb.6:                                ;   in Loop: Header=BB666_4 Depth=1
	v_mov_b64_e32 v[10:11], 0
	v_mov_b64_e32 v[8:9], 0
	s_cbranch_execz .LBB666_8
	s_branch .LBB666_9
.LBB666_7:                              ;   in Loop: Header=BB666_4 Depth=1
	v_mov_b64_e32 v[10:11], 0
	v_mov_b64_e32 v[8:9], 0
.LBB666_8:                              ;   in Loop: Header=BB666_4 Depth=1
	s_lshl_b64 s[38:39], s[24:25], 3
	s_delay_alu instid0(SALU_CYCLE_1)
	s_add_nc_u64 s[38:39], s[16:17], s[38:39]
	global_load_b64 v[6:7], v1, s[38:39]
	s_wait_loadcnt 0x0
	v_add_nc_u64_e32 v[8:9], s[18:19], v[6:7]
.LBB666_9:                              ;   in Loop: Header=BB666_4 Depth=1
	v_cmp_ne_u32_e32 vcc_lo, 1, v27
	s_cbranch_vccnz .LBB666_11
; %bb.10:                               ;   in Loop: Header=BB666_4 Depth=1
	s_wait_xcnt 0x0
	s_lshl_b64 s[38:39], s[24:25], 3
	s_delay_alu instid0(SALU_CYCLE_1)
	s_add_nc_u64 s[38:39], s[12:13], s[38:39]
	global_load_b64 v[6:7], v1, s[38:39]
	s_wait_loadcnt 0x0
	v_add_nc_u64_e32 v[10:11], s[14:15], v[6:7]
.LBB666_11:                             ;   in Loop: Header=BB666_4 Depth=1
	s_wait_xcnt 0x0
	s_lshl_b64 s[38:39], s[24:25], 3
	s_and_not1_b32 vcc_lo, exec_lo, s29
	s_add_nc_u64 s[38:39], s[8:9], s[38:39]
	global_load_b64 v[6:7], v1, s[38:39]
	s_wait_loadcnt 0x0
	v_add_nc_u64_e32 v[6:7], s[10:11], v[6:7]
	s_cbranch_vccnz .LBB666_15
; %bb.12:                               ;   in Loop: Header=BB666_4 Depth=1
	s_mov_b32 s7, 0
	s_wait_xcnt 0x0
	s_mov_b32 s38, 0
                                        ; implicit-def: $vgpr12
	s_and_saveexec_b32 s39, s35
	s_cbranch_execz .LBB666_16
; %bb.13:                               ;   in Loop: Header=BB666_4 Depth=1
	s_and_not1_b32 vcc_lo, exec_lo, s33
	s_cbranch_vccnz .LBB666_18
; %bb.14:                               ;   in Loop: Header=BB666_4 Depth=1
	v_lshl_add_u64 v[12:13], v[2:3], 2, v[6:7]
	flat_load_b32 v12, v[12:13]
	s_wait_loadcnt_dscnt 0x0
	s_wait_xcnt 0x0
	v_mul_f32_e32 v12, s26, v12
	s_branch .LBB666_19
.LBB666_15:                             ;   in Loop: Header=BB666_4 Depth=1
	s_wait_xcnt 0x0
	s_mov_b32 s38, 0
                                        ; implicit-def: $vgpr12
	s_cbranch_execz .LBB666_17
	s_branch .LBB666_20
.LBB666_16:                             ;   in Loop: Header=BB666_4 Depth=1
	s_or_b32 exec_lo, exec_lo, s39
	s_delay_alu instid0(SALU_CYCLE_1)
	s_and_b32 vcc_lo, exec_lo, s7
	s_cbranch_vccnz .LBB666_20
.LBB666_17:                             ;   in Loop: Header=BB666_4 Depth=1
	v_mov_b64_e32 v[8:9], v[2:3]
	s_and_saveexec_b32 s7, s38
	s_cbranch_execz .LBB666_2
	s_branch .LBB666_57
.LBB666_18:                             ;   in Loop: Header=BB666_4 Depth=1
	v_mov_b32_e32 v12, 0
.LBB666_19:                             ;   in Loop: Header=BB666_4 Depth=1
	s_mov_b32 s38, exec_lo
	s_or_b32 exec_lo, exec_lo, s39
	s_delay_alu instid0(SALU_CYCLE_1)
	s_and_b32 vcc_lo, exec_lo, s7
	s_cbranch_vccz .LBB666_17
.LBB666_20:                             ;   in Loop: Header=BB666_4 Depth=1
	v_dual_mov_b32 v36, 0 :: v_dual_mov_b32 v40, v24
	v_dual_mov_b32 v37, 0 :: v_dual_mov_b32 v38, 0
	v_mov_b32_e32 v39, 0
	s_and_saveexec_b32 s7, s6
	s_cbranch_execz .LBB666_32
; %bb.21:                               ;   in Loop: Header=BB666_4 Depth=1
	v_dual_mov_b32 v36, 0 :: v_dual_mov_b32 v41, v34
	v_dual_mov_b32 v42, v30 :: v_dual_mov_b32 v43, v29
	v_dual_mov_b32 v44, v0 :: v_dual_mov_b32 v40, v24
	v_dual_mov_b32 v37, 0 :: v_dual_mov_b32 v38, 0
	v_mov_b32_e32 v39, 0
	s_mov_b32 s39, 0
	s_mov_b32 s40, 0
	s_branch .LBB666_26
.LBB666_22:                             ;   in Loop: Header=BB666_26 Depth=2
	s_or_b32 exec_lo, exec_lo, s44
	s_wait_loadcnt_dscnt 0x202
	v_dual_lshlrev_b32 v17, 16, v56 :: v_dual_lshlrev_b32 v16, 16, v55
	s_delay_alu instid0(VALU_DEP_1) | instskip(SKIP_1) | instid1(VALU_DEP_1)
	v_pk_mul_f32 v[16:17], v[14:15], v[16:17]
	s_wait_loadcnt_dscnt 0x0
	v_dual_add_f32 v16, v38, v16 :: v_dual_lshlrev_b32 v19, 16, v54
	s_delay_alu instid0(VALU_DEP_1) | instskip(SKIP_1) | instid1(VALU_DEP_1)
	v_add_f32_e32 v20, v16, v17
	v_lshlrev_b32_e32 v18, 16, v53
	v_pk_mul_f32 v[16:17], v[12:13], v[18:19]
	s_delay_alu instid0(VALU_DEP_1) | instskip(NEXT) | instid1(VALU_DEP_1)
	v_add_f32_e32 v16, v20, v16
	v_add_f32_e32 v38, v16, v17
.LBB666_23:                             ;   in Loop: Header=BB666_26 Depth=2
	s_or_b32 exec_lo, exec_lo, s43
	s_wait_loadcnt_dscnt 0x202
	v_dual_lshlrev_b32 v17, 16, v52 :: v_dual_lshlrev_b32 v16, 16, v51
	s_delay_alu instid0(VALU_DEP_1) | instskip(SKIP_1) | instid1(VALU_DEP_1)
	v_pk_mul_f32 v[16:17], v[14:15], v[16:17]
	s_wait_loadcnt_dscnt 0x0
	v_dual_add_f32 v16, v37, v16 :: v_dual_lshlrev_b32 v19, 16, v50
	s_delay_alu instid0(VALU_DEP_1) | instskip(SKIP_1) | instid1(VALU_DEP_1)
	v_add_f32_e32 v20, v16, v17
	v_lshlrev_b32_e32 v18, 16, v49
	v_pk_mul_f32 v[16:17], v[12:13], v[18:19]
	s_delay_alu instid0(VALU_DEP_1) | instskip(NEXT) | instid1(VALU_DEP_1)
	v_add_f32_e32 v16, v20, v16
	v_add_f32_e32 v37, v16, v17
.LBB666_24:                             ;   in Loop: Header=BB666_26 Depth=2
	s_or_b32 exec_lo, exec_lo, s42
	s_wait_loadcnt_dscnt 0x202
	v_dual_lshlrev_b32 v17, 16, v48 :: v_dual_lshlrev_b32 v16, 16, v47
	s_delay_alu instid0(VALU_DEP_1) | instskip(SKIP_2) | instid1(VALU_DEP_2)
	v_pk_mul_f32 v[14:15], v[14:15], v[16:17]
	s_wait_loadcnt_dscnt 0x0
	v_dual_lshlrev_b32 v17, 16, v46 :: v_dual_lshlrev_b32 v16, 16, v45
	v_add_f32_e32 v14, v36, v14
	s_delay_alu instid0(VALU_DEP_2) | instskip(NEXT) | instid1(VALU_DEP_2)
	v_pk_mul_f32 v[12:13], v[12:13], v[16:17]
	v_add_f32_e32 v14, v14, v15
	s_delay_alu instid0(VALU_DEP_1) | instskip(NEXT) | instid1(VALU_DEP_1)
	v_add_f32_e32 v12, v14, v12
	v_add_f32_e32 v36, v12, v13
.LBB666_25:                             ;   in Loop: Header=BB666_26 Depth=2
	s_or_b32 exec_lo, exec_lo, s41
	v_dual_add_nc_u32 v40, 16, v40 :: v_dual_add_nc_u32 v43, s36, v43
	v_dual_add_nc_u32 v44, s36, v44 :: v_dual_add_nc_u32 v42, s36, v42
	v_add_nc_u32_e32 v41, s36, v41
	s_delay_alu instid0(VALU_DEP_3) | instskip(SKIP_2) | instid1(SALU_CYCLE_1)
	v_cmp_le_i32_e32 vcc_lo, s34, v40
	s_add_co_i32 s40, s40, s37
	s_or_b32 s39, vcc_lo, s39
	s_and_not1_b32 exec_lo, exec_lo, s39
	s_cbranch_execz .LBB666_31
.LBB666_26:                             ;   Parent Loop BB666_4 Depth=1
                                        ; =>  This Inner Loop Header: Depth=2
	s_and_saveexec_b32 s41, s1
	s_cbranch_execz .LBB666_25
; %bb.27:                               ;   in Loop: Header=BB666_26 Depth=2
	v_dual_add_nc_u32 v12, s40, v35 :: v_dual_add_nc_u32 v14, s40, v32
	v_readfirstlane_b32 s42, v10
	v_readfirstlane_b32 s43, v11
	v_dual_add_nc_u32 v13, s40, v31 :: v_dual_add_nc_u32 v15, s40, v33
	s_clause 0x3
	flat_load_u16 v17, v12, s[42:43] scale_offset
	flat_load_u16 v19, v13, s[42:43] scale_offset
	;; [unrolled: 1-line block ×4, first 2 shown]
	v_dual_add_nc_u32 v16, s31, v41 :: v_dual_add_nc_u32 v18, s31, v44
	s_wait_xcnt 0x0
	v_readfirstlane_b32 s42, v8
	v_readfirstlane_b32 s43, v9
	v_dual_add_nc_u32 v20, s31, v43 :: v_dual_add_nc_u32 v22, s31, v42
	s_clause 0x3
	flat_load_u16 v47, v16, s[42:43] scale_offset
	flat_load_u16 v48, v18, s[42:43] scale_offset
	;; [unrolled: 1-line block ×4, first 2 shown]
	s_wait_loadcnt_dscnt 0x606
	v_dual_lshlrev_b32 v14, 16, v17 :: v_dual_lshlrev_b32 v15, 16, v19
	s_wait_loadcnt_dscnt 0x404
	v_dual_lshlrev_b32 v12, 16, v21 :: v_dual_lshlrev_b32 v13, 16, v23
	s_wait_xcnt 0x0
	s_and_saveexec_b32 s42, s3
	s_cbranch_execz .LBB666_24
; %bb.28:                               ;   in Loop: Header=BB666_26 Depth=2
	v_dual_ashrrev_i32 v17, 31, v16 :: v_dual_ashrrev_i32 v19, 31, v18
	v_dual_ashrrev_i32 v21, 31, v20 :: v_dual_ashrrev_i32 v23, 31, v22
	s_delay_alu instid0(VALU_DEP_2) | instskip(NEXT) | instid1(VALU_DEP_3)
	v_lshl_add_u64 v[16:17], v[16:17], 1, v[8:9]
	v_lshl_add_u64 v[18:19], v[18:19], 1, v[8:9]
	s_delay_alu instid0(VALU_DEP_3) | instskip(NEXT) | instid1(VALU_DEP_4)
	v_lshl_add_u64 v[20:21], v[20:21], 1, v[8:9]
	v_lshl_add_u64 v[22:23], v[22:23], 1, v[8:9]
	s_clause 0x3
	flat_load_u16 v51, v[16:17] offset:128
	flat_load_u16 v52, v[18:19] offset:128
	flat_load_u16 v49, v[20:21] offset:128
	flat_load_u16 v50, v[22:23] offset:128
	s_wait_xcnt 0x0
	s_and_saveexec_b32 s43, s4
	s_cbranch_execz .LBB666_23
; %bb.29:                               ;   in Loop: Header=BB666_26 Depth=2
	s_clause 0x3
	flat_load_u16 v55, v[16:17] offset:256
	flat_load_u16 v56, v[18:19] offset:256
	flat_load_u16 v53, v[20:21] offset:256
	flat_load_u16 v54, v[22:23] offset:256
	s_wait_xcnt 0x0
	s_and_saveexec_b32 s44, s5
	s_cbranch_execz .LBB666_22
; %bb.30:                               ;   in Loop: Header=BB666_26 Depth=2
	s_clause 0x3
	flat_load_u16 v57, v[18:19] offset:384
	flat_load_u16 v58, v[16:17] offset:384
	;; [unrolled: 1-line block ×4, first 2 shown]
	s_wait_loadcnt_dscnt 0x202
	s_wait_xcnt 0x2
	v_dual_lshlrev_b32 v17, 16, v57 :: v_dual_lshlrev_b32 v16, 16, v58
	s_delay_alu instid0(VALU_DEP_1) | instskip(SKIP_1) | instid1(VALU_DEP_1)
	v_pk_mul_f32 v[16:17], v[14:15], v[16:17]
	s_wait_loadcnt_dscnt 0x101
	v_dual_add_f32 v16, v39, v16 :: v_dual_lshlrev_b32 v19, 16, v59
	s_wait_loadcnt_dscnt 0x0
	s_wait_xcnt 0x0
	s_delay_alu instid0(VALU_DEP_1) | instskip(NEXT) | instid1(VALU_DEP_1)
	v_dual_lshlrev_b32 v18, 16, v60 :: v_dual_add_f32 v20, v16, v17
	v_pk_mul_f32 v[16:17], v[12:13], v[18:19]
	s_delay_alu instid0(VALU_DEP_1) | instskip(NEXT) | instid1(VALU_DEP_1)
	v_add_f32_e32 v16, v20, v16
	v_add_f32_e32 v39, v16, v17
	s_branch .LBB666_22
.LBB666_31:                             ;   in Loop: Header=BB666_4 Depth=1
	s_or_b32 exec_lo, exec_lo, s39
.LBB666_32:                             ;   in Loop: Header=BB666_4 Depth=1
	s_delay_alu instid0(SALU_CYCLE_1) | instskip(NEXT) | instid1(SALU_CYCLE_1)
	s_or_b32 exec_lo, exec_lo, s7
	s_and_not1_b32 vcc_lo, exec_lo, s20
	s_cbranch_vccnz .LBB666_50
; %bb.33:                               ;   in Loop: Header=BB666_4 Depth=1
	v_dual_mov_b32 v12, 0 :: v_dual_bitop2_b32 v16, 1, v40 bitop3:0x54
	v_cmp_gt_i32_e32 vcc_lo, s21, v40
	s_delay_alu instid0(VALU_DEP_2)
	v_dual_mov_b32 v13, v12 :: v_dual_mov_b32 v14, v12
	v_mov_b32_e32 v15, v12
	s_and_saveexec_b32 s39, vcc_lo
	s_cbranch_execz .LBB666_41
; %bb.34:                               ;   in Loop: Header=BB666_4 Depth=1
	v_mul_lo_u32 v12, v40, s28
	v_readfirstlane_b32 s40, v10
	v_readfirstlane_b32 s41, v11
	v_dual_mov_b32 v15, 0 :: v_dual_mov_b32 v13, 0
	flat_load_u16 v14, v12, s[40:41] scale_offset
	s_wait_xcnt 0x0
	v_mov_b32_e32 v12, 0
	s_mov_b32 s40, exec_lo
	v_cmpx_gt_i32_e64 s21, v16
	s_cbranch_execz .LBB666_40
; %bb.35:                               ;   in Loop: Header=BB666_4 Depth=1
	v_mul_lo_u32 v12, v16, s28
	v_readfirstlane_b32 s42, v10
	v_readfirstlane_b32 s43, v11
	v_dual_mov_b32 v13, 0 :: v_dual_bitop2_b32 v17, 2, v40 bitop3:0x54
	s_mov_b32 s41, exec_lo
	flat_load_u16 v15, v12, s[42:43] scale_offset
	s_wait_xcnt 0x0
	v_mov_b32_e32 v12, 0
	v_cmpx_gt_i32_e64 s21, v17
	s_cbranch_execz .LBB666_39
; %bb.36:                               ;   in Loop: Header=BB666_4 Depth=1
	v_mul_lo_u32 v12, v17, s28
	v_readfirstlane_b32 s42, v10
	v_readfirstlane_b32 s43, v11
	v_dual_mov_b32 v13, 0 :: v_dual_bitop2_b32 v17, 3, v40 bitop3:0x54
	flat_load_u16 v12, v12, s[42:43] scale_offset
	s_wait_xcnt 0x0
	s_mov_b32 s42, exec_lo
	v_cmpx_gt_i32_e64 s21, v17
	s_cbranch_execz .LBB666_38
; %bb.37:                               ;   in Loop: Header=BB666_4 Depth=1
	v_mul_lo_u32 v13, v17, s28
	v_readfirstlane_b32 s44, v10
	v_readfirstlane_b32 s45, v11
	flat_load_u16 v10, v13, s[44:45] scale_offset
	s_wait_loadcnt_dscnt 0x0
	s_wait_xcnt 0x0
	v_lshlrev_b32_e32 v13, 16, v10
.LBB666_38:                             ;   in Loop: Header=BB666_4 Depth=1
	s_or_b32 exec_lo, exec_lo, s42
	s_wait_loadcnt_dscnt 0x0
	v_lshlrev_b32_e32 v12, 16, v12
.LBB666_39:                             ;   in Loop: Header=BB666_4 Depth=1
	s_or_b32 exec_lo, exec_lo, s41
	s_wait_loadcnt_dscnt 0x0
	v_lshlrev_b32_e32 v15, 16, v15
.LBB666_40:                             ;   in Loop: Header=BB666_4 Depth=1
	s_or_b32 exec_lo, exec_lo, s40
	s_wait_loadcnt_dscnt 0x0
	v_lshlrev_b32_e32 v14, 16, v14
.LBB666_41:                             ;   in Loop: Header=BB666_4 Depth=1
	s_or_b32 exec_lo, exec_lo, s39
	s_and_saveexec_b32 s39, s1
	s_cbranch_execz .LBB666_49
; %bb.42:                               ;   in Loop: Header=BB666_4 Depth=1
	v_mul_lo_u32 v17, v16, s27
	v_cmp_gt_i32_e64 s7, s21, v16
	v_or_b32_e32 v10, 2, v40
	v_mul_lo_u32 v20, v40, s27
	v_readfirstlane_b32 s40, v8
	v_readfirstlane_b32 s41, v9
	v_cndmask_b32_e64 v16, 0, v17, s7
	v_mul_lo_u32 v18, v10, s27
	v_cmp_gt_i32_e64 s7, s21, v10
	v_or_b32_e32 v11, 3, v40
	s_delay_alu instid0(VALU_DEP_2) | instskip(NEXT) | instid1(VALU_DEP_2)
	v_dual_cndmask_b32 v17, 0, v20, vcc_lo :: v_dual_cndmask_b32 v10, 0, v18, s7
	v_mul_lo_u32 v19, v11, s27
	v_cmp_gt_i32_e64 s7, s21, v11
	s_delay_alu instid0(VALU_DEP_3) | instskip(NEXT) | instid1(VALU_DEP_2)
	v_dual_add_nc_u32 v16, v16, v28 :: v_dual_add_nc_u32 v18, v10, v28
	v_dual_add_nc_u32 v10, v17, v28 :: v_dual_cndmask_b32 v11, 0, v19, s7
	s_delay_alu instid0(VALU_DEP_1)
	v_add_nc_u32_e32 v20, v11, v28
	s_clause 0x3
	flat_load_u16 v40, v16, s[40:41] scale_offset
	flat_load_u16 v22, v18, s[40:41] scale_offset
	;; [unrolled: 1-line block ×4, first 2 shown]
	s_wait_xcnt 0x0
	s_and_saveexec_b32 s7, s3
	s_cbranch_execz .LBB666_48
; %bb.43:                               ;   in Loop: Header=BB666_4 Depth=1
	v_dual_ashrrev_i32 v11, 31, v10 :: v_dual_ashrrev_i32 v17, 31, v16
	v_dual_ashrrev_i32 v19, 31, v18 :: v_dual_ashrrev_i32 v21, 31, v20
	s_delay_alu instid0(VALU_DEP_2) | instskip(NEXT) | instid1(VALU_DEP_3)
	v_lshl_add_u64 v[10:11], v[10:11], 1, v[8:9]
	v_lshl_add_u64 v[16:17], v[16:17], 1, v[8:9]
	s_delay_alu instid0(VALU_DEP_3) | instskip(NEXT) | instid1(VALU_DEP_4)
	v_lshl_add_u64 v[18:19], v[18:19], 1, v[8:9]
	v_lshl_add_u64 v[8:9], v[20:21], 1, v[8:9]
	s_clause 0x3
	flat_load_u16 v42, v[10:11] offset:128
	flat_load_u16 v43, v[16:17] offset:128
	;; [unrolled: 1-line block ×4, first 2 shown]
	s_wait_xcnt 0x0
	s_and_saveexec_b32 s40, s4
	s_cbranch_execz .LBB666_47
; %bb.44:                               ;   in Loop: Header=BB666_4 Depth=1
	s_clause 0x3
	flat_load_u16 v46, v[10:11] offset:256
	flat_load_u16 v47, v[16:17] offset:256
	;; [unrolled: 1-line block ×4, first 2 shown]
	s_wait_xcnt 0x0
	s_and_saveexec_b32 s41, s5
	s_cbranch_execz .LBB666_46
; %bb.45:                               ;   in Loop: Header=BB666_4 Depth=1
	s_clause 0x3
	flat_load_u16 v48, v[16:17] offset:384
	flat_load_u16 v49, v[10:11] offset:384
	flat_load_u16 v50, v[8:9] offset:384
	flat_load_u16 v51, v[18:19] offset:384
	s_wait_loadcnt_dscnt 0x202
	s_wait_xcnt 0x1
	v_dual_lshlrev_b32 v9, 16, v48 :: v_dual_lshlrev_b32 v8, 16, v49
	s_delay_alu instid0(VALU_DEP_1) | instskip(SKIP_1) | instid1(VALU_DEP_1)
	v_pk_mul_f32 v[8:9], v[14:15], v[8:9]
	s_wait_loadcnt_dscnt 0x101
	v_dual_add_f32 v8, v39, v8 :: v_dual_lshlrev_b32 v11, 16, v50
	s_wait_loadcnt_dscnt 0x0
	s_delay_alu instid0(VALU_DEP_1) | instskip(NEXT) | instid1(VALU_DEP_1)
	v_dual_lshlrev_b32 v10, 16, v51 :: v_dual_add_f32 v16, v8, v9
	v_pk_mul_f32 v[8:9], v[12:13], v[10:11]
	s_delay_alu instid0(VALU_DEP_1) | instskip(NEXT) | instid1(VALU_DEP_1)
	v_add_f32_e32 v8, v16, v8
	v_add_f32_e32 v39, v8, v9
.LBB666_46:                             ;   in Loop: Header=BB666_4 Depth=1
	s_wait_xcnt 0x0
	s_or_b32 exec_lo, exec_lo, s41
	s_wait_loadcnt_dscnt 0x202
	v_dual_lshlrev_b32 v9, 16, v47 :: v_dual_lshlrev_b32 v8, 16, v46
	s_delay_alu instid0(VALU_DEP_1) | instskip(SKIP_1) | instid1(VALU_DEP_1)
	v_pk_mul_f32 v[8:9], v[14:15], v[8:9]
	s_wait_loadcnt_dscnt 0x0
	v_dual_add_f32 v8, v38, v8 :: v_dual_lshlrev_b32 v11, 16, v45
	s_delay_alu instid0(VALU_DEP_1) | instskip(NEXT) | instid1(VALU_DEP_1)
	v_dual_lshlrev_b32 v10, 16, v44 :: v_dual_add_f32 v16, v8, v9
	v_pk_mul_f32 v[8:9], v[12:13], v[10:11]
	s_delay_alu instid0(VALU_DEP_1) | instskip(NEXT) | instid1(VALU_DEP_1)
	v_add_f32_e32 v8, v16, v8
	v_add_f32_e32 v38, v8, v9
.LBB666_47:                             ;   in Loop: Header=BB666_4 Depth=1
	s_or_b32 exec_lo, exec_lo, s40
	s_wait_loadcnt_dscnt 0x202
	v_dual_lshlrev_b32 v9, 16, v43 :: v_dual_lshlrev_b32 v8, 16, v42
	s_delay_alu instid0(VALU_DEP_1) | instskip(SKIP_1) | instid1(VALU_DEP_1)
	v_pk_mul_f32 v[8:9], v[14:15], v[8:9]
	s_wait_loadcnt_dscnt 0x0
	v_dual_add_f32 v8, v37, v8 :: v_dual_lshlrev_b32 v11, 16, v21
	s_delay_alu instid0(VALU_DEP_1) | instskip(NEXT) | instid1(VALU_DEP_1)
	v_dual_lshlrev_b32 v10, 16, v20 :: v_dual_add_f32 v16, v8, v9
	v_pk_mul_f32 v[8:9], v[12:13], v[10:11]
	s_delay_alu instid0(VALU_DEP_1) | instskip(NEXT) | instid1(VALU_DEP_1)
	v_add_f32_e32 v8, v16, v8
	v_add_f32_e32 v37, v8, v9
.LBB666_48:                             ;   in Loop: Header=BB666_4 Depth=1
	s_or_b32 exec_lo, exec_lo, s7
	s_wait_loadcnt_dscnt 0x0
	v_dual_lshlrev_b32 v9, 16, v40 :: v_dual_lshlrev_b32 v8, 16, v41
	s_delay_alu instid0(VALU_DEP_1) | instskip(NEXT) | instid1(VALU_DEP_1)
	v_pk_mul_f32 v[8:9], v[14:15], v[8:9]
	v_dual_add_f32 v8, v36, v8 :: v_dual_lshlrev_b32 v11, 16, v23
	s_delay_alu instid0(VALU_DEP_1) | instskip(NEXT) | instid1(VALU_DEP_1)
	v_dual_lshlrev_b32 v10, 16, v22 :: v_dual_add_f32 v14, v8, v9
	v_pk_mul_f32 v[8:9], v[12:13], v[10:11]
	s_delay_alu instid0(VALU_DEP_1) | instskip(NEXT) | instid1(VALU_DEP_1)
	v_add_f32_e32 v8, v14, v8
	v_add_f32_e32 v36, v8, v9
.LBB666_49:                             ;   in Loop: Header=BB666_4 Depth=1
	s_or_b32 exec_lo, exec_lo, s39
.LBB666_50:                             ;   in Loop: Header=BB666_4 Depth=1
	ds_store_2addr_stride64_b32 v25, v36, v37 offset1:1
	ds_store_2addr_stride64_b32 v25, v38, v39 offset0:2 offset1:3
	s_wait_dscnt 0x0
	s_barrier_signal -1
	s_barrier_wait -1
                                        ; implicit-def: $vgpr12
	s_and_saveexec_b32 s7, s0
	s_cbranch_execz .LBB666_56
; %bb.51:                               ;   in Loop: Header=BB666_4 Depth=1
	ds_load_2addr_stride64_b32 v[8:9], v26 offset1:4
	ds_load_2addr_stride64_b32 v[10:11], v26 offset0:8 offset1:12
	s_mov_b32 s40, s38
                                        ; implicit-def: $vgpr12
	s_wait_dscnt 0x1
	v_add_f32_e32 v8, v8, v9
	s_wait_dscnt 0x0
	s_delay_alu instid0(VALU_DEP_1) | instskip(NEXT) | instid1(VALU_DEP_1)
	v_add_f32_e32 v8, v10, v8
	v_add_f32_e32 v8, v11, v8
	ds_store_b32 v26, v8
	s_and_saveexec_b32 s39, s2
	s_cbranch_execz .LBB666_55
; %bb.52:                               ;   in Loop: Header=BB666_4 Depth=1
	v_mul_f32_e32 v12, s22, v8
	s_and_not1_b32 vcc_lo, exec_lo, s33
	s_cbranch_vccnz .LBB666_54
; %bb.53:                               ;   in Loop: Header=BB666_4 Depth=1
	v_lshl_add_u64 v[8:9], v[4:5], 2, v[6:7]
	flat_load_b32 v8, v[8:9]
	s_wait_loadcnt_dscnt 0x0
	v_fmac_f32_e32 v12, s26, v8
.LBB666_54:                             ;   in Loop: Header=BB666_4 Depth=1
	s_or_b32 s40, s38, exec_lo
.LBB666_55:                             ;   in Loop: Header=BB666_4 Depth=1
	s_wait_xcnt 0x0
	s_or_b32 exec_lo, exec_lo, s39
	s_delay_alu instid0(SALU_CYCLE_1) | instskip(SKIP_1) | instid1(SALU_CYCLE_1)
	s_and_not1_b32 s38, s38, exec_lo
	s_and_b32 s39, s40, exec_lo
	s_or_b32 s38, s38, s39
.LBB666_56:                             ;   in Loop: Header=BB666_4 Depth=1
	s_or_b32 exec_lo, exec_lo, s7
	v_mov_b64_e32 v[8:9], v[4:5]
	s_and_saveexec_b32 s7, s38
	s_cbranch_execz .LBB666_2
.LBB666_57:                             ;   in Loop: Header=BB666_4 Depth=1
	s_delay_alu instid0(VALU_DEP_1)
	v_lshl_add_u64 v[6:7], v[8:9], 2, v[6:7]
	flat_store_b32 v[6:7], v12
	s_branch .LBB666_2
.LBB666_58:
	s_endpgm
	.section	.rodata,"a",@progbits
	.p2align	6, 0x0
	.amdhsa_kernel _ZL20rocblas_gemvn_kernelILi64ELi4EiPK16rocblas_bfloat16fKPfEviiT3_lPKT2_lT1_lS8_lS9_lS5_lPT4_lS9_li
		.amdhsa_group_segment_fixed_size 4096
		.amdhsa_private_segment_fixed_size 0
		.amdhsa_kernarg_size 400
		.amdhsa_user_sgpr_count 2
		.amdhsa_user_sgpr_dispatch_ptr 0
		.amdhsa_user_sgpr_queue_ptr 0
		.amdhsa_user_sgpr_kernarg_segment_ptr 1
		.amdhsa_user_sgpr_dispatch_id 0
		.amdhsa_user_sgpr_kernarg_preload_length 0
		.amdhsa_user_sgpr_kernarg_preload_offset 0
		.amdhsa_user_sgpr_private_segment_size 0
		.amdhsa_wavefront_size32 1
		.amdhsa_uses_dynamic_stack 0
		.amdhsa_enable_private_segment 0
		.amdhsa_system_sgpr_workgroup_id_x 1
		.amdhsa_system_sgpr_workgroup_id_y 0
		.amdhsa_system_sgpr_workgroup_id_z 1
		.amdhsa_system_sgpr_workgroup_info 0
		.amdhsa_system_vgpr_workitem_id 1
		.amdhsa_next_free_vgpr 61
		.amdhsa_next_free_sgpr 46
		.amdhsa_named_barrier_count 0
		.amdhsa_reserve_vcc 1
		.amdhsa_float_round_mode_32 0
		.amdhsa_float_round_mode_16_64 0
		.amdhsa_float_denorm_mode_32 3
		.amdhsa_float_denorm_mode_16_64 3
		.amdhsa_fp16_overflow 0
		.amdhsa_memory_ordered 1
		.amdhsa_forward_progress 1
		.amdhsa_inst_pref_size 26
		.amdhsa_round_robin_scheduling 0
		.amdhsa_exception_fp_ieee_invalid_op 0
		.amdhsa_exception_fp_denorm_src 0
		.amdhsa_exception_fp_ieee_div_zero 0
		.amdhsa_exception_fp_ieee_overflow 0
		.amdhsa_exception_fp_ieee_underflow 0
		.amdhsa_exception_fp_ieee_inexact 0
		.amdhsa_exception_int_div_zero 0
	.end_amdhsa_kernel
	.section	.text._ZL20rocblas_gemvn_kernelILi64ELi4EiPK16rocblas_bfloat16fKPfEviiT3_lPKT2_lT1_lS8_lS9_lS5_lPT4_lS9_li,"axG",@progbits,_ZL20rocblas_gemvn_kernelILi64ELi4EiPK16rocblas_bfloat16fKPfEviiT3_lPKT2_lT1_lS8_lS9_lS5_lPT4_lS9_li,comdat
.Lfunc_end666:
	.size	_ZL20rocblas_gemvn_kernelILi64ELi4EiPK16rocblas_bfloat16fKPfEviiT3_lPKT2_lT1_lS8_lS9_lS5_lPT4_lS9_li, .Lfunc_end666-_ZL20rocblas_gemvn_kernelILi64ELi4EiPK16rocblas_bfloat16fKPfEviiT3_lPKT2_lT1_lS8_lS9_lS5_lPT4_lS9_li
                                        ; -- End function
	.set _ZL20rocblas_gemvn_kernelILi64ELi4EiPK16rocblas_bfloat16fKPfEviiT3_lPKT2_lT1_lS8_lS9_lS5_lPT4_lS9_li.num_vgpr, 61
	.set _ZL20rocblas_gemvn_kernelILi64ELi4EiPK16rocblas_bfloat16fKPfEviiT3_lPKT2_lT1_lS8_lS9_lS5_lPT4_lS9_li.num_agpr, 0
	.set _ZL20rocblas_gemvn_kernelILi64ELi4EiPK16rocblas_bfloat16fKPfEviiT3_lPKT2_lT1_lS8_lS9_lS5_lPT4_lS9_li.numbered_sgpr, 46
	.set _ZL20rocblas_gemvn_kernelILi64ELi4EiPK16rocblas_bfloat16fKPfEviiT3_lPKT2_lT1_lS8_lS9_lS5_lPT4_lS9_li.num_named_barrier, 0
	.set _ZL20rocblas_gemvn_kernelILi64ELi4EiPK16rocblas_bfloat16fKPfEviiT3_lPKT2_lT1_lS8_lS9_lS5_lPT4_lS9_li.private_seg_size, 0
	.set _ZL20rocblas_gemvn_kernelILi64ELi4EiPK16rocblas_bfloat16fKPfEviiT3_lPKT2_lT1_lS8_lS9_lS5_lPT4_lS9_li.uses_vcc, 1
	.set _ZL20rocblas_gemvn_kernelILi64ELi4EiPK16rocblas_bfloat16fKPfEviiT3_lPKT2_lT1_lS8_lS9_lS5_lPT4_lS9_li.uses_flat_scratch, 1
	.set _ZL20rocblas_gemvn_kernelILi64ELi4EiPK16rocblas_bfloat16fKPfEviiT3_lPKT2_lT1_lS8_lS9_lS5_lPT4_lS9_li.has_dyn_sized_stack, 0
	.set _ZL20rocblas_gemvn_kernelILi64ELi4EiPK16rocblas_bfloat16fKPfEviiT3_lPKT2_lT1_lS8_lS9_lS5_lPT4_lS9_li.has_recursion, 0
	.set _ZL20rocblas_gemvn_kernelILi64ELi4EiPK16rocblas_bfloat16fKPfEviiT3_lPKT2_lT1_lS8_lS9_lS5_lPT4_lS9_li.has_indirect_call, 0
	.section	.AMDGPU.csdata,"",@progbits
; Kernel info:
; codeLenInByte = 3204
; TotalNumSgprs: 48
; NumVgprs: 61
; ScratchSize: 0
; MemoryBound: 0
; FloatMode: 240
; IeeeMode: 1
; LDSByteSize: 4096 bytes/workgroup (compile time only)
; SGPRBlocks: 0
; VGPRBlocks: 3
; NumSGPRsForWavesPerEU: 48
; NumVGPRsForWavesPerEU: 61
; NamedBarCnt: 0
; Occupancy: 16
; WaveLimiterHint : 1
; COMPUTE_PGM_RSRC2:SCRATCH_EN: 0
; COMPUTE_PGM_RSRC2:USER_SGPR: 2
; COMPUTE_PGM_RSRC2:TRAP_HANDLER: 0
; COMPUTE_PGM_RSRC2:TGID_X_EN: 1
; COMPUTE_PGM_RSRC2:TGID_Y_EN: 0
; COMPUTE_PGM_RSRC2:TGID_Z_EN: 1
; COMPUTE_PGM_RSRC2:TIDIG_COMP_CNT: 1
	.section	.text._ZL20rocblas_gemvn_kernelILi64ELi4ElPK16rocblas_bfloat16fKPfEviiT3_lPKT2_lT1_lS8_lS9_lS5_lPT4_lS9_li,"axG",@progbits,_ZL20rocblas_gemvn_kernelILi64ELi4ElPK16rocblas_bfloat16fKPfEviiT3_lPKT2_lT1_lS8_lS9_lS5_lPT4_lS9_li,comdat
	.globl	_ZL20rocblas_gemvn_kernelILi64ELi4ElPK16rocblas_bfloat16fKPfEviiT3_lPKT2_lT1_lS8_lS9_lS5_lPT4_lS9_li ; -- Begin function _ZL20rocblas_gemvn_kernelILi64ELi4ElPK16rocblas_bfloat16fKPfEviiT3_lPKT2_lT1_lS8_lS9_lS5_lPT4_lS9_li
	.p2align	8
	.type	_ZL20rocblas_gemvn_kernelILi64ELi4ElPK16rocblas_bfloat16fKPfEviiT3_lPKT2_lT1_lS8_lS9_lS5_lPT4_lS9_li,@function
_ZL20rocblas_gemvn_kernelILi64ELi4ElPK16rocblas_bfloat16fKPfEviiT3_lPKT2_lT1_lS8_lS9_lS5_lPT4_lS9_li: ; @_ZL20rocblas_gemvn_kernelILi64ELi4ElPK16rocblas_bfloat16fKPfEviiT3_lPKT2_lT1_lS8_lS9_lS5_lPT4_lS9_li
; %bb.0:
	s_clause 0x1
	s_load_b64 s[2:3], s[0:1], 0x9c
	s_load_b32 s27, s[0:1], 0x88
	s_bfe_u32 s4, ttmp6, 0x40014
	s_lshr_b32 s5, ttmp7, 16
	s_add_co_i32 s4, s4, 1
	s_bfe_u32 s6, ttmp6, 0x40008
	s_mul_i32 s7, s5, s4
	s_getreg_b32 s4, hwreg(HW_REG_IB_STS2, 6, 4)
	s_add_co_i32 s6, s6, s7
	s_mov_b32 s11, 0
	s_wait_kmcnt 0x0
	s_lshr_b32 s7, s2, 16
	s_and_b32 s2, s2, 0xffff
	s_and_b32 s3, s3, 0xffff
	s_mul_i32 s2, s7, s2
	s_cmp_eq_u32 s4, 0
	s_mul_i32 s2, s2, s3
	s_cselect_b32 s10, s5, s6
	s_cmp_lg_u32 s2, 0x100
	s_cselect_b32 s2, -1, 0
	s_cmp_ge_u32 s10, s27
	s_cselect_b32 s3, -1, 0
	s_delay_alu instid0(SALU_CYCLE_1) | instskip(NEXT) | instid1(SALU_CYCLE_1)
	s_or_b32 s2, s2, s3
	s_and_b32 vcc_lo, exec_lo, s2
	s_cbranch_vccnz .LBB667_58
; %bb.1:
	s_clause 0x7
	s_load_b96 s[24:26], s[0:1], 0x0
	s_load_b32 s33, s[0:1], 0x58
	s_load_b64 s[28:29], s[0:1], 0x48
	s_load_b128 s[12:15], s[0:1], 0x18
	s_load_b64 s[30:31], s[0:1], 0x28
	s_load_b128 s[16:19], s[0:1], 0x38
	s_load_b64 s[2:3], s[0:1], 0x78
	s_load_b128 s[20:23], s[0:1], 0x68
	v_bfe_u32 v4, v0, 10, 10
	v_and_b32_e32 v15, 0x3ff, v0
	s_delay_alu instid0(VALU_DEP_2) | instskip(NEXT) | instid1(VALU_DEP_2)
	v_dual_mov_b32 v1, 0 :: v_dual_lshlrev_b32 v52, 2, v4
	v_lshl_add_u32 v14, v4, 6, v15
	s_delay_alu instid0(VALU_DEP_2) | instskip(NEXT) | instid1(VALU_DEP_1)
	v_dual_mov_b32 v5, v1 :: v_dual_lshlrev_b32 v20, 2, v15
	v_lshl_add_u32 v54, v4, 10, v20
	s_wait_kmcnt 0x0
	s_cmp_eq_f32 s26, 0
	v_lshl_add_u32 v55, v4, 8, v20
	v_mad_nc_u64_u32 v[6:7], s28, v52, s[28:29]
	v_mul_u64_e32 v[10:11], s[28:29], v[4:5]
	s_cselect_b32 s38, -1, 0
	s_cmp_neq_f32 s33, 1.0
	v_mad_nc_u64_u32 v[8:9], s30, v52, s[30:31]
	v_mul_u64_e32 v[12:13], s[30:31], v[4:5]
	s_cselect_b32 s0, -1, 0
	s_cmp_neq_f32 s26, 0
	s_delay_alu instid0(VALU_DEP_4)
	v_mad_u32 v7, s29, v52, v7
	s_cselect_b32 s1, -1, 0
	s_bfe_u32 s5, ttmp6, 0x4000c
	s_and_b32 s6, ttmp6, 15
	s_add_co_i32 s5, s5, 1
	s_or_b32 s39, s1, s0
	s_mul_i32 s5, ttmp9, s5
	v_cndmask_b32_e64 v53, 0, 1, s1
	s_add_co_i32 s6, s6, s5
	s_cmp_eq_u32 s4, 0
	s_mov_b32 s0, s24
	s_cselect_b32 s1, ttmp9, s6
	v_mad_u32 v9, s31, v52, v9
	s_lshl_b32 s4, s1, 8
	s_ashr_i32 s1, s24, 31
	v_dual_add_nc_u32 v0, s4, v14 :: v_dual_bitop2_b32 v24, s4, v15 bitop3:0x54
	v_lshlrev_b64_e32 v[4:5], 1, v[6:7]
	s_cmp_neq_f32 s33, 0
	s_delay_alu instid0(VALU_DEP_2)
	v_cmp_gt_i64_e32 vcc_lo, s[0:1], v[0:1]
	v_cmp_gt_u32_e64 s0, 0x100, v14
	v_or_b32_e32 v14, s4, v14
	v_mul_u64_e32 v[2:3], s[2:3], v[0:1]
	v_or_b32_e32 v0, 3, v52
	v_lshlrev_b64_e32 v[6:7], 1, v[8:9]
	s_cselect_b32 s40, -1, 0
	v_ashrrev_i32_e32 v15, 31, v14
	s_ashr_i32 s1, s25, 31
	v_mul_u64_e32 v[16:17], s[30:31], v[0:1]
	v_mul_u64_e32 v[18:19], s[28:29], v[0:1]
	v_or_b32_e32 v0, 2, v52
	v_mul_u64_e32 v[8:9], s[2:3], v[14:15]
	s_lshr_b32 s4, s1, 28
	v_ashrrev_i32_e32 v25, 31, v24
	v_add_nc_u32_e32 v15, 0x80, v24
	v_mul_u64_e32 v[20:21], s[30:31], v[0:1]
	v_mul_u64_e32 v[22:23], s[28:29], v[0:1]
	s_add_co_i32 s3, s25, s4
	v_add_nc_u32_e32 v0, 64, v24
	v_add_nc_u32_e32 v26, 0xc0, v24
	s_and_b32 s41, s3, -16
	v_cmp_gt_i32_e64 s2, s24, v14
	v_lshlrev_b64_e32 v[10:11], 3, v[10:11]
	v_lshlrev_b64_e32 v[12:13], 3, v[12:13]
	v_cmp_gt_i32_e64 s4, s24, v15
	s_sub_co_i32 s6, s25, s41
	v_lshlrev_b64_e32 v[14:15], 1, v[24:25]
	v_cmp_gt_i32_e64 s1, s24, v24
	v_cmp_gt_i32_e64 s3, s24, v0
	;; [unrolled: 1-line block ×3, first 2 shown]
	s_cmp_gt_i32 s6, 0
	v_cmp_gt_i32_e64 s6, s41, v52
	s_cselect_b32 s24, -1, 0
	s_and_b32 s42, s0, vcc_lo
	s_lshl_b64 s[34:35], s[28:29], 5
	s_lshl_b64 s[36:37], s[30:31], 5
	;; [unrolled: 1-line block ×5, first 2 shown]
	v_lshlrev_b64_e32 v[16:17], 1, v[16:17]
	v_lshlrev_b64_e32 v[18:19], 1, v[18:19]
	v_lshlrev_b64_e32 v[20:21], 1, v[20:21]
	v_lshlrev_b64_e32 v[22:23], 1, v[22:23]
	s_branch .LBB667_4
.LBB667_2:                              ;   in Loop: Header=BB667_4 Depth=1
	s_wait_xcnt 0x0
	s_or_b32 exec_lo, exec_lo, s7
.LBB667_3:                              ;   in Loop: Header=BB667_4 Depth=1
	s_add_co_i32 s10, s10, 0x10000
	s_delay_alu instid0(SALU_CYCLE_1)
	s_cmp_lt_u32 s10, s27
	s_cbranch_scc0 .LBB667_58
.LBB667_4:                              ; =>This Loop Header: Depth=1
                                        ;     Child Loop BB667_26 Depth 2
	s_and_not1_b32 vcc_lo, exec_lo, s39
	s_cbranch_vccnz .LBB667_3
; %bb.5:                                ;   in Loop: Header=BB667_4 Depth=1
	s_and_not1_b32 vcc_lo, exec_lo, s38
	s_cbranch_vccnz .LBB667_7
; %bb.6:                                ;   in Loop: Header=BB667_4 Depth=1
	v_mov_b64_e32 v[28:29], 0
	v_mov_b64_e32 v[26:27], 0
	s_cbranch_execz .LBB667_8
	s_branch .LBB667_9
.LBB667_7:                              ;   in Loop: Header=BB667_4 Depth=1
	v_mov_b64_e32 v[28:29], 0
	v_mov_b64_e32 v[26:27], 0
.LBB667_8:                              ;   in Loop: Header=BB667_4 Depth=1
	s_lshl_b64 s[8:9], s[10:11], 3
	s_delay_alu instid0(SALU_CYCLE_1)
	s_add_nc_u64 s[8:9], s[12:13], s[8:9]
	global_load_b64 v[24:25], v1, s[8:9]
	s_wait_loadcnt 0x0
	v_add_nc_u64_e32 v[26:27], s[14:15], v[24:25]
.LBB667_9:                              ;   in Loop: Header=BB667_4 Depth=1
	v_cmp_ne_u32_e32 vcc_lo, 1, v53
	s_cbranch_vccnz .LBB667_11
; %bb.10:                               ;   in Loop: Header=BB667_4 Depth=1
	s_wait_xcnt 0x0
	s_lshl_b64 s[8:9], s[10:11], 3
	s_delay_alu instid0(SALU_CYCLE_1)
	s_add_nc_u64 s[8:9], s[16:17], s[8:9]
	global_load_b64 v[24:25], v1, s[8:9]
	s_wait_loadcnt 0x0
	v_add_nc_u64_e32 v[28:29], s[18:19], v[24:25]
.LBB667_11:                             ;   in Loop: Header=BB667_4 Depth=1
	s_wait_xcnt 0x0
	s_lshl_b64 s[8:9], s[10:11], 3
	s_and_not1_b32 vcc_lo, exec_lo, s38
	s_add_nc_u64 s[8:9], s[20:21], s[8:9]
	global_load_b64 v[24:25], v1, s[8:9]
	s_wait_loadcnt 0x0
	v_add_nc_u64_e32 v[24:25], s[22:23], v[24:25]
	s_cbranch_vccnz .LBB667_15
; %bb.12:                               ;   in Loop: Header=BB667_4 Depth=1
	s_mov_b32 s7, 0
	s_mov_b32 s43, 0
                                        ; implicit-def: $vgpr0
	s_wait_xcnt 0x0
	s_and_saveexec_b32 s8, s42
	s_cbranch_execz .LBB667_16
; %bb.13:                               ;   in Loop: Header=BB667_4 Depth=1
	s_and_not1_b32 vcc_lo, exec_lo, s40
	s_cbranch_vccnz .LBB667_18
; %bb.14:                               ;   in Loop: Header=BB667_4 Depth=1
	v_lshl_add_u64 v[30:31], v[2:3], 2, v[24:25]
	flat_load_b32 v0, v[30:31]
	s_wait_loadcnt_dscnt 0x0
	v_mul_f32_e32 v0, s33, v0
	s_branch .LBB667_19
.LBB667_15:                             ;   in Loop: Header=BB667_4 Depth=1
	s_mov_b32 s43, 0
                                        ; implicit-def: $vgpr0
	s_cbranch_execz .LBB667_17
	s_branch .LBB667_20
.LBB667_16:                             ;   in Loop: Header=BB667_4 Depth=1
	s_or_b32 exec_lo, exec_lo, s8
	s_delay_alu instid0(SALU_CYCLE_1)
	s_and_b32 vcc_lo, exec_lo, s7
	s_cbranch_vccnz .LBB667_20
.LBB667_17:                             ;   in Loop: Header=BB667_4 Depth=1
	v_mov_b64_e32 v[26:27], v[2:3]
	s_wait_xcnt 0x0
	s_and_saveexec_b32 s7, s43
	s_cbranch_execz .LBB667_2
	s_branch .LBB667_57
.LBB667_18:                             ;   in Loop: Header=BB667_4 Depth=1
	v_mov_b32_e32 v0, 0
.LBB667_19:                             ;   in Loop: Header=BB667_4 Depth=1
	s_mov_b32 s43, exec_lo
	s_wait_xcnt 0x0
	s_or_b32 exec_lo, exec_lo, s8
	s_delay_alu instid0(SALU_CYCLE_1)
	s_and_b32 vcc_lo, exec_lo, s7
	s_cbranch_vccz .LBB667_17
.LBB667_20:                             ;   in Loop: Header=BB667_4 Depth=1
	v_dual_mov_b32 v56, 0 :: v_dual_mov_b32 v0, v52
	v_dual_mov_b32 v57, 0 :: v_dual_mov_b32 v58, 0
	v_mov_b32_e32 v59, 0
	s_wait_xcnt 0x0
	s_and_saveexec_b32 s7, s6
	s_cbranch_execz .LBB667_32
; %bb.21:                               ;   in Loop: Header=BB667_4 Depth=1
	v_add_nc_u64_e32 v[30:31], v[26:27], v[16:17]
	v_add_nc_u64_e32 v[32:33], v[26:27], v[12:13]
	;; [unrolled: 1-line block ×4, first 2 shown]
	v_mov_b64_e32 v[38:39], v[28:29]
	v_dual_mov_b32 v56, 0 :: v_dual_mov_b32 v0, v52
	v_dual_mov_b32 v57, 0 :: v_dual_mov_b32 v58, 0
	v_mov_b32_e32 v59, 0
	s_mov_b32 s8, 0
	s_branch .LBB667_26
.LBB667_22:                             ;   in Loop: Header=BB667_26 Depth=2
	s_wait_xcnt 0x0
	s_or_b32 exec_lo, exec_lo, s46
	s_wait_loadcnt_dscnt 0x202
	v_dual_lshlrev_b32 v45, 16, v71 :: v_dual_lshlrev_b32 v44, 16, v70
	s_delay_alu instid0(VALU_DEP_1) | instskip(SKIP_1) | instid1(VALU_DEP_1)
	v_pk_mul_f32 v[44:45], v[42:43], v[44:45]
	s_wait_loadcnt_dscnt 0x0
	v_dual_add_f32 v44, v58, v44 :: v_dual_lshlrev_b32 v47, 16, v69
	s_delay_alu instid0(VALU_DEP_1) | instskip(NEXT) | instid1(VALU_DEP_1)
	v_dual_lshlrev_b32 v46, 16, v68 :: v_dual_add_f32 v48, v44, v45
	v_pk_mul_f32 v[44:45], v[40:41], v[46:47]
	s_delay_alu instid0(VALU_DEP_1) | instskip(NEXT) | instid1(VALU_DEP_1)
	v_add_f32_e32 v44, v48, v44
	v_add_f32_e32 v58, v44, v45
.LBB667_23:                             ;   in Loop: Header=BB667_26 Depth=2
	s_or_b32 exec_lo, exec_lo, s45
	s_wait_loadcnt_dscnt 0x202
	v_dual_lshlrev_b32 v45, 16, v67 :: v_dual_lshlrev_b32 v44, 16, v66
	s_delay_alu instid0(VALU_DEP_1) | instskip(SKIP_1) | instid1(VALU_DEP_1)
	v_pk_mul_f32 v[44:45], v[42:43], v[44:45]
	s_wait_loadcnt_dscnt 0x0
	v_dual_add_f32 v44, v57, v44 :: v_dual_lshlrev_b32 v47, 16, v65
	s_delay_alu instid0(VALU_DEP_1) | instskip(NEXT) | instid1(VALU_DEP_1)
	v_dual_lshlrev_b32 v46, 16, v64 :: v_dual_add_f32 v48, v44, v45
	v_pk_mul_f32 v[44:45], v[40:41], v[46:47]
	s_delay_alu instid0(VALU_DEP_1) | instskip(NEXT) | instid1(VALU_DEP_1)
	v_add_f32_e32 v44, v48, v44
	v_add_f32_e32 v57, v44, v45
.LBB667_24:                             ;   in Loop: Header=BB667_26 Depth=2
	s_or_b32 exec_lo, exec_lo, s44
	s_wait_loadcnt_dscnt 0x202
	v_dual_lshlrev_b32 v45, 16, v63 :: v_dual_lshlrev_b32 v44, 16, v62
	s_delay_alu instid0(VALU_DEP_1) | instskip(SKIP_1) | instid1(VALU_DEP_1)
	v_pk_mul_f32 v[42:43], v[42:43], v[44:45]
	s_wait_loadcnt_dscnt 0x0
	v_dual_add_f32 v42, v56, v42 :: v_dual_lshlrev_b32 v45, 16, v61
	s_delay_alu instid0(VALU_DEP_1) | instskip(NEXT) | instid1(VALU_DEP_1)
	v_dual_lshlrev_b32 v44, 16, v60 :: v_dual_add_f32 v42, v42, v43
	v_pk_mul_f32 v[40:41], v[40:41], v[44:45]
	s_delay_alu instid0(VALU_DEP_1) | instskip(NEXT) | instid1(VALU_DEP_1)
	v_add_f32_e32 v40, v42, v40
	v_add_f32_e32 v56, v40, v41
.LBB667_25:                             ;   in Loop: Header=BB667_26 Depth=2
	s_or_b32 exec_lo, exec_lo, s9
	v_add_nc_u32_e32 v0, 16, v0
	v_add_nc_u64_e32 v[38:39], s[34:35], v[38:39]
	v_add_nc_u64_e32 v[30:31], s[36:37], v[30:31]
	;; [unrolled: 1-line block ×4, first 2 shown]
	v_cmp_le_i32_e32 vcc_lo, s41, v0
	v_add_nc_u64_e32 v[36:37], s[36:37], v[36:37]
	s_or_b32 s8, vcc_lo, s8
	s_delay_alu instid0(SALU_CYCLE_1)
	s_and_not1_b32 exec_lo, exec_lo, s8
	s_cbranch_execz .LBB667_31
.LBB667_26:                             ;   Parent Loop BB667_4 Depth=1
                                        ; =>  This Inner Loop Header: Depth=2
	s_and_saveexec_b32 s9, s1
	s_cbranch_execz .LBB667_25
; %bb.27:                               ;   in Loop: Header=BB667_26 Depth=2
	v_add_nc_u64_e32 v[42:43], v[38:39], v[4:5]
	v_add_nc_u64_e32 v[40:41], v[38:39], v[10:11]
	;; [unrolled: 1-line block ×8, first 2 shown]
	s_clause 0x3
	flat_load_u16 v68, v[42:43]
	flat_load_u16 v69, v[40:41]
	;; [unrolled: 1-line block ×8, first 2 shown]
	s_wait_loadcnt_dscnt 0x606
	s_wait_xcnt 0x7
	v_dual_lshlrev_b32 v43, 16, v68 :: v_dual_lshlrev_b32 v42, 16, v69
	s_wait_loadcnt_dscnt 0x404
	s_wait_xcnt 0x6
	v_dual_lshlrev_b32 v41, 16, v70 :: v_dual_lshlrev_b32 v40, 16, v71
	s_wait_xcnt 0x0
	s_and_saveexec_b32 s44, s3
	s_cbranch_execz .LBB667_24
; %bb.28:                               ;   in Loop: Header=BB667_26 Depth=2
	flat_load_u16 v66, v[46:47] offset:128
	flat_load_u16 v67, v[44:45] offset:128
	flat_load_u16 v64, v[50:51] offset:128
	flat_load_u16 v65, v[48:49] offset:128
	s_wait_xcnt 0x0
	s_and_saveexec_b32 s45, s4
	s_cbranch_execz .LBB667_23
; %bb.29:                               ;   in Loop: Header=BB667_26 Depth=2
	flat_load_u16 v70, v[46:47] offset:256
	flat_load_u16 v71, v[44:45] offset:256
	flat_load_u16 v68, v[50:51] offset:256
	flat_load_u16 v69, v[48:49] offset:256
	;; [unrolled: 8-line block ×3, first 2 shown]
	s_wait_loadcnt_dscnt 0x202
	s_wait_xcnt 0x3
	v_dual_lshlrev_b32 v45, 16, v72 :: v_dual_lshlrev_b32 v44, 16, v73
	s_delay_alu instid0(VALU_DEP_1) | instskip(SKIP_2) | instid1(VALU_DEP_1)
	v_pk_mul_f32 v[44:45], v[42:43], v[44:45]
	s_wait_loadcnt_dscnt 0x101
	s_wait_xcnt 0x2
	v_dual_add_f32 v44, v59, v44 :: v_dual_lshlrev_b32 v47, 16, v74
	s_wait_loadcnt_dscnt 0x0
	s_wait_xcnt 0x1
	s_delay_alu instid0(VALU_DEP_1) | instskip(NEXT) | instid1(VALU_DEP_1)
	v_dual_lshlrev_b32 v46, 16, v75 :: v_dual_add_f32 v48, v44, v45
	v_pk_mul_f32 v[44:45], v[40:41], v[46:47]
	s_delay_alu instid0(VALU_DEP_1) | instskip(NEXT) | instid1(VALU_DEP_1)
	v_add_f32_e32 v44, v48, v44
	v_add_f32_e32 v59, v44, v45
	s_branch .LBB667_22
.LBB667_31:                             ;   in Loop: Header=BB667_4 Depth=1
	s_or_b32 exec_lo, exec_lo, s8
.LBB667_32:                             ;   in Loop: Header=BB667_4 Depth=1
	s_delay_alu instid0(SALU_CYCLE_1) | instskip(NEXT) | instid1(SALU_CYCLE_1)
	s_or_b32 exec_lo, exec_lo, s7
	s_and_not1_b32 vcc_lo, exec_lo, s24
	s_cbranch_vccnz .LBB667_50
; %bb.33:                               ;   in Loop: Header=BB667_4 Depth=1
	v_dual_mov_b32 v30, 0 :: v_dual_bitop2_b32 v34, 1, v0 bitop3:0x54
	v_cmp_gt_i32_e32 vcc_lo, s25, v0
	s_delay_alu instid0(VALU_DEP_2)
	v_dual_mov_b32 v31, v30 :: v_dual_mov_b32 v32, v30
	v_mov_b32_e32 v33, v30
	s_and_saveexec_b32 s8, vcc_lo
	s_cbranch_execz .LBB667_41
; %bb.34:                               ;   in Loop: Header=BB667_4 Depth=1
	v_mul_u64_e32 v[30:31], s[28:29], v[0:1]
	v_mov_b32_e32 v33, 0
	s_mov_b32 s9, exec_lo
	s_delay_alu instid0(VALU_DEP_2)
	v_lshl_add_u64 v[30:31], v[30:31], 1, v[28:29]
	flat_load_u16 v36, v[30:31]
	s_wait_xcnt 0x0
	v_dual_mov_b32 v31, 0 :: v_dual_mov_b32 v30, 0
	v_cmpx_gt_i32_e64 s25, v34
	s_cbranch_execz .LBB667_40
; %bb.35:                               ;   in Loop: Header=BB667_4 Depth=1
	v_dual_mov_b32 v35, v1 :: v_dual_bitop2_b32 v32, 2, v0 bitop3:0x54
	s_mov_b32 s44, exec_lo
	s_delay_alu instid0(VALU_DEP_1) | instskip(NEXT) | instid1(VALU_DEP_1)
	v_mul_u64_e32 v[30:31], s[28:29], v[34:35]
	v_lshl_add_u64 v[30:31], v[30:31], 1, v[28:29]
	flat_load_u16 v35, v[30:31]
	s_wait_xcnt 0x0
	v_dual_mov_b32 v31, 0 :: v_dual_mov_b32 v30, 0
	v_cmpx_gt_i32_e64 s25, v32
	s_cbranch_execz .LBB667_39
; %bb.36:                               ;   in Loop: Header=BB667_4 Depth=1
	v_mov_b32_e32 v33, v1
	s_mov_b32 s45, exec_lo
	s_delay_alu instid0(VALU_DEP_1) | instskip(NEXT) | instid1(VALU_DEP_1)
	v_mul_u64_e32 v[30:31], s[28:29], v[32:33]
	v_lshl_add_u64 v[30:31], v[30:31], 1, v[28:29]
	flat_load_u16 v32, v[30:31]
	s_wait_xcnt 0x0
	v_dual_mov_b32 v31, 0 :: v_dual_bitop2_b32 v30, 3, v0 bitop3:0x54
	s_delay_alu instid0(VALU_DEP_1)
	v_cmpx_gt_i32_e64 s25, v30
	s_cbranch_execz .LBB667_38
; %bb.37:                               ;   in Loop: Header=BB667_4 Depth=1
	v_mov_b32_e32 v31, v1
	s_delay_alu instid0(VALU_DEP_1) | instskip(NEXT) | instid1(VALU_DEP_1)
	v_mul_u64_e32 v[30:31], s[28:29], v[30:31]
	v_lshl_add_u64 v[28:29], v[30:31], 1, v[28:29]
	flat_load_u16 v28, v[28:29]
	s_wait_loadcnt_dscnt 0x0
	v_lshlrev_b32_e32 v31, 16, v28
.LBB667_38:                             ;   in Loop: Header=BB667_4 Depth=1
	s_wait_xcnt 0x0
	s_or_b32 exec_lo, exec_lo, s45
	s_wait_loadcnt_dscnt 0x0
	v_lshlrev_b32_e32 v30, 16, v32
.LBB667_39:                             ;   in Loop: Header=BB667_4 Depth=1
	s_or_b32 exec_lo, exec_lo, s44
	s_wait_loadcnt_dscnt 0x0
	v_lshlrev_b32_e32 v33, 16, v35
.LBB667_40:                             ;   in Loop: Header=BB667_4 Depth=1
	s_or_b32 exec_lo, exec_lo, s9
	s_wait_loadcnt_dscnt 0x0
	v_lshlrev_b32_e32 v32, 16, v36
.LBB667_41:                             ;   in Loop: Header=BB667_4 Depth=1
	s_or_b32 exec_lo, exec_lo, s8
	s_and_saveexec_b32 s44, s1
	s_cbranch_execz .LBB667_49
; %bb.42:                               ;   in Loop: Header=BB667_4 Depth=1
	v_dual_mov_b32 v35, v1 :: v_dual_bitop2_b32 v28, 2, v0 bitop3:0x54
	v_mov_b32_e32 v29, v1
	v_mul_u64_e32 v[36:37], s[30:31], v[0:1]
	v_or_b32_e32 v0, 3, v0
	s_delay_alu instid0(VALU_DEP_4)
	v_mul_u64_e32 v[38:39], s[30:31], v[34:35]
	v_cmp_gt_i32_e64 s7, s25, v34
	v_mul_u64_e32 v[40:41], s[30:31], v[28:29]
	v_cmp_gt_i32_e64 s8, s25, v28
	;; [unrolled: 2-line block ×3, first 2 shown]
	v_dual_cndmask_b32 v29, 0, v37 :: v_dual_cndmask_b32 v28, 0, v36
	v_dual_cndmask_b32 v35, 0, v39, s7 :: v_dual_cndmask_b32 v34, 0, v38, s7
	v_dual_cndmask_b32 v39, 0, v41, s8 :: v_dual_cndmask_b32 v38, 0, v40, s8
	s_delay_alu instid0(VALU_DEP_4) | instskip(NEXT) | instid1(VALU_DEP_3)
	v_dual_cndmask_b32 v41, 0, v43, s9 :: v_dual_cndmask_b32 v40, 0, v42, s9
	v_lshl_add_u64 v[34:35], v[34:35], 1, v[26:27]
	s_delay_alu instid0(VALU_DEP_3) | instskip(NEXT) | instid1(VALU_DEP_3)
	v_lshl_add_u64 v[36:37], v[38:39], 1, v[26:27]
	v_lshl_add_u64 v[38:39], v[40:41], 1, v[26:27]
	;; [unrolled: 1-line block ×3, first 2 shown]
	s_delay_alu instid0(VALU_DEP_4) | instskip(NEXT) | instid1(VALU_DEP_4)
	v_add_nc_u64_e32 v[26:27], v[34:35], v[14:15]
	v_add_nc_u64_e32 v[34:35], v[36:37], v[14:15]
	s_delay_alu instid0(VALU_DEP_4) | instskip(NEXT) | instid1(VALU_DEP_4)
	v_add_nc_u64_e32 v[28:29], v[38:39], v[14:15]
	v_add_nc_u64_e32 v[36:37], v[40:41], v[14:15]
	s_clause 0x3
	flat_load_u16 v39, v[26:27]
	flat_load_u16 v0, v[34:35]
	;; [unrolled: 1-line block ×4, first 2 shown]
	s_wait_xcnt 0x0
	s_and_saveexec_b32 s7, s3
	s_cbranch_execz .LBB667_48
; %bb.43:                               ;   in Loop: Header=BB667_4 Depth=1
	s_clause 0x3
	flat_load_u16 v43, v[36:37] offset:128
	flat_load_u16 v44, v[26:27] offset:128
	flat_load_u16 v41, v[34:35] offset:128
	flat_load_u16 v42, v[28:29] offset:128
	s_wait_xcnt 0x0
	s_and_saveexec_b32 s8, s4
	s_cbranch_execz .LBB667_47
; %bb.44:                               ;   in Loop: Header=BB667_4 Depth=1
	s_clause 0x3
	flat_load_u16 v47, v[36:37] offset:256
	flat_load_u16 v48, v[26:27] offset:256
	flat_load_u16 v45, v[34:35] offset:256
	flat_load_u16 v46, v[28:29] offset:256
	;; [unrolled: 9-line block ×3, first 2 shown]
	s_wait_loadcnt_dscnt 0x202
	s_wait_xcnt 0x3
	v_dual_lshlrev_b32 v27, 16, v49 :: v_dual_lshlrev_b32 v26, 16, v50
	s_delay_alu instid0(VALU_DEP_1) | instskip(SKIP_2) | instid1(VALU_DEP_1)
	v_pk_mul_f32 v[26:27], v[32:33], v[26:27]
	s_wait_loadcnt_dscnt 0x101
	s_wait_xcnt 0x1
	v_dual_add_f32 v26, v59, v26 :: v_dual_lshlrev_b32 v29, 16, v51
	s_wait_loadcnt_dscnt 0x0
	s_wait_xcnt 0x0
	s_delay_alu instid0(VALU_DEP_1) | instskip(NEXT) | instid1(VALU_DEP_1)
	v_dual_lshlrev_b32 v28, 16, v60 :: v_dual_add_f32 v34, v26, v27
	v_pk_mul_f32 v[26:27], v[30:31], v[28:29]
	s_delay_alu instid0(VALU_DEP_1) | instskip(NEXT) | instid1(VALU_DEP_1)
	v_add_f32_e32 v26, v34, v26
	v_add_f32_e32 v59, v26, v27
.LBB667_46:                             ;   in Loop: Header=BB667_4 Depth=1
	s_or_b32 exec_lo, exec_lo, s9
	s_wait_loadcnt_dscnt 0x202
	v_dual_lshlrev_b32 v27, 16, v48 :: v_dual_lshlrev_b32 v26, 16, v47
	s_wait_loadcnt_dscnt 0x0
	v_dual_lshlrev_b32 v29, 16, v46 :: v_dual_lshlrev_b32 v28, 16, v45
	s_delay_alu instid0(VALU_DEP_2) | instskip(NEXT) | instid1(VALU_DEP_1)
	v_pk_mul_f32 v[26:27], v[32:33], v[26:27]
	v_add_f32_e32 v26, v58, v26
	s_delay_alu instid0(VALU_DEP_1) | instskip(NEXT) | instid1(VALU_DEP_4)
	v_add_f32_e32 v34, v26, v27
	v_pk_mul_f32 v[26:27], v[30:31], v[28:29]
	s_delay_alu instid0(VALU_DEP_1) | instskip(NEXT) | instid1(VALU_DEP_1)
	v_add_f32_e32 v26, v34, v26
	v_add_f32_e32 v58, v26, v27
.LBB667_47:                             ;   in Loop: Header=BB667_4 Depth=1
	s_or_b32 exec_lo, exec_lo, s8
	s_wait_loadcnt_dscnt 0x202
	v_dual_lshlrev_b32 v27, 16, v44 :: v_dual_lshlrev_b32 v26, 16, v43
	s_wait_loadcnt_dscnt 0x0
	v_dual_lshlrev_b32 v29, 16, v42 :: v_dual_lshlrev_b32 v28, 16, v41
	s_delay_alu instid0(VALU_DEP_2) | instskip(NEXT) | instid1(VALU_DEP_1)
	v_pk_mul_f32 v[26:27], v[32:33], v[26:27]
	v_add_f32_e32 v26, v57, v26
	s_delay_alu instid0(VALU_DEP_1) | instskip(NEXT) | instid1(VALU_DEP_4)
	v_add_f32_e32 v34, v26, v27
	v_pk_mul_f32 v[26:27], v[30:31], v[28:29]
	s_delay_alu instid0(VALU_DEP_1) | instskip(NEXT) | instid1(VALU_DEP_1)
	v_add_f32_e32 v26, v34, v26
	v_add_f32_e32 v57, v26, v27
.LBB667_48:                             ;   in Loop: Header=BB667_4 Depth=1
	s_or_b32 exec_lo, exec_lo, s7
	s_wait_loadcnt_dscnt 0x0
	v_dual_lshlrev_b32 v27, 16, v39 :: v_dual_lshlrev_b32 v26, 16, v40
	v_dual_lshlrev_b32 v29, 16, v38 :: v_dual_lshlrev_b32 v28, 16, v0
	s_delay_alu instid0(VALU_DEP_2) | instskip(NEXT) | instid1(VALU_DEP_1)
	v_pk_mul_f32 v[26:27], v[32:33], v[26:27]
	v_add_f32_e32 v26, v56, v26
	s_delay_alu instid0(VALU_DEP_1) | instskip(NEXT) | instid1(VALU_DEP_4)
	v_add_f32_e32 v0, v26, v27
	v_pk_mul_f32 v[26:27], v[30:31], v[28:29]
	s_delay_alu instid0(VALU_DEP_1) | instskip(NEXT) | instid1(VALU_DEP_1)
	v_add_f32_e32 v0, v0, v26
	v_add_f32_e32 v56, v0, v27
.LBB667_49:                             ;   in Loop: Header=BB667_4 Depth=1
	s_or_b32 exec_lo, exec_lo, s44
.LBB667_50:                             ;   in Loop: Header=BB667_4 Depth=1
	ds_store_2addr_stride64_b32 v54, v56, v57 offset1:1
	ds_store_2addr_stride64_b32 v54, v58, v59 offset0:2 offset1:3
	s_wait_dscnt 0x0
	s_barrier_signal -1
	s_barrier_wait -1
                                        ; implicit-def: $vgpr0
	s_and_saveexec_b32 s7, s0
	s_cbranch_execz .LBB667_56
; %bb.51:                               ;   in Loop: Header=BB667_4 Depth=1
	ds_load_2addr_stride64_b32 v[26:27], v55 offset1:4
	ds_load_2addr_stride64_b32 v[28:29], v55 offset0:8 offset1:12
	s_mov_b32 s9, s43
	s_wait_dscnt 0x1
	v_add_f32_e32 v0, v26, v27
	s_wait_dscnt 0x0
	s_delay_alu instid0(VALU_DEP_1) | instskip(NEXT) | instid1(VALU_DEP_1)
	v_add_f32_e32 v0, v28, v0
	v_add_f32_e32 v26, v29, v0
                                        ; implicit-def: $vgpr0
	ds_store_b32 v55, v26
	s_and_saveexec_b32 s8, s2
	s_cbranch_execz .LBB667_55
; %bb.52:                               ;   in Loop: Header=BB667_4 Depth=1
	v_mul_f32_e32 v0, s26, v26
	s_and_not1_b32 vcc_lo, exec_lo, s40
	s_cbranch_vccnz .LBB667_54
; %bb.53:                               ;   in Loop: Header=BB667_4 Depth=1
	v_lshl_add_u64 v[26:27], v[8:9], 2, v[24:25]
	flat_load_b32 v26, v[26:27]
	s_wait_loadcnt_dscnt 0x0
	v_fmac_f32_e32 v0, s33, v26
.LBB667_54:                             ;   in Loop: Header=BB667_4 Depth=1
	s_or_b32 s9, s43, exec_lo
.LBB667_55:                             ;   in Loop: Header=BB667_4 Depth=1
	s_wait_xcnt 0x0
	s_or_b32 exec_lo, exec_lo, s8
	s_delay_alu instid0(SALU_CYCLE_1) | instskip(SKIP_1) | instid1(SALU_CYCLE_1)
	s_and_not1_b32 s8, s43, exec_lo
	s_and_b32 s9, s9, exec_lo
	s_or_b32 s43, s8, s9
.LBB667_56:                             ;   in Loop: Header=BB667_4 Depth=1
	s_or_b32 exec_lo, exec_lo, s7
	v_mov_b64_e32 v[26:27], v[8:9]
	s_and_saveexec_b32 s7, s43
	s_cbranch_execz .LBB667_2
.LBB667_57:                             ;   in Loop: Header=BB667_4 Depth=1
	s_delay_alu instid0(VALU_DEP_1)
	v_lshl_add_u64 v[24:25], v[26:27], 2, v[24:25]
	flat_store_b32 v[24:25], v0
	s_branch .LBB667_2
.LBB667_58:
	s_sendmsg sendmsg(MSG_DEALLOC_VGPRS)
	s_endpgm
	.section	.rodata,"a",@progbits
	.p2align	6, 0x0
	.amdhsa_kernel _ZL20rocblas_gemvn_kernelILi64ELi4ElPK16rocblas_bfloat16fKPfEviiT3_lPKT2_lT1_lS8_lS9_lS5_lPT4_lS9_li
		.amdhsa_group_segment_fixed_size 4096
		.amdhsa_private_segment_fixed_size 0
		.amdhsa_kernarg_size 400
		.amdhsa_user_sgpr_count 2
		.amdhsa_user_sgpr_dispatch_ptr 0
		.amdhsa_user_sgpr_queue_ptr 0
		.amdhsa_user_sgpr_kernarg_segment_ptr 1
		.amdhsa_user_sgpr_dispatch_id 0
		.amdhsa_user_sgpr_kernarg_preload_length 0
		.amdhsa_user_sgpr_kernarg_preload_offset 0
		.amdhsa_user_sgpr_private_segment_size 0
		.amdhsa_wavefront_size32 1
		.amdhsa_uses_dynamic_stack 0
		.amdhsa_enable_private_segment 0
		.amdhsa_system_sgpr_workgroup_id_x 1
		.amdhsa_system_sgpr_workgroup_id_y 0
		.amdhsa_system_sgpr_workgroup_id_z 1
		.amdhsa_system_sgpr_workgroup_info 0
		.amdhsa_system_vgpr_workitem_id 1
		.amdhsa_next_free_vgpr 76
		.amdhsa_next_free_sgpr 47
		.amdhsa_named_barrier_count 0
		.amdhsa_reserve_vcc 1
		.amdhsa_float_round_mode_32 0
		.amdhsa_float_round_mode_16_64 0
		.amdhsa_float_denorm_mode_32 3
		.amdhsa_float_denorm_mode_16_64 3
		.amdhsa_fp16_overflow 0
		.amdhsa_memory_ordered 1
		.amdhsa_forward_progress 1
		.amdhsa_inst_pref_size 25
		.amdhsa_round_robin_scheduling 0
		.amdhsa_exception_fp_ieee_invalid_op 0
		.amdhsa_exception_fp_denorm_src 0
		.amdhsa_exception_fp_ieee_div_zero 0
		.amdhsa_exception_fp_ieee_overflow 0
		.amdhsa_exception_fp_ieee_underflow 0
		.amdhsa_exception_fp_ieee_inexact 0
		.amdhsa_exception_int_div_zero 0
	.end_amdhsa_kernel
	.section	.text._ZL20rocblas_gemvn_kernelILi64ELi4ElPK16rocblas_bfloat16fKPfEviiT3_lPKT2_lT1_lS8_lS9_lS5_lPT4_lS9_li,"axG",@progbits,_ZL20rocblas_gemvn_kernelILi64ELi4ElPK16rocblas_bfloat16fKPfEviiT3_lPKT2_lT1_lS8_lS9_lS5_lPT4_lS9_li,comdat
.Lfunc_end667:
	.size	_ZL20rocblas_gemvn_kernelILi64ELi4ElPK16rocblas_bfloat16fKPfEviiT3_lPKT2_lT1_lS8_lS9_lS5_lPT4_lS9_li, .Lfunc_end667-_ZL20rocblas_gemvn_kernelILi64ELi4ElPK16rocblas_bfloat16fKPfEviiT3_lPKT2_lT1_lS8_lS9_lS5_lPT4_lS9_li
                                        ; -- End function
	.set _ZL20rocblas_gemvn_kernelILi64ELi4ElPK16rocblas_bfloat16fKPfEviiT3_lPKT2_lT1_lS8_lS9_lS5_lPT4_lS9_li.num_vgpr, 76
	.set _ZL20rocblas_gemvn_kernelILi64ELi4ElPK16rocblas_bfloat16fKPfEviiT3_lPKT2_lT1_lS8_lS9_lS5_lPT4_lS9_li.num_agpr, 0
	.set _ZL20rocblas_gemvn_kernelILi64ELi4ElPK16rocblas_bfloat16fKPfEviiT3_lPKT2_lT1_lS8_lS9_lS5_lPT4_lS9_li.numbered_sgpr, 47
	.set _ZL20rocblas_gemvn_kernelILi64ELi4ElPK16rocblas_bfloat16fKPfEviiT3_lPKT2_lT1_lS8_lS9_lS5_lPT4_lS9_li.num_named_barrier, 0
	.set _ZL20rocblas_gemvn_kernelILi64ELi4ElPK16rocblas_bfloat16fKPfEviiT3_lPKT2_lT1_lS8_lS9_lS5_lPT4_lS9_li.private_seg_size, 0
	.set _ZL20rocblas_gemvn_kernelILi64ELi4ElPK16rocblas_bfloat16fKPfEviiT3_lPKT2_lT1_lS8_lS9_lS5_lPT4_lS9_li.uses_vcc, 1
	.set _ZL20rocblas_gemvn_kernelILi64ELi4ElPK16rocblas_bfloat16fKPfEviiT3_lPKT2_lT1_lS8_lS9_lS5_lPT4_lS9_li.uses_flat_scratch, 1
	.set _ZL20rocblas_gemvn_kernelILi64ELi4ElPK16rocblas_bfloat16fKPfEviiT3_lPKT2_lT1_lS8_lS9_lS5_lPT4_lS9_li.has_dyn_sized_stack, 0
	.set _ZL20rocblas_gemvn_kernelILi64ELi4ElPK16rocblas_bfloat16fKPfEviiT3_lPKT2_lT1_lS8_lS9_lS5_lPT4_lS9_li.has_recursion, 0
	.set _ZL20rocblas_gemvn_kernelILi64ELi4ElPK16rocblas_bfloat16fKPfEviiT3_lPKT2_lT1_lS8_lS9_lS5_lPT4_lS9_li.has_indirect_call, 0
	.section	.AMDGPU.csdata,"",@progbits
; Kernel info:
; codeLenInByte = 3108
; TotalNumSgprs: 49
; NumVgprs: 76
; ScratchSize: 0
; MemoryBound: 0
; FloatMode: 240
; IeeeMode: 1
; LDSByteSize: 4096 bytes/workgroup (compile time only)
; SGPRBlocks: 0
; VGPRBlocks: 4
; NumSGPRsForWavesPerEU: 49
; NumVGPRsForWavesPerEU: 76
; NamedBarCnt: 0
; Occupancy: 12
; WaveLimiterHint : 1
; COMPUTE_PGM_RSRC2:SCRATCH_EN: 0
; COMPUTE_PGM_RSRC2:USER_SGPR: 2
; COMPUTE_PGM_RSRC2:TRAP_HANDLER: 0
; COMPUTE_PGM_RSRC2:TGID_X_EN: 1
; COMPUTE_PGM_RSRC2:TGID_Y_EN: 0
; COMPUTE_PGM_RSRC2:TGID_Z_EN: 1
; COMPUTE_PGM_RSRC2:TIDIG_COMP_CNT: 1
	.section	.text._ZL20rocblas_gemvn_kernelILi32ELi16EiPK16rocblas_bfloat16PKfKPfEviiT3_lPKT2_lT1_lSA_lSB_lS7_lPT4_lSB_li,"axG",@progbits,_ZL20rocblas_gemvn_kernelILi32ELi16EiPK16rocblas_bfloat16PKfKPfEviiT3_lPKT2_lT1_lSA_lSB_lS7_lPT4_lSB_li,comdat
	.globl	_ZL20rocblas_gemvn_kernelILi32ELi16EiPK16rocblas_bfloat16PKfKPfEviiT3_lPKT2_lT1_lSA_lSB_lS7_lPT4_lSB_li ; -- Begin function _ZL20rocblas_gemvn_kernelILi32ELi16EiPK16rocblas_bfloat16PKfKPfEviiT3_lPKT2_lT1_lSA_lSB_lS7_lPT4_lSB_li
	.p2align	8
	.type	_ZL20rocblas_gemvn_kernelILi32ELi16EiPK16rocblas_bfloat16PKfKPfEviiT3_lPKT2_lT1_lSA_lSB_lS7_lPT4_lSB_li,@function
_ZL20rocblas_gemvn_kernelILi32ELi16EiPK16rocblas_bfloat16PKfKPfEviiT3_lPKT2_lT1_lSA_lSB_lS7_lPT4_lSB_li: ; @_ZL20rocblas_gemvn_kernelILi32ELi16EiPK16rocblas_bfloat16PKfKPfEviiT3_lPKT2_lT1_lSA_lSB_lS7_lPT4_lSB_li
; %bb.0:
	s_clause 0x1
	s_load_b64 s[4:5], s[0:1], 0x9c
	s_load_b32 s33, s[0:1], 0x88
	s_bfe_u32 s2, ttmp6, 0x40014
	s_lshr_b32 s3, ttmp7, 16
	s_add_co_i32 s2, s2, 1
	s_bfe_u32 s6, ttmp6, 0x40008
	s_mul_i32 s7, s3, s2
	s_getreg_b32 s2, hwreg(HW_REG_IB_STS2, 6, 4)
	s_add_co_i32 s6, s6, s7
	s_mov_b32 s11, 0
	s_wait_kmcnt 0x0
	s_lshr_b32 s7, s4, 16
	s_and_b32 s4, s4, 0xffff
	s_and_b32 s5, s5, 0xffff
	s_mul_i32 s4, s7, s4
	s_cmp_eq_u32 s2, 0
	s_mul_i32 s4, s4, s5
	s_cselect_b32 s10, s3, s6
	s_cmp_lg_u32 s4, 0x200
	s_cselect_b32 s3, -1, 0
	s_cmp_ge_u32 s10, s33
	s_cselect_b32 s4, -1, 0
	s_delay_alu instid0(SALU_CYCLE_1) | instskip(NEXT) | instid1(SALU_CYCLE_1)
	s_or_b32 s3, s3, s4
	s_and_b32 vcc_lo, exec_lo, s3
	s_cbranch_vccnz .LBB668_56
; %bb.1:
	s_clause 0x6
	s_load_b32 s4, s[0:1], 0x78
	s_load_b64 s[8:9], s[0:1], 0x0
	s_load_b256 s[12:19], s[0:1], 0x8
	s_load_b32 s34, s[0:1], 0x28
	s_load_b128 s[28:31], s[0:1], 0x38
	s_load_b32 s35, s[0:1], 0x48
	s_load_b256 s[20:27], s[0:1], 0x58
	s_wait_xcnt 0x0
	s_bfe_u32 s0, ttmp6, 0x4000c
	v_and_b32_e32 v6, 0x3ff, v0
	s_add_co_i32 s0, s0, 1
	v_bfe_u32 v7, v0, 10, 10
	s_and_b32 s1, ttmp6, 15
	s_mul_i32 s0, ttmp9, s0
	v_mov_b32_e32 v1, 0
	s_add_co_i32 s1, s1, s0
	v_lshl_add_u32 v5, v7, 5, v6
	v_lshlrev_b32_e32 v26, 2, v7
	s_wait_kmcnt 0x0
	s_ashr_i32 s5, s4, 31
	s_cmp_eq_u32 s2, 0
	s_mov_b32 s2, s8
	s_cselect_b32 s0, ttmp9, s1
	s_ashr_i32 s3, s8, 31
	s_lshl_b32 s36, s0, 7
	s_ashr_i32 s1, s9, 31
	v_dual_add_nc_u32 v0, s36, v5 :: v_dual_add_nc_u32 v27, s36, v6
	v_or_b32_e32 v8, s36, v5
	s_lshr_b32 s0, s1, 26
	v_mul_lo_u32 v11, v7, s34
	s_delay_alu instid0(VALU_DEP_3) | instskip(SKIP_4) | instid1(VALU_DEP_4)
	v_cmp_gt_i64_e32 vcc_lo, s[2:3], v[0:1]
	v_dual_add_nc_u32 v4, 32, v27 :: v_dual_add_nc_u32 v9, 64, v27
	v_or_b32_e32 v10, 3, v26
	v_mul_u64_e32 v[2:3], s[4:5], v[0:1]
	v_add_nc_u32_e32 v0, 0x60, v27
	v_cmp_gt_i32_e64 s2, s8, v4
	v_mul_lo_u32 v4, s4, v8
	v_cmp_gt_i32_e64 s3, s8, v9
	v_lshlrev_b32_e32 v9, 2, v6
	s_add_co_i32 s37, s9, s0
	v_cmp_gt_i32_e64 s4, s8, v0
	v_cmp_gt_u32_e64 s5, 0x80, v5
	s_and_not1_b32 s37, s37, 63
	v_mad_u32 v30, s34, v10, v6
	s_sub_co_i32 s6, s9, s37
	v_mad_u32 v31, s35, v26, s35
	s_cmp_gt_i32 s6, 0
	v_ashrrev_i32_e32 v5, 31, v4
	v_lshl_add_u32 v0, v7, 9, v9
	v_lshl_add_u32 v28, v7, 7, v9
	v_mul_lo_u32 v7, v7, s35
	v_cmp_gt_i32_e64 s6, s8, v8
	v_mul_lo_u32 v8, s34, v26
	v_or_b32_e32 v9, 2, v26
	v_mul_lo_u32 v33, s35, v10
	v_cmp_gt_i32_e64 s0, s37, v26
	v_cmp_gt_i32_e64 s1, s8, v27
	v_lshl_add_u32 v35, v11, 2, v6
	s_cselect_b32 s38, -1, 0
	s_and_b32 s39, s5, vcc_lo
	s_lshl_b32 s40, s34, 6
	v_lshlrev_b32_e32 v36, 2, v7
	v_mad_u32 v29, s34, v9, v6
	v_mul_lo_u32 v32, s35, v9
	v_add3_u32 v34, v8, s34, v6
	s_lshl_b32 s41, s35, 6
	s_lshl_b64 s[18:19], s[18:19], 1
	s_lshl_b64 s[30:31], s[30:31], 1
	;; [unrolled: 1-line block ×3, first 2 shown]
	s_branch .LBB668_4
.LBB668_2:                              ;   in Loop: Header=BB668_4 Depth=1
	s_wait_xcnt 0x0
	s_or_b32 exec_lo, exec_lo, s7
.LBB668_3:                              ;   in Loop: Header=BB668_4 Depth=1
	s_add_co_i32 s10, s10, 0x10000
	s_delay_alu instid0(SALU_CYCLE_1)
	s_cmp_lt_u32 s10, s33
	s_cbranch_scc0 .LBB668_56
.LBB668_4:                              ; =>This Loop Header: Depth=1
                                        ;     Child Loop BB668_24 Depth 2
	s_mul_u64 s[42:43], s[14:15], s[10:11]
	s_wait_xcnt 0x0
	s_mul_u64 s[44:45], s[22:23], s[10:11]
	s_lshl_b64 s[42:43], s[42:43], 2
	s_lshl_b64 s[44:45], s[44:45], 2
	s_add_nc_u64 s[42:43], s[12:13], s[42:43]
	s_add_nc_u64 s[44:45], s[20:21], s[44:45]
	s_clause 0x1
	global_load_b32 v37, v1, s[42:43]
	global_load_b32 v6, v1, s[44:45]
	s_wait_loadcnt 0x1
	v_cmp_eq_f32_e64 s7, 0, v37
	s_wait_loadcnt 0x0
	v_cmp_eq_f32_e32 vcc_lo, 1.0, v6
	s_wait_xcnt 0x1
	v_readfirstlane_b32 s42, v6
	s_and_b32 s8, s7, vcc_lo
	s_delay_alu instid0(SALU_CYCLE_1)
	s_and_b32 vcc_lo, exec_lo, s8
	s_cbranch_vccnz .LBB668_3
; %bb.5:                                ;   in Loop: Header=BB668_4 Depth=1
	v_mov_b64_e32 v[10:11], 0
	v_mov_b64_e32 v[8:9], 0
	v_cmp_neq_f32_e64 s8, 0, v37
	s_and_b32 vcc_lo, exec_lo, s7
	s_cbranch_vccnz .LBB668_7
; %bb.6:                                ;   in Loop: Header=BB668_4 Depth=1
	s_wait_xcnt 0x0
	s_lshl_b64 s[44:45], s[10:11], 3
	s_delay_alu instid0(SALU_CYCLE_1)
	s_add_nc_u64 s[44:45], s[16:17], s[44:45]
	global_load_b64 v[6:7], v1, s[44:45]
	s_wait_loadcnt 0x0
	v_add_nc_u64_e32 v[8:9], s[18:19], v[6:7]
.LBB668_7:                              ;   in Loop: Header=BB668_4 Depth=1
	s_and_not1_b32 vcc_lo, exec_lo, s8
	s_cbranch_vccnz .LBB668_9
; %bb.8:                                ;   in Loop: Header=BB668_4 Depth=1
	s_wait_xcnt 0x0
	s_lshl_b64 s[44:45], s[10:11], 3
	s_delay_alu instid0(SALU_CYCLE_1)
	s_add_nc_u64 s[44:45], s[28:29], s[44:45]
	global_load_b64 v[6:7], v1, s[44:45]
	s_wait_loadcnt 0x0
	v_add_nc_u64_e32 v[10:11], s[30:31], v[6:7]
.LBB668_9:                              ;   in Loop: Header=BB668_4 Depth=1
	s_wait_xcnt 0x0
	s_lshl_b64 s[44:45], s[10:11], 3
	s_and_not1_b32 vcc_lo, exec_lo, s7
	s_add_nc_u64 s[44:45], s[24:25], s[44:45]
	global_load_b64 v[6:7], v1, s[44:45]
	s_wait_loadcnt 0x0
	v_add_nc_u64_e32 v[6:7], s[26:27], v[6:7]
	s_cbranch_vccnz .LBB668_13
; %bb.10:                               ;   in Loop: Header=BB668_4 Depth=1
	s_mov_b32 s7, 0
	s_mov_b32 s8, 0
                                        ; implicit-def: $vgpr12
	s_wait_xcnt 0x0
	s_and_saveexec_b32 s43, s39
	s_cbranch_execz .LBB668_14
; %bb.11:                               ;   in Loop: Header=BB668_4 Depth=1
	s_cmp_eq_f32 s42, 0
	s_cbranch_scc1 .LBB668_16
; %bb.12:                               ;   in Loop: Header=BB668_4 Depth=1
	v_lshl_add_u64 v[12:13], v[2:3], 2, v[6:7]
	flat_load_b32 v12, v[12:13]
	s_wait_loadcnt_dscnt 0x0
	s_wait_xcnt 0x0
	v_mul_f32_e32 v12, s42, v12
	s_branch .LBB668_17
.LBB668_13:                             ;   in Loop: Header=BB668_4 Depth=1
	s_mov_b32 s8, 0
                                        ; implicit-def: $vgpr12
	s_cbranch_execz .LBB668_15
	s_branch .LBB668_18
.LBB668_14:                             ;   in Loop: Header=BB668_4 Depth=1
	s_or_b32 exec_lo, exec_lo, s43
	s_delay_alu instid0(SALU_CYCLE_1)
	s_and_b32 vcc_lo, exec_lo, s7
	s_cbranch_vccnz .LBB668_18
.LBB668_15:                             ;   in Loop: Header=BB668_4 Depth=1
	v_mov_b64_e32 v[8:9], v[2:3]
	s_wait_xcnt 0x0
	s_and_saveexec_b32 s7, s8
	s_cbranch_execz .LBB668_2
	s_branch .LBB668_55
.LBB668_16:                             ;   in Loop: Header=BB668_4 Depth=1
	v_mov_b32_e32 v12, 0
.LBB668_17:                             ;   in Loop: Header=BB668_4 Depth=1
	s_mov_b32 s8, exec_lo
	s_or_b32 exec_lo, exec_lo, s43
	s_delay_alu instid0(SALU_CYCLE_1)
	s_and_b32 vcc_lo, exec_lo, s7
	s_cbranch_vccz .LBB668_15
.LBB668_18:                             ;   in Loop: Header=BB668_4 Depth=1
	v_dual_mov_b32 v38, 0 :: v_dual_mov_b32 v42, v26
	v_dual_mov_b32 v39, 0 :: v_dual_mov_b32 v40, 0
	v_mov_b32_e32 v41, 0
	s_wait_xcnt 0x0
	s_and_saveexec_b32 s7, s0
	s_cbranch_execz .LBB668_30
; %bb.19:                               ;   in Loop: Header=BB668_4 Depth=1
	v_dual_mov_b32 v38, 0 :: v_dual_mov_b32 v43, v35
	v_dual_mov_b32 v44, v30 :: v_dual_mov_b32 v45, v29
	;; [unrolled: 1-line block ×4, first 2 shown]
	v_mov_b32_e32 v41, 0
	s_mov_b32 s43, 0
	s_mov_b32 s44, 0
	s_branch .LBB668_24
.LBB668_20:                             ;   in Loop: Header=BB668_24 Depth=2
	s_or_b32 exec_lo, exec_lo, s48
	s_wait_loadcnt_dscnt 0x202
	v_dual_lshlrev_b32 v17, 16, v56 :: v_dual_lshlrev_b32 v16, 16, v55
	s_delay_alu instid0(VALU_DEP_1) | instskip(SKIP_1) | instid1(VALU_DEP_1)
	v_pk_mul_f32 v[16:17], v[14:15], v[16:17]
	s_wait_loadcnt_dscnt 0x0
	v_dual_add_f32 v16, v40, v16 :: v_dual_lshlrev_b32 v19, 16, v54
	s_delay_alu instid0(VALU_DEP_1) | instskip(SKIP_1) | instid1(VALU_DEP_1)
	v_add_f32_e32 v20, v16, v17
	v_lshlrev_b32_e32 v18, 16, v53
	v_pk_mul_f32 v[16:17], v[12:13], v[18:19]
	s_delay_alu instid0(VALU_DEP_1) | instskip(NEXT) | instid1(VALU_DEP_1)
	v_add_f32_e32 v16, v20, v16
	v_add_f32_e32 v40, v16, v17
.LBB668_21:                             ;   in Loop: Header=BB668_24 Depth=2
	s_or_b32 exec_lo, exec_lo, s47
	s_wait_loadcnt_dscnt 0x202
	v_dual_lshlrev_b32 v17, 16, v52 :: v_dual_lshlrev_b32 v16, 16, v51
	s_delay_alu instid0(VALU_DEP_1) | instskip(SKIP_1) | instid1(VALU_DEP_1)
	v_pk_mul_f32 v[16:17], v[14:15], v[16:17]
	s_wait_loadcnt_dscnt 0x0
	v_dual_add_f32 v16, v39, v16 :: v_dual_lshlrev_b32 v19, 16, v25
	s_delay_alu instid0(VALU_DEP_1) | instskip(NEXT) | instid1(VALU_DEP_1)
	v_dual_lshlrev_b32 v18, 16, v24 :: v_dual_add_f32 v20, v16, v17
	v_pk_mul_f32 v[16:17], v[12:13], v[18:19]
	s_delay_alu instid0(VALU_DEP_1) | instskip(NEXT) | instid1(VALU_DEP_1)
	v_add_f32_e32 v16, v20, v16
	v_add_f32_e32 v39, v16, v17
.LBB668_22:                             ;   in Loop: Header=BB668_24 Depth=2
	s_or_b32 exec_lo, exec_lo, s46
	s_wait_loadcnt_dscnt 0x202
	v_dual_lshlrev_b32 v17, 16, v50 :: v_dual_lshlrev_b32 v16, 16, v49
	s_delay_alu instid0(VALU_DEP_1) | instskip(SKIP_1) | instid1(VALU_DEP_1)
	v_pk_mul_f32 v[14:15], v[14:15], v[16:17]
	s_wait_loadcnt_dscnt 0x0
	v_dual_add_f32 v14, v38, v14 :: v_dual_lshlrev_b32 v17, 16, v48
	s_delay_alu instid0(VALU_DEP_1) | instskip(SKIP_1) | instid1(VALU_DEP_1)
	v_add_f32_e32 v14, v14, v15
	v_lshlrev_b32_e32 v16, 16, v47
	v_pk_mul_f32 v[12:13], v[12:13], v[16:17]
	s_delay_alu instid0(VALU_DEP_1) | instskip(NEXT) | instid1(VALU_DEP_1)
	v_add_f32_e32 v12, v14, v12
	v_add_f32_e32 v38, v12, v13
.LBB668_23:                             ;   in Loop: Header=BB668_24 Depth=2
	s_or_b32 exec_lo, exec_lo, s45
	v_dual_add_nc_u32 v42, 64, v42 :: v_dual_add_nc_u32 v45, s40, v45
	v_dual_add_nc_u32 v46, s40, v46 :: v_dual_add_nc_u32 v44, s40, v44
	v_add_nc_u32_e32 v43, s40, v43
	s_delay_alu instid0(VALU_DEP_3) | instskip(SKIP_2) | instid1(SALU_CYCLE_1)
	v_cmp_le_i32_e32 vcc_lo, s37, v42
	s_add_co_i32 s44, s44, s41
	s_or_b32 s43, vcc_lo, s43
	s_and_not1_b32 exec_lo, exec_lo, s43
	s_cbranch_execz .LBB668_29
.LBB668_24:                             ;   Parent Loop BB668_4 Depth=1
                                        ; =>  This Inner Loop Header: Depth=2
	s_and_saveexec_b32 s45, s1
	s_cbranch_execz .LBB668_23
; %bb.25:                               ;   in Loop: Header=BB668_24 Depth=2
	v_dual_add_nc_u32 v12, s44, v36 :: v_dual_add_nc_u32 v13, s44, v31
	v_readfirstlane_b32 s46, v10
	v_readfirstlane_b32 s47, v11
	v_dual_add_nc_u32 v14, s44, v32 :: v_dual_add_nc_u32 v15, s44, v33
	s_clause 0x3
	flat_load_u16 v17, v12, s[46:47] scale_offset
	flat_load_u16 v18, v13, s[46:47] scale_offset
	;; [unrolled: 1-line block ×4, first 2 shown]
	v_dual_add_nc_u32 v16, s36, v43 :: v_dual_add_nc_u32 v20, s36, v46
	s_wait_xcnt 0x0
	v_readfirstlane_b32 s46, v8
	v_readfirstlane_b32 s47, v9
	v_dual_add_nc_u32 v24, s36, v45 :: v_dual_add_nc_u32 v22, s36, v44
	s_clause 0x3
	flat_load_u16 v49, v16, s[46:47] scale_offset
	flat_load_u16 v50, v20, s[46:47] scale_offset
	;; [unrolled: 1-line block ×4, first 2 shown]
	s_wait_loadcnt_dscnt 0x606
	v_dual_lshlrev_b32 v14, 16, v17 :: v_dual_lshlrev_b32 v15, 16, v18
	s_wait_loadcnt_dscnt 0x404
	v_dual_lshlrev_b32 v12, 16, v19 :: v_dual_lshlrev_b32 v13, 16, v21
	s_wait_xcnt 0x0
	s_and_saveexec_b32 s46, s2
	s_cbranch_execz .LBB668_22
; %bb.26:                               ;   in Loop: Header=BB668_24 Depth=2
	v_dual_ashrrev_i32 v17, 31, v16 :: v_dual_ashrrev_i32 v23, 31, v22
	v_ashrrev_i32_e32 v21, 31, v20
	v_ashrrev_i32_e32 v25, 31, v24
	s_delay_alu instid0(VALU_DEP_3) | instskip(NEXT) | instid1(VALU_DEP_4)
	v_lshl_add_u64 v[18:19], v[16:17], 1, v[8:9]
	v_lshl_add_u64 v[22:23], v[22:23], 1, v[8:9]
	s_delay_alu instid0(VALU_DEP_4) | instskip(NEXT) | instid1(VALU_DEP_4)
	v_lshl_add_u64 v[16:17], v[20:21], 1, v[8:9]
	v_lshl_add_u64 v[20:21], v[24:25], 1, v[8:9]
	s_clause 0x3
	flat_load_u16 v51, v[18:19] offset:64
	flat_load_u16 v52, v[16:17] offset:64
	;; [unrolled: 1-line block ×4, first 2 shown]
	s_wait_xcnt 0x0
	s_and_saveexec_b32 s47, s3
	s_cbranch_execz .LBB668_21
; %bb.27:                               ;   in Loop: Header=BB668_24 Depth=2
	s_clause 0x3
	flat_load_u16 v55, v[18:19] offset:128
	flat_load_u16 v56, v[16:17] offset:128
	;; [unrolled: 1-line block ×4, first 2 shown]
	s_wait_xcnt 0x0
	s_and_saveexec_b32 s48, s4
	s_cbranch_execz .LBB668_20
; %bb.28:                               ;   in Loop: Header=BB668_24 Depth=2
	s_clause 0x3
	flat_load_u16 v57, v[16:17] offset:192
	flat_load_u16 v58, v[18:19] offset:192
	;; [unrolled: 1-line block ×4, first 2 shown]
	s_wait_loadcnt_dscnt 0x202
	s_wait_xcnt 0x3
	v_dual_lshlrev_b32 v17, 16, v57 :: v_dual_lshlrev_b32 v16, 16, v58
	s_delay_alu instid0(VALU_DEP_1) | instskip(SKIP_2) | instid1(VALU_DEP_1)
	v_pk_mul_f32 v[16:17], v[14:15], v[16:17]
	s_wait_loadcnt_dscnt 0x101
	s_wait_xcnt 0x2
	v_dual_add_f32 v16, v41, v16 :: v_dual_lshlrev_b32 v19, 16, v59
	s_wait_loadcnt_dscnt 0x0
	s_wait_xcnt 0x0
	s_delay_alu instid0(VALU_DEP_1) | instskip(NEXT) | instid1(VALU_DEP_1)
	v_dual_lshlrev_b32 v18, 16, v60 :: v_dual_add_f32 v20, v16, v17
	v_pk_mul_f32 v[16:17], v[12:13], v[18:19]
	s_delay_alu instid0(VALU_DEP_1) | instskip(NEXT) | instid1(VALU_DEP_1)
	v_add_f32_e32 v16, v20, v16
	v_add_f32_e32 v41, v16, v17
	s_branch .LBB668_20
.LBB668_29:                             ;   in Loop: Header=BB668_4 Depth=1
	s_or_b32 exec_lo, exec_lo, s43
.LBB668_30:                             ;   in Loop: Header=BB668_4 Depth=1
	s_delay_alu instid0(SALU_CYCLE_1) | instskip(NEXT) | instid1(SALU_CYCLE_1)
	s_or_b32 exec_lo, exec_lo, s7
	s_and_not1_b32 vcc_lo, exec_lo, s38
	s_cbranch_vccnz .LBB668_48
; %bb.31:                               ;   in Loop: Header=BB668_4 Depth=1
	v_dual_mov_b32 v12, 0 :: v_dual_bitop2_b32 v16, 1, v42 bitop3:0x54
	v_cmp_gt_i32_e32 vcc_lo, s9, v42
	s_delay_alu instid0(VALU_DEP_2)
	v_dual_mov_b32 v13, v12 :: v_dual_mov_b32 v14, v12
	v_mov_b32_e32 v15, v12
	s_and_saveexec_b32 s43, vcc_lo
	s_cbranch_execz .LBB668_39
; %bb.32:                               ;   in Loop: Header=BB668_4 Depth=1
	v_mul_lo_u32 v12, v42, s35
	v_readfirstlane_b32 s44, v10
	v_readfirstlane_b32 s45, v11
	v_dual_mov_b32 v15, 0 :: v_dual_mov_b32 v13, 0
	flat_load_u16 v14, v12, s[44:45] scale_offset
	s_wait_xcnt 0x0
	v_mov_b32_e32 v12, 0
	s_mov_b32 s44, exec_lo
	v_cmpx_gt_i32_e64 s9, v16
	s_cbranch_execz .LBB668_38
; %bb.33:                               ;   in Loop: Header=BB668_4 Depth=1
	v_mul_lo_u32 v12, v16, s35
	v_readfirstlane_b32 s46, v10
	v_readfirstlane_b32 s47, v11
	v_dual_mov_b32 v13, 0 :: v_dual_bitop2_b32 v17, 2, v42 bitop3:0x54
	s_mov_b32 s45, exec_lo
	flat_load_u16 v15, v12, s[46:47] scale_offset
	s_wait_xcnt 0x0
	v_mov_b32_e32 v12, 0
	v_cmpx_gt_i32_e64 s9, v17
	s_cbranch_execz .LBB668_37
; %bb.34:                               ;   in Loop: Header=BB668_4 Depth=1
	v_mul_lo_u32 v12, v17, s35
	v_readfirstlane_b32 s46, v10
	v_readfirstlane_b32 s47, v11
	v_dual_mov_b32 v13, 0 :: v_dual_bitop2_b32 v17, 3, v42 bitop3:0x54
	flat_load_u16 v12, v12, s[46:47] scale_offset
	s_wait_xcnt 0x0
	s_mov_b32 s46, exec_lo
	v_cmpx_gt_i32_e64 s9, v17
	s_cbranch_execz .LBB668_36
; %bb.35:                               ;   in Loop: Header=BB668_4 Depth=1
	v_mul_lo_u32 v13, v17, s35
	v_readfirstlane_b32 s48, v10
	v_readfirstlane_b32 s49, v11
	flat_load_u16 v10, v13, s[48:49] scale_offset
	s_wait_loadcnt_dscnt 0x0
	s_wait_xcnt 0x0
	v_lshlrev_b32_e32 v13, 16, v10
.LBB668_36:                             ;   in Loop: Header=BB668_4 Depth=1
	s_or_b32 exec_lo, exec_lo, s46
	s_wait_loadcnt_dscnt 0x0
	v_lshlrev_b32_e32 v12, 16, v12
.LBB668_37:                             ;   in Loop: Header=BB668_4 Depth=1
	s_or_b32 exec_lo, exec_lo, s45
	s_wait_loadcnt_dscnt 0x0
	v_lshlrev_b32_e32 v15, 16, v15
.LBB668_38:                             ;   in Loop: Header=BB668_4 Depth=1
	s_or_b32 exec_lo, exec_lo, s44
	s_wait_loadcnt_dscnt 0x0
	v_lshlrev_b32_e32 v14, 16, v14
.LBB668_39:                             ;   in Loop: Header=BB668_4 Depth=1
	s_or_b32 exec_lo, exec_lo, s43
	s_and_saveexec_b32 s43, s1
	s_cbranch_execz .LBB668_47
; %bb.40:                               ;   in Loop: Header=BB668_4 Depth=1
	v_mul_lo_u32 v17, v16, s34
	v_cmp_gt_i32_e64 s7, s9, v16
	v_or_b32_e32 v10, 2, v42
	v_mul_lo_u32 v20, v42, s34
	v_or_b32_e32 v11, 3, v42
	v_readfirstlane_b32 s44, v8
	v_readfirstlane_b32 s45, v9
	s_delay_alu instid0(VALU_DEP_3) | instskip(SKIP_3) | instid1(VALU_DEP_1)
	v_mul_lo_u32 v19, v11, s34
	v_cndmask_b32_e64 v16, 0, v17, s7
	v_mul_lo_u32 v18, v10, s34
	v_cmp_gt_i32_e64 s7, s9, v10
	v_cndmask_b32_e64 v17, 0, v18, s7
	v_cmp_gt_i32_e64 s7, s9, v11
	s_delay_alu instid0(VALU_DEP_1) | instskip(NEXT) | instid1(VALU_DEP_3)
	v_dual_cndmask_b32 v11, 0, v19, s7 :: v_dual_cndmask_b32 v19, 0, v20, vcc_lo
	v_dual_add_nc_u32 v10, v16, v27 :: v_dual_add_nc_u32 v18, v17, v27
	s_delay_alu instid0(VALU_DEP_2) | instskip(NEXT) | instid1(VALU_DEP_3)
	v_add_nc_u32_e32 v20, v11, v27
	v_add_nc_u32_e32 v16, v19, v27
	s_clause 0x3
	flat_load_u16 v24, v10, s[44:45] scale_offset
	flat_load_u16 v22, v18, s[44:45] scale_offset
	;; [unrolled: 1-line block ×4, first 2 shown]
	s_wait_xcnt 0x0
	s_and_saveexec_b32 s7, s2
	s_cbranch_execz .LBB668_46
; %bb.41:                               ;   in Loop: Header=BB668_4 Depth=1
	v_dual_ashrrev_i32 v17, 31, v16 :: v_dual_ashrrev_i32 v11, 31, v10
	v_dual_ashrrev_i32 v19, 31, v18 :: v_dual_ashrrev_i32 v21, 31, v20
	s_delay_alu instid0(VALU_DEP_2) | instskip(NEXT) | instid1(VALU_DEP_3)
	v_lshl_add_u64 v[16:17], v[16:17], 1, v[8:9]
	v_lshl_add_u64 v[10:11], v[10:11], 1, v[8:9]
	s_delay_alu instid0(VALU_DEP_3) | instskip(NEXT) | instid1(VALU_DEP_4)
	v_lshl_add_u64 v[18:19], v[18:19], 1, v[8:9]
	v_lshl_add_u64 v[8:9], v[20:21], 1, v[8:9]
	s_clause 0x3
	flat_load_u16 v42, v[16:17] offset:64
	flat_load_u16 v43, v[10:11] offset:64
	;; [unrolled: 1-line block ×4, first 2 shown]
	s_wait_xcnt 0x0
	s_and_saveexec_b32 s44, s3
	s_cbranch_execz .LBB668_45
; %bb.42:                               ;   in Loop: Header=BB668_4 Depth=1
	s_clause 0x3
	flat_load_u16 v46, v[16:17] offset:128
	flat_load_u16 v47, v[10:11] offset:128
	;; [unrolled: 1-line block ×4, first 2 shown]
	s_wait_xcnt 0x0
	s_and_saveexec_b32 s45, s4
	s_cbranch_execz .LBB668_44
; %bb.43:                               ;   in Loop: Header=BB668_4 Depth=1
	s_clause 0x3
	flat_load_u16 v48, v[10:11] offset:192
	flat_load_u16 v49, v[16:17] offset:192
	;; [unrolled: 1-line block ×4, first 2 shown]
	s_wait_loadcnt_dscnt 0x202
	s_wait_xcnt 0x1
	v_dual_lshlrev_b32 v9, 16, v48 :: v_dual_lshlrev_b32 v8, 16, v49
	s_delay_alu instid0(VALU_DEP_1) | instskip(SKIP_1) | instid1(VALU_DEP_1)
	v_pk_mul_f32 v[8:9], v[14:15], v[8:9]
	s_wait_loadcnt_dscnt 0x101
	v_dual_add_f32 v8, v41, v8 :: v_dual_lshlrev_b32 v11, 16, v50
	s_wait_loadcnt_dscnt 0x0
	s_delay_alu instid0(VALU_DEP_1) | instskip(NEXT) | instid1(VALU_DEP_1)
	v_dual_lshlrev_b32 v10, 16, v51 :: v_dual_add_f32 v16, v8, v9
	v_pk_mul_f32 v[8:9], v[12:13], v[10:11]
	s_delay_alu instid0(VALU_DEP_1) | instskip(NEXT) | instid1(VALU_DEP_1)
	v_add_f32_e32 v8, v16, v8
	v_add_f32_e32 v41, v8, v9
.LBB668_44:                             ;   in Loop: Header=BB668_4 Depth=1
	s_wait_xcnt 0x0
	s_or_b32 exec_lo, exec_lo, s45
	s_wait_loadcnt_dscnt 0x202
	v_dual_lshlrev_b32 v9, 16, v47 :: v_dual_lshlrev_b32 v8, 16, v46
	s_delay_alu instid0(VALU_DEP_1) | instskip(SKIP_1) | instid1(VALU_DEP_1)
	v_pk_mul_f32 v[8:9], v[14:15], v[8:9]
	s_wait_loadcnt_dscnt 0x0
	v_dual_add_f32 v8, v40, v8 :: v_dual_lshlrev_b32 v11, 16, v45
	s_delay_alu instid0(VALU_DEP_1) | instskip(NEXT) | instid1(VALU_DEP_1)
	v_dual_lshlrev_b32 v10, 16, v44 :: v_dual_add_f32 v16, v8, v9
	v_pk_mul_f32 v[8:9], v[12:13], v[10:11]
	s_delay_alu instid0(VALU_DEP_1) | instskip(NEXT) | instid1(VALU_DEP_1)
	v_add_f32_e32 v8, v16, v8
	v_add_f32_e32 v40, v8, v9
.LBB668_45:                             ;   in Loop: Header=BB668_4 Depth=1
	s_or_b32 exec_lo, exec_lo, s44
	s_wait_loadcnt_dscnt 0x202
	v_dual_lshlrev_b32 v9, 16, v43 :: v_dual_lshlrev_b32 v8, 16, v42
	s_delay_alu instid0(VALU_DEP_1) | instskip(SKIP_1) | instid1(VALU_DEP_1)
	v_pk_mul_f32 v[8:9], v[14:15], v[8:9]
	s_wait_loadcnt_dscnt 0x0
	v_dual_add_f32 v8, v39, v8 :: v_dual_lshlrev_b32 v11, 16, v21
	s_delay_alu instid0(VALU_DEP_1) | instskip(NEXT) | instid1(VALU_DEP_1)
	v_dual_lshlrev_b32 v10, 16, v20 :: v_dual_add_f32 v16, v8, v9
	v_pk_mul_f32 v[8:9], v[12:13], v[10:11]
	s_delay_alu instid0(VALU_DEP_1) | instskip(NEXT) | instid1(VALU_DEP_1)
	v_add_f32_e32 v8, v16, v8
	v_add_f32_e32 v39, v8, v9
.LBB668_46:                             ;   in Loop: Header=BB668_4 Depth=1
	s_or_b32 exec_lo, exec_lo, s7
	s_wait_loadcnt_dscnt 0x0
	v_dual_lshlrev_b32 v9, 16, v24 :: v_dual_lshlrev_b32 v8, 16, v25
	s_delay_alu instid0(VALU_DEP_1) | instskip(NEXT) | instid1(VALU_DEP_1)
	v_pk_mul_f32 v[8:9], v[14:15], v[8:9]
	v_dual_add_f32 v8, v38, v8 :: v_dual_lshlrev_b32 v11, 16, v23
	s_delay_alu instid0(VALU_DEP_1) | instskip(NEXT) | instid1(VALU_DEP_1)
	v_dual_lshlrev_b32 v10, 16, v22 :: v_dual_add_f32 v14, v8, v9
	v_pk_mul_f32 v[8:9], v[12:13], v[10:11]
	s_delay_alu instid0(VALU_DEP_1) | instskip(NEXT) | instid1(VALU_DEP_1)
	v_add_f32_e32 v8, v14, v8
	v_add_f32_e32 v38, v8, v9
.LBB668_47:                             ;   in Loop: Header=BB668_4 Depth=1
	s_or_b32 exec_lo, exec_lo, s43
.LBB668_48:                             ;   in Loop: Header=BB668_4 Depth=1
	ds_store_2addr_b32 v0, v38, v39 offset1:32
	ds_store_2addr_b32 v0, v40, v41 offset0:64 offset1:96
	s_wait_dscnt 0x0
	s_barrier_signal -1
	s_barrier_wait -1
                                        ; implicit-def: $vgpr12
	s_and_saveexec_b32 s7, s5
	s_cbranch_execz .LBB668_54
; %bb.49:                               ;   in Loop: Header=BB668_4 Depth=1
	ds_load_2addr_stride64_b32 v[8:9], v28 offset1:2
	ds_load_2addr_stride64_b32 v[10:11], v28 offset0:4 offset1:6
	ds_load_2addr_stride64_b32 v[12:13], v28 offset0:8 offset1:10
	s_mov_b32 s44, s8
	s_wait_dscnt 0x2
	v_add_f32_e32 v14, v8, v9
	ds_load_2addr_stride64_b32 v[8:9], v28 offset0:12 offset1:14
	s_wait_dscnt 0x2
	v_add_f32_e32 v10, v10, v14
	s_delay_alu instid0(VALU_DEP_1) | instskip(SKIP_3) | instid1(VALU_DEP_1)
	v_add_f32_e32 v14, v11, v10
	ds_load_2addr_stride64_b32 v[10:11], v28 offset0:16 offset1:18
	s_wait_dscnt 0x2
	v_add_f32_e32 v12, v12, v14
	v_add_f32_e32 v14, v13, v12
	ds_load_2addr_stride64_b32 v[12:13], v28 offset0:20 offset1:22
	s_wait_dscnt 0x2
	v_add_f32_e32 v8, v8, v14
	s_delay_alu instid0(VALU_DEP_1) | instskip(SKIP_1) | instid1(VALU_DEP_1)
	v_add_f32_e32 v8, v9, v8
	s_wait_dscnt 0x1
	v_add_f32_e32 v10, v10, v8
	ds_load_2addr_stride64_b32 v[8:9], v28 offset0:24 offset1:26
	v_add_f32_e32 v10, v11, v10
	s_wait_dscnt 0x1
	s_delay_alu instid0(VALU_DEP_1) | instskip(SKIP_3) | instid1(VALU_DEP_1)
	v_add_f32_e32 v12, v12, v10
	ds_load_2addr_stride64_b32 v[10:11], v28 offset0:28 offset1:30
	v_add_f32_e32 v12, v13, v12
	s_wait_dscnt 0x1
	v_add_f32_e32 v8, v8, v12
                                        ; implicit-def: $vgpr12
	s_delay_alu instid0(VALU_DEP_1) | instskip(SKIP_1) | instid1(VALU_DEP_1)
	v_add_f32_e32 v8, v9, v8
	s_wait_dscnt 0x0
	v_add_f32_e32 v8, v10, v8
	s_delay_alu instid0(VALU_DEP_1)
	v_add_f32_e32 v8, v11, v8
	ds_store_b32 v28, v8
	s_and_saveexec_b32 s43, s6
	s_cbranch_execz .LBB668_53
; %bb.50:                               ;   in Loop: Header=BB668_4 Depth=1
	v_mul_f32_e32 v12, v37, v8
	s_cmp_eq_f32 s42, 0
	s_cbranch_scc1 .LBB668_52
; %bb.51:                               ;   in Loop: Header=BB668_4 Depth=1
	v_lshl_add_u64 v[8:9], v[4:5], 2, v[6:7]
	flat_load_b32 v8, v[8:9]
	s_wait_loadcnt_dscnt 0x0
	v_fmac_f32_e32 v12, s42, v8
.LBB668_52:                             ;   in Loop: Header=BB668_4 Depth=1
	s_or_b32 s44, s8, exec_lo
.LBB668_53:                             ;   in Loop: Header=BB668_4 Depth=1
	s_wait_xcnt 0x0
	s_or_b32 exec_lo, exec_lo, s43
	s_delay_alu instid0(SALU_CYCLE_1) | instskip(SKIP_1) | instid1(SALU_CYCLE_1)
	s_and_not1_b32 s8, s8, exec_lo
	s_and_b32 s42, s44, exec_lo
	s_or_b32 s8, s8, s42
.LBB668_54:                             ;   in Loop: Header=BB668_4 Depth=1
	s_or_b32 exec_lo, exec_lo, s7
	v_mov_b64_e32 v[8:9], v[4:5]
	s_and_saveexec_b32 s7, s8
	s_cbranch_execz .LBB668_2
.LBB668_55:                             ;   in Loop: Header=BB668_4 Depth=1
	s_delay_alu instid0(VALU_DEP_1)
	v_lshl_add_u64 v[6:7], v[8:9], 2, v[6:7]
	flat_store_b32 v[6:7], v12
	s_branch .LBB668_2
.LBB668_56:
	s_endpgm
	.section	.rodata,"a",@progbits
	.p2align	6, 0x0
	.amdhsa_kernel _ZL20rocblas_gemvn_kernelILi32ELi16EiPK16rocblas_bfloat16PKfKPfEviiT3_lPKT2_lT1_lSA_lSB_lS7_lPT4_lSB_li
		.amdhsa_group_segment_fixed_size 8192
		.amdhsa_private_segment_fixed_size 0
		.amdhsa_kernarg_size 400
		.amdhsa_user_sgpr_count 2
		.amdhsa_user_sgpr_dispatch_ptr 0
		.amdhsa_user_sgpr_queue_ptr 0
		.amdhsa_user_sgpr_kernarg_segment_ptr 1
		.amdhsa_user_sgpr_dispatch_id 0
		.amdhsa_user_sgpr_kernarg_preload_length 0
		.amdhsa_user_sgpr_kernarg_preload_offset 0
		.amdhsa_user_sgpr_private_segment_size 0
		.amdhsa_wavefront_size32 1
		.amdhsa_uses_dynamic_stack 0
		.amdhsa_enable_private_segment 0
		.amdhsa_system_sgpr_workgroup_id_x 1
		.amdhsa_system_sgpr_workgroup_id_y 0
		.amdhsa_system_sgpr_workgroup_id_z 1
		.amdhsa_system_sgpr_workgroup_info 0
		.amdhsa_system_vgpr_workitem_id 1
		.amdhsa_next_free_vgpr 61
		.amdhsa_next_free_sgpr 50
		.amdhsa_named_barrier_count 0
		.amdhsa_reserve_vcc 1
		.amdhsa_float_round_mode_32 0
		.amdhsa_float_round_mode_16_64 0
		.amdhsa_float_denorm_mode_32 3
		.amdhsa_float_denorm_mode_16_64 3
		.amdhsa_fp16_overflow 0
		.amdhsa_memory_ordered 1
		.amdhsa_forward_progress 1
		.amdhsa_inst_pref_size 27
		.amdhsa_round_robin_scheduling 0
		.amdhsa_exception_fp_ieee_invalid_op 0
		.amdhsa_exception_fp_denorm_src 0
		.amdhsa_exception_fp_ieee_div_zero 0
		.amdhsa_exception_fp_ieee_overflow 0
		.amdhsa_exception_fp_ieee_underflow 0
		.amdhsa_exception_fp_ieee_inexact 0
		.amdhsa_exception_int_div_zero 0
	.end_amdhsa_kernel
	.section	.text._ZL20rocblas_gemvn_kernelILi32ELi16EiPK16rocblas_bfloat16PKfKPfEviiT3_lPKT2_lT1_lSA_lSB_lS7_lPT4_lSB_li,"axG",@progbits,_ZL20rocblas_gemvn_kernelILi32ELi16EiPK16rocblas_bfloat16PKfKPfEviiT3_lPKT2_lT1_lSA_lSB_lS7_lPT4_lSB_li,comdat
.Lfunc_end668:
	.size	_ZL20rocblas_gemvn_kernelILi32ELi16EiPK16rocblas_bfloat16PKfKPfEviiT3_lPKT2_lT1_lSA_lSB_lS7_lPT4_lSB_li, .Lfunc_end668-_ZL20rocblas_gemvn_kernelILi32ELi16EiPK16rocblas_bfloat16PKfKPfEviiT3_lPKT2_lT1_lSA_lSB_lS7_lPT4_lSB_li
                                        ; -- End function
	.set _ZL20rocblas_gemvn_kernelILi32ELi16EiPK16rocblas_bfloat16PKfKPfEviiT3_lPKT2_lT1_lSA_lSB_lS7_lPT4_lSB_li.num_vgpr, 61
	.set _ZL20rocblas_gemvn_kernelILi32ELi16EiPK16rocblas_bfloat16PKfKPfEviiT3_lPKT2_lT1_lSA_lSB_lS7_lPT4_lSB_li.num_agpr, 0
	.set _ZL20rocblas_gemvn_kernelILi32ELi16EiPK16rocblas_bfloat16PKfKPfEviiT3_lPKT2_lT1_lSA_lSB_lS7_lPT4_lSB_li.numbered_sgpr, 50
	.set _ZL20rocblas_gemvn_kernelILi32ELi16EiPK16rocblas_bfloat16PKfKPfEviiT3_lPKT2_lT1_lSA_lSB_lS7_lPT4_lSB_li.num_named_barrier, 0
	.set _ZL20rocblas_gemvn_kernelILi32ELi16EiPK16rocblas_bfloat16PKfKPfEviiT3_lPKT2_lT1_lSA_lSB_lS7_lPT4_lSB_li.private_seg_size, 0
	.set _ZL20rocblas_gemvn_kernelILi32ELi16EiPK16rocblas_bfloat16PKfKPfEviiT3_lPKT2_lT1_lSA_lSB_lS7_lPT4_lSB_li.uses_vcc, 1
	.set _ZL20rocblas_gemvn_kernelILi32ELi16EiPK16rocblas_bfloat16PKfKPfEviiT3_lPKT2_lT1_lSA_lSB_lS7_lPT4_lSB_li.uses_flat_scratch, 1
	.set _ZL20rocblas_gemvn_kernelILi32ELi16EiPK16rocblas_bfloat16PKfKPfEviiT3_lPKT2_lT1_lSA_lSB_lS7_lPT4_lSB_li.has_dyn_sized_stack, 0
	.set _ZL20rocblas_gemvn_kernelILi32ELi16EiPK16rocblas_bfloat16PKfKPfEviiT3_lPKT2_lT1_lSA_lSB_lS7_lPT4_lSB_li.has_recursion, 0
	.set _ZL20rocblas_gemvn_kernelILi32ELi16EiPK16rocblas_bfloat16PKfKPfEviiT3_lPKT2_lT1_lSA_lSB_lS7_lPT4_lSB_li.has_indirect_call, 0
	.section	.AMDGPU.csdata,"",@progbits
; Kernel info:
; codeLenInByte = 3368
; TotalNumSgprs: 52
; NumVgprs: 61
; ScratchSize: 0
; MemoryBound: 0
; FloatMode: 240
; IeeeMode: 1
; LDSByteSize: 8192 bytes/workgroup (compile time only)
; SGPRBlocks: 0
; VGPRBlocks: 3
; NumSGPRsForWavesPerEU: 52
; NumVGPRsForWavesPerEU: 61
; NamedBarCnt: 0
; Occupancy: 16
; WaveLimiterHint : 1
; COMPUTE_PGM_RSRC2:SCRATCH_EN: 0
; COMPUTE_PGM_RSRC2:USER_SGPR: 2
; COMPUTE_PGM_RSRC2:TRAP_HANDLER: 0
; COMPUTE_PGM_RSRC2:TGID_X_EN: 1
; COMPUTE_PGM_RSRC2:TGID_Y_EN: 0
; COMPUTE_PGM_RSRC2:TGID_Z_EN: 1
; COMPUTE_PGM_RSRC2:TIDIG_COMP_CNT: 1
	.section	.text._ZL20rocblas_gemvn_kernelILi32ELi16ElPK16rocblas_bfloat16PKfKPfEviiT3_lPKT2_lT1_lSA_lSB_lS7_lPT4_lSB_li,"axG",@progbits,_ZL20rocblas_gemvn_kernelILi32ELi16ElPK16rocblas_bfloat16PKfKPfEviiT3_lPKT2_lT1_lSA_lSB_lS7_lPT4_lSB_li,comdat
	.globl	_ZL20rocblas_gemvn_kernelILi32ELi16ElPK16rocblas_bfloat16PKfKPfEviiT3_lPKT2_lT1_lSA_lSB_lS7_lPT4_lSB_li ; -- Begin function _ZL20rocblas_gemvn_kernelILi32ELi16ElPK16rocblas_bfloat16PKfKPfEviiT3_lPKT2_lT1_lSA_lSB_lS7_lPT4_lSB_li
	.p2align	8
	.type	_ZL20rocblas_gemvn_kernelILi32ELi16ElPK16rocblas_bfloat16PKfKPfEviiT3_lPKT2_lT1_lSA_lSB_lS7_lPT4_lSB_li,@function
_ZL20rocblas_gemvn_kernelILi32ELi16ElPK16rocblas_bfloat16PKfKPfEviiT3_lPKT2_lT1_lSA_lSB_lS7_lPT4_lSB_li: ; @_ZL20rocblas_gemvn_kernelILi32ELi16ElPK16rocblas_bfloat16PKfKPfEviiT3_lPKT2_lT1_lSA_lSB_lS7_lPT4_lSB_li
; %bb.0:
	s_clause 0x1
	s_load_b64 s[2:3], s[0:1], 0x9c
	s_load_b32 s33, s[0:1], 0x88
	s_bfe_u32 s4, ttmp6, 0x40014
	s_lshr_b32 s5, ttmp7, 16
	s_add_co_i32 s4, s4, 1
	s_bfe_u32 s6, ttmp6, 0x40008
	s_mul_i32 s7, s5, s4
	s_getreg_b32 s4, hwreg(HW_REG_IB_STS2, 6, 4)
	s_add_co_i32 s6, s6, s7
	s_mov_b32 s11, 0
	s_wait_kmcnt 0x0
	s_lshr_b32 s7, s2, 16
	s_and_b32 s2, s2, 0xffff
	s_and_b32 s3, s3, 0xffff
	s_mul_i32 s2, s7, s2
	s_cmp_eq_u32 s4, 0
	s_mul_i32 s2, s2, s3
	s_cselect_b32 s10, s5, s6
	s_cmp_lg_u32 s2, 0x200
	s_cselect_b32 s2, -1, 0
	s_cmp_ge_u32 s10, s33
	s_cselect_b32 s3, -1, 0
	s_delay_alu instid0(SALU_CYCLE_1) | instskip(NEXT) | instid1(SALU_CYCLE_1)
	s_or_b32 s2, s2, s3
	s_and_b32 vcc_lo, exec_lo, s2
	s_cbranch_vccnz .LBB669_56
; %bb.1:
	s_clause 0x2
	s_load_b64 s[34:35], s[0:1], 0x0
	s_load_b64 s[36:37], s[0:1], 0x28
	;; [unrolled: 1-line block ×3, first 2 shown]
	s_bfe_u32 s5, ttmp6, 0x4000c
	v_and_b32_e32 v28, 0x3ff, v0
	s_add_co_i32 s5, s5, 1
	v_bfe_u32 v6, v0, 10, 10
	s_clause 0x1
	s_load_b64 s[38:39], s[0:1], 0x48
	s_load_b128 s[28:31], s[0:1], 0x38
	s_and_b32 s6, ttmp6, 15
	s_mul_i32 s5, ttmp9, s5
	v_lshl_add_u32 v29, v6, 5, v28
	s_add_co_i32 s6, s6, s5
	s_cmp_eq_u32 s4, 0
	s_load_b256 s[12:19], s[0:1], 0x8
	s_cselect_b32 s4, ttmp9, s6
	s_load_b256 s[20:27], s[0:1], 0x58
	s_lshl_b32 s6, s4, 7
	s_delay_alu instid0(SALU_CYCLE_1)
	v_dual_mov_b32 v1, 0 :: v_dual_add_nc_u32 v0, s6, v29
	v_lshlrev_b32_e32 v52, 2, v6
	s_wait_kmcnt 0x0
	s_ashr_i32 s5, s34, 31
	s_mov_b32 s4, s34
	v_mov_b32_e32 v7, v1
	v_mul_u64_e32 v[2:3], s[2:3], v[0:1]
	v_cmp_gt_i64_e32 vcc_lo, s[4:5], v[0:1]
	v_dual_add_nc_u32 v14, s6, v28 :: v_dual_bitop2_b32 v16, s6, v29 bitop3:0x54
	v_or_b32_e32 v0, 3, v52
	v_mul_u64_e32 v[8:9], s[38:39], v[6:7]
	v_mul_u64_e32 v[18:19], s[36:37], v[6:7]
	s_delay_alu instid0(VALU_DEP_4) | instskip(NEXT) | instid1(VALU_DEP_4)
	v_dual_ashrrev_i32 v15, 31, v14 :: v_dual_add_nc_u32 v7, 64, v14
	v_mul_u64_e32 v[10:11], s[36:37], v[0:1]
	v_mul_u64_e32 v[12:13], s[38:39], v[0:1]
	v_or_b32_e32 v0, 2, v52
	v_ashrrev_i32_e32 v17, 31, v16
	v_mad_nc_u64_u32 v[24:25], s38, v52, s[38:39]
	v_mad_nc_u64_u32 v[26:27], s36, v52, s[36:37]
	s_ashr_i32 s4, s35, 31
	v_mul_u64_e32 v[20:21], s[36:37], v[0:1]
	v_mul_u64_e32 v[22:23], s[38:39], v[0:1]
	v_add_nc_u32_e32 v0, 32, v14
	v_mul_u64_e32 v[4:5], s[2:3], v[16:17]
	s_lshr_b32 s4, s4, 26
	v_add_nc_u32_e32 v17, 0x60, v14
	s_add_co_i32 s44, s35, s4
	v_cmp_gt_i32_e64 s2, s34, v0
	v_mad_u32 v25, s39, v52, v25
	v_mad_u32 v27, s37, v52, v27
	v_lshlrev_b32_e32 v0, 2, v28
	s_and_not1_b32 s44, s44, 63
	v_cmp_gt_i32_e64 s1, s34, v14
	s_sub_co_i32 s4, s35, s44
	v_cmp_gt_i32_e64 s3, s34, v7
	s_cmp_gt_i32 s4, 0
	v_cmp_gt_i32_e64 s4, s34, v17
	v_lshl_add_u32 v53, v6, 9, v0
	v_cmp_gt_u32_e64 s5, 0x80, v29
	v_lshl_add_u32 v54, v6, 7, v0
	v_cmp_gt_i32_e64 s6, s34, v16
	v_lshlrev_b64_e32 v[6:7], 3, v[8:9]
	v_lshlrev_b64_e32 v[8:9], 1, v[14:15]
	;; [unrolled: 1-line block ×3, first 2 shown]
	v_cmp_gt_i32_e64 s0, s44, v52
	v_lshlrev_b64_e32 v[10:11], 1, v[10:11]
	v_lshlrev_b64_e32 v[12:13], 1, v[12:13]
	s_cselect_b32 s45, -1, 0
	s_and_b32 s34, s5, vcc_lo
	s_lshl_b64 s[40:41], s[38:39], 7
	s_lshl_b64 s[42:43], s[36:37], 7
	;; [unrolled: 1-line block ×3, first 2 shown]
	v_lshlrev_b64_e32 v[16:17], 1, v[20:21]
	v_lshlrev_b64_e32 v[18:19], 1, v[22:23]
	v_lshlrev_b64_e32 v[20:21], 1, v[24:25]
	v_lshlrev_b64_e32 v[22:23], 1, v[26:27]
	s_lshl_b64 s[30:31], s[30:31], 1
	s_lshl_b64 s[26:27], s[26:27], 2
	s_branch .LBB669_4
.LBB669_2:                              ;   in Loop: Header=BB669_4 Depth=1
	s_wait_xcnt 0x0
	s_or_b32 exec_lo, exec_lo, s7
.LBB669_3:                              ;   in Loop: Header=BB669_4 Depth=1
	s_add_co_i32 s10, s10, 0x10000
	s_delay_alu instid0(SALU_CYCLE_1)
	s_cmp_lt_u32 s10, s33
	s_cbranch_scc0 .LBB669_56
.LBB669_4:                              ; =>This Loop Header: Depth=1
                                        ;     Child Loop BB669_24 Depth 2
	s_mul_u64 s[8:9], s[14:15], s[10:11]
	s_mul_u64 s[46:47], s[22:23], s[10:11]
	s_lshl_b64 s[8:9], s[8:9], 2
	s_lshl_b64 s[46:47], s[46:47], 2
	s_add_nc_u64 s[8:9], s[12:13], s[8:9]
	s_add_nc_u64 s[46:47], s[20:21], s[46:47]
	s_clause 0x1
	global_load_b32 v55, v1, s[8:9]
	global_load_b32 v0, v1, s[46:47]
	s_wait_loadcnt 0x1
	v_cmp_eq_f32_e64 s7, 0, v55
	s_wait_loadcnt 0x0
	v_cmp_eq_f32_e32 vcc_lo, 1.0, v0
	s_wait_xcnt 0x0
	v_readfirstlane_b32 s46, v0
	s_and_b32 s8, s7, vcc_lo
	s_delay_alu instid0(SALU_CYCLE_1)
	s_and_b32 vcc_lo, exec_lo, s8
	s_cbranch_vccnz .LBB669_3
; %bb.5:                                ;   in Loop: Header=BB669_4 Depth=1
	v_mov_b64_e32 v[28:29], 0
	v_mov_b64_e32 v[26:27], 0
	v_cmp_neq_f32_e64 s8, 0, v55
	s_and_b32 vcc_lo, exec_lo, s7
	s_cbranch_vccnz .LBB669_7
; %bb.6:                                ;   in Loop: Header=BB669_4 Depth=1
	s_lshl_b64 s[48:49], s[10:11], 3
	s_delay_alu instid0(SALU_CYCLE_1)
	s_add_nc_u64 s[48:49], s[16:17], s[48:49]
	global_load_b64 v[24:25], v1, s[48:49]
	s_wait_loadcnt 0x0
	v_add_nc_u64_e32 v[26:27], s[18:19], v[24:25]
.LBB669_7:                              ;   in Loop: Header=BB669_4 Depth=1
	s_and_not1_b32 vcc_lo, exec_lo, s8
	s_cbranch_vccnz .LBB669_9
; %bb.8:                                ;   in Loop: Header=BB669_4 Depth=1
	s_lshl_b64 s[8:9], s[10:11], 3
	s_delay_alu instid0(SALU_CYCLE_1)
	s_add_nc_u64 s[8:9], s[28:29], s[8:9]
	global_load_b64 v[24:25], v1, s[8:9]
	s_wait_loadcnt 0x0
	v_add_nc_u64_e32 v[28:29], s[30:31], v[24:25]
.LBB669_9:                              ;   in Loop: Header=BB669_4 Depth=1
	s_wait_xcnt 0x0
	s_lshl_b64 s[8:9], s[10:11], 3
	s_and_not1_b32 vcc_lo, exec_lo, s7
	s_add_nc_u64 s[8:9], s[24:25], s[8:9]
	global_load_b64 v[24:25], v1, s[8:9]
	s_wait_loadcnt 0x0
	v_add_nc_u64_e32 v[24:25], s[26:27], v[24:25]
	s_cbranch_vccnz .LBB669_13
; %bb.10:                               ;   in Loop: Header=BB669_4 Depth=1
	s_mov_b32 s7, 0
	s_mov_b32 s47, 0
                                        ; implicit-def: $vgpr0
	s_wait_xcnt 0x0
	s_and_saveexec_b32 s8, s34
	s_cbranch_execz .LBB669_14
; %bb.11:                               ;   in Loop: Header=BB669_4 Depth=1
	s_cmp_eq_f32 s46, 0
	s_cbranch_scc1 .LBB669_16
; %bb.12:                               ;   in Loop: Header=BB669_4 Depth=1
	v_lshl_add_u64 v[30:31], v[2:3], 2, v[24:25]
	flat_load_b32 v0, v[30:31]
	s_wait_loadcnt_dscnt 0x0
	v_mul_f32_e32 v0, s46, v0
	s_branch .LBB669_17
.LBB669_13:                             ;   in Loop: Header=BB669_4 Depth=1
	s_mov_b32 s47, 0
                                        ; implicit-def: $vgpr0
	s_cbranch_execz .LBB669_15
	s_branch .LBB669_18
.LBB669_14:                             ;   in Loop: Header=BB669_4 Depth=1
	s_or_b32 exec_lo, exec_lo, s8
	s_delay_alu instid0(SALU_CYCLE_1)
	s_and_b32 vcc_lo, exec_lo, s7
	s_cbranch_vccnz .LBB669_18
.LBB669_15:                             ;   in Loop: Header=BB669_4 Depth=1
	v_mov_b64_e32 v[26:27], v[2:3]
	s_wait_xcnt 0x0
	s_and_saveexec_b32 s7, s47
	s_cbranch_execz .LBB669_2
	s_branch .LBB669_55
.LBB669_16:                             ;   in Loop: Header=BB669_4 Depth=1
	v_mov_b32_e32 v0, 0
.LBB669_17:                             ;   in Loop: Header=BB669_4 Depth=1
	s_mov_b32 s47, exec_lo
	s_wait_xcnt 0x0
	s_or_b32 exec_lo, exec_lo, s8
	s_delay_alu instid0(SALU_CYCLE_1)
	s_and_b32 vcc_lo, exec_lo, s7
	s_cbranch_vccz .LBB669_15
.LBB669_18:                             ;   in Loop: Header=BB669_4 Depth=1
	v_dual_mov_b32 v56, 0 :: v_dual_mov_b32 v0, v52
	v_dual_mov_b32 v57, 0 :: v_dual_mov_b32 v58, 0
	v_mov_b32_e32 v59, 0
	s_wait_xcnt 0x0
	s_and_saveexec_b32 s7, s0
	s_cbranch_execz .LBB669_30
; %bb.19:                               ;   in Loop: Header=BB669_4 Depth=1
	v_add_nc_u64_e32 v[30:31], v[26:27], v[10:11]
	v_add_nc_u64_e32 v[32:33], v[26:27], v[14:15]
	;; [unrolled: 1-line block ×4, first 2 shown]
	v_mov_b64_e32 v[38:39], v[28:29]
	v_dual_mov_b32 v56, 0 :: v_dual_mov_b32 v0, v52
	v_dual_mov_b32 v57, 0 :: v_dual_mov_b32 v58, 0
	v_mov_b32_e32 v59, 0
	s_mov_b32 s8, 0
	s_branch .LBB669_24
.LBB669_20:                             ;   in Loop: Header=BB669_24 Depth=2
	s_or_b32 exec_lo, exec_lo, s50
	s_wait_loadcnt_dscnt 0x202
	v_dual_lshlrev_b32 v45, 16, v71 :: v_dual_lshlrev_b32 v44, 16, v70
	s_delay_alu instid0(VALU_DEP_1) | instskip(SKIP_1) | instid1(VALU_DEP_1)
	v_pk_mul_f32 v[44:45], v[42:43], v[44:45]
	s_wait_loadcnt_dscnt 0x0
	v_dual_add_f32 v44, v58, v44 :: v_dual_lshlrev_b32 v47, 16, v69
	s_delay_alu instid0(VALU_DEP_1) | instskip(NEXT) | instid1(VALU_DEP_1)
	v_dual_lshlrev_b32 v46, 16, v68 :: v_dual_add_f32 v48, v44, v45
	v_pk_mul_f32 v[44:45], v[40:41], v[46:47]
	s_delay_alu instid0(VALU_DEP_1) | instskip(NEXT) | instid1(VALU_DEP_1)
	v_add_f32_e32 v44, v48, v44
	v_add_f32_e32 v58, v44, v45
.LBB669_21:                             ;   in Loop: Header=BB669_24 Depth=2
	s_or_b32 exec_lo, exec_lo, s49
	s_wait_loadcnt_dscnt 0x202
	v_dual_lshlrev_b32 v45, 16, v67 :: v_dual_lshlrev_b32 v44, 16, v66
	s_delay_alu instid0(VALU_DEP_1) | instskip(SKIP_1) | instid1(VALU_DEP_1)
	v_pk_mul_f32 v[44:45], v[42:43], v[44:45]
	s_wait_loadcnt_dscnt 0x0
	v_dual_add_f32 v44, v57, v44 :: v_dual_lshlrev_b32 v47, 16, v65
	s_delay_alu instid0(VALU_DEP_1) | instskip(NEXT) | instid1(VALU_DEP_1)
	v_dual_lshlrev_b32 v46, 16, v64 :: v_dual_add_f32 v48, v44, v45
	v_pk_mul_f32 v[44:45], v[40:41], v[46:47]
	s_delay_alu instid0(VALU_DEP_1) | instskip(NEXT) | instid1(VALU_DEP_1)
	v_add_f32_e32 v44, v48, v44
	v_add_f32_e32 v57, v44, v45
.LBB669_22:                             ;   in Loop: Header=BB669_24 Depth=2
	s_or_b32 exec_lo, exec_lo, s48
	s_wait_loadcnt_dscnt 0x202
	v_dual_lshlrev_b32 v45, 16, v63 :: v_dual_lshlrev_b32 v44, 16, v62
	s_delay_alu instid0(VALU_DEP_1) | instskip(SKIP_1) | instid1(VALU_DEP_1)
	v_pk_mul_f32 v[42:43], v[42:43], v[44:45]
	s_wait_loadcnt_dscnt 0x0
	v_dual_add_f32 v42, v56, v42 :: v_dual_lshlrev_b32 v45, 16, v61
	s_delay_alu instid0(VALU_DEP_1) | instskip(NEXT) | instid1(VALU_DEP_1)
	v_dual_lshlrev_b32 v44, 16, v60 :: v_dual_add_f32 v42, v42, v43
	v_pk_mul_f32 v[40:41], v[40:41], v[44:45]
	s_delay_alu instid0(VALU_DEP_1) | instskip(NEXT) | instid1(VALU_DEP_1)
	v_add_f32_e32 v40, v42, v40
	v_add_f32_e32 v56, v40, v41
.LBB669_23:                             ;   in Loop: Header=BB669_24 Depth=2
	s_or_b32 exec_lo, exec_lo, s9
	v_add_nc_u32_e32 v0, 64, v0
	v_add_nc_u64_e32 v[38:39], s[40:41], v[38:39]
	v_add_nc_u64_e32 v[30:31], s[42:43], v[30:31]
	;; [unrolled: 1-line block ×4, first 2 shown]
	v_cmp_le_i32_e32 vcc_lo, s44, v0
	v_add_nc_u64_e32 v[36:37], s[42:43], v[36:37]
	s_or_b32 s8, vcc_lo, s8
	s_delay_alu instid0(SALU_CYCLE_1)
	s_and_not1_b32 exec_lo, exec_lo, s8
	s_cbranch_execz .LBB669_29
.LBB669_24:                             ;   Parent Loop BB669_4 Depth=1
                                        ; =>  This Inner Loop Header: Depth=2
	s_and_saveexec_b32 s9, s1
	s_cbranch_execz .LBB669_23
; %bb.25:                               ;   in Loop: Header=BB669_24 Depth=2
	v_add_nc_u64_e32 v[42:43], v[38:39], v[20:21]
	v_add_nc_u64_e32 v[40:41], v[38:39], v[6:7]
	;; [unrolled: 1-line block ×8, first 2 shown]
	s_clause 0x3
	flat_load_u16 v68, v[42:43]
	flat_load_u16 v69, v[40:41]
	flat_load_u16 v70, v[66:67]
	flat_load_u16 v71, v[64:65]
	flat_load_u16 v62, v[44:45]
	flat_load_u16 v63, v[46:47]
	flat_load_u16 v60, v[48:49]
	flat_load_u16 v61, v[50:51]
	s_wait_loadcnt_dscnt 0x606
	s_wait_xcnt 0x7
	v_dual_lshlrev_b32 v43, 16, v68 :: v_dual_lshlrev_b32 v42, 16, v69
	s_wait_loadcnt_dscnt 0x404
	s_wait_xcnt 0x6
	v_dual_lshlrev_b32 v41, 16, v70 :: v_dual_lshlrev_b32 v40, 16, v71
	s_wait_xcnt 0x0
	s_and_saveexec_b32 s48, s2
	s_cbranch_execz .LBB669_22
; %bb.26:                               ;   in Loop: Header=BB669_24 Depth=2
	flat_load_u16 v66, v[44:45] offset:64
	flat_load_u16 v67, v[46:47] offset:64
	flat_load_u16 v64, v[48:49] offset:64
	flat_load_u16 v65, v[50:51] offset:64
	s_wait_xcnt 0x0
	s_and_saveexec_b32 s49, s3
	s_cbranch_execz .LBB669_21
; %bb.27:                               ;   in Loop: Header=BB669_24 Depth=2
	flat_load_u16 v70, v[44:45] offset:128
	flat_load_u16 v71, v[46:47] offset:128
	flat_load_u16 v68, v[48:49] offset:128
	flat_load_u16 v69, v[50:51] offset:128
	;; [unrolled: 8-line block ×3, first 2 shown]
	s_wait_loadcnt_dscnt 0x202
	s_wait_xcnt 0x2
	v_dual_lshlrev_b32 v45, 16, v72 :: v_dual_lshlrev_b32 v44, 16, v73
	s_delay_alu instid0(VALU_DEP_1) | instskip(SKIP_1) | instid1(VALU_DEP_1)
	v_pk_mul_f32 v[44:45], v[42:43], v[44:45]
	s_wait_loadcnt_dscnt 0x101
	v_dual_add_f32 v44, v59, v44 :: v_dual_lshlrev_b32 v47, 16, v74
	s_wait_loadcnt_dscnt 0x0
	s_wait_xcnt 0x0
	s_delay_alu instid0(VALU_DEP_1) | instskip(NEXT) | instid1(VALU_DEP_1)
	v_dual_lshlrev_b32 v46, 16, v75 :: v_dual_add_f32 v48, v44, v45
	v_pk_mul_f32 v[44:45], v[40:41], v[46:47]
	s_delay_alu instid0(VALU_DEP_1) | instskip(NEXT) | instid1(VALU_DEP_1)
	v_add_f32_e32 v44, v48, v44
	v_add_f32_e32 v59, v44, v45
	s_branch .LBB669_20
.LBB669_29:                             ;   in Loop: Header=BB669_4 Depth=1
	s_or_b32 exec_lo, exec_lo, s8
.LBB669_30:                             ;   in Loop: Header=BB669_4 Depth=1
	s_delay_alu instid0(SALU_CYCLE_1) | instskip(NEXT) | instid1(SALU_CYCLE_1)
	s_or_b32 exec_lo, exec_lo, s7
	s_and_not1_b32 vcc_lo, exec_lo, s45
	s_cbranch_vccnz .LBB669_48
; %bb.31:                               ;   in Loop: Header=BB669_4 Depth=1
	v_dual_mov_b32 v30, 0 :: v_dual_bitop2_b32 v34, 1, v0 bitop3:0x54
	v_cmp_gt_i32_e32 vcc_lo, s35, v0
	s_delay_alu instid0(VALU_DEP_2)
	v_dual_mov_b32 v31, v30 :: v_dual_mov_b32 v32, v30
	v_mov_b32_e32 v33, v30
	s_and_saveexec_b32 s8, vcc_lo
	s_cbranch_execz .LBB669_39
; %bb.32:                               ;   in Loop: Header=BB669_4 Depth=1
	v_mul_u64_e32 v[30:31], s[38:39], v[0:1]
	v_mov_b32_e32 v33, 0
	s_mov_b32 s9, exec_lo
	s_delay_alu instid0(VALU_DEP_2)
	v_lshl_add_u64 v[30:31], v[30:31], 1, v[28:29]
	flat_load_u16 v36, v[30:31]
	s_wait_xcnt 0x0
	v_dual_mov_b32 v31, 0 :: v_dual_mov_b32 v30, 0
	v_cmpx_gt_i32_e64 s35, v34
	s_cbranch_execz .LBB669_38
; %bb.33:                               ;   in Loop: Header=BB669_4 Depth=1
	v_dual_mov_b32 v35, v1 :: v_dual_bitop2_b32 v32, 2, v0 bitop3:0x54
	s_mov_b32 s48, exec_lo
	s_delay_alu instid0(VALU_DEP_1) | instskip(NEXT) | instid1(VALU_DEP_1)
	v_mul_u64_e32 v[30:31], s[38:39], v[34:35]
	v_lshl_add_u64 v[30:31], v[30:31], 1, v[28:29]
	flat_load_u16 v35, v[30:31]
	s_wait_xcnt 0x0
	v_dual_mov_b32 v31, 0 :: v_dual_mov_b32 v30, 0
	v_cmpx_gt_i32_e64 s35, v32
	s_cbranch_execz .LBB669_37
; %bb.34:                               ;   in Loop: Header=BB669_4 Depth=1
	v_mov_b32_e32 v33, v1
	s_mov_b32 s49, exec_lo
	s_delay_alu instid0(VALU_DEP_1) | instskip(NEXT) | instid1(VALU_DEP_1)
	v_mul_u64_e32 v[30:31], s[38:39], v[32:33]
	v_lshl_add_u64 v[30:31], v[30:31], 1, v[28:29]
	flat_load_u16 v32, v[30:31]
	s_wait_xcnt 0x0
	v_dual_mov_b32 v31, 0 :: v_dual_bitop2_b32 v30, 3, v0 bitop3:0x54
	s_delay_alu instid0(VALU_DEP_1)
	v_cmpx_gt_i32_e64 s35, v30
	s_cbranch_execz .LBB669_36
; %bb.35:                               ;   in Loop: Header=BB669_4 Depth=1
	v_mov_b32_e32 v31, v1
	s_delay_alu instid0(VALU_DEP_1) | instskip(NEXT) | instid1(VALU_DEP_1)
	v_mul_u64_e32 v[30:31], s[38:39], v[30:31]
	v_lshl_add_u64 v[28:29], v[30:31], 1, v[28:29]
	flat_load_u16 v28, v[28:29]
	s_wait_loadcnt_dscnt 0x0
	v_lshlrev_b32_e32 v31, 16, v28
.LBB669_36:                             ;   in Loop: Header=BB669_4 Depth=1
	s_wait_xcnt 0x0
	s_or_b32 exec_lo, exec_lo, s49
	s_wait_loadcnt_dscnt 0x0
	v_lshlrev_b32_e32 v30, 16, v32
.LBB669_37:                             ;   in Loop: Header=BB669_4 Depth=1
	s_or_b32 exec_lo, exec_lo, s48
	s_wait_loadcnt_dscnt 0x0
	v_lshlrev_b32_e32 v33, 16, v35
.LBB669_38:                             ;   in Loop: Header=BB669_4 Depth=1
	s_or_b32 exec_lo, exec_lo, s9
	s_wait_loadcnt_dscnt 0x0
	v_lshlrev_b32_e32 v32, 16, v36
.LBB669_39:                             ;   in Loop: Header=BB669_4 Depth=1
	s_or_b32 exec_lo, exec_lo, s8
	s_and_saveexec_b32 s48, s1
	s_cbranch_execz .LBB669_47
; %bb.40:                               ;   in Loop: Header=BB669_4 Depth=1
	v_dual_mov_b32 v35, v1 :: v_dual_bitop2_b32 v28, 2, v0 bitop3:0x54
	v_mov_b32_e32 v29, v1
	v_mul_u64_e32 v[36:37], s[36:37], v[0:1]
	v_or_b32_e32 v0, 3, v0
	s_delay_alu instid0(VALU_DEP_4)
	v_mul_u64_e32 v[38:39], s[36:37], v[34:35]
	v_cmp_gt_i32_e64 s7, s35, v34
	v_mul_u64_e32 v[40:41], s[36:37], v[28:29]
	v_cmp_gt_i32_e64 s8, s35, v28
	;; [unrolled: 2-line block ×3, first 2 shown]
	v_dual_cndmask_b32 v29, 0, v37 :: v_dual_cndmask_b32 v28, 0, v36
	v_dual_cndmask_b32 v35, 0, v39, s7 :: v_dual_cndmask_b32 v34, 0, v38, s7
	v_dual_cndmask_b32 v39, 0, v41, s8 :: v_dual_cndmask_b32 v38, 0, v40, s8
	s_delay_alu instid0(VALU_DEP_4) | instskip(NEXT) | instid1(VALU_DEP_3)
	v_dual_cndmask_b32 v41, 0, v43, s9 :: v_dual_cndmask_b32 v40, 0, v42, s9
	v_lshl_add_u64 v[34:35], v[34:35], 1, v[26:27]
	s_delay_alu instid0(VALU_DEP_3) | instskip(NEXT) | instid1(VALU_DEP_3)
	v_lshl_add_u64 v[36:37], v[38:39], 1, v[26:27]
	v_lshl_add_u64 v[38:39], v[40:41], 1, v[26:27]
	;; [unrolled: 1-line block ×3, first 2 shown]
	s_delay_alu instid0(VALU_DEP_4) | instskip(NEXT) | instid1(VALU_DEP_4)
	v_add_nc_u64_e32 v[26:27], v[34:35], v[8:9]
	v_add_nc_u64_e32 v[28:29], v[36:37], v[8:9]
	s_delay_alu instid0(VALU_DEP_4) | instskip(NEXT) | instid1(VALU_DEP_4)
	v_add_nc_u64_e32 v[34:35], v[38:39], v[8:9]
	v_add_nc_u64_e32 v[36:37], v[40:41], v[8:9]
	s_clause 0x3
	flat_load_u16 v39, v[26:27]
	flat_load_u16 v0, v[28:29]
	;; [unrolled: 1-line block ×4, first 2 shown]
	s_wait_xcnt 0x0
	s_and_saveexec_b32 s7, s2
	s_cbranch_execz .LBB669_46
; %bb.41:                               ;   in Loop: Header=BB669_4 Depth=1
	s_clause 0x3
	flat_load_u16 v43, v[36:37] offset:64
	flat_load_u16 v44, v[26:27] offset:64
	flat_load_u16 v41, v[28:29] offset:64
	flat_load_u16 v42, v[34:35] offset:64
	s_wait_xcnt 0x0
	s_and_saveexec_b32 s8, s3
	s_cbranch_execz .LBB669_45
; %bb.42:                               ;   in Loop: Header=BB669_4 Depth=1
	s_clause 0x3
	flat_load_u16 v47, v[36:37] offset:128
	flat_load_u16 v48, v[26:27] offset:128
	flat_load_u16 v45, v[28:29] offset:128
	flat_load_u16 v46, v[34:35] offset:128
	;; [unrolled: 9-line block ×3, first 2 shown]
	s_wait_loadcnt_dscnt 0x202
	s_wait_xcnt 0x3
	v_dual_lshlrev_b32 v27, 16, v49 :: v_dual_lshlrev_b32 v26, 16, v50
	s_delay_alu instid0(VALU_DEP_1) | instskip(SKIP_2) | instid1(VALU_DEP_1)
	v_pk_mul_f32 v[26:27], v[32:33], v[26:27]
	s_wait_loadcnt_dscnt 0x101
	s_wait_xcnt 0x0
	v_dual_add_f32 v26, v59, v26 :: v_dual_lshlrev_b32 v29, 16, v51
	s_wait_loadcnt_dscnt 0x0
	s_delay_alu instid0(VALU_DEP_1) | instskip(NEXT) | instid1(VALU_DEP_1)
	v_dual_lshlrev_b32 v28, 16, v60 :: v_dual_add_f32 v34, v26, v27
	v_pk_mul_f32 v[26:27], v[30:31], v[28:29]
	s_delay_alu instid0(VALU_DEP_1) | instskip(NEXT) | instid1(VALU_DEP_1)
	v_add_f32_e32 v26, v34, v26
	v_add_f32_e32 v59, v26, v27
.LBB669_44:                             ;   in Loop: Header=BB669_4 Depth=1
	s_or_b32 exec_lo, exec_lo, s9
	s_wait_loadcnt_dscnt 0x202
	v_dual_lshlrev_b32 v27, 16, v48 :: v_dual_lshlrev_b32 v26, 16, v47
	s_wait_loadcnt_dscnt 0x0
	v_dual_lshlrev_b32 v29, 16, v46 :: v_dual_lshlrev_b32 v28, 16, v45
	s_delay_alu instid0(VALU_DEP_2) | instskip(NEXT) | instid1(VALU_DEP_1)
	v_pk_mul_f32 v[26:27], v[32:33], v[26:27]
	v_add_f32_e32 v26, v58, v26
	s_delay_alu instid0(VALU_DEP_1) | instskip(NEXT) | instid1(VALU_DEP_4)
	v_add_f32_e32 v34, v26, v27
	v_pk_mul_f32 v[26:27], v[30:31], v[28:29]
	s_delay_alu instid0(VALU_DEP_1) | instskip(NEXT) | instid1(VALU_DEP_1)
	v_add_f32_e32 v26, v34, v26
	v_add_f32_e32 v58, v26, v27
.LBB669_45:                             ;   in Loop: Header=BB669_4 Depth=1
	s_or_b32 exec_lo, exec_lo, s8
	s_wait_loadcnt_dscnt 0x202
	v_dual_lshlrev_b32 v27, 16, v44 :: v_dual_lshlrev_b32 v26, 16, v43
	s_wait_loadcnt_dscnt 0x0
	v_dual_lshlrev_b32 v29, 16, v42 :: v_dual_lshlrev_b32 v28, 16, v41
	s_delay_alu instid0(VALU_DEP_2) | instskip(NEXT) | instid1(VALU_DEP_1)
	v_pk_mul_f32 v[26:27], v[32:33], v[26:27]
	v_add_f32_e32 v26, v57, v26
	s_delay_alu instid0(VALU_DEP_1) | instskip(NEXT) | instid1(VALU_DEP_4)
	v_add_f32_e32 v34, v26, v27
	v_pk_mul_f32 v[26:27], v[30:31], v[28:29]
	s_delay_alu instid0(VALU_DEP_1) | instskip(NEXT) | instid1(VALU_DEP_1)
	v_add_f32_e32 v26, v34, v26
	v_add_f32_e32 v57, v26, v27
.LBB669_46:                             ;   in Loop: Header=BB669_4 Depth=1
	s_or_b32 exec_lo, exec_lo, s7
	s_wait_loadcnt_dscnt 0x0
	v_dual_lshlrev_b32 v27, 16, v39 :: v_dual_lshlrev_b32 v26, 16, v40
	v_dual_lshlrev_b32 v29, 16, v38 :: v_dual_lshlrev_b32 v28, 16, v0
	s_delay_alu instid0(VALU_DEP_2) | instskip(NEXT) | instid1(VALU_DEP_1)
	v_pk_mul_f32 v[26:27], v[32:33], v[26:27]
	v_add_f32_e32 v26, v56, v26
	s_delay_alu instid0(VALU_DEP_1) | instskip(NEXT) | instid1(VALU_DEP_4)
	v_add_f32_e32 v0, v26, v27
	v_pk_mul_f32 v[26:27], v[30:31], v[28:29]
	s_delay_alu instid0(VALU_DEP_1) | instskip(NEXT) | instid1(VALU_DEP_1)
	v_add_f32_e32 v0, v0, v26
	v_add_f32_e32 v56, v0, v27
.LBB669_47:                             ;   in Loop: Header=BB669_4 Depth=1
	s_or_b32 exec_lo, exec_lo, s48
.LBB669_48:                             ;   in Loop: Header=BB669_4 Depth=1
	ds_store_2addr_b32 v53, v56, v57 offset1:32
	ds_store_2addr_b32 v53, v58, v59 offset0:64 offset1:96
	s_wait_dscnt 0x0
	s_barrier_signal -1
	s_barrier_wait -1
                                        ; implicit-def: $vgpr0
	s_and_saveexec_b32 s7, s5
	s_cbranch_execz .LBB669_54
; %bb.49:                               ;   in Loop: Header=BB669_4 Depth=1
	ds_load_2addr_stride64_b32 v[26:27], v54 offset1:2
	ds_load_2addr_stride64_b32 v[28:29], v54 offset0:4 offset1:6
	ds_load_2addr_stride64_b32 v[30:31], v54 offset0:8 offset1:10
	s_mov_b32 s9, s47
	s_wait_dscnt 0x2
	v_add_f32_e32 v0, v26, v27
	ds_load_2addr_stride64_b32 v[26:27], v54 offset0:12 offset1:14
	s_wait_dscnt 0x2
	v_add_f32_e32 v0, v28, v0
	s_delay_alu instid0(VALU_DEP_1) | instskip(SKIP_3) | instid1(VALU_DEP_1)
	v_add_f32_e32 v0, v29, v0
	ds_load_2addr_stride64_b32 v[28:29], v54 offset0:16 offset1:18
	s_wait_dscnt 0x2
	v_add_f32_e32 v0, v30, v0
	v_add_f32_e32 v0, v31, v0
	ds_load_2addr_stride64_b32 v[30:31], v54 offset0:20 offset1:22
	s_wait_dscnt 0x2
	v_add_f32_e32 v0, v26, v0
	s_delay_alu instid0(VALU_DEP_1) | instskip(SKIP_3) | instid1(VALU_DEP_1)
	v_add_f32_e32 v0, v27, v0
	ds_load_2addr_stride64_b32 v[26:27], v54 offset0:24 offset1:26
	s_wait_dscnt 0x2
	v_add_f32_e32 v0, v28, v0
	v_add_f32_e32 v0, v29, v0
	ds_load_2addr_stride64_b32 v[28:29], v54 offset0:28 offset1:30
	s_wait_dscnt 0x2
	v_add_f32_e32 v0, v30, v0
	s_delay_alu instid0(VALU_DEP_1) | instskip(SKIP_1) | instid1(VALU_DEP_1)
	v_add_f32_e32 v0, v31, v0
	s_wait_dscnt 0x1
	v_add_f32_e32 v0, v26, v0
	s_delay_alu instid0(VALU_DEP_1) | instskip(SKIP_1) | instid1(VALU_DEP_1)
	v_add_f32_e32 v0, v27, v0
	s_wait_dscnt 0x0
	v_add_f32_e32 v0, v28, v0
	s_delay_alu instid0(VALU_DEP_1)
	v_add_f32_e32 v26, v29, v0
                                        ; implicit-def: $vgpr0
	ds_store_b32 v54, v26
	s_and_saveexec_b32 s8, s6
	s_cbranch_execz .LBB669_53
; %bb.50:                               ;   in Loop: Header=BB669_4 Depth=1
	v_mul_f32_e32 v0, v55, v26
	s_cmp_eq_f32 s46, 0
	s_cbranch_scc1 .LBB669_52
; %bb.51:                               ;   in Loop: Header=BB669_4 Depth=1
	v_lshl_add_u64 v[26:27], v[4:5], 2, v[24:25]
	flat_load_b32 v26, v[26:27]
	s_wait_loadcnt_dscnt 0x0
	v_fmac_f32_e32 v0, s46, v26
.LBB669_52:                             ;   in Loop: Header=BB669_4 Depth=1
	s_or_b32 s9, s47, exec_lo
.LBB669_53:                             ;   in Loop: Header=BB669_4 Depth=1
	s_wait_xcnt 0x0
	s_or_b32 exec_lo, exec_lo, s8
	s_delay_alu instid0(SALU_CYCLE_1) | instskip(SKIP_1) | instid1(SALU_CYCLE_1)
	s_and_not1_b32 s8, s47, exec_lo
	s_and_b32 s9, s9, exec_lo
	s_or_b32 s47, s8, s9
.LBB669_54:                             ;   in Loop: Header=BB669_4 Depth=1
	s_or_b32 exec_lo, exec_lo, s7
	v_mov_b64_e32 v[26:27], v[4:5]
	s_and_saveexec_b32 s7, s47
	s_cbranch_execz .LBB669_2
.LBB669_55:                             ;   in Loop: Header=BB669_4 Depth=1
	s_delay_alu instid0(VALU_DEP_1)
	v_lshl_add_u64 v[24:25], v[26:27], 2, v[24:25]
	flat_store_b32 v[24:25], v0
	s_branch .LBB669_2
.LBB669_56:
	s_sendmsg sendmsg(MSG_DEALLOC_VGPRS)
	s_endpgm
	.section	.rodata,"a",@progbits
	.p2align	6, 0x0
	.amdhsa_kernel _ZL20rocblas_gemvn_kernelILi32ELi16ElPK16rocblas_bfloat16PKfKPfEviiT3_lPKT2_lT1_lSA_lSB_lS7_lPT4_lSB_li
		.amdhsa_group_segment_fixed_size 8192
		.amdhsa_private_segment_fixed_size 0
		.amdhsa_kernarg_size 400
		.amdhsa_user_sgpr_count 2
		.amdhsa_user_sgpr_dispatch_ptr 0
		.amdhsa_user_sgpr_queue_ptr 0
		.amdhsa_user_sgpr_kernarg_segment_ptr 1
		.amdhsa_user_sgpr_dispatch_id 0
		.amdhsa_user_sgpr_kernarg_preload_length 0
		.amdhsa_user_sgpr_kernarg_preload_offset 0
		.amdhsa_user_sgpr_private_segment_size 0
		.amdhsa_wavefront_size32 1
		.amdhsa_uses_dynamic_stack 0
		.amdhsa_enable_private_segment 0
		.amdhsa_system_sgpr_workgroup_id_x 1
		.amdhsa_system_sgpr_workgroup_id_y 0
		.amdhsa_system_sgpr_workgroup_id_z 1
		.amdhsa_system_sgpr_workgroup_info 0
		.amdhsa_system_vgpr_workitem_id 1
		.amdhsa_next_free_vgpr 76
		.amdhsa_next_free_sgpr 51
		.amdhsa_named_barrier_count 0
		.amdhsa_reserve_vcc 1
		.amdhsa_float_round_mode_32 0
		.amdhsa_float_round_mode_16_64 0
		.amdhsa_float_denorm_mode_32 3
		.amdhsa_float_denorm_mode_16_64 3
		.amdhsa_fp16_overflow 0
		.amdhsa_memory_ordered 1
		.amdhsa_forward_progress 1
		.amdhsa_inst_pref_size 26
		.amdhsa_round_robin_scheduling 0
		.amdhsa_exception_fp_ieee_invalid_op 0
		.amdhsa_exception_fp_denorm_src 0
		.amdhsa_exception_fp_ieee_div_zero 0
		.amdhsa_exception_fp_ieee_overflow 0
		.amdhsa_exception_fp_ieee_underflow 0
		.amdhsa_exception_fp_ieee_inexact 0
		.amdhsa_exception_int_div_zero 0
	.end_amdhsa_kernel
	.section	.text._ZL20rocblas_gemvn_kernelILi32ELi16ElPK16rocblas_bfloat16PKfKPfEviiT3_lPKT2_lT1_lSA_lSB_lS7_lPT4_lSB_li,"axG",@progbits,_ZL20rocblas_gemvn_kernelILi32ELi16ElPK16rocblas_bfloat16PKfKPfEviiT3_lPKT2_lT1_lSA_lSB_lS7_lPT4_lSB_li,comdat
.Lfunc_end669:
	.size	_ZL20rocblas_gemvn_kernelILi32ELi16ElPK16rocblas_bfloat16PKfKPfEviiT3_lPKT2_lT1_lSA_lSB_lS7_lPT4_lSB_li, .Lfunc_end669-_ZL20rocblas_gemvn_kernelILi32ELi16ElPK16rocblas_bfloat16PKfKPfEviiT3_lPKT2_lT1_lSA_lSB_lS7_lPT4_lSB_li
                                        ; -- End function
	.set _ZL20rocblas_gemvn_kernelILi32ELi16ElPK16rocblas_bfloat16PKfKPfEviiT3_lPKT2_lT1_lSA_lSB_lS7_lPT4_lSB_li.num_vgpr, 76
	.set _ZL20rocblas_gemvn_kernelILi32ELi16ElPK16rocblas_bfloat16PKfKPfEviiT3_lPKT2_lT1_lSA_lSB_lS7_lPT4_lSB_li.num_agpr, 0
	.set _ZL20rocblas_gemvn_kernelILi32ELi16ElPK16rocblas_bfloat16PKfKPfEviiT3_lPKT2_lT1_lSA_lSB_lS7_lPT4_lSB_li.numbered_sgpr, 51
	.set _ZL20rocblas_gemvn_kernelILi32ELi16ElPK16rocblas_bfloat16PKfKPfEviiT3_lPKT2_lT1_lSA_lSB_lS7_lPT4_lSB_li.num_named_barrier, 0
	.set _ZL20rocblas_gemvn_kernelILi32ELi16ElPK16rocblas_bfloat16PKfKPfEviiT3_lPKT2_lT1_lSA_lSB_lS7_lPT4_lSB_li.private_seg_size, 0
	.set _ZL20rocblas_gemvn_kernelILi32ELi16ElPK16rocblas_bfloat16PKfKPfEviiT3_lPKT2_lT1_lSA_lSB_lS7_lPT4_lSB_li.uses_vcc, 1
	.set _ZL20rocblas_gemvn_kernelILi32ELi16ElPK16rocblas_bfloat16PKfKPfEviiT3_lPKT2_lT1_lSA_lSB_lS7_lPT4_lSB_li.uses_flat_scratch, 1
	.set _ZL20rocblas_gemvn_kernelILi32ELi16ElPK16rocblas_bfloat16PKfKPfEviiT3_lPKT2_lT1_lSA_lSB_lS7_lPT4_lSB_li.has_dyn_sized_stack, 0
	.set _ZL20rocblas_gemvn_kernelILi32ELi16ElPK16rocblas_bfloat16PKfKPfEviiT3_lPKT2_lT1_lSA_lSB_lS7_lPT4_lSB_li.has_recursion, 0
	.set _ZL20rocblas_gemvn_kernelILi32ELi16ElPK16rocblas_bfloat16PKfKPfEviiT3_lPKT2_lT1_lSA_lSB_lS7_lPT4_lSB_li.has_indirect_call, 0
	.section	.AMDGPU.csdata,"",@progbits
; Kernel info:
; codeLenInByte = 3252
; TotalNumSgprs: 53
; NumVgprs: 76
; ScratchSize: 0
; MemoryBound: 0
; FloatMode: 240
; IeeeMode: 1
; LDSByteSize: 8192 bytes/workgroup (compile time only)
; SGPRBlocks: 0
; VGPRBlocks: 4
; NumSGPRsForWavesPerEU: 53
; NumVGPRsForWavesPerEU: 76
; NamedBarCnt: 0
; Occupancy: 12
; WaveLimiterHint : 1
; COMPUTE_PGM_RSRC2:SCRATCH_EN: 0
; COMPUTE_PGM_RSRC2:USER_SGPR: 2
; COMPUTE_PGM_RSRC2:TRAP_HANDLER: 0
; COMPUTE_PGM_RSRC2:TGID_X_EN: 1
; COMPUTE_PGM_RSRC2:TGID_Y_EN: 0
; COMPUTE_PGM_RSRC2:TGID_Z_EN: 1
; COMPUTE_PGM_RSRC2:TIDIG_COMP_CNT: 1
	.section	.text._ZL20rocblas_gemvn_kernelILi32ELi16EiPK16rocblas_bfloat16fKPfEviiT3_lPKT2_lT1_lS8_lS9_lS5_lPT4_lS9_li,"axG",@progbits,_ZL20rocblas_gemvn_kernelILi32ELi16EiPK16rocblas_bfloat16fKPfEviiT3_lPKT2_lT1_lS8_lS9_lS5_lPT4_lS9_li,comdat
	.globl	_ZL20rocblas_gemvn_kernelILi32ELi16EiPK16rocblas_bfloat16fKPfEviiT3_lPKT2_lT1_lS8_lS9_lS5_lPT4_lS9_li ; -- Begin function _ZL20rocblas_gemvn_kernelILi32ELi16EiPK16rocblas_bfloat16fKPfEviiT3_lPKT2_lT1_lS8_lS9_lS5_lPT4_lS9_li
	.p2align	8
	.type	_ZL20rocblas_gemvn_kernelILi32ELi16EiPK16rocblas_bfloat16fKPfEviiT3_lPKT2_lT1_lS8_lS9_lS5_lPT4_lS9_li,@function
_ZL20rocblas_gemvn_kernelILi32ELi16EiPK16rocblas_bfloat16fKPfEviiT3_lPKT2_lT1_lS8_lS9_lS5_lPT4_lS9_li: ; @_ZL20rocblas_gemvn_kernelILi32ELi16EiPK16rocblas_bfloat16fKPfEviiT3_lPKT2_lT1_lS8_lS9_lS5_lPT4_lS9_li
; %bb.0:
	s_clause 0x1
	s_load_b64 s[2:3], s[0:1], 0x9c
	s_load_b32 s23, s[0:1], 0x88
	s_bfe_u32 s4, ttmp6, 0x40014
	s_lshr_b32 s5, ttmp7, 16
	s_add_co_i32 s4, s4, 1
	s_bfe_u32 s6, ttmp6, 0x40008
	s_mul_i32 s7, s5, s4
	s_getreg_b32 s4, hwreg(HW_REG_IB_STS2, 6, 4)
	s_add_co_i32 s6, s6, s7
	s_mov_b32 s25, 0
	s_wait_kmcnt 0x0
	s_lshr_b32 s7, s2, 16
	s_and_b32 s2, s2, 0xffff
	s_and_b32 s3, s3, 0xffff
	s_mul_i32 s2, s7, s2
	s_cmp_eq_u32 s4, 0
	s_mul_i32 s2, s2, s3
	s_cselect_b32 s24, s5, s6
	s_cmp_lg_u32 s2, 0x200
	s_cselect_b32 s2, -1, 0
	s_cmp_ge_u32 s24, s23
	s_cselect_b32 s3, -1, 0
	s_delay_alu instid0(SALU_CYCLE_1) | instskip(NEXT) | instid1(SALU_CYCLE_1)
	s_or_b32 s2, s2, s3
	s_and_b32 vcc_lo, exec_lo, s2
	s_cbranch_vccnz .LBB670_58
; %bb.1:
	s_clause 0x7
	s_load_b32 s2, s[0:1], 0x78
	s_load_b96 s[20:22], s[0:1], 0x0
	s_load_b32 s26, s[0:1], 0x58
	s_load_b128 s[8:11], s[0:1], 0x68
	s_load_b32 s27, s[0:1], 0x28
	s_load_b128 s[12:15], s[0:1], 0x38
	;; [unrolled: 2-line block ×3, first 2 shown]
	v_and_b32_e32 v6, 0x3ff, v0
	v_bfe_u32 v7, v0, 10, 10
	s_delay_alu instid0(VALU_DEP_2) | instskip(NEXT) | instid1(VALU_DEP_2)
	v_dual_mov_b32 v1, 0 :: v_dual_lshlrev_b32 v0, 2, v6
	v_lshl_add_u32 v2, v7, 5, v6
	s_delay_alu instid0(VALU_DEP_2)
	v_lshl_add_u32 v25, v7, 9, v0
	v_lshl_add_u32 v26, v7, 7, v0
	s_wait_kmcnt 0x0
	s_ashr_i32 s3, s2, 31
	s_cmp_eq_f32 s22, 0
	v_cmp_gt_u32_e64 s0, 0x80, v2
	s_mov_b32 s6, s20
	s_cselect_b32 s29, -1, 0
	s_cmp_neq_f32 s26, 1.0
	s_cselect_b32 s1, -1, 0
	s_cmp_neq_f32 s22, 0
	s_cselect_b32 s5, -1, 0
	s_bfe_u32 s7, ttmp6, 0x4000c
	s_and_b32 s31, ttmp6, 15
	s_add_co_i32 s7, s7, 1
	s_or_b32 s30, s5, s1
	s_mul_i32 s7, ttmp9, s7
	v_cndmask_b32_e64 v27, 0, 1, s5
	s_add_co_i32 s31, s31, s7
	s_cmp_eq_u32 s4, 0
	s_cselect_b32 s1, ttmp9, s31
	s_ashr_i32 s7, s20, 31
	s_lshl_b32 s31, s1, 7
	s_delay_alu instid0(SALU_CYCLE_1) | instskip(SKIP_3) | instid1(VALU_DEP_3)
	v_dual_lshlrev_b32 v24, 2, v7 :: v_dual_add_nc_u32 v0, s31, v2
	v_add_nc_u32_e32 v28, s31, v6
	v_or_b32_e32 v5, s31, v2
	s_cmp_neq_f32 s26, 0
	v_or_b32_e32 v8, 2, v24
	v_mul_u64_e32 v[2:3], s[2:3], v[0:1]
	v_add_nc_u32_e32 v10, 64, v28
	v_add_nc_u32_e32 v11, 0x60, v28
	v_mul_lo_u32 v9, s27, v24
	v_cmp_gt_i64_e32 vcc_lo, s[6:7], v[0:1]
	v_add_nc_u32_e32 v0, 32, v28
	v_mul_lo_u32 v4, s2, v5
	v_cmp_gt_i32_e64 s4, s20, v10
	v_cmp_gt_i32_e64 s5, s20, v11
	v_mul_lo_u32 v10, v7, s27
	v_or_b32_e32 v11, 3, v24
	v_mul_lo_u32 v7, v7, s28
	s_cselect_b32 s33, -1, 0
	s_ashr_i32 s1, s21, 31
	v_mad_u32 v29, s27, v8, v6
	s_lshr_b32 s3, s1, 26
	v_mad_u32 v30, s27, v11, v6
	s_add_co_i32 s34, s21, s3
	v_mad_u32 v31, s28, v24, s28
	v_mul_lo_u32 v32, s28, v8
	v_mul_lo_u32 v33, s28, v11
	s_and_not1_b32 s34, s34, 63
	v_cmp_gt_i32_e64 s1, s20, v28
	s_sub_co_i32 s6, s21, s34
	v_cmp_gt_i32_e64 s2, s20, v5
	v_cmp_gt_i32_e64 s3, s20, v0
	s_cmp_gt_i32 s6, 0
	v_cmp_gt_i32_e64 s6, s34, v24
	v_ashrrev_i32_e32 v5, 31, v4
	v_add3_u32 v0, v9, s27, v6
	v_lshl_add_u32 v34, v10, 2, v6
	v_lshlrev_b32_e32 v35, 2, v7
	s_cselect_b32 s20, -1, 0
	s_and_b32 s35, s0, vcc_lo
	s_lshl_b32 s36, s27, 6
	s_lshl_b32 s37, s28, 6
	s_lshl_b64 s[18:19], s[18:19], 1
	s_lshl_b64 s[14:15], s[14:15], 1
	;; [unrolled: 1-line block ×3, first 2 shown]
	s_branch .LBB670_4
.LBB670_2:                              ;   in Loop: Header=BB670_4 Depth=1
	s_wait_xcnt 0x0
	s_or_b32 exec_lo, exec_lo, s7
.LBB670_3:                              ;   in Loop: Header=BB670_4 Depth=1
	s_add_co_i32 s24, s24, 0x10000
	s_delay_alu instid0(SALU_CYCLE_1)
	s_cmp_lt_u32 s24, s23
	s_cbranch_scc0 .LBB670_58
.LBB670_4:                              ; =>This Loop Header: Depth=1
                                        ;     Child Loop BB670_26 Depth 2
	s_and_not1_b32 vcc_lo, exec_lo, s30
	s_cbranch_vccnz .LBB670_3
; %bb.5:                                ;   in Loop: Header=BB670_4 Depth=1
	s_and_not1_b32 vcc_lo, exec_lo, s29
	s_cbranch_vccnz .LBB670_7
; %bb.6:                                ;   in Loop: Header=BB670_4 Depth=1
	v_mov_b64_e32 v[10:11], 0
	v_mov_b64_e32 v[8:9], 0
	s_cbranch_execz .LBB670_8
	s_branch .LBB670_9
.LBB670_7:                              ;   in Loop: Header=BB670_4 Depth=1
	v_mov_b64_e32 v[10:11], 0
	v_mov_b64_e32 v[8:9], 0
.LBB670_8:                              ;   in Loop: Header=BB670_4 Depth=1
	s_lshl_b64 s[38:39], s[24:25], 3
	s_delay_alu instid0(SALU_CYCLE_1)
	s_add_nc_u64 s[38:39], s[16:17], s[38:39]
	global_load_b64 v[6:7], v1, s[38:39]
	s_wait_loadcnt 0x0
	v_add_nc_u64_e32 v[8:9], s[18:19], v[6:7]
.LBB670_9:                              ;   in Loop: Header=BB670_4 Depth=1
	v_cmp_ne_u32_e32 vcc_lo, 1, v27
	s_cbranch_vccnz .LBB670_11
; %bb.10:                               ;   in Loop: Header=BB670_4 Depth=1
	s_wait_xcnt 0x0
	s_lshl_b64 s[38:39], s[24:25], 3
	s_delay_alu instid0(SALU_CYCLE_1)
	s_add_nc_u64 s[38:39], s[12:13], s[38:39]
	global_load_b64 v[6:7], v1, s[38:39]
	s_wait_loadcnt 0x0
	v_add_nc_u64_e32 v[10:11], s[14:15], v[6:7]
.LBB670_11:                             ;   in Loop: Header=BB670_4 Depth=1
	s_wait_xcnt 0x0
	s_lshl_b64 s[38:39], s[24:25], 3
	s_and_not1_b32 vcc_lo, exec_lo, s29
	s_add_nc_u64 s[38:39], s[8:9], s[38:39]
	global_load_b64 v[6:7], v1, s[38:39]
	s_wait_loadcnt 0x0
	v_add_nc_u64_e32 v[6:7], s[10:11], v[6:7]
	s_cbranch_vccnz .LBB670_15
; %bb.12:                               ;   in Loop: Header=BB670_4 Depth=1
	s_mov_b32 s7, 0
	s_wait_xcnt 0x0
	s_mov_b32 s38, 0
                                        ; implicit-def: $vgpr12
	s_and_saveexec_b32 s39, s35
	s_cbranch_execz .LBB670_16
; %bb.13:                               ;   in Loop: Header=BB670_4 Depth=1
	s_and_not1_b32 vcc_lo, exec_lo, s33
	s_cbranch_vccnz .LBB670_18
; %bb.14:                               ;   in Loop: Header=BB670_4 Depth=1
	v_lshl_add_u64 v[12:13], v[2:3], 2, v[6:7]
	flat_load_b32 v12, v[12:13]
	s_wait_loadcnt_dscnt 0x0
	s_wait_xcnt 0x0
	v_mul_f32_e32 v12, s26, v12
	s_branch .LBB670_19
.LBB670_15:                             ;   in Loop: Header=BB670_4 Depth=1
	s_wait_xcnt 0x0
	s_mov_b32 s38, 0
                                        ; implicit-def: $vgpr12
	s_cbranch_execz .LBB670_17
	s_branch .LBB670_20
.LBB670_16:                             ;   in Loop: Header=BB670_4 Depth=1
	s_or_b32 exec_lo, exec_lo, s39
	s_delay_alu instid0(SALU_CYCLE_1)
	s_and_b32 vcc_lo, exec_lo, s7
	s_cbranch_vccnz .LBB670_20
.LBB670_17:                             ;   in Loop: Header=BB670_4 Depth=1
	v_mov_b64_e32 v[8:9], v[2:3]
	s_and_saveexec_b32 s7, s38
	s_cbranch_execz .LBB670_2
	s_branch .LBB670_57
.LBB670_18:                             ;   in Loop: Header=BB670_4 Depth=1
	v_mov_b32_e32 v12, 0
.LBB670_19:                             ;   in Loop: Header=BB670_4 Depth=1
	s_mov_b32 s38, exec_lo
	s_or_b32 exec_lo, exec_lo, s39
	s_delay_alu instid0(SALU_CYCLE_1)
	s_and_b32 vcc_lo, exec_lo, s7
	s_cbranch_vccz .LBB670_17
.LBB670_20:                             ;   in Loop: Header=BB670_4 Depth=1
	v_dual_mov_b32 v36, 0 :: v_dual_mov_b32 v40, v24
	v_dual_mov_b32 v37, 0 :: v_dual_mov_b32 v38, 0
	v_mov_b32_e32 v39, 0
	s_and_saveexec_b32 s7, s6
	s_cbranch_execz .LBB670_32
; %bb.21:                               ;   in Loop: Header=BB670_4 Depth=1
	v_dual_mov_b32 v36, 0 :: v_dual_mov_b32 v41, v34
	v_dual_mov_b32 v42, v30 :: v_dual_mov_b32 v43, v29
	;; [unrolled: 1-line block ×4, first 2 shown]
	v_mov_b32_e32 v39, 0
	s_mov_b32 s39, 0
	s_mov_b32 s40, 0
	s_branch .LBB670_26
.LBB670_22:                             ;   in Loop: Header=BB670_26 Depth=2
	s_or_b32 exec_lo, exec_lo, s44
	s_wait_loadcnt_dscnt 0x202
	v_dual_lshlrev_b32 v17, 16, v56 :: v_dual_lshlrev_b32 v16, 16, v55
	s_delay_alu instid0(VALU_DEP_1) | instskip(SKIP_1) | instid1(VALU_DEP_1)
	v_pk_mul_f32 v[16:17], v[14:15], v[16:17]
	s_wait_loadcnt_dscnt 0x0
	v_dual_add_f32 v16, v38, v16 :: v_dual_lshlrev_b32 v19, 16, v54
	s_delay_alu instid0(VALU_DEP_1) | instskip(SKIP_1) | instid1(VALU_DEP_1)
	v_add_f32_e32 v20, v16, v17
	v_lshlrev_b32_e32 v18, 16, v53
	v_pk_mul_f32 v[16:17], v[12:13], v[18:19]
	s_delay_alu instid0(VALU_DEP_1) | instskip(NEXT) | instid1(VALU_DEP_1)
	v_add_f32_e32 v16, v20, v16
	v_add_f32_e32 v38, v16, v17
.LBB670_23:                             ;   in Loop: Header=BB670_26 Depth=2
	s_or_b32 exec_lo, exec_lo, s43
	s_wait_loadcnt_dscnt 0x202
	v_dual_lshlrev_b32 v17, 16, v52 :: v_dual_lshlrev_b32 v16, 16, v51
	s_delay_alu instid0(VALU_DEP_1) | instskip(SKIP_1) | instid1(VALU_DEP_1)
	v_pk_mul_f32 v[16:17], v[14:15], v[16:17]
	s_wait_loadcnt_dscnt 0x0
	v_dual_add_f32 v16, v37, v16 :: v_dual_lshlrev_b32 v19, 16, v50
	s_delay_alu instid0(VALU_DEP_1) | instskip(SKIP_1) | instid1(VALU_DEP_1)
	v_add_f32_e32 v20, v16, v17
	v_lshlrev_b32_e32 v18, 16, v49
	v_pk_mul_f32 v[16:17], v[12:13], v[18:19]
	s_delay_alu instid0(VALU_DEP_1) | instskip(NEXT) | instid1(VALU_DEP_1)
	v_add_f32_e32 v16, v20, v16
	v_add_f32_e32 v37, v16, v17
.LBB670_24:                             ;   in Loop: Header=BB670_26 Depth=2
	s_or_b32 exec_lo, exec_lo, s42
	s_wait_loadcnt_dscnt 0x202
	v_dual_lshlrev_b32 v17, 16, v48 :: v_dual_lshlrev_b32 v16, 16, v47
	s_delay_alu instid0(VALU_DEP_1) | instskip(SKIP_2) | instid1(VALU_DEP_2)
	v_pk_mul_f32 v[14:15], v[14:15], v[16:17]
	s_wait_loadcnt_dscnt 0x0
	v_dual_lshlrev_b32 v17, 16, v46 :: v_dual_lshlrev_b32 v16, 16, v45
	v_add_f32_e32 v14, v36, v14
	s_delay_alu instid0(VALU_DEP_2) | instskip(NEXT) | instid1(VALU_DEP_2)
	v_pk_mul_f32 v[12:13], v[12:13], v[16:17]
	v_add_f32_e32 v14, v14, v15
	s_delay_alu instid0(VALU_DEP_1) | instskip(NEXT) | instid1(VALU_DEP_1)
	v_add_f32_e32 v12, v14, v12
	v_add_f32_e32 v36, v12, v13
.LBB670_25:                             ;   in Loop: Header=BB670_26 Depth=2
	s_or_b32 exec_lo, exec_lo, s41
	v_dual_add_nc_u32 v40, 64, v40 :: v_dual_add_nc_u32 v43, s36, v43
	v_dual_add_nc_u32 v44, s36, v44 :: v_dual_add_nc_u32 v42, s36, v42
	v_add_nc_u32_e32 v41, s36, v41
	s_delay_alu instid0(VALU_DEP_3) | instskip(SKIP_2) | instid1(SALU_CYCLE_1)
	v_cmp_le_i32_e32 vcc_lo, s34, v40
	s_add_co_i32 s40, s40, s37
	s_or_b32 s39, vcc_lo, s39
	s_and_not1_b32 exec_lo, exec_lo, s39
	s_cbranch_execz .LBB670_31
.LBB670_26:                             ;   Parent Loop BB670_4 Depth=1
                                        ; =>  This Inner Loop Header: Depth=2
	s_and_saveexec_b32 s41, s1
	s_cbranch_execz .LBB670_25
; %bb.27:                               ;   in Loop: Header=BB670_26 Depth=2
	v_dual_add_nc_u32 v12, s40, v35 :: v_dual_add_nc_u32 v14, s40, v32
	v_readfirstlane_b32 s42, v10
	v_readfirstlane_b32 s43, v11
	v_dual_add_nc_u32 v13, s40, v31 :: v_dual_add_nc_u32 v15, s40, v33
	s_clause 0x3
	flat_load_u16 v17, v12, s[42:43] scale_offset
	flat_load_u16 v19, v13, s[42:43] scale_offset
	;; [unrolled: 1-line block ×4, first 2 shown]
	v_dual_add_nc_u32 v16, s31, v41 :: v_dual_add_nc_u32 v18, s31, v44
	s_wait_xcnt 0x0
	v_readfirstlane_b32 s42, v8
	v_readfirstlane_b32 s43, v9
	v_dual_add_nc_u32 v20, s31, v43 :: v_dual_add_nc_u32 v22, s31, v42
	s_clause 0x3
	flat_load_u16 v47, v16, s[42:43] scale_offset
	flat_load_u16 v48, v18, s[42:43] scale_offset
	flat_load_u16 v45, v20, s[42:43] scale_offset
	flat_load_u16 v46, v22, s[42:43] scale_offset
	s_wait_loadcnt_dscnt 0x606
	v_dual_lshlrev_b32 v14, 16, v17 :: v_dual_lshlrev_b32 v15, 16, v19
	s_wait_loadcnt_dscnt 0x404
	v_dual_lshlrev_b32 v12, 16, v21 :: v_dual_lshlrev_b32 v13, 16, v23
	s_wait_xcnt 0x0
	s_and_saveexec_b32 s42, s3
	s_cbranch_execz .LBB670_24
; %bb.28:                               ;   in Loop: Header=BB670_26 Depth=2
	v_dual_ashrrev_i32 v17, 31, v16 :: v_dual_ashrrev_i32 v19, 31, v18
	v_dual_ashrrev_i32 v21, 31, v20 :: v_dual_ashrrev_i32 v23, 31, v22
	s_delay_alu instid0(VALU_DEP_2) | instskip(NEXT) | instid1(VALU_DEP_3)
	v_lshl_add_u64 v[16:17], v[16:17], 1, v[8:9]
	v_lshl_add_u64 v[18:19], v[18:19], 1, v[8:9]
	s_delay_alu instid0(VALU_DEP_3) | instskip(NEXT) | instid1(VALU_DEP_4)
	v_lshl_add_u64 v[20:21], v[20:21], 1, v[8:9]
	v_lshl_add_u64 v[22:23], v[22:23], 1, v[8:9]
	s_clause 0x3
	flat_load_u16 v51, v[16:17] offset:64
	flat_load_u16 v52, v[18:19] offset:64
	;; [unrolled: 1-line block ×4, first 2 shown]
	s_wait_xcnt 0x0
	s_and_saveexec_b32 s43, s4
	s_cbranch_execz .LBB670_23
; %bb.29:                               ;   in Loop: Header=BB670_26 Depth=2
	s_clause 0x3
	flat_load_u16 v55, v[16:17] offset:128
	flat_load_u16 v56, v[18:19] offset:128
	;; [unrolled: 1-line block ×4, first 2 shown]
	s_wait_xcnt 0x0
	s_and_saveexec_b32 s44, s5
	s_cbranch_execz .LBB670_22
; %bb.30:                               ;   in Loop: Header=BB670_26 Depth=2
	s_clause 0x3
	flat_load_u16 v57, v[18:19] offset:192
	flat_load_u16 v58, v[16:17] offset:192
	;; [unrolled: 1-line block ×4, first 2 shown]
	s_wait_loadcnt_dscnt 0x202
	s_wait_xcnt 0x2
	v_dual_lshlrev_b32 v17, 16, v57 :: v_dual_lshlrev_b32 v16, 16, v58
	s_delay_alu instid0(VALU_DEP_1) | instskip(SKIP_1) | instid1(VALU_DEP_1)
	v_pk_mul_f32 v[16:17], v[14:15], v[16:17]
	s_wait_loadcnt_dscnt 0x101
	v_dual_add_f32 v16, v39, v16 :: v_dual_lshlrev_b32 v19, 16, v59
	s_wait_loadcnt_dscnt 0x0
	s_wait_xcnt 0x0
	s_delay_alu instid0(VALU_DEP_1) | instskip(NEXT) | instid1(VALU_DEP_1)
	v_dual_lshlrev_b32 v18, 16, v60 :: v_dual_add_f32 v20, v16, v17
	v_pk_mul_f32 v[16:17], v[12:13], v[18:19]
	s_delay_alu instid0(VALU_DEP_1) | instskip(NEXT) | instid1(VALU_DEP_1)
	v_add_f32_e32 v16, v20, v16
	v_add_f32_e32 v39, v16, v17
	s_branch .LBB670_22
.LBB670_31:                             ;   in Loop: Header=BB670_4 Depth=1
	s_or_b32 exec_lo, exec_lo, s39
.LBB670_32:                             ;   in Loop: Header=BB670_4 Depth=1
	s_delay_alu instid0(SALU_CYCLE_1) | instskip(NEXT) | instid1(SALU_CYCLE_1)
	s_or_b32 exec_lo, exec_lo, s7
	s_and_not1_b32 vcc_lo, exec_lo, s20
	s_cbranch_vccnz .LBB670_50
; %bb.33:                               ;   in Loop: Header=BB670_4 Depth=1
	v_dual_mov_b32 v12, 0 :: v_dual_bitop2_b32 v16, 1, v40 bitop3:0x54
	v_cmp_gt_i32_e32 vcc_lo, s21, v40
	s_delay_alu instid0(VALU_DEP_2)
	v_dual_mov_b32 v13, v12 :: v_dual_mov_b32 v14, v12
	v_mov_b32_e32 v15, v12
	s_and_saveexec_b32 s39, vcc_lo
	s_cbranch_execz .LBB670_41
; %bb.34:                               ;   in Loop: Header=BB670_4 Depth=1
	v_mul_lo_u32 v12, v40, s28
	v_readfirstlane_b32 s40, v10
	v_readfirstlane_b32 s41, v11
	v_dual_mov_b32 v15, 0 :: v_dual_mov_b32 v13, 0
	flat_load_u16 v14, v12, s[40:41] scale_offset
	s_wait_xcnt 0x0
	v_mov_b32_e32 v12, 0
	s_mov_b32 s40, exec_lo
	v_cmpx_gt_i32_e64 s21, v16
	s_cbranch_execz .LBB670_40
; %bb.35:                               ;   in Loop: Header=BB670_4 Depth=1
	v_mul_lo_u32 v12, v16, s28
	v_readfirstlane_b32 s42, v10
	v_readfirstlane_b32 s43, v11
	v_dual_mov_b32 v13, 0 :: v_dual_bitop2_b32 v17, 2, v40 bitop3:0x54
	s_mov_b32 s41, exec_lo
	flat_load_u16 v15, v12, s[42:43] scale_offset
	s_wait_xcnt 0x0
	v_mov_b32_e32 v12, 0
	v_cmpx_gt_i32_e64 s21, v17
	s_cbranch_execz .LBB670_39
; %bb.36:                               ;   in Loop: Header=BB670_4 Depth=1
	v_mul_lo_u32 v12, v17, s28
	v_readfirstlane_b32 s42, v10
	v_readfirstlane_b32 s43, v11
	v_dual_mov_b32 v13, 0 :: v_dual_bitop2_b32 v17, 3, v40 bitop3:0x54
	flat_load_u16 v12, v12, s[42:43] scale_offset
	s_wait_xcnt 0x0
	s_mov_b32 s42, exec_lo
	v_cmpx_gt_i32_e64 s21, v17
	s_cbranch_execz .LBB670_38
; %bb.37:                               ;   in Loop: Header=BB670_4 Depth=1
	v_mul_lo_u32 v13, v17, s28
	v_readfirstlane_b32 s44, v10
	v_readfirstlane_b32 s45, v11
	flat_load_u16 v10, v13, s[44:45] scale_offset
	s_wait_loadcnt_dscnt 0x0
	s_wait_xcnt 0x0
	v_lshlrev_b32_e32 v13, 16, v10
.LBB670_38:                             ;   in Loop: Header=BB670_4 Depth=1
	s_or_b32 exec_lo, exec_lo, s42
	s_wait_loadcnt_dscnt 0x0
	v_lshlrev_b32_e32 v12, 16, v12
.LBB670_39:                             ;   in Loop: Header=BB670_4 Depth=1
	s_or_b32 exec_lo, exec_lo, s41
	s_wait_loadcnt_dscnt 0x0
	v_lshlrev_b32_e32 v15, 16, v15
.LBB670_40:                             ;   in Loop: Header=BB670_4 Depth=1
	s_or_b32 exec_lo, exec_lo, s40
	s_wait_loadcnt_dscnt 0x0
	v_lshlrev_b32_e32 v14, 16, v14
.LBB670_41:                             ;   in Loop: Header=BB670_4 Depth=1
	s_or_b32 exec_lo, exec_lo, s39
	s_and_saveexec_b32 s39, s1
	s_cbranch_execz .LBB670_49
; %bb.42:                               ;   in Loop: Header=BB670_4 Depth=1
	v_mul_lo_u32 v17, v16, s27
	v_cmp_gt_i32_e64 s7, s21, v16
	v_or_b32_e32 v10, 2, v40
	v_mul_lo_u32 v20, v40, s27
	v_readfirstlane_b32 s40, v8
	v_readfirstlane_b32 s41, v9
	v_cndmask_b32_e64 v16, 0, v17, s7
	v_mul_lo_u32 v18, v10, s27
	v_cmp_gt_i32_e64 s7, s21, v10
	v_or_b32_e32 v11, 3, v40
	s_delay_alu instid0(VALU_DEP_2) | instskip(NEXT) | instid1(VALU_DEP_2)
	v_dual_cndmask_b32 v17, 0, v20, vcc_lo :: v_dual_cndmask_b32 v10, 0, v18, s7
	v_mul_lo_u32 v19, v11, s27
	v_cmp_gt_i32_e64 s7, s21, v11
	s_delay_alu instid0(VALU_DEP_3) | instskip(NEXT) | instid1(VALU_DEP_2)
	v_dual_add_nc_u32 v16, v16, v28 :: v_dual_add_nc_u32 v18, v10, v28
	v_dual_add_nc_u32 v10, v17, v28 :: v_dual_cndmask_b32 v11, 0, v19, s7
	s_delay_alu instid0(VALU_DEP_1)
	v_add_nc_u32_e32 v20, v11, v28
	s_clause 0x3
	flat_load_u16 v40, v16, s[40:41] scale_offset
	flat_load_u16 v22, v18, s[40:41] scale_offset
	;; [unrolled: 1-line block ×4, first 2 shown]
	s_wait_xcnt 0x0
	s_and_saveexec_b32 s7, s3
	s_cbranch_execz .LBB670_48
; %bb.43:                               ;   in Loop: Header=BB670_4 Depth=1
	v_dual_ashrrev_i32 v11, 31, v10 :: v_dual_ashrrev_i32 v17, 31, v16
	v_dual_ashrrev_i32 v19, 31, v18 :: v_dual_ashrrev_i32 v21, 31, v20
	s_delay_alu instid0(VALU_DEP_2) | instskip(NEXT) | instid1(VALU_DEP_3)
	v_lshl_add_u64 v[10:11], v[10:11], 1, v[8:9]
	v_lshl_add_u64 v[16:17], v[16:17], 1, v[8:9]
	s_delay_alu instid0(VALU_DEP_3) | instskip(NEXT) | instid1(VALU_DEP_4)
	v_lshl_add_u64 v[18:19], v[18:19], 1, v[8:9]
	v_lshl_add_u64 v[8:9], v[20:21], 1, v[8:9]
	s_clause 0x3
	flat_load_u16 v42, v[10:11] offset:64
	flat_load_u16 v43, v[16:17] offset:64
	;; [unrolled: 1-line block ×4, first 2 shown]
	s_wait_xcnt 0x0
	s_and_saveexec_b32 s40, s4
	s_cbranch_execz .LBB670_47
; %bb.44:                               ;   in Loop: Header=BB670_4 Depth=1
	s_clause 0x3
	flat_load_u16 v46, v[10:11] offset:128
	flat_load_u16 v47, v[16:17] offset:128
	;; [unrolled: 1-line block ×4, first 2 shown]
	s_wait_xcnt 0x0
	s_and_saveexec_b32 s41, s5
	s_cbranch_execz .LBB670_46
; %bb.45:                               ;   in Loop: Header=BB670_4 Depth=1
	s_clause 0x3
	flat_load_u16 v48, v[16:17] offset:192
	flat_load_u16 v49, v[10:11] offset:192
	;; [unrolled: 1-line block ×4, first 2 shown]
	s_wait_loadcnt_dscnt 0x202
	s_wait_xcnt 0x1
	v_dual_lshlrev_b32 v9, 16, v48 :: v_dual_lshlrev_b32 v8, 16, v49
	s_delay_alu instid0(VALU_DEP_1) | instskip(SKIP_1) | instid1(VALU_DEP_1)
	v_pk_mul_f32 v[8:9], v[14:15], v[8:9]
	s_wait_loadcnt_dscnt 0x101
	v_dual_add_f32 v8, v39, v8 :: v_dual_lshlrev_b32 v11, 16, v50
	s_wait_loadcnt_dscnt 0x0
	s_delay_alu instid0(VALU_DEP_1) | instskip(NEXT) | instid1(VALU_DEP_1)
	v_dual_lshlrev_b32 v10, 16, v51 :: v_dual_add_f32 v16, v8, v9
	v_pk_mul_f32 v[8:9], v[12:13], v[10:11]
	s_delay_alu instid0(VALU_DEP_1) | instskip(NEXT) | instid1(VALU_DEP_1)
	v_add_f32_e32 v8, v16, v8
	v_add_f32_e32 v39, v8, v9
.LBB670_46:                             ;   in Loop: Header=BB670_4 Depth=1
	s_wait_xcnt 0x0
	s_or_b32 exec_lo, exec_lo, s41
	s_wait_loadcnt_dscnt 0x202
	v_dual_lshlrev_b32 v9, 16, v47 :: v_dual_lshlrev_b32 v8, 16, v46
	s_delay_alu instid0(VALU_DEP_1) | instskip(SKIP_1) | instid1(VALU_DEP_1)
	v_pk_mul_f32 v[8:9], v[14:15], v[8:9]
	s_wait_loadcnt_dscnt 0x0
	v_dual_add_f32 v8, v38, v8 :: v_dual_lshlrev_b32 v11, 16, v45
	s_delay_alu instid0(VALU_DEP_1) | instskip(NEXT) | instid1(VALU_DEP_1)
	v_dual_lshlrev_b32 v10, 16, v44 :: v_dual_add_f32 v16, v8, v9
	v_pk_mul_f32 v[8:9], v[12:13], v[10:11]
	s_delay_alu instid0(VALU_DEP_1) | instskip(NEXT) | instid1(VALU_DEP_1)
	v_add_f32_e32 v8, v16, v8
	v_add_f32_e32 v38, v8, v9
.LBB670_47:                             ;   in Loop: Header=BB670_4 Depth=1
	s_or_b32 exec_lo, exec_lo, s40
	s_wait_loadcnt_dscnt 0x202
	v_dual_lshlrev_b32 v9, 16, v43 :: v_dual_lshlrev_b32 v8, 16, v42
	s_delay_alu instid0(VALU_DEP_1) | instskip(SKIP_1) | instid1(VALU_DEP_1)
	v_pk_mul_f32 v[8:9], v[14:15], v[8:9]
	s_wait_loadcnt_dscnt 0x0
	v_dual_add_f32 v8, v37, v8 :: v_dual_lshlrev_b32 v11, 16, v21
	s_delay_alu instid0(VALU_DEP_1) | instskip(NEXT) | instid1(VALU_DEP_1)
	v_dual_lshlrev_b32 v10, 16, v20 :: v_dual_add_f32 v16, v8, v9
	v_pk_mul_f32 v[8:9], v[12:13], v[10:11]
	s_delay_alu instid0(VALU_DEP_1) | instskip(NEXT) | instid1(VALU_DEP_1)
	v_add_f32_e32 v8, v16, v8
	v_add_f32_e32 v37, v8, v9
.LBB670_48:                             ;   in Loop: Header=BB670_4 Depth=1
	s_or_b32 exec_lo, exec_lo, s7
	s_wait_loadcnt_dscnt 0x0
	v_dual_lshlrev_b32 v9, 16, v40 :: v_dual_lshlrev_b32 v8, 16, v41
	s_delay_alu instid0(VALU_DEP_1) | instskip(NEXT) | instid1(VALU_DEP_1)
	v_pk_mul_f32 v[8:9], v[14:15], v[8:9]
	v_dual_add_f32 v8, v36, v8 :: v_dual_lshlrev_b32 v11, 16, v23
	s_delay_alu instid0(VALU_DEP_1) | instskip(NEXT) | instid1(VALU_DEP_1)
	v_dual_lshlrev_b32 v10, 16, v22 :: v_dual_add_f32 v14, v8, v9
	v_pk_mul_f32 v[8:9], v[12:13], v[10:11]
	s_delay_alu instid0(VALU_DEP_1) | instskip(NEXT) | instid1(VALU_DEP_1)
	v_add_f32_e32 v8, v14, v8
	v_add_f32_e32 v36, v8, v9
.LBB670_49:                             ;   in Loop: Header=BB670_4 Depth=1
	s_or_b32 exec_lo, exec_lo, s39
.LBB670_50:                             ;   in Loop: Header=BB670_4 Depth=1
	ds_store_2addr_b32 v25, v36, v37 offset1:32
	ds_store_2addr_b32 v25, v38, v39 offset0:64 offset1:96
	s_wait_dscnt 0x0
	s_barrier_signal -1
	s_barrier_wait -1
                                        ; implicit-def: $vgpr12
	s_and_saveexec_b32 s7, s0
	s_cbranch_execz .LBB670_56
; %bb.51:                               ;   in Loop: Header=BB670_4 Depth=1
	ds_load_2addr_stride64_b32 v[8:9], v26 offset1:2
	ds_load_2addr_stride64_b32 v[10:11], v26 offset0:4 offset1:6
	ds_load_2addr_stride64_b32 v[12:13], v26 offset0:8 offset1:10
	s_mov_b32 s40, s38
	s_wait_dscnt 0x2
	v_add_f32_e32 v14, v8, v9
	ds_load_2addr_stride64_b32 v[8:9], v26 offset0:12 offset1:14
	s_wait_dscnt 0x2
	v_add_f32_e32 v10, v10, v14
	s_delay_alu instid0(VALU_DEP_1) | instskip(SKIP_3) | instid1(VALU_DEP_1)
	v_add_f32_e32 v14, v11, v10
	ds_load_2addr_stride64_b32 v[10:11], v26 offset0:16 offset1:18
	s_wait_dscnt 0x2
	v_add_f32_e32 v12, v12, v14
	v_add_f32_e32 v14, v13, v12
	ds_load_2addr_stride64_b32 v[12:13], v26 offset0:20 offset1:22
	s_wait_dscnt 0x2
	v_add_f32_e32 v8, v8, v14
	s_delay_alu instid0(VALU_DEP_1) | instskip(SKIP_1) | instid1(VALU_DEP_1)
	v_add_f32_e32 v8, v9, v8
	s_wait_dscnt 0x1
	v_add_f32_e32 v10, v10, v8
	ds_load_2addr_stride64_b32 v[8:9], v26 offset0:24 offset1:26
	v_add_f32_e32 v10, v11, v10
	s_wait_dscnt 0x1
	s_delay_alu instid0(VALU_DEP_1) | instskip(SKIP_3) | instid1(VALU_DEP_1)
	v_add_f32_e32 v12, v12, v10
	ds_load_2addr_stride64_b32 v[10:11], v26 offset0:28 offset1:30
	v_add_f32_e32 v12, v13, v12
	s_wait_dscnt 0x1
	v_add_f32_e32 v8, v8, v12
                                        ; implicit-def: $vgpr12
	s_delay_alu instid0(VALU_DEP_1) | instskip(SKIP_1) | instid1(VALU_DEP_1)
	v_add_f32_e32 v8, v9, v8
	s_wait_dscnt 0x0
	v_add_f32_e32 v8, v10, v8
	s_delay_alu instid0(VALU_DEP_1)
	v_add_f32_e32 v8, v11, v8
	ds_store_b32 v26, v8
	s_and_saveexec_b32 s39, s2
	s_cbranch_execz .LBB670_55
; %bb.52:                               ;   in Loop: Header=BB670_4 Depth=1
	v_mul_f32_e32 v12, s22, v8
	s_and_not1_b32 vcc_lo, exec_lo, s33
	s_cbranch_vccnz .LBB670_54
; %bb.53:                               ;   in Loop: Header=BB670_4 Depth=1
	v_lshl_add_u64 v[8:9], v[4:5], 2, v[6:7]
	flat_load_b32 v8, v[8:9]
	s_wait_loadcnt_dscnt 0x0
	v_fmac_f32_e32 v12, s26, v8
.LBB670_54:                             ;   in Loop: Header=BB670_4 Depth=1
	s_or_b32 s40, s38, exec_lo
.LBB670_55:                             ;   in Loop: Header=BB670_4 Depth=1
	s_wait_xcnt 0x0
	s_or_b32 exec_lo, exec_lo, s39
	s_delay_alu instid0(SALU_CYCLE_1) | instskip(SKIP_1) | instid1(SALU_CYCLE_1)
	s_and_not1_b32 s38, s38, exec_lo
	s_and_b32 s39, s40, exec_lo
	s_or_b32 s38, s38, s39
.LBB670_56:                             ;   in Loop: Header=BB670_4 Depth=1
	s_or_b32 exec_lo, exec_lo, s7
	v_mov_b64_e32 v[8:9], v[4:5]
	s_and_saveexec_b32 s7, s38
	s_cbranch_execz .LBB670_2
.LBB670_57:                             ;   in Loop: Header=BB670_4 Depth=1
	s_delay_alu instid0(VALU_DEP_1)
	v_lshl_add_u64 v[6:7], v[8:9], 2, v[6:7]
	flat_store_b32 v[6:7], v12
	s_branch .LBB670_2
.LBB670_58:
	s_endpgm
	.section	.rodata,"a",@progbits
	.p2align	6, 0x0
	.amdhsa_kernel _ZL20rocblas_gemvn_kernelILi32ELi16EiPK16rocblas_bfloat16fKPfEviiT3_lPKT2_lT1_lS8_lS9_lS5_lPT4_lS9_li
		.amdhsa_group_segment_fixed_size 8192
		.amdhsa_private_segment_fixed_size 0
		.amdhsa_kernarg_size 400
		.amdhsa_user_sgpr_count 2
		.amdhsa_user_sgpr_dispatch_ptr 0
		.amdhsa_user_sgpr_queue_ptr 0
		.amdhsa_user_sgpr_kernarg_segment_ptr 1
		.amdhsa_user_sgpr_dispatch_id 0
		.amdhsa_user_sgpr_kernarg_preload_length 0
		.amdhsa_user_sgpr_kernarg_preload_offset 0
		.amdhsa_user_sgpr_private_segment_size 0
		.amdhsa_wavefront_size32 1
		.amdhsa_uses_dynamic_stack 0
		.amdhsa_enable_private_segment 0
		.amdhsa_system_sgpr_workgroup_id_x 1
		.amdhsa_system_sgpr_workgroup_id_y 0
		.amdhsa_system_sgpr_workgroup_id_z 1
		.amdhsa_system_sgpr_workgroup_info 0
		.amdhsa_system_vgpr_workitem_id 1
		.amdhsa_next_free_vgpr 61
		.amdhsa_next_free_sgpr 46
		.amdhsa_named_barrier_count 0
		.amdhsa_reserve_vcc 1
		.amdhsa_float_round_mode_32 0
		.amdhsa_float_round_mode_16_64 0
		.amdhsa_float_denorm_mode_32 3
		.amdhsa_float_denorm_mode_16_64 3
		.amdhsa_fp16_overflow 0
		.amdhsa_memory_ordered 1
		.amdhsa_forward_progress 1
		.amdhsa_inst_pref_size 26
		.amdhsa_round_robin_scheduling 0
		.amdhsa_exception_fp_ieee_invalid_op 0
		.amdhsa_exception_fp_denorm_src 0
		.amdhsa_exception_fp_ieee_div_zero 0
		.amdhsa_exception_fp_ieee_overflow 0
		.amdhsa_exception_fp_ieee_underflow 0
		.amdhsa_exception_fp_ieee_inexact 0
		.amdhsa_exception_int_div_zero 0
	.end_amdhsa_kernel
	.section	.text._ZL20rocblas_gemvn_kernelILi32ELi16EiPK16rocblas_bfloat16fKPfEviiT3_lPKT2_lT1_lS8_lS9_lS5_lPT4_lS9_li,"axG",@progbits,_ZL20rocblas_gemvn_kernelILi32ELi16EiPK16rocblas_bfloat16fKPfEviiT3_lPKT2_lT1_lS8_lS9_lS5_lPT4_lS9_li,comdat
.Lfunc_end670:
	.size	_ZL20rocblas_gemvn_kernelILi32ELi16EiPK16rocblas_bfloat16fKPfEviiT3_lPKT2_lT1_lS8_lS9_lS5_lPT4_lS9_li, .Lfunc_end670-_ZL20rocblas_gemvn_kernelILi32ELi16EiPK16rocblas_bfloat16fKPfEviiT3_lPKT2_lT1_lS8_lS9_lS5_lPT4_lS9_li
                                        ; -- End function
	.set _ZL20rocblas_gemvn_kernelILi32ELi16EiPK16rocblas_bfloat16fKPfEviiT3_lPKT2_lT1_lS8_lS9_lS5_lPT4_lS9_li.num_vgpr, 61
	.set _ZL20rocblas_gemvn_kernelILi32ELi16EiPK16rocblas_bfloat16fKPfEviiT3_lPKT2_lT1_lS8_lS9_lS5_lPT4_lS9_li.num_agpr, 0
	.set _ZL20rocblas_gemvn_kernelILi32ELi16EiPK16rocblas_bfloat16fKPfEviiT3_lPKT2_lT1_lS8_lS9_lS5_lPT4_lS9_li.numbered_sgpr, 46
	.set _ZL20rocblas_gemvn_kernelILi32ELi16EiPK16rocblas_bfloat16fKPfEviiT3_lPKT2_lT1_lS8_lS9_lS5_lPT4_lS9_li.num_named_barrier, 0
	.set _ZL20rocblas_gemvn_kernelILi32ELi16EiPK16rocblas_bfloat16fKPfEviiT3_lPKT2_lT1_lS8_lS9_lS5_lPT4_lS9_li.private_seg_size, 0
	.set _ZL20rocblas_gemvn_kernelILi32ELi16EiPK16rocblas_bfloat16fKPfEviiT3_lPKT2_lT1_lS8_lS9_lS5_lPT4_lS9_li.uses_vcc, 1
	.set _ZL20rocblas_gemvn_kernelILi32ELi16EiPK16rocblas_bfloat16fKPfEviiT3_lPKT2_lT1_lS8_lS9_lS5_lPT4_lS9_li.uses_flat_scratch, 1
	.set _ZL20rocblas_gemvn_kernelILi32ELi16EiPK16rocblas_bfloat16fKPfEviiT3_lPKT2_lT1_lS8_lS9_lS5_lPT4_lS9_li.has_dyn_sized_stack, 0
	.set _ZL20rocblas_gemvn_kernelILi32ELi16EiPK16rocblas_bfloat16fKPfEviiT3_lPKT2_lT1_lS8_lS9_lS5_lPT4_lS9_li.has_recursion, 0
	.set _ZL20rocblas_gemvn_kernelILi32ELi16EiPK16rocblas_bfloat16fKPfEviiT3_lPKT2_lT1_lS8_lS9_lS5_lPT4_lS9_li.has_indirect_call, 0
	.section	.AMDGPU.csdata,"",@progbits
; Kernel info:
; codeLenInByte = 3328
; TotalNumSgprs: 48
; NumVgprs: 61
; ScratchSize: 0
; MemoryBound: 0
; FloatMode: 240
; IeeeMode: 1
; LDSByteSize: 8192 bytes/workgroup (compile time only)
; SGPRBlocks: 0
; VGPRBlocks: 3
; NumSGPRsForWavesPerEU: 48
; NumVGPRsForWavesPerEU: 61
; NamedBarCnt: 0
; Occupancy: 16
; WaveLimiterHint : 1
; COMPUTE_PGM_RSRC2:SCRATCH_EN: 0
; COMPUTE_PGM_RSRC2:USER_SGPR: 2
; COMPUTE_PGM_RSRC2:TRAP_HANDLER: 0
; COMPUTE_PGM_RSRC2:TGID_X_EN: 1
; COMPUTE_PGM_RSRC2:TGID_Y_EN: 0
; COMPUTE_PGM_RSRC2:TGID_Z_EN: 1
; COMPUTE_PGM_RSRC2:TIDIG_COMP_CNT: 1
	.section	.text._ZL20rocblas_gemvn_kernelILi32ELi16ElPK16rocblas_bfloat16fKPfEviiT3_lPKT2_lT1_lS8_lS9_lS5_lPT4_lS9_li,"axG",@progbits,_ZL20rocblas_gemvn_kernelILi32ELi16ElPK16rocblas_bfloat16fKPfEviiT3_lPKT2_lT1_lS8_lS9_lS5_lPT4_lS9_li,comdat
	.globl	_ZL20rocblas_gemvn_kernelILi32ELi16ElPK16rocblas_bfloat16fKPfEviiT3_lPKT2_lT1_lS8_lS9_lS5_lPT4_lS9_li ; -- Begin function _ZL20rocblas_gemvn_kernelILi32ELi16ElPK16rocblas_bfloat16fKPfEviiT3_lPKT2_lT1_lS8_lS9_lS5_lPT4_lS9_li
	.p2align	8
	.type	_ZL20rocblas_gemvn_kernelILi32ELi16ElPK16rocblas_bfloat16fKPfEviiT3_lPKT2_lT1_lS8_lS9_lS5_lPT4_lS9_li,@function
_ZL20rocblas_gemvn_kernelILi32ELi16ElPK16rocblas_bfloat16fKPfEviiT3_lPKT2_lT1_lS8_lS9_lS5_lPT4_lS9_li: ; @_ZL20rocblas_gemvn_kernelILi32ELi16ElPK16rocblas_bfloat16fKPfEviiT3_lPKT2_lT1_lS8_lS9_lS5_lPT4_lS9_li
; %bb.0:
	s_clause 0x1
	s_load_b64 s[2:3], s[0:1], 0x9c
	s_load_b32 s27, s[0:1], 0x88
	s_bfe_u32 s4, ttmp6, 0x40014
	s_lshr_b32 s5, ttmp7, 16
	s_add_co_i32 s4, s4, 1
	s_bfe_u32 s6, ttmp6, 0x40008
	s_mul_i32 s7, s5, s4
	s_getreg_b32 s4, hwreg(HW_REG_IB_STS2, 6, 4)
	s_add_co_i32 s6, s6, s7
	s_mov_b32 s11, 0
	s_wait_kmcnt 0x0
	s_lshr_b32 s7, s2, 16
	s_and_b32 s2, s2, 0xffff
	s_and_b32 s3, s3, 0xffff
	s_mul_i32 s2, s7, s2
	s_cmp_eq_u32 s4, 0
	s_mul_i32 s2, s2, s3
	s_cselect_b32 s10, s5, s6
	s_cmp_lg_u32 s2, 0x200
	s_cselect_b32 s2, -1, 0
	s_cmp_ge_u32 s10, s27
	s_cselect_b32 s3, -1, 0
	s_delay_alu instid0(SALU_CYCLE_1) | instskip(NEXT) | instid1(SALU_CYCLE_1)
	s_or_b32 s2, s2, s3
	s_and_b32 vcc_lo, exec_lo, s2
	s_cbranch_vccnz .LBB671_58
; %bb.1:
	s_clause 0x7
	s_load_b96 s[24:26], s[0:1], 0x0
	s_load_b32 s33, s[0:1], 0x58
	s_load_b64 s[28:29], s[0:1], 0x48
	s_load_b128 s[12:15], s[0:1], 0x18
	s_load_b64 s[30:31], s[0:1], 0x28
	s_load_b128 s[16:19], s[0:1], 0x38
	;; [unrolled: 2-line block ×3, first 2 shown]
	v_bfe_u32 v4, v0, 10, 10
	v_and_b32_e32 v15, 0x3ff, v0
	s_delay_alu instid0(VALU_DEP_2) | instskip(NEXT) | instid1(VALU_DEP_2)
	v_dual_mov_b32 v1, 0 :: v_dual_lshlrev_b32 v52, 2, v4
	v_lshl_add_u32 v14, v4, 5, v15
	s_delay_alu instid0(VALU_DEP_2) | instskip(NEXT) | instid1(VALU_DEP_1)
	v_dual_mov_b32 v5, v1 :: v_dual_lshlrev_b32 v20, 2, v15
	v_lshl_add_u32 v54, v4, 9, v20
	s_wait_kmcnt 0x0
	s_cmp_eq_f32 s26, 0
	v_lshl_add_u32 v55, v4, 7, v20
	v_mad_nc_u64_u32 v[6:7], s28, v52, s[28:29]
	v_mul_u64_e32 v[10:11], s[28:29], v[4:5]
	s_cselect_b32 s38, -1, 0
	s_cmp_neq_f32 s33, 1.0
	v_mad_nc_u64_u32 v[8:9], s30, v52, s[30:31]
	v_mul_u64_e32 v[12:13], s[30:31], v[4:5]
	s_cselect_b32 s0, -1, 0
	s_cmp_neq_f32 s26, 0
	s_delay_alu instid0(VALU_DEP_4)
	v_mad_u32 v7, s29, v52, v7
	s_cselect_b32 s1, -1, 0
	s_bfe_u32 s5, ttmp6, 0x4000c
	s_and_b32 s6, ttmp6, 15
	s_add_co_i32 s5, s5, 1
	s_or_b32 s39, s1, s0
	s_mul_i32 s5, ttmp9, s5
	v_cndmask_b32_e64 v53, 0, 1, s1
	s_add_co_i32 s6, s6, s5
	s_cmp_eq_u32 s4, 0
	s_mov_b32 s0, s24
	s_cselect_b32 s1, ttmp9, s6
	v_mad_u32 v9, s31, v52, v9
	s_lshl_b32 s4, s1, 7
	s_ashr_i32 s1, s24, 31
	v_add_nc_u32_e32 v0, s4, v14
	v_lshlrev_b64_e32 v[4:5], 1, v[6:7]
	v_add_nc_u32_e32 v24, s4, v15
	s_cmp_neq_f32 s33, 0
	s_delay_alu instid0(VALU_DEP_3)
	v_cmp_gt_i64_e32 vcc_lo, s[0:1], v[0:1]
	v_cmp_gt_u32_e64 s0, 0x80, v14
	v_or_b32_e32 v14, s4, v14
	v_mul_u64_e32 v[2:3], s[2:3], v[0:1]
	v_or_b32_e32 v0, 3, v52
	v_lshlrev_b64_e32 v[6:7], 1, v[8:9]
	s_cselect_b32 s40, -1, 0
	v_ashrrev_i32_e32 v15, 31, v14
	s_ashr_i32 s1, s25, 31
	v_mul_u64_e32 v[16:17], s[30:31], v[0:1]
	v_mul_u64_e32 v[18:19], s[28:29], v[0:1]
	v_or_b32_e32 v0, 2, v52
	v_mul_u64_e32 v[8:9], s[2:3], v[14:15]
	s_lshr_b32 s4, s1, 26
	v_dual_ashrrev_i32 v25, 31, v24 :: v_dual_add_nc_u32 v15, 64, v24
	s_delay_alu instid0(VALU_DEP_3)
	v_mul_u64_e32 v[20:21], s[30:31], v[0:1]
	v_mul_u64_e32 v[22:23], s[28:29], v[0:1]
	s_add_co_i32 s41, s25, s4
	v_add_nc_u32_e32 v0, 32, v24
	v_add_nc_u32_e32 v26, 0x60, v24
	s_and_not1_b32 s41, s41, 63
	v_cmp_gt_i32_e64 s2, s24, v14
	v_lshlrev_b64_e32 v[10:11], 3, v[10:11]
	v_lshlrev_b64_e32 v[12:13], 3, v[12:13]
	v_cmp_gt_i32_e64 s4, s24, v15
	s_sub_co_i32 s6, s25, s41
	v_lshlrev_b64_e32 v[14:15], 1, v[24:25]
	v_cmp_gt_i32_e64 s1, s24, v24
	v_cmp_gt_i32_e64 s3, s24, v0
	;; [unrolled: 1-line block ×3, first 2 shown]
	s_cmp_gt_i32 s6, 0
	v_cmp_gt_i32_e64 s6, s41, v52
	s_cselect_b32 s24, -1, 0
	s_and_b32 s42, s0, vcc_lo
	s_lshl_b64 s[34:35], s[28:29], 7
	s_lshl_b64 s[36:37], s[30:31], 7
	;; [unrolled: 1-line block ×5, first 2 shown]
	v_lshlrev_b64_e32 v[16:17], 1, v[16:17]
	v_lshlrev_b64_e32 v[18:19], 1, v[18:19]
	;; [unrolled: 1-line block ×4, first 2 shown]
	s_branch .LBB671_4
.LBB671_2:                              ;   in Loop: Header=BB671_4 Depth=1
	s_wait_xcnt 0x0
	s_or_b32 exec_lo, exec_lo, s7
.LBB671_3:                              ;   in Loop: Header=BB671_4 Depth=1
	s_add_co_i32 s10, s10, 0x10000
	s_delay_alu instid0(SALU_CYCLE_1)
	s_cmp_lt_u32 s10, s27
	s_cbranch_scc0 .LBB671_58
.LBB671_4:                              ; =>This Loop Header: Depth=1
                                        ;     Child Loop BB671_26 Depth 2
	s_and_not1_b32 vcc_lo, exec_lo, s39
	s_cbranch_vccnz .LBB671_3
; %bb.5:                                ;   in Loop: Header=BB671_4 Depth=1
	s_and_not1_b32 vcc_lo, exec_lo, s38
	s_cbranch_vccnz .LBB671_7
; %bb.6:                                ;   in Loop: Header=BB671_4 Depth=1
	v_mov_b64_e32 v[28:29], 0
	v_mov_b64_e32 v[26:27], 0
	s_cbranch_execz .LBB671_8
	s_branch .LBB671_9
.LBB671_7:                              ;   in Loop: Header=BB671_4 Depth=1
	v_mov_b64_e32 v[28:29], 0
	v_mov_b64_e32 v[26:27], 0
.LBB671_8:                              ;   in Loop: Header=BB671_4 Depth=1
	s_lshl_b64 s[8:9], s[10:11], 3
	s_delay_alu instid0(SALU_CYCLE_1)
	s_add_nc_u64 s[8:9], s[12:13], s[8:9]
	global_load_b64 v[24:25], v1, s[8:9]
	s_wait_loadcnt 0x0
	v_add_nc_u64_e32 v[26:27], s[14:15], v[24:25]
.LBB671_9:                              ;   in Loop: Header=BB671_4 Depth=1
	v_cmp_ne_u32_e32 vcc_lo, 1, v53
	s_cbranch_vccnz .LBB671_11
; %bb.10:                               ;   in Loop: Header=BB671_4 Depth=1
	s_wait_xcnt 0x0
	s_lshl_b64 s[8:9], s[10:11], 3
	s_delay_alu instid0(SALU_CYCLE_1)
	s_add_nc_u64 s[8:9], s[16:17], s[8:9]
	global_load_b64 v[24:25], v1, s[8:9]
	s_wait_loadcnt 0x0
	v_add_nc_u64_e32 v[28:29], s[18:19], v[24:25]
.LBB671_11:                             ;   in Loop: Header=BB671_4 Depth=1
	s_wait_xcnt 0x0
	s_lshl_b64 s[8:9], s[10:11], 3
	s_and_not1_b32 vcc_lo, exec_lo, s38
	s_add_nc_u64 s[8:9], s[20:21], s[8:9]
	global_load_b64 v[24:25], v1, s[8:9]
	s_wait_loadcnt 0x0
	v_add_nc_u64_e32 v[24:25], s[22:23], v[24:25]
	s_cbranch_vccnz .LBB671_15
; %bb.12:                               ;   in Loop: Header=BB671_4 Depth=1
	s_mov_b32 s7, 0
	s_mov_b32 s43, 0
                                        ; implicit-def: $vgpr0
	s_wait_xcnt 0x0
	s_and_saveexec_b32 s8, s42
	s_cbranch_execz .LBB671_16
; %bb.13:                               ;   in Loop: Header=BB671_4 Depth=1
	s_and_not1_b32 vcc_lo, exec_lo, s40
	s_cbranch_vccnz .LBB671_18
; %bb.14:                               ;   in Loop: Header=BB671_4 Depth=1
	v_lshl_add_u64 v[30:31], v[2:3], 2, v[24:25]
	flat_load_b32 v0, v[30:31]
	s_wait_loadcnt_dscnt 0x0
	v_mul_f32_e32 v0, s33, v0
	s_branch .LBB671_19
.LBB671_15:                             ;   in Loop: Header=BB671_4 Depth=1
	s_mov_b32 s43, 0
                                        ; implicit-def: $vgpr0
	s_cbranch_execz .LBB671_17
	s_branch .LBB671_20
.LBB671_16:                             ;   in Loop: Header=BB671_4 Depth=1
	s_or_b32 exec_lo, exec_lo, s8
	s_delay_alu instid0(SALU_CYCLE_1)
	s_and_b32 vcc_lo, exec_lo, s7
	s_cbranch_vccnz .LBB671_20
.LBB671_17:                             ;   in Loop: Header=BB671_4 Depth=1
	v_mov_b64_e32 v[26:27], v[2:3]
	s_wait_xcnt 0x0
	s_and_saveexec_b32 s7, s43
	s_cbranch_execz .LBB671_2
	s_branch .LBB671_57
.LBB671_18:                             ;   in Loop: Header=BB671_4 Depth=1
	v_mov_b32_e32 v0, 0
.LBB671_19:                             ;   in Loop: Header=BB671_4 Depth=1
	s_mov_b32 s43, exec_lo
	s_wait_xcnt 0x0
	s_or_b32 exec_lo, exec_lo, s8
	s_delay_alu instid0(SALU_CYCLE_1)
	s_and_b32 vcc_lo, exec_lo, s7
	s_cbranch_vccz .LBB671_17
.LBB671_20:                             ;   in Loop: Header=BB671_4 Depth=1
	v_dual_mov_b32 v56, 0 :: v_dual_mov_b32 v0, v52
	v_dual_mov_b32 v57, 0 :: v_dual_mov_b32 v58, 0
	v_mov_b32_e32 v59, 0
	s_wait_xcnt 0x0
	s_and_saveexec_b32 s7, s6
	s_cbranch_execz .LBB671_32
; %bb.21:                               ;   in Loop: Header=BB671_4 Depth=1
	v_add_nc_u64_e32 v[30:31], v[26:27], v[16:17]
	v_add_nc_u64_e32 v[32:33], v[26:27], v[12:13]
	;; [unrolled: 1-line block ×4, first 2 shown]
	v_mov_b64_e32 v[38:39], v[28:29]
	v_dual_mov_b32 v56, 0 :: v_dual_mov_b32 v0, v52
	v_dual_mov_b32 v57, 0 :: v_dual_mov_b32 v58, 0
	v_mov_b32_e32 v59, 0
	s_mov_b32 s8, 0
	s_branch .LBB671_26
.LBB671_22:                             ;   in Loop: Header=BB671_26 Depth=2
	s_wait_xcnt 0x0
	s_or_b32 exec_lo, exec_lo, s46
	s_wait_loadcnt_dscnt 0x202
	v_dual_lshlrev_b32 v45, 16, v71 :: v_dual_lshlrev_b32 v44, 16, v70
	s_delay_alu instid0(VALU_DEP_1) | instskip(SKIP_1) | instid1(VALU_DEP_1)
	v_pk_mul_f32 v[44:45], v[42:43], v[44:45]
	s_wait_loadcnt_dscnt 0x0
	v_dual_add_f32 v44, v58, v44 :: v_dual_lshlrev_b32 v47, 16, v69
	s_delay_alu instid0(VALU_DEP_1) | instskip(NEXT) | instid1(VALU_DEP_1)
	v_dual_lshlrev_b32 v46, 16, v68 :: v_dual_add_f32 v48, v44, v45
	v_pk_mul_f32 v[44:45], v[40:41], v[46:47]
	s_delay_alu instid0(VALU_DEP_1) | instskip(NEXT) | instid1(VALU_DEP_1)
	v_add_f32_e32 v44, v48, v44
	v_add_f32_e32 v58, v44, v45
.LBB671_23:                             ;   in Loop: Header=BB671_26 Depth=2
	s_or_b32 exec_lo, exec_lo, s45
	s_wait_loadcnt_dscnt 0x202
	v_dual_lshlrev_b32 v45, 16, v67 :: v_dual_lshlrev_b32 v44, 16, v66
	s_delay_alu instid0(VALU_DEP_1) | instskip(SKIP_1) | instid1(VALU_DEP_1)
	v_pk_mul_f32 v[44:45], v[42:43], v[44:45]
	s_wait_loadcnt_dscnt 0x0
	v_dual_add_f32 v44, v57, v44 :: v_dual_lshlrev_b32 v47, 16, v65
	s_delay_alu instid0(VALU_DEP_1) | instskip(NEXT) | instid1(VALU_DEP_1)
	v_dual_lshlrev_b32 v46, 16, v64 :: v_dual_add_f32 v48, v44, v45
	v_pk_mul_f32 v[44:45], v[40:41], v[46:47]
	s_delay_alu instid0(VALU_DEP_1) | instskip(NEXT) | instid1(VALU_DEP_1)
	v_add_f32_e32 v44, v48, v44
	v_add_f32_e32 v57, v44, v45
.LBB671_24:                             ;   in Loop: Header=BB671_26 Depth=2
	s_or_b32 exec_lo, exec_lo, s44
	s_wait_loadcnt_dscnt 0x202
	v_dual_lshlrev_b32 v45, 16, v63 :: v_dual_lshlrev_b32 v44, 16, v62
	s_delay_alu instid0(VALU_DEP_1) | instskip(SKIP_1) | instid1(VALU_DEP_1)
	v_pk_mul_f32 v[42:43], v[42:43], v[44:45]
	s_wait_loadcnt_dscnt 0x0
	v_dual_add_f32 v42, v56, v42 :: v_dual_lshlrev_b32 v45, 16, v61
	s_delay_alu instid0(VALU_DEP_1) | instskip(NEXT) | instid1(VALU_DEP_1)
	v_dual_lshlrev_b32 v44, 16, v60 :: v_dual_add_f32 v42, v42, v43
	v_pk_mul_f32 v[40:41], v[40:41], v[44:45]
	s_delay_alu instid0(VALU_DEP_1) | instskip(NEXT) | instid1(VALU_DEP_1)
	v_add_f32_e32 v40, v42, v40
	v_add_f32_e32 v56, v40, v41
.LBB671_25:                             ;   in Loop: Header=BB671_26 Depth=2
	s_or_b32 exec_lo, exec_lo, s9
	v_add_nc_u32_e32 v0, 64, v0
	v_add_nc_u64_e32 v[38:39], s[34:35], v[38:39]
	v_add_nc_u64_e32 v[30:31], s[36:37], v[30:31]
	;; [unrolled: 1-line block ×4, first 2 shown]
	v_cmp_le_i32_e32 vcc_lo, s41, v0
	v_add_nc_u64_e32 v[36:37], s[36:37], v[36:37]
	s_or_b32 s8, vcc_lo, s8
	s_delay_alu instid0(SALU_CYCLE_1)
	s_and_not1_b32 exec_lo, exec_lo, s8
	s_cbranch_execz .LBB671_31
.LBB671_26:                             ;   Parent Loop BB671_4 Depth=1
                                        ; =>  This Inner Loop Header: Depth=2
	s_and_saveexec_b32 s9, s1
	s_cbranch_execz .LBB671_25
; %bb.27:                               ;   in Loop: Header=BB671_26 Depth=2
	v_add_nc_u64_e32 v[42:43], v[38:39], v[4:5]
	v_add_nc_u64_e32 v[40:41], v[38:39], v[10:11]
	;; [unrolled: 1-line block ×8, first 2 shown]
	s_clause 0x3
	flat_load_u16 v68, v[42:43]
	flat_load_u16 v69, v[40:41]
	;; [unrolled: 1-line block ×8, first 2 shown]
	s_wait_loadcnt_dscnt 0x606
	s_wait_xcnt 0x7
	v_dual_lshlrev_b32 v43, 16, v68 :: v_dual_lshlrev_b32 v42, 16, v69
	s_wait_loadcnt_dscnt 0x404
	s_wait_xcnt 0x6
	v_dual_lshlrev_b32 v41, 16, v70 :: v_dual_lshlrev_b32 v40, 16, v71
	s_wait_xcnt 0x0
	s_and_saveexec_b32 s44, s3
	s_cbranch_execz .LBB671_24
; %bb.28:                               ;   in Loop: Header=BB671_26 Depth=2
	flat_load_u16 v66, v[46:47] offset:64
	flat_load_u16 v67, v[44:45] offset:64
	flat_load_u16 v64, v[50:51] offset:64
	flat_load_u16 v65, v[48:49] offset:64
	s_wait_xcnt 0x0
	s_and_saveexec_b32 s45, s4
	s_cbranch_execz .LBB671_23
; %bb.29:                               ;   in Loop: Header=BB671_26 Depth=2
	flat_load_u16 v70, v[46:47] offset:128
	flat_load_u16 v71, v[44:45] offset:128
	flat_load_u16 v68, v[50:51] offset:128
	flat_load_u16 v69, v[48:49] offset:128
	;; [unrolled: 8-line block ×3, first 2 shown]
	s_wait_loadcnt_dscnt 0x202
	s_wait_xcnt 0x3
	v_dual_lshlrev_b32 v45, 16, v72 :: v_dual_lshlrev_b32 v44, 16, v73
	s_delay_alu instid0(VALU_DEP_1) | instskip(SKIP_2) | instid1(VALU_DEP_1)
	v_pk_mul_f32 v[44:45], v[42:43], v[44:45]
	s_wait_loadcnt_dscnt 0x101
	s_wait_xcnt 0x2
	v_dual_add_f32 v44, v59, v44 :: v_dual_lshlrev_b32 v47, 16, v74
	s_wait_loadcnt_dscnt 0x0
	s_wait_xcnt 0x1
	s_delay_alu instid0(VALU_DEP_1) | instskip(NEXT) | instid1(VALU_DEP_1)
	v_dual_lshlrev_b32 v46, 16, v75 :: v_dual_add_f32 v48, v44, v45
	v_pk_mul_f32 v[44:45], v[40:41], v[46:47]
	s_delay_alu instid0(VALU_DEP_1) | instskip(NEXT) | instid1(VALU_DEP_1)
	v_add_f32_e32 v44, v48, v44
	v_add_f32_e32 v59, v44, v45
	s_branch .LBB671_22
.LBB671_31:                             ;   in Loop: Header=BB671_4 Depth=1
	s_or_b32 exec_lo, exec_lo, s8
.LBB671_32:                             ;   in Loop: Header=BB671_4 Depth=1
	s_delay_alu instid0(SALU_CYCLE_1) | instskip(NEXT) | instid1(SALU_CYCLE_1)
	s_or_b32 exec_lo, exec_lo, s7
	s_and_not1_b32 vcc_lo, exec_lo, s24
	s_cbranch_vccnz .LBB671_50
; %bb.33:                               ;   in Loop: Header=BB671_4 Depth=1
	v_dual_mov_b32 v30, 0 :: v_dual_bitop2_b32 v34, 1, v0 bitop3:0x54
	v_cmp_gt_i32_e32 vcc_lo, s25, v0
	s_delay_alu instid0(VALU_DEP_2)
	v_dual_mov_b32 v31, v30 :: v_dual_mov_b32 v32, v30
	v_mov_b32_e32 v33, v30
	s_and_saveexec_b32 s8, vcc_lo
	s_cbranch_execz .LBB671_41
; %bb.34:                               ;   in Loop: Header=BB671_4 Depth=1
	v_mul_u64_e32 v[30:31], s[28:29], v[0:1]
	v_mov_b32_e32 v33, 0
	s_mov_b32 s9, exec_lo
	s_delay_alu instid0(VALU_DEP_2)
	v_lshl_add_u64 v[30:31], v[30:31], 1, v[28:29]
	flat_load_u16 v36, v[30:31]
	s_wait_xcnt 0x0
	v_dual_mov_b32 v31, 0 :: v_dual_mov_b32 v30, 0
	v_cmpx_gt_i32_e64 s25, v34
	s_cbranch_execz .LBB671_40
; %bb.35:                               ;   in Loop: Header=BB671_4 Depth=1
	v_dual_mov_b32 v35, v1 :: v_dual_bitop2_b32 v32, 2, v0 bitop3:0x54
	s_mov_b32 s44, exec_lo
	s_delay_alu instid0(VALU_DEP_1) | instskip(NEXT) | instid1(VALU_DEP_1)
	v_mul_u64_e32 v[30:31], s[28:29], v[34:35]
	v_lshl_add_u64 v[30:31], v[30:31], 1, v[28:29]
	flat_load_u16 v35, v[30:31]
	s_wait_xcnt 0x0
	v_dual_mov_b32 v31, 0 :: v_dual_mov_b32 v30, 0
	v_cmpx_gt_i32_e64 s25, v32
	s_cbranch_execz .LBB671_39
; %bb.36:                               ;   in Loop: Header=BB671_4 Depth=1
	v_mov_b32_e32 v33, v1
	s_mov_b32 s45, exec_lo
	s_delay_alu instid0(VALU_DEP_1) | instskip(NEXT) | instid1(VALU_DEP_1)
	v_mul_u64_e32 v[30:31], s[28:29], v[32:33]
	v_lshl_add_u64 v[30:31], v[30:31], 1, v[28:29]
	flat_load_u16 v32, v[30:31]
	s_wait_xcnt 0x0
	v_dual_mov_b32 v31, 0 :: v_dual_bitop2_b32 v30, 3, v0 bitop3:0x54
	s_delay_alu instid0(VALU_DEP_1)
	v_cmpx_gt_i32_e64 s25, v30
	s_cbranch_execz .LBB671_38
; %bb.37:                               ;   in Loop: Header=BB671_4 Depth=1
	v_mov_b32_e32 v31, v1
	s_delay_alu instid0(VALU_DEP_1) | instskip(NEXT) | instid1(VALU_DEP_1)
	v_mul_u64_e32 v[30:31], s[28:29], v[30:31]
	v_lshl_add_u64 v[28:29], v[30:31], 1, v[28:29]
	flat_load_u16 v28, v[28:29]
	s_wait_loadcnt_dscnt 0x0
	v_lshlrev_b32_e32 v31, 16, v28
.LBB671_38:                             ;   in Loop: Header=BB671_4 Depth=1
	s_wait_xcnt 0x0
	s_or_b32 exec_lo, exec_lo, s45
	s_wait_loadcnt_dscnt 0x0
	v_lshlrev_b32_e32 v30, 16, v32
.LBB671_39:                             ;   in Loop: Header=BB671_4 Depth=1
	s_or_b32 exec_lo, exec_lo, s44
	s_wait_loadcnt_dscnt 0x0
	v_lshlrev_b32_e32 v33, 16, v35
.LBB671_40:                             ;   in Loop: Header=BB671_4 Depth=1
	s_or_b32 exec_lo, exec_lo, s9
	s_wait_loadcnt_dscnt 0x0
	v_lshlrev_b32_e32 v32, 16, v36
.LBB671_41:                             ;   in Loop: Header=BB671_4 Depth=1
	s_or_b32 exec_lo, exec_lo, s8
	s_and_saveexec_b32 s44, s1
	s_cbranch_execz .LBB671_49
; %bb.42:                               ;   in Loop: Header=BB671_4 Depth=1
	v_dual_mov_b32 v35, v1 :: v_dual_bitop2_b32 v28, 2, v0 bitop3:0x54
	v_mov_b32_e32 v29, v1
	v_mul_u64_e32 v[36:37], s[30:31], v[0:1]
	v_or_b32_e32 v0, 3, v0
	s_delay_alu instid0(VALU_DEP_4)
	v_mul_u64_e32 v[38:39], s[30:31], v[34:35]
	v_cmp_gt_i32_e64 s7, s25, v34
	v_mul_u64_e32 v[40:41], s[30:31], v[28:29]
	v_cmp_gt_i32_e64 s8, s25, v28
	;; [unrolled: 2-line block ×3, first 2 shown]
	v_dual_cndmask_b32 v29, 0, v37 :: v_dual_cndmask_b32 v28, 0, v36
	v_dual_cndmask_b32 v35, 0, v39, s7 :: v_dual_cndmask_b32 v34, 0, v38, s7
	v_dual_cndmask_b32 v39, 0, v41, s8 :: v_dual_cndmask_b32 v38, 0, v40, s8
	s_delay_alu instid0(VALU_DEP_4) | instskip(NEXT) | instid1(VALU_DEP_3)
	v_dual_cndmask_b32 v41, 0, v43, s9 :: v_dual_cndmask_b32 v40, 0, v42, s9
	v_lshl_add_u64 v[34:35], v[34:35], 1, v[26:27]
	s_delay_alu instid0(VALU_DEP_3) | instskip(NEXT) | instid1(VALU_DEP_3)
	v_lshl_add_u64 v[36:37], v[38:39], 1, v[26:27]
	v_lshl_add_u64 v[38:39], v[40:41], 1, v[26:27]
	;; [unrolled: 1-line block ×3, first 2 shown]
	s_delay_alu instid0(VALU_DEP_4) | instskip(NEXT) | instid1(VALU_DEP_4)
	v_add_nc_u64_e32 v[26:27], v[34:35], v[14:15]
	v_add_nc_u64_e32 v[34:35], v[36:37], v[14:15]
	s_delay_alu instid0(VALU_DEP_4) | instskip(NEXT) | instid1(VALU_DEP_4)
	v_add_nc_u64_e32 v[28:29], v[38:39], v[14:15]
	v_add_nc_u64_e32 v[36:37], v[40:41], v[14:15]
	s_clause 0x3
	flat_load_u16 v39, v[26:27]
	flat_load_u16 v0, v[34:35]
	;; [unrolled: 1-line block ×4, first 2 shown]
	s_wait_xcnt 0x0
	s_and_saveexec_b32 s7, s3
	s_cbranch_execz .LBB671_48
; %bb.43:                               ;   in Loop: Header=BB671_4 Depth=1
	s_clause 0x3
	flat_load_u16 v43, v[36:37] offset:64
	flat_load_u16 v44, v[26:27] offset:64
	flat_load_u16 v41, v[34:35] offset:64
	flat_load_u16 v42, v[28:29] offset:64
	s_wait_xcnt 0x0
	s_and_saveexec_b32 s8, s4
	s_cbranch_execz .LBB671_47
; %bb.44:                               ;   in Loop: Header=BB671_4 Depth=1
	s_clause 0x3
	flat_load_u16 v47, v[36:37] offset:128
	flat_load_u16 v48, v[26:27] offset:128
	flat_load_u16 v45, v[34:35] offset:128
	flat_load_u16 v46, v[28:29] offset:128
	s_wait_xcnt 0x0
	s_and_saveexec_b32 s9, s5
	s_cbranch_execz .LBB671_46
; %bb.45:                               ;   in Loop: Header=BB671_4 Depth=1
	s_clause 0x3
	flat_load_u16 v49, v[26:27] offset:192
	flat_load_u16 v50, v[36:37] offset:192
	flat_load_u16 v51, v[28:29] offset:192
	flat_load_u16 v60, v[34:35] offset:192
	s_wait_loadcnt_dscnt 0x202
	s_wait_xcnt 0x3
	v_dual_lshlrev_b32 v27, 16, v49 :: v_dual_lshlrev_b32 v26, 16, v50
	s_delay_alu instid0(VALU_DEP_1) | instskip(SKIP_2) | instid1(VALU_DEP_1)
	v_pk_mul_f32 v[26:27], v[32:33], v[26:27]
	s_wait_loadcnt_dscnt 0x101
	s_wait_xcnt 0x1
	v_dual_add_f32 v26, v59, v26 :: v_dual_lshlrev_b32 v29, 16, v51
	s_wait_loadcnt_dscnt 0x0
	s_wait_xcnt 0x0
	s_delay_alu instid0(VALU_DEP_1) | instskip(NEXT) | instid1(VALU_DEP_1)
	v_dual_lshlrev_b32 v28, 16, v60 :: v_dual_add_f32 v34, v26, v27
	v_pk_mul_f32 v[26:27], v[30:31], v[28:29]
	s_delay_alu instid0(VALU_DEP_1) | instskip(NEXT) | instid1(VALU_DEP_1)
	v_add_f32_e32 v26, v34, v26
	v_add_f32_e32 v59, v26, v27
.LBB671_46:                             ;   in Loop: Header=BB671_4 Depth=1
	s_or_b32 exec_lo, exec_lo, s9
	s_wait_loadcnt_dscnt 0x202
	v_dual_lshlrev_b32 v27, 16, v48 :: v_dual_lshlrev_b32 v26, 16, v47
	s_wait_loadcnt_dscnt 0x0
	v_dual_lshlrev_b32 v29, 16, v46 :: v_dual_lshlrev_b32 v28, 16, v45
	s_delay_alu instid0(VALU_DEP_2) | instskip(NEXT) | instid1(VALU_DEP_1)
	v_pk_mul_f32 v[26:27], v[32:33], v[26:27]
	v_add_f32_e32 v26, v58, v26
	s_delay_alu instid0(VALU_DEP_1) | instskip(NEXT) | instid1(VALU_DEP_4)
	v_add_f32_e32 v34, v26, v27
	v_pk_mul_f32 v[26:27], v[30:31], v[28:29]
	s_delay_alu instid0(VALU_DEP_1) | instskip(NEXT) | instid1(VALU_DEP_1)
	v_add_f32_e32 v26, v34, v26
	v_add_f32_e32 v58, v26, v27
.LBB671_47:                             ;   in Loop: Header=BB671_4 Depth=1
	s_or_b32 exec_lo, exec_lo, s8
	s_wait_loadcnt_dscnt 0x202
	v_dual_lshlrev_b32 v27, 16, v44 :: v_dual_lshlrev_b32 v26, 16, v43
	s_wait_loadcnt_dscnt 0x0
	v_dual_lshlrev_b32 v29, 16, v42 :: v_dual_lshlrev_b32 v28, 16, v41
	s_delay_alu instid0(VALU_DEP_2) | instskip(NEXT) | instid1(VALU_DEP_1)
	v_pk_mul_f32 v[26:27], v[32:33], v[26:27]
	v_add_f32_e32 v26, v57, v26
	s_delay_alu instid0(VALU_DEP_1) | instskip(NEXT) | instid1(VALU_DEP_4)
	v_add_f32_e32 v34, v26, v27
	v_pk_mul_f32 v[26:27], v[30:31], v[28:29]
	s_delay_alu instid0(VALU_DEP_1) | instskip(NEXT) | instid1(VALU_DEP_1)
	v_add_f32_e32 v26, v34, v26
	v_add_f32_e32 v57, v26, v27
.LBB671_48:                             ;   in Loop: Header=BB671_4 Depth=1
	s_or_b32 exec_lo, exec_lo, s7
	s_wait_loadcnt_dscnt 0x0
	v_dual_lshlrev_b32 v27, 16, v39 :: v_dual_lshlrev_b32 v26, 16, v40
	v_dual_lshlrev_b32 v29, 16, v38 :: v_dual_lshlrev_b32 v28, 16, v0
	s_delay_alu instid0(VALU_DEP_2) | instskip(NEXT) | instid1(VALU_DEP_1)
	v_pk_mul_f32 v[26:27], v[32:33], v[26:27]
	v_add_f32_e32 v26, v56, v26
	s_delay_alu instid0(VALU_DEP_1) | instskip(NEXT) | instid1(VALU_DEP_4)
	v_add_f32_e32 v0, v26, v27
	v_pk_mul_f32 v[26:27], v[30:31], v[28:29]
	s_delay_alu instid0(VALU_DEP_1) | instskip(NEXT) | instid1(VALU_DEP_1)
	v_add_f32_e32 v0, v0, v26
	v_add_f32_e32 v56, v0, v27
.LBB671_49:                             ;   in Loop: Header=BB671_4 Depth=1
	s_or_b32 exec_lo, exec_lo, s44
.LBB671_50:                             ;   in Loop: Header=BB671_4 Depth=1
	ds_store_2addr_b32 v54, v56, v57 offset1:32
	ds_store_2addr_b32 v54, v58, v59 offset0:64 offset1:96
	s_wait_dscnt 0x0
	s_barrier_signal -1
	s_barrier_wait -1
                                        ; implicit-def: $vgpr0
	s_and_saveexec_b32 s7, s0
	s_cbranch_execz .LBB671_56
; %bb.51:                               ;   in Loop: Header=BB671_4 Depth=1
	ds_load_2addr_stride64_b32 v[26:27], v55 offset1:2
	ds_load_2addr_stride64_b32 v[28:29], v55 offset0:4 offset1:6
	ds_load_2addr_stride64_b32 v[30:31], v55 offset0:8 offset1:10
	s_mov_b32 s9, s43
	s_wait_dscnt 0x2
	v_add_f32_e32 v0, v26, v27
	ds_load_2addr_stride64_b32 v[26:27], v55 offset0:12 offset1:14
	s_wait_dscnt 0x2
	v_add_f32_e32 v0, v28, v0
	s_delay_alu instid0(VALU_DEP_1) | instskip(SKIP_3) | instid1(VALU_DEP_1)
	v_add_f32_e32 v0, v29, v0
	ds_load_2addr_stride64_b32 v[28:29], v55 offset0:16 offset1:18
	s_wait_dscnt 0x2
	v_add_f32_e32 v0, v30, v0
	v_add_f32_e32 v0, v31, v0
	ds_load_2addr_stride64_b32 v[30:31], v55 offset0:20 offset1:22
	s_wait_dscnt 0x2
	v_add_f32_e32 v0, v26, v0
	s_delay_alu instid0(VALU_DEP_1) | instskip(SKIP_3) | instid1(VALU_DEP_1)
	v_add_f32_e32 v0, v27, v0
	ds_load_2addr_stride64_b32 v[26:27], v55 offset0:24 offset1:26
	s_wait_dscnt 0x2
	v_add_f32_e32 v0, v28, v0
	v_add_f32_e32 v0, v29, v0
	ds_load_2addr_stride64_b32 v[28:29], v55 offset0:28 offset1:30
	s_wait_dscnt 0x2
	v_add_f32_e32 v0, v30, v0
	s_delay_alu instid0(VALU_DEP_1) | instskip(SKIP_1) | instid1(VALU_DEP_1)
	v_add_f32_e32 v0, v31, v0
	s_wait_dscnt 0x1
	v_add_f32_e32 v0, v26, v0
	s_delay_alu instid0(VALU_DEP_1) | instskip(SKIP_1) | instid1(VALU_DEP_1)
	v_add_f32_e32 v0, v27, v0
	s_wait_dscnt 0x0
	v_add_f32_e32 v0, v28, v0
	s_delay_alu instid0(VALU_DEP_1)
	v_add_f32_e32 v26, v29, v0
                                        ; implicit-def: $vgpr0
	ds_store_b32 v55, v26
	s_and_saveexec_b32 s8, s2
	s_cbranch_execz .LBB671_55
; %bb.52:                               ;   in Loop: Header=BB671_4 Depth=1
	v_mul_f32_e32 v0, s26, v26
	s_and_not1_b32 vcc_lo, exec_lo, s40
	s_cbranch_vccnz .LBB671_54
; %bb.53:                               ;   in Loop: Header=BB671_4 Depth=1
	v_lshl_add_u64 v[26:27], v[8:9], 2, v[24:25]
	flat_load_b32 v26, v[26:27]
	s_wait_loadcnt_dscnt 0x0
	v_fmac_f32_e32 v0, s33, v26
.LBB671_54:                             ;   in Loop: Header=BB671_4 Depth=1
	s_or_b32 s9, s43, exec_lo
.LBB671_55:                             ;   in Loop: Header=BB671_4 Depth=1
	s_wait_xcnt 0x0
	s_or_b32 exec_lo, exec_lo, s8
	s_delay_alu instid0(SALU_CYCLE_1) | instskip(SKIP_1) | instid1(SALU_CYCLE_1)
	s_and_not1_b32 s8, s43, exec_lo
	s_and_b32 s9, s9, exec_lo
	s_or_b32 s43, s8, s9
.LBB671_56:                             ;   in Loop: Header=BB671_4 Depth=1
	s_or_b32 exec_lo, exec_lo, s7
	v_mov_b64_e32 v[26:27], v[8:9]
	s_and_saveexec_b32 s7, s43
	s_cbranch_execz .LBB671_2
.LBB671_57:                             ;   in Loop: Header=BB671_4 Depth=1
	s_delay_alu instid0(VALU_DEP_1)
	v_lshl_add_u64 v[24:25], v[26:27], 2, v[24:25]
	flat_store_b32 v[24:25], v0
	s_branch .LBB671_2
.LBB671_58:
	s_sendmsg sendmsg(MSG_DEALLOC_VGPRS)
	s_endpgm
	.section	.rodata,"a",@progbits
	.p2align	6, 0x0
	.amdhsa_kernel _ZL20rocblas_gemvn_kernelILi32ELi16ElPK16rocblas_bfloat16fKPfEviiT3_lPKT2_lT1_lS8_lS9_lS5_lPT4_lS9_li
		.amdhsa_group_segment_fixed_size 8192
		.amdhsa_private_segment_fixed_size 0
		.amdhsa_kernarg_size 400
		.amdhsa_user_sgpr_count 2
		.amdhsa_user_sgpr_dispatch_ptr 0
		.amdhsa_user_sgpr_queue_ptr 0
		.amdhsa_user_sgpr_kernarg_segment_ptr 1
		.amdhsa_user_sgpr_dispatch_id 0
		.amdhsa_user_sgpr_kernarg_preload_length 0
		.amdhsa_user_sgpr_kernarg_preload_offset 0
		.amdhsa_user_sgpr_private_segment_size 0
		.amdhsa_wavefront_size32 1
		.amdhsa_uses_dynamic_stack 0
		.amdhsa_enable_private_segment 0
		.amdhsa_system_sgpr_workgroup_id_x 1
		.amdhsa_system_sgpr_workgroup_id_y 0
		.amdhsa_system_sgpr_workgroup_id_z 1
		.amdhsa_system_sgpr_workgroup_info 0
		.amdhsa_system_vgpr_workitem_id 1
		.amdhsa_next_free_vgpr 76
		.amdhsa_next_free_sgpr 47
		.amdhsa_named_barrier_count 0
		.amdhsa_reserve_vcc 1
		.amdhsa_float_round_mode_32 0
		.amdhsa_float_round_mode_16_64 0
		.amdhsa_float_denorm_mode_32 3
		.amdhsa_float_denorm_mode_16_64 3
		.amdhsa_fp16_overflow 0
		.amdhsa_memory_ordered 1
		.amdhsa_forward_progress 1
		.amdhsa_inst_pref_size 26
		.amdhsa_round_robin_scheduling 0
		.amdhsa_exception_fp_ieee_invalid_op 0
		.amdhsa_exception_fp_denorm_src 0
		.amdhsa_exception_fp_ieee_div_zero 0
		.amdhsa_exception_fp_ieee_overflow 0
		.amdhsa_exception_fp_ieee_underflow 0
		.amdhsa_exception_fp_ieee_inexact 0
		.amdhsa_exception_int_div_zero 0
	.end_amdhsa_kernel
	.section	.text._ZL20rocblas_gemvn_kernelILi32ELi16ElPK16rocblas_bfloat16fKPfEviiT3_lPKT2_lT1_lS8_lS9_lS5_lPT4_lS9_li,"axG",@progbits,_ZL20rocblas_gemvn_kernelILi32ELi16ElPK16rocblas_bfloat16fKPfEviiT3_lPKT2_lT1_lS8_lS9_lS5_lPT4_lS9_li,comdat
.Lfunc_end671:
	.size	_ZL20rocblas_gemvn_kernelILi32ELi16ElPK16rocblas_bfloat16fKPfEviiT3_lPKT2_lT1_lS8_lS9_lS5_lPT4_lS9_li, .Lfunc_end671-_ZL20rocblas_gemvn_kernelILi32ELi16ElPK16rocblas_bfloat16fKPfEviiT3_lPKT2_lT1_lS8_lS9_lS5_lPT4_lS9_li
                                        ; -- End function
	.set _ZL20rocblas_gemvn_kernelILi32ELi16ElPK16rocblas_bfloat16fKPfEviiT3_lPKT2_lT1_lS8_lS9_lS5_lPT4_lS9_li.num_vgpr, 76
	.set _ZL20rocblas_gemvn_kernelILi32ELi16ElPK16rocblas_bfloat16fKPfEviiT3_lPKT2_lT1_lS8_lS9_lS5_lPT4_lS9_li.num_agpr, 0
	.set _ZL20rocblas_gemvn_kernelILi32ELi16ElPK16rocblas_bfloat16fKPfEviiT3_lPKT2_lT1_lS8_lS9_lS5_lPT4_lS9_li.numbered_sgpr, 47
	.set _ZL20rocblas_gemvn_kernelILi32ELi16ElPK16rocblas_bfloat16fKPfEviiT3_lPKT2_lT1_lS8_lS9_lS5_lPT4_lS9_li.num_named_barrier, 0
	.set _ZL20rocblas_gemvn_kernelILi32ELi16ElPK16rocblas_bfloat16fKPfEviiT3_lPKT2_lT1_lS8_lS9_lS5_lPT4_lS9_li.private_seg_size, 0
	.set _ZL20rocblas_gemvn_kernelILi32ELi16ElPK16rocblas_bfloat16fKPfEviiT3_lPKT2_lT1_lS8_lS9_lS5_lPT4_lS9_li.uses_vcc, 1
	.set _ZL20rocblas_gemvn_kernelILi32ELi16ElPK16rocblas_bfloat16fKPfEviiT3_lPKT2_lT1_lS8_lS9_lS5_lPT4_lS9_li.uses_flat_scratch, 1
	.set _ZL20rocblas_gemvn_kernelILi32ELi16ElPK16rocblas_bfloat16fKPfEviiT3_lPKT2_lT1_lS8_lS9_lS5_lPT4_lS9_li.has_dyn_sized_stack, 0
	.set _ZL20rocblas_gemvn_kernelILi32ELi16ElPK16rocblas_bfloat16fKPfEviiT3_lPKT2_lT1_lS8_lS9_lS5_lPT4_lS9_li.has_recursion, 0
	.set _ZL20rocblas_gemvn_kernelILi32ELi16ElPK16rocblas_bfloat16fKPfEviiT3_lPKT2_lT1_lS8_lS9_lS5_lPT4_lS9_li.has_indirect_call, 0
	.section	.AMDGPU.csdata,"",@progbits
; Kernel info:
; codeLenInByte = 3244
; TotalNumSgprs: 49
; NumVgprs: 76
; ScratchSize: 0
; MemoryBound: 0
; FloatMode: 240
; IeeeMode: 1
; LDSByteSize: 8192 bytes/workgroup (compile time only)
; SGPRBlocks: 0
; VGPRBlocks: 4
; NumSGPRsForWavesPerEU: 49
; NumVGPRsForWavesPerEU: 76
; NamedBarCnt: 0
; Occupancy: 12
; WaveLimiterHint : 1
; COMPUTE_PGM_RSRC2:SCRATCH_EN: 0
; COMPUTE_PGM_RSRC2:USER_SGPR: 2
; COMPUTE_PGM_RSRC2:TRAP_HANDLER: 0
; COMPUTE_PGM_RSRC2:TGID_X_EN: 1
; COMPUTE_PGM_RSRC2:TGID_Y_EN: 0
; COMPUTE_PGM_RSRC2:TGID_Z_EN: 1
; COMPUTE_PGM_RSRC2:TIDIG_COMP_CNT: 1
	.section	.text._ZL20rocblas_gemvn_kernelILi64ELi16EiPK16rocblas_bfloat16PKfKPfEviiT3_lPKT2_lT1_lSA_lSB_lS7_lPT4_lSB_li,"axG",@progbits,_ZL20rocblas_gemvn_kernelILi64ELi16EiPK16rocblas_bfloat16PKfKPfEviiT3_lPKT2_lT1_lSA_lSB_lS7_lPT4_lSB_li,comdat
	.globl	_ZL20rocblas_gemvn_kernelILi64ELi16EiPK16rocblas_bfloat16PKfKPfEviiT3_lPKT2_lT1_lSA_lSB_lS7_lPT4_lSB_li ; -- Begin function _ZL20rocblas_gemvn_kernelILi64ELi16EiPK16rocblas_bfloat16PKfKPfEviiT3_lPKT2_lT1_lSA_lSB_lS7_lPT4_lSB_li
	.p2align	8
	.type	_ZL20rocblas_gemvn_kernelILi64ELi16EiPK16rocblas_bfloat16PKfKPfEviiT3_lPKT2_lT1_lSA_lSB_lS7_lPT4_lSB_li,@function
_ZL20rocblas_gemvn_kernelILi64ELi16EiPK16rocblas_bfloat16PKfKPfEviiT3_lPKT2_lT1_lSA_lSB_lS7_lPT4_lSB_li: ; @_ZL20rocblas_gemvn_kernelILi64ELi16EiPK16rocblas_bfloat16PKfKPfEviiT3_lPKT2_lT1_lSA_lSB_lS7_lPT4_lSB_li
; %bb.0:
	s_clause 0x1
	s_load_b64 s[4:5], s[0:1], 0x9c
	s_load_b32 s33, s[0:1], 0x88
	s_bfe_u32 s2, ttmp6, 0x40014
	s_lshr_b32 s3, ttmp7, 16
	s_add_co_i32 s2, s2, 1
	s_bfe_u32 s6, ttmp6, 0x40008
	s_mul_i32 s7, s3, s2
	s_getreg_b32 s2, hwreg(HW_REG_IB_STS2, 6, 4)
	s_add_co_i32 s6, s6, s7
	s_mov_b32 s11, 0
	s_wait_kmcnt 0x0
	s_lshr_b32 s7, s4, 16
	s_and_b32 s4, s4, 0xffff
	s_and_b32 s5, s5, 0xffff
	s_mul_i32 s4, s7, s4
	s_cmp_eq_u32 s2, 0
	s_mul_i32 s4, s4, s5
	s_cselect_b32 s10, s3, s6
	s_cmp_lg_u32 s4, 0x400
	s_cselect_b32 s3, -1, 0
	s_cmp_ge_u32 s10, s33
	s_cselect_b32 s4, -1, 0
	s_delay_alu instid0(SALU_CYCLE_1) | instskip(NEXT) | instid1(SALU_CYCLE_1)
	s_or_b32 s3, s3, s4
	s_and_b32 vcc_lo, exec_lo, s3
	s_cbranch_vccnz .LBB672_56
; %bb.1:
	s_clause 0x6
	s_load_b32 s4, s[0:1], 0x78
	s_load_b64 s[8:9], s[0:1], 0x0
	s_load_b256 s[12:19], s[0:1], 0x8
	s_load_b32 s34, s[0:1], 0x28
	s_load_b128 s[28:31], s[0:1], 0x38
	s_load_b32 s35, s[0:1], 0x48
	s_load_b256 s[20:27], s[0:1], 0x58
	s_wait_xcnt 0x0
	s_bfe_u32 s0, ttmp6, 0x4000c
	v_and_b32_e32 v6, 0x3ff, v0
	s_add_co_i32 s0, s0, 1
	v_bfe_u32 v7, v0, 10, 10
	s_and_b32 s1, ttmp6, 15
	s_mul_i32 s0, ttmp9, s0
	v_mov_b32_e32 v1, 0
	s_add_co_i32 s1, s1, s0
	v_lshl_add_u32 v5, v7, 6, v6
	v_lshlrev_b32_e32 v26, 2, v7
	s_wait_kmcnt 0x0
	s_ashr_i32 s5, s4, 31
	s_cmp_eq_u32 s2, 0
	s_mov_b32 s2, s8
	s_cselect_b32 s0, ttmp9, s1
	s_ashr_i32 s3, s8, 31
	s_lshl_b32 s36, s0, 8
	s_ashr_i32 s1, s9, 31
	v_dual_add_nc_u32 v0, s36, v5 :: v_dual_add_nc_u32 v27, s36, v6
	v_or_b32_e32 v8, s36, v5
	s_lshr_b32 s0, s1, 26
	v_mul_lo_u32 v11, v7, s34
	s_delay_alu instid0(VALU_DEP_3)
	v_cmp_gt_i64_e32 vcc_lo, s[2:3], v[0:1]
	v_add_nc_u32_e32 v4, 64, v27
	v_add_nc_u32_e32 v9, 0x80, v27
	v_mul_u64_e32 v[2:3], s[4:5], v[0:1]
	v_add_nc_u32_e32 v0, 0xc0, v27
	s_add_co_i32 s37, s9, s0
	v_cmp_gt_i32_e64 s2, s8, v4
	v_mul_lo_u32 v4, s4, v8
	v_cmp_gt_i32_e64 s3, s8, v9
	v_lshlrev_b32_e32 v9, 2, v6
	v_cmp_gt_i32_e64 s4, s8, v0
	v_cmp_gt_u32_e64 s5, 0x100, v5
	s_and_not1_b32 s37, s37, 63
	v_or_b32_e32 v10, 3, v26
	s_sub_co_i32 s6, s9, s37
	v_mad_u32 v31, s35, v26, s35
	s_cmp_gt_i32 s6, 0
	v_cmp_gt_i32_e64 s6, s8, v8
	v_ashrrev_i32_e32 v5, 31, v4
	v_lshl_add_u32 v0, v7, 10, v9
	v_lshl_add_u32 v28, v7, 8, v9
	v_mul_lo_u32 v7, v7, s35
	v_mul_lo_u32 v8, s34, v26
	v_or_b32_e32 v9, 2, v26
	v_mad_u32 v30, s34, v10, v6
	v_mul_lo_u32 v33, s35, v10
	v_cmp_gt_i32_e64 s0, s37, v26
	v_cmp_gt_i32_e64 s1, s8, v27
	v_lshl_add_u32 v35, v11, 2, v6
	s_cselect_b32 s38, -1, 0
	s_and_b32 s39, s5, vcc_lo
	s_lshl_b32 s40, s34, 6
	v_lshlrev_b32_e32 v36, 2, v7
	v_mad_u32 v29, s34, v9, v6
	v_mul_lo_u32 v32, s35, v9
	v_add3_u32 v34, v8, s34, v6
	s_lshl_b32 s41, s35, 6
	s_lshl_b64 s[18:19], s[18:19], 1
	s_lshl_b64 s[30:31], s[30:31], 1
	;; [unrolled: 1-line block ×3, first 2 shown]
	s_branch .LBB672_4
.LBB672_2:                              ;   in Loop: Header=BB672_4 Depth=1
	s_wait_xcnt 0x0
	s_or_b32 exec_lo, exec_lo, s7
.LBB672_3:                              ;   in Loop: Header=BB672_4 Depth=1
	s_add_co_i32 s10, s10, 0x10000
	s_delay_alu instid0(SALU_CYCLE_1)
	s_cmp_lt_u32 s10, s33
	s_cbranch_scc0 .LBB672_56
.LBB672_4:                              ; =>This Loop Header: Depth=1
                                        ;     Child Loop BB672_24 Depth 2
	s_mul_u64 s[42:43], s[14:15], s[10:11]
	s_wait_xcnt 0x0
	s_mul_u64 s[44:45], s[22:23], s[10:11]
	s_lshl_b64 s[42:43], s[42:43], 2
	s_lshl_b64 s[44:45], s[44:45], 2
	s_add_nc_u64 s[42:43], s[12:13], s[42:43]
	s_add_nc_u64 s[44:45], s[20:21], s[44:45]
	s_clause 0x1
	global_load_b32 v37, v1, s[42:43]
	global_load_b32 v6, v1, s[44:45]
	s_wait_loadcnt 0x1
	v_cmp_eq_f32_e64 s7, 0, v37
	s_wait_loadcnt 0x0
	v_cmp_eq_f32_e32 vcc_lo, 1.0, v6
	s_wait_xcnt 0x1
	v_readfirstlane_b32 s42, v6
	s_and_b32 s8, s7, vcc_lo
	s_delay_alu instid0(SALU_CYCLE_1)
	s_and_b32 vcc_lo, exec_lo, s8
	s_cbranch_vccnz .LBB672_3
; %bb.5:                                ;   in Loop: Header=BB672_4 Depth=1
	v_mov_b64_e32 v[10:11], 0
	v_mov_b64_e32 v[8:9], 0
	v_cmp_neq_f32_e64 s8, 0, v37
	s_and_b32 vcc_lo, exec_lo, s7
	s_cbranch_vccnz .LBB672_7
; %bb.6:                                ;   in Loop: Header=BB672_4 Depth=1
	s_wait_xcnt 0x0
	s_lshl_b64 s[44:45], s[10:11], 3
	s_delay_alu instid0(SALU_CYCLE_1)
	s_add_nc_u64 s[44:45], s[16:17], s[44:45]
	global_load_b64 v[6:7], v1, s[44:45]
	s_wait_loadcnt 0x0
	v_add_nc_u64_e32 v[8:9], s[18:19], v[6:7]
.LBB672_7:                              ;   in Loop: Header=BB672_4 Depth=1
	s_and_not1_b32 vcc_lo, exec_lo, s8
	s_cbranch_vccnz .LBB672_9
; %bb.8:                                ;   in Loop: Header=BB672_4 Depth=1
	s_wait_xcnt 0x0
	s_lshl_b64 s[44:45], s[10:11], 3
	s_delay_alu instid0(SALU_CYCLE_1)
	s_add_nc_u64 s[44:45], s[28:29], s[44:45]
	global_load_b64 v[6:7], v1, s[44:45]
	s_wait_loadcnt 0x0
	v_add_nc_u64_e32 v[10:11], s[30:31], v[6:7]
.LBB672_9:                              ;   in Loop: Header=BB672_4 Depth=1
	s_wait_xcnt 0x0
	s_lshl_b64 s[44:45], s[10:11], 3
	s_and_not1_b32 vcc_lo, exec_lo, s7
	s_add_nc_u64 s[44:45], s[24:25], s[44:45]
	global_load_b64 v[6:7], v1, s[44:45]
	s_wait_loadcnt 0x0
	v_add_nc_u64_e32 v[6:7], s[26:27], v[6:7]
	s_cbranch_vccnz .LBB672_13
; %bb.10:                               ;   in Loop: Header=BB672_4 Depth=1
	s_mov_b32 s7, 0
	s_mov_b32 s8, 0
                                        ; implicit-def: $vgpr12
	s_wait_xcnt 0x0
	s_and_saveexec_b32 s43, s39
	s_cbranch_execz .LBB672_14
; %bb.11:                               ;   in Loop: Header=BB672_4 Depth=1
	s_cmp_eq_f32 s42, 0
	s_cbranch_scc1 .LBB672_16
; %bb.12:                               ;   in Loop: Header=BB672_4 Depth=1
	v_lshl_add_u64 v[12:13], v[2:3], 2, v[6:7]
	flat_load_b32 v12, v[12:13]
	s_wait_loadcnt_dscnt 0x0
	s_wait_xcnt 0x0
	v_mul_f32_e32 v12, s42, v12
	s_branch .LBB672_17
.LBB672_13:                             ;   in Loop: Header=BB672_4 Depth=1
	s_mov_b32 s8, 0
                                        ; implicit-def: $vgpr12
	s_cbranch_execz .LBB672_15
	s_branch .LBB672_18
.LBB672_14:                             ;   in Loop: Header=BB672_4 Depth=1
	s_or_b32 exec_lo, exec_lo, s43
	s_delay_alu instid0(SALU_CYCLE_1)
	s_and_b32 vcc_lo, exec_lo, s7
	s_cbranch_vccnz .LBB672_18
.LBB672_15:                             ;   in Loop: Header=BB672_4 Depth=1
	v_mov_b64_e32 v[8:9], v[2:3]
	s_wait_xcnt 0x0
	s_and_saveexec_b32 s7, s8
	s_cbranch_execz .LBB672_2
	s_branch .LBB672_55
.LBB672_16:                             ;   in Loop: Header=BB672_4 Depth=1
	v_mov_b32_e32 v12, 0
.LBB672_17:                             ;   in Loop: Header=BB672_4 Depth=1
	s_mov_b32 s8, exec_lo
	s_or_b32 exec_lo, exec_lo, s43
	s_delay_alu instid0(SALU_CYCLE_1)
	s_and_b32 vcc_lo, exec_lo, s7
	s_cbranch_vccz .LBB672_15
.LBB672_18:                             ;   in Loop: Header=BB672_4 Depth=1
	v_dual_mov_b32 v38, 0 :: v_dual_mov_b32 v42, v26
	v_dual_mov_b32 v39, 0 :: v_dual_mov_b32 v40, 0
	v_mov_b32_e32 v41, 0
	s_wait_xcnt 0x0
	s_and_saveexec_b32 s7, s0
	s_cbranch_execz .LBB672_30
; %bb.19:                               ;   in Loop: Header=BB672_4 Depth=1
	v_dual_mov_b32 v38, 0 :: v_dual_mov_b32 v43, v35
	v_dual_mov_b32 v44, v30 :: v_dual_mov_b32 v45, v29
	;; [unrolled: 1-line block ×4, first 2 shown]
	v_mov_b32_e32 v41, 0
	s_mov_b32 s43, 0
	s_mov_b32 s44, 0
	s_branch .LBB672_24
.LBB672_20:                             ;   in Loop: Header=BB672_24 Depth=2
	s_or_b32 exec_lo, exec_lo, s48
	s_wait_loadcnt_dscnt 0x202
	v_dual_lshlrev_b32 v17, 16, v56 :: v_dual_lshlrev_b32 v16, 16, v55
	s_delay_alu instid0(VALU_DEP_1) | instskip(SKIP_1) | instid1(VALU_DEP_1)
	v_pk_mul_f32 v[16:17], v[14:15], v[16:17]
	s_wait_loadcnt_dscnt 0x0
	v_dual_add_f32 v16, v40, v16 :: v_dual_lshlrev_b32 v19, 16, v54
	s_delay_alu instid0(VALU_DEP_1) | instskip(SKIP_1) | instid1(VALU_DEP_1)
	v_add_f32_e32 v20, v16, v17
	v_lshlrev_b32_e32 v18, 16, v53
	v_pk_mul_f32 v[16:17], v[12:13], v[18:19]
	s_delay_alu instid0(VALU_DEP_1) | instskip(NEXT) | instid1(VALU_DEP_1)
	v_add_f32_e32 v16, v20, v16
	v_add_f32_e32 v40, v16, v17
.LBB672_21:                             ;   in Loop: Header=BB672_24 Depth=2
	s_or_b32 exec_lo, exec_lo, s47
	s_wait_loadcnt_dscnt 0x202
	v_dual_lshlrev_b32 v17, 16, v52 :: v_dual_lshlrev_b32 v16, 16, v51
	s_delay_alu instid0(VALU_DEP_1) | instskip(SKIP_1) | instid1(VALU_DEP_1)
	v_pk_mul_f32 v[16:17], v[14:15], v[16:17]
	s_wait_loadcnt_dscnt 0x0
	v_dual_add_f32 v16, v39, v16 :: v_dual_lshlrev_b32 v19, 16, v25
	s_delay_alu instid0(VALU_DEP_1) | instskip(NEXT) | instid1(VALU_DEP_1)
	v_dual_lshlrev_b32 v18, 16, v24 :: v_dual_add_f32 v20, v16, v17
	v_pk_mul_f32 v[16:17], v[12:13], v[18:19]
	s_delay_alu instid0(VALU_DEP_1) | instskip(NEXT) | instid1(VALU_DEP_1)
	v_add_f32_e32 v16, v20, v16
	v_add_f32_e32 v39, v16, v17
.LBB672_22:                             ;   in Loop: Header=BB672_24 Depth=2
	s_or_b32 exec_lo, exec_lo, s46
	s_wait_loadcnt_dscnt 0x202
	v_dual_lshlrev_b32 v17, 16, v50 :: v_dual_lshlrev_b32 v16, 16, v49
	s_delay_alu instid0(VALU_DEP_1) | instskip(SKIP_1) | instid1(VALU_DEP_1)
	v_pk_mul_f32 v[14:15], v[14:15], v[16:17]
	s_wait_loadcnt_dscnt 0x0
	v_dual_add_f32 v14, v38, v14 :: v_dual_lshlrev_b32 v17, 16, v48
	s_delay_alu instid0(VALU_DEP_1) | instskip(SKIP_1) | instid1(VALU_DEP_1)
	v_add_f32_e32 v14, v14, v15
	v_lshlrev_b32_e32 v16, 16, v47
	v_pk_mul_f32 v[12:13], v[12:13], v[16:17]
	s_delay_alu instid0(VALU_DEP_1) | instskip(NEXT) | instid1(VALU_DEP_1)
	v_add_f32_e32 v12, v14, v12
	v_add_f32_e32 v38, v12, v13
.LBB672_23:                             ;   in Loop: Header=BB672_24 Depth=2
	s_or_b32 exec_lo, exec_lo, s45
	v_dual_add_nc_u32 v42, 64, v42 :: v_dual_add_nc_u32 v45, s40, v45
	v_dual_add_nc_u32 v46, s40, v46 :: v_dual_add_nc_u32 v44, s40, v44
	v_add_nc_u32_e32 v43, s40, v43
	s_delay_alu instid0(VALU_DEP_3) | instskip(SKIP_2) | instid1(SALU_CYCLE_1)
	v_cmp_le_i32_e32 vcc_lo, s37, v42
	s_add_co_i32 s44, s44, s41
	s_or_b32 s43, vcc_lo, s43
	s_and_not1_b32 exec_lo, exec_lo, s43
	s_cbranch_execz .LBB672_29
.LBB672_24:                             ;   Parent Loop BB672_4 Depth=1
                                        ; =>  This Inner Loop Header: Depth=2
	s_and_saveexec_b32 s45, s1
	s_cbranch_execz .LBB672_23
; %bb.25:                               ;   in Loop: Header=BB672_24 Depth=2
	v_dual_add_nc_u32 v12, s44, v36 :: v_dual_add_nc_u32 v13, s44, v31
	v_readfirstlane_b32 s46, v10
	v_readfirstlane_b32 s47, v11
	v_dual_add_nc_u32 v14, s44, v32 :: v_dual_add_nc_u32 v15, s44, v33
	s_clause 0x3
	flat_load_u16 v17, v12, s[46:47] scale_offset
	flat_load_u16 v18, v13, s[46:47] scale_offset
	;; [unrolled: 1-line block ×4, first 2 shown]
	v_dual_add_nc_u32 v16, s36, v43 :: v_dual_add_nc_u32 v20, s36, v46
	s_wait_xcnt 0x0
	v_readfirstlane_b32 s46, v8
	v_readfirstlane_b32 s47, v9
	v_dual_add_nc_u32 v24, s36, v45 :: v_dual_add_nc_u32 v22, s36, v44
	s_clause 0x3
	flat_load_u16 v49, v16, s[46:47] scale_offset
	flat_load_u16 v50, v20, s[46:47] scale_offset
	;; [unrolled: 1-line block ×4, first 2 shown]
	s_wait_loadcnt_dscnt 0x606
	v_dual_lshlrev_b32 v14, 16, v17 :: v_dual_lshlrev_b32 v15, 16, v18
	s_wait_loadcnt_dscnt 0x404
	v_dual_lshlrev_b32 v12, 16, v19 :: v_dual_lshlrev_b32 v13, 16, v21
	s_wait_xcnt 0x0
	s_and_saveexec_b32 s46, s2
	s_cbranch_execz .LBB672_22
; %bb.26:                               ;   in Loop: Header=BB672_24 Depth=2
	v_dual_ashrrev_i32 v17, 31, v16 :: v_dual_ashrrev_i32 v23, 31, v22
	v_ashrrev_i32_e32 v21, 31, v20
	v_ashrrev_i32_e32 v25, 31, v24
	s_delay_alu instid0(VALU_DEP_3) | instskip(NEXT) | instid1(VALU_DEP_4)
	v_lshl_add_u64 v[18:19], v[16:17], 1, v[8:9]
	v_lshl_add_u64 v[22:23], v[22:23], 1, v[8:9]
	s_delay_alu instid0(VALU_DEP_4) | instskip(NEXT) | instid1(VALU_DEP_4)
	v_lshl_add_u64 v[16:17], v[20:21], 1, v[8:9]
	v_lshl_add_u64 v[20:21], v[24:25], 1, v[8:9]
	s_clause 0x3
	flat_load_u16 v51, v[18:19] offset:128
	flat_load_u16 v52, v[16:17] offset:128
	;; [unrolled: 1-line block ×4, first 2 shown]
	s_wait_xcnt 0x0
	s_and_saveexec_b32 s47, s3
	s_cbranch_execz .LBB672_21
; %bb.27:                               ;   in Loop: Header=BB672_24 Depth=2
	s_clause 0x3
	flat_load_u16 v55, v[18:19] offset:256
	flat_load_u16 v56, v[16:17] offset:256
	;; [unrolled: 1-line block ×4, first 2 shown]
	s_wait_xcnt 0x0
	s_and_saveexec_b32 s48, s4
	s_cbranch_execz .LBB672_20
; %bb.28:                               ;   in Loop: Header=BB672_24 Depth=2
	s_clause 0x3
	flat_load_u16 v57, v[16:17] offset:384
	flat_load_u16 v58, v[18:19] offset:384
	;; [unrolled: 1-line block ×4, first 2 shown]
	s_wait_loadcnt_dscnt 0x202
	s_wait_xcnt 0x3
	v_dual_lshlrev_b32 v17, 16, v57 :: v_dual_lshlrev_b32 v16, 16, v58
	s_delay_alu instid0(VALU_DEP_1) | instskip(SKIP_2) | instid1(VALU_DEP_1)
	v_pk_mul_f32 v[16:17], v[14:15], v[16:17]
	s_wait_loadcnt_dscnt 0x101
	s_wait_xcnt 0x2
	v_dual_add_f32 v16, v41, v16 :: v_dual_lshlrev_b32 v19, 16, v59
	s_wait_loadcnt_dscnt 0x0
	s_wait_xcnt 0x0
	s_delay_alu instid0(VALU_DEP_1) | instskip(NEXT) | instid1(VALU_DEP_1)
	v_dual_lshlrev_b32 v18, 16, v60 :: v_dual_add_f32 v20, v16, v17
	v_pk_mul_f32 v[16:17], v[12:13], v[18:19]
	s_delay_alu instid0(VALU_DEP_1) | instskip(NEXT) | instid1(VALU_DEP_1)
	v_add_f32_e32 v16, v20, v16
	v_add_f32_e32 v41, v16, v17
	s_branch .LBB672_20
.LBB672_29:                             ;   in Loop: Header=BB672_4 Depth=1
	s_or_b32 exec_lo, exec_lo, s43
.LBB672_30:                             ;   in Loop: Header=BB672_4 Depth=1
	s_delay_alu instid0(SALU_CYCLE_1) | instskip(NEXT) | instid1(SALU_CYCLE_1)
	s_or_b32 exec_lo, exec_lo, s7
	s_and_not1_b32 vcc_lo, exec_lo, s38
	s_cbranch_vccnz .LBB672_48
; %bb.31:                               ;   in Loop: Header=BB672_4 Depth=1
	v_dual_mov_b32 v12, 0 :: v_dual_bitop2_b32 v16, 1, v42 bitop3:0x54
	v_cmp_gt_i32_e32 vcc_lo, s9, v42
	s_delay_alu instid0(VALU_DEP_2)
	v_dual_mov_b32 v13, v12 :: v_dual_mov_b32 v14, v12
	v_mov_b32_e32 v15, v12
	s_and_saveexec_b32 s43, vcc_lo
	s_cbranch_execz .LBB672_39
; %bb.32:                               ;   in Loop: Header=BB672_4 Depth=1
	v_mul_lo_u32 v12, v42, s35
	v_readfirstlane_b32 s44, v10
	v_readfirstlane_b32 s45, v11
	v_dual_mov_b32 v15, 0 :: v_dual_mov_b32 v13, 0
	flat_load_u16 v14, v12, s[44:45] scale_offset
	s_wait_xcnt 0x0
	v_mov_b32_e32 v12, 0
	s_mov_b32 s44, exec_lo
	v_cmpx_gt_i32_e64 s9, v16
	s_cbranch_execz .LBB672_38
; %bb.33:                               ;   in Loop: Header=BB672_4 Depth=1
	v_mul_lo_u32 v12, v16, s35
	v_readfirstlane_b32 s46, v10
	v_readfirstlane_b32 s47, v11
	v_dual_mov_b32 v13, 0 :: v_dual_bitop2_b32 v17, 2, v42 bitop3:0x54
	s_mov_b32 s45, exec_lo
	flat_load_u16 v15, v12, s[46:47] scale_offset
	s_wait_xcnt 0x0
	v_mov_b32_e32 v12, 0
	v_cmpx_gt_i32_e64 s9, v17
	s_cbranch_execz .LBB672_37
; %bb.34:                               ;   in Loop: Header=BB672_4 Depth=1
	v_mul_lo_u32 v12, v17, s35
	v_readfirstlane_b32 s46, v10
	v_readfirstlane_b32 s47, v11
	v_dual_mov_b32 v13, 0 :: v_dual_bitop2_b32 v17, 3, v42 bitop3:0x54
	flat_load_u16 v12, v12, s[46:47] scale_offset
	s_wait_xcnt 0x0
	s_mov_b32 s46, exec_lo
	v_cmpx_gt_i32_e64 s9, v17
	s_cbranch_execz .LBB672_36
; %bb.35:                               ;   in Loop: Header=BB672_4 Depth=1
	v_mul_lo_u32 v13, v17, s35
	v_readfirstlane_b32 s48, v10
	v_readfirstlane_b32 s49, v11
	flat_load_u16 v10, v13, s[48:49] scale_offset
	s_wait_loadcnt_dscnt 0x0
	s_wait_xcnt 0x0
	v_lshlrev_b32_e32 v13, 16, v10
.LBB672_36:                             ;   in Loop: Header=BB672_4 Depth=1
	s_or_b32 exec_lo, exec_lo, s46
	s_wait_loadcnt_dscnt 0x0
	v_lshlrev_b32_e32 v12, 16, v12
.LBB672_37:                             ;   in Loop: Header=BB672_4 Depth=1
	s_or_b32 exec_lo, exec_lo, s45
	s_wait_loadcnt_dscnt 0x0
	v_lshlrev_b32_e32 v15, 16, v15
.LBB672_38:                             ;   in Loop: Header=BB672_4 Depth=1
	s_or_b32 exec_lo, exec_lo, s44
	s_wait_loadcnt_dscnt 0x0
	v_lshlrev_b32_e32 v14, 16, v14
.LBB672_39:                             ;   in Loop: Header=BB672_4 Depth=1
	s_or_b32 exec_lo, exec_lo, s43
	s_and_saveexec_b32 s43, s1
	s_cbranch_execz .LBB672_47
; %bb.40:                               ;   in Loop: Header=BB672_4 Depth=1
	v_mul_lo_u32 v17, v16, s34
	v_cmp_gt_i32_e64 s7, s9, v16
	v_or_b32_e32 v10, 2, v42
	v_mul_lo_u32 v20, v42, s34
	v_or_b32_e32 v11, 3, v42
	v_readfirstlane_b32 s44, v8
	v_readfirstlane_b32 s45, v9
	s_delay_alu instid0(VALU_DEP_3) | instskip(SKIP_3) | instid1(VALU_DEP_1)
	v_mul_lo_u32 v19, v11, s34
	v_cndmask_b32_e64 v16, 0, v17, s7
	v_mul_lo_u32 v18, v10, s34
	v_cmp_gt_i32_e64 s7, s9, v10
	v_cndmask_b32_e64 v17, 0, v18, s7
	v_cmp_gt_i32_e64 s7, s9, v11
	s_delay_alu instid0(VALU_DEP_1) | instskip(NEXT) | instid1(VALU_DEP_3)
	v_dual_cndmask_b32 v11, 0, v19, s7 :: v_dual_cndmask_b32 v19, 0, v20, vcc_lo
	v_dual_add_nc_u32 v10, v16, v27 :: v_dual_add_nc_u32 v18, v17, v27
	s_delay_alu instid0(VALU_DEP_2) | instskip(NEXT) | instid1(VALU_DEP_3)
	v_add_nc_u32_e32 v20, v11, v27
	v_add_nc_u32_e32 v16, v19, v27
	s_clause 0x3
	flat_load_u16 v24, v10, s[44:45] scale_offset
	flat_load_u16 v22, v18, s[44:45] scale_offset
	;; [unrolled: 1-line block ×4, first 2 shown]
	s_wait_xcnt 0x0
	s_and_saveexec_b32 s7, s2
	s_cbranch_execz .LBB672_46
; %bb.41:                               ;   in Loop: Header=BB672_4 Depth=1
	v_dual_ashrrev_i32 v17, 31, v16 :: v_dual_ashrrev_i32 v11, 31, v10
	v_dual_ashrrev_i32 v19, 31, v18 :: v_dual_ashrrev_i32 v21, 31, v20
	s_delay_alu instid0(VALU_DEP_2) | instskip(NEXT) | instid1(VALU_DEP_3)
	v_lshl_add_u64 v[16:17], v[16:17], 1, v[8:9]
	v_lshl_add_u64 v[10:11], v[10:11], 1, v[8:9]
	s_delay_alu instid0(VALU_DEP_3) | instskip(NEXT) | instid1(VALU_DEP_4)
	v_lshl_add_u64 v[18:19], v[18:19], 1, v[8:9]
	v_lshl_add_u64 v[8:9], v[20:21], 1, v[8:9]
	s_clause 0x3
	flat_load_u16 v42, v[16:17] offset:128
	flat_load_u16 v43, v[10:11] offset:128
	;; [unrolled: 1-line block ×4, first 2 shown]
	s_wait_xcnt 0x0
	s_and_saveexec_b32 s44, s3
	s_cbranch_execz .LBB672_45
; %bb.42:                               ;   in Loop: Header=BB672_4 Depth=1
	s_clause 0x3
	flat_load_u16 v46, v[16:17] offset:256
	flat_load_u16 v47, v[10:11] offset:256
	;; [unrolled: 1-line block ×4, first 2 shown]
	s_wait_xcnt 0x0
	s_and_saveexec_b32 s45, s4
	s_cbranch_execz .LBB672_44
; %bb.43:                               ;   in Loop: Header=BB672_4 Depth=1
	s_clause 0x3
	flat_load_u16 v48, v[10:11] offset:384
	flat_load_u16 v49, v[16:17] offset:384
	;; [unrolled: 1-line block ×4, first 2 shown]
	s_wait_loadcnt_dscnt 0x202
	s_wait_xcnt 0x1
	v_dual_lshlrev_b32 v9, 16, v48 :: v_dual_lshlrev_b32 v8, 16, v49
	s_delay_alu instid0(VALU_DEP_1) | instskip(SKIP_1) | instid1(VALU_DEP_1)
	v_pk_mul_f32 v[8:9], v[14:15], v[8:9]
	s_wait_loadcnt_dscnt 0x101
	v_dual_add_f32 v8, v41, v8 :: v_dual_lshlrev_b32 v11, 16, v50
	s_wait_loadcnt_dscnt 0x0
	s_delay_alu instid0(VALU_DEP_1) | instskip(NEXT) | instid1(VALU_DEP_1)
	v_dual_lshlrev_b32 v10, 16, v51 :: v_dual_add_f32 v16, v8, v9
	v_pk_mul_f32 v[8:9], v[12:13], v[10:11]
	s_delay_alu instid0(VALU_DEP_1) | instskip(NEXT) | instid1(VALU_DEP_1)
	v_add_f32_e32 v8, v16, v8
	v_add_f32_e32 v41, v8, v9
.LBB672_44:                             ;   in Loop: Header=BB672_4 Depth=1
	s_wait_xcnt 0x0
	s_or_b32 exec_lo, exec_lo, s45
	s_wait_loadcnt_dscnt 0x202
	v_dual_lshlrev_b32 v9, 16, v47 :: v_dual_lshlrev_b32 v8, 16, v46
	s_delay_alu instid0(VALU_DEP_1) | instskip(SKIP_1) | instid1(VALU_DEP_1)
	v_pk_mul_f32 v[8:9], v[14:15], v[8:9]
	s_wait_loadcnt_dscnt 0x0
	v_dual_add_f32 v8, v40, v8 :: v_dual_lshlrev_b32 v11, 16, v45
	s_delay_alu instid0(VALU_DEP_1) | instskip(NEXT) | instid1(VALU_DEP_1)
	v_dual_lshlrev_b32 v10, 16, v44 :: v_dual_add_f32 v16, v8, v9
	v_pk_mul_f32 v[8:9], v[12:13], v[10:11]
	s_delay_alu instid0(VALU_DEP_1) | instskip(NEXT) | instid1(VALU_DEP_1)
	v_add_f32_e32 v8, v16, v8
	v_add_f32_e32 v40, v8, v9
.LBB672_45:                             ;   in Loop: Header=BB672_4 Depth=1
	s_or_b32 exec_lo, exec_lo, s44
	s_wait_loadcnt_dscnt 0x202
	v_dual_lshlrev_b32 v9, 16, v43 :: v_dual_lshlrev_b32 v8, 16, v42
	s_delay_alu instid0(VALU_DEP_1) | instskip(SKIP_1) | instid1(VALU_DEP_1)
	v_pk_mul_f32 v[8:9], v[14:15], v[8:9]
	s_wait_loadcnt_dscnt 0x0
	v_dual_add_f32 v8, v39, v8 :: v_dual_lshlrev_b32 v11, 16, v21
	s_delay_alu instid0(VALU_DEP_1) | instskip(NEXT) | instid1(VALU_DEP_1)
	v_dual_lshlrev_b32 v10, 16, v20 :: v_dual_add_f32 v16, v8, v9
	v_pk_mul_f32 v[8:9], v[12:13], v[10:11]
	s_delay_alu instid0(VALU_DEP_1) | instskip(NEXT) | instid1(VALU_DEP_1)
	v_add_f32_e32 v8, v16, v8
	v_add_f32_e32 v39, v8, v9
.LBB672_46:                             ;   in Loop: Header=BB672_4 Depth=1
	s_or_b32 exec_lo, exec_lo, s7
	s_wait_loadcnt_dscnt 0x0
	v_dual_lshlrev_b32 v9, 16, v24 :: v_dual_lshlrev_b32 v8, 16, v25
	s_delay_alu instid0(VALU_DEP_1) | instskip(NEXT) | instid1(VALU_DEP_1)
	v_pk_mul_f32 v[8:9], v[14:15], v[8:9]
	v_dual_add_f32 v8, v38, v8 :: v_dual_lshlrev_b32 v11, 16, v23
	s_delay_alu instid0(VALU_DEP_1) | instskip(NEXT) | instid1(VALU_DEP_1)
	v_dual_lshlrev_b32 v10, 16, v22 :: v_dual_add_f32 v14, v8, v9
	v_pk_mul_f32 v[8:9], v[12:13], v[10:11]
	s_delay_alu instid0(VALU_DEP_1) | instskip(NEXT) | instid1(VALU_DEP_1)
	v_add_f32_e32 v8, v14, v8
	v_add_f32_e32 v38, v8, v9
.LBB672_47:                             ;   in Loop: Header=BB672_4 Depth=1
	s_or_b32 exec_lo, exec_lo, s43
.LBB672_48:                             ;   in Loop: Header=BB672_4 Depth=1
	ds_store_2addr_stride64_b32 v0, v38, v39 offset1:1
	ds_store_2addr_stride64_b32 v0, v40, v41 offset0:2 offset1:3
	s_wait_dscnt 0x0
	s_barrier_signal -1
	s_barrier_wait -1
                                        ; implicit-def: $vgpr12
	s_and_saveexec_b32 s7, s5
	s_cbranch_execz .LBB672_54
; %bb.49:                               ;   in Loop: Header=BB672_4 Depth=1
	ds_load_2addr_stride64_b32 v[8:9], v28 offset1:4
	ds_load_2addr_stride64_b32 v[10:11], v28 offset0:8 offset1:12
	ds_load_2addr_stride64_b32 v[12:13], v28 offset0:16 offset1:20
	s_mov_b32 s44, s8
	s_wait_dscnt 0x2
	v_add_f32_e32 v14, v8, v9
	ds_load_2addr_stride64_b32 v[8:9], v28 offset0:24 offset1:28
	s_wait_dscnt 0x2
	v_add_f32_e32 v10, v10, v14
	s_delay_alu instid0(VALU_DEP_1) | instskip(SKIP_3) | instid1(VALU_DEP_1)
	v_add_f32_e32 v14, v11, v10
	ds_load_2addr_stride64_b32 v[10:11], v28 offset0:32 offset1:36
	s_wait_dscnt 0x2
	v_add_f32_e32 v12, v12, v14
	v_add_f32_e32 v14, v13, v12
	ds_load_2addr_stride64_b32 v[12:13], v28 offset0:40 offset1:44
	s_wait_dscnt 0x2
	v_add_f32_e32 v8, v8, v14
	s_delay_alu instid0(VALU_DEP_1) | instskip(SKIP_1) | instid1(VALU_DEP_1)
	v_add_f32_e32 v8, v9, v8
	s_wait_dscnt 0x1
	v_add_f32_e32 v10, v10, v8
	ds_load_2addr_stride64_b32 v[8:9], v28 offset0:48 offset1:52
	v_add_f32_e32 v10, v11, v10
	s_wait_dscnt 0x1
	s_delay_alu instid0(VALU_DEP_1) | instskip(SKIP_3) | instid1(VALU_DEP_1)
	v_add_f32_e32 v12, v12, v10
	ds_load_2addr_stride64_b32 v[10:11], v28 offset0:56 offset1:60
	v_add_f32_e32 v12, v13, v12
	s_wait_dscnt 0x1
	v_add_f32_e32 v8, v8, v12
                                        ; implicit-def: $vgpr12
	s_delay_alu instid0(VALU_DEP_1) | instskip(SKIP_1) | instid1(VALU_DEP_1)
	v_add_f32_e32 v8, v9, v8
	s_wait_dscnt 0x0
	v_add_f32_e32 v8, v10, v8
	s_delay_alu instid0(VALU_DEP_1)
	v_add_f32_e32 v8, v11, v8
	ds_store_b32 v28, v8
	s_and_saveexec_b32 s43, s6
	s_cbranch_execz .LBB672_53
; %bb.50:                               ;   in Loop: Header=BB672_4 Depth=1
	v_mul_f32_e32 v12, v37, v8
	s_cmp_eq_f32 s42, 0
	s_cbranch_scc1 .LBB672_52
; %bb.51:                               ;   in Loop: Header=BB672_4 Depth=1
	v_lshl_add_u64 v[8:9], v[4:5], 2, v[6:7]
	flat_load_b32 v8, v[8:9]
	s_wait_loadcnt_dscnt 0x0
	v_fmac_f32_e32 v12, s42, v8
.LBB672_52:                             ;   in Loop: Header=BB672_4 Depth=1
	s_or_b32 s44, s8, exec_lo
.LBB672_53:                             ;   in Loop: Header=BB672_4 Depth=1
	s_wait_xcnt 0x0
	s_or_b32 exec_lo, exec_lo, s43
	s_delay_alu instid0(SALU_CYCLE_1) | instskip(SKIP_1) | instid1(SALU_CYCLE_1)
	s_and_not1_b32 s8, s8, exec_lo
	s_and_b32 s42, s44, exec_lo
	s_or_b32 s8, s8, s42
.LBB672_54:                             ;   in Loop: Header=BB672_4 Depth=1
	s_or_b32 exec_lo, exec_lo, s7
	v_mov_b64_e32 v[8:9], v[4:5]
	s_and_saveexec_b32 s7, s8
	s_cbranch_execz .LBB672_2
.LBB672_55:                             ;   in Loop: Header=BB672_4 Depth=1
	s_delay_alu instid0(VALU_DEP_1)
	v_lshl_add_u64 v[6:7], v[8:9], 2, v[6:7]
	flat_store_b32 v[6:7], v12
	s_branch .LBB672_2
.LBB672_56:
	s_endpgm
	.section	.rodata,"a",@progbits
	.p2align	6, 0x0
	.amdhsa_kernel _ZL20rocblas_gemvn_kernelILi64ELi16EiPK16rocblas_bfloat16PKfKPfEviiT3_lPKT2_lT1_lSA_lSB_lS7_lPT4_lSB_li
		.amdhsa_group_segment_fixed_size 16384
		.amdhsa_private_segment_fixed_size 0
		.amdhsa_kernarg_size 400
		.amdhsa_user_sgpr_count 2
		.amdhsa_user_sgpr_dispatch_ptr 0
		.amdhsa_user_sgpr_queue_ptr 0
		.amdhsa_user_sgpr_kernarg_segment_ptr 1
		.amdhsa_user_sgpr_dispatch_id 0
		.amdhsa_user_sgpr_kernarg_preload_length 0
		.amdhsa_user_sgpr_kernarg_preload_offset 0
		.amdhsa_user_sgpr_private_segment_size 0
		.amdhsa_wavefront_size32 1
		.amdhsa_uses_dynamic_stack 0
		.amdhsa_enable_private_segment 0
		.amdhsa_system_sgpr_workgroup_id_x 1
		.amdhsa_system_sgpr_workgroup_id_y 0
		.amdhsa_system_sgpr_workgroup_id_z 1
		.amdhsa_system_sgpr_workgroup_info 0
		.amdhsa_system_vgpr_workitem_id 1
		.amdhsa_next_free_vgpr 61
		.amdhsa_next_free_sgpr 50
		.amdhsa_named_barrier_count 0
		.amdhsa_reserve_vcc 1
		.amdhsa_float_round_mode_32 0
		.amdhsa_float_round_mode_16_64 0
		.amdhsa_float_denorm_mode_32 3
		.amdhsa_float_denorm_mode_16_64 3
		.amdhsa_fp16_overflow 0
		.amdhsa_memory_ordered 1
		.amdhsa_forward_progress 1
		.amdhsa_inst_pref_size 27
		.amdhsa_round_robin_scheduling 0
		.amdhsa_exception_fp_ieee_invalid_op 0
		.amdhsa_exception_fp_denorm_src 0
		.amdhsa_exception_fp_ieee_div_zero 0
		.amdhsa_exception_fp_ieee_overflow 0
		.amdhsa_exception_fp_ieee_underflow 0
		.amdhsa_exception_fp_ieee_inexact 0
		.amdhsa_exception_int_div_zero 0
	.end_amdhsa_kernel
	.section	.text._ZL20rocblas_gemvn_kernelILi64ELi16EiPK16rocblas_bfloat16PKfKPfEviiT3_lPKT2_lT1_lSA_lSB_lS7_lPT4_lSB_li,"axG",@progbits,_ZL20rocblas_gemvn_kernelILi64ELi16EiPK16rocblas_bfloat16PKfKPfEviiT3_lPKT2_lT1_lSA_lSB_lS7_lPT4_lSB_li,comdat
.Lfunc_end672:
	.size	_ZL20rocblas_gemvn_kernelILi64ELi16EiPK16rocblas_bfloat16PKfKPfEviiT3_lPKT2_lT1_lSA_lSB_lS7_lPT4_lSB_li, .Lfunc_end672-_ZL20rocblas_gemvn_kernelILi64ELi16EiPK16rocblas_bfloat16PKfKPfEviiT3_lPKT2_lT1_lSA_lSB_lS7_lPT4_lSB_li
                                        ; -- End function
	.set _ZL20rocblas_gemvn_kernelILi64ELi16EiPK16rocblas_bfloat16PKfKPfEviiT3_lPKT2_lT1_lSA_lSB_lS7_lPT4_lSB_li.num_vgpr, 61
	.set _ZL20rocblas_gemvn_kernelILi64ELi16EiPK16rocblas_bfloat16PKfKPfEviiT3_lPKT2_lT1_lSA_lSB_lS7_lPT4_lSB_li.num_agpr, 0
	.set _ZL20rocblas_gemvn_kernelILi64ELi16EiPK16rocblas_bfloat16PKfKPfEviiT3_lPKT2_lT1_lSA_lSB_lS7_lPT4_lSB_li.numbered_sgpr, 50
	.set _ZL20rocblas_gemvn_kernelILi64ELi16EiPK16rocblas_bfloat16PKfKPfEviiT3_lPKT2_lT1_lSA_lSB_lS7_lPT4_lSB_li.num_named_barrier, 0
	.set _ZL20rocblas_gemvn_kernelILi64ELi16EiPK16rocblas_bfloat16PKfKPfEviiT3_lPKT2_lT1_lSA_lSB_lS7_lPT4_lSB_li.private_seg_size, 0
	.set _ZL20rocblas_gemvn_kernelILi64ELi16EiPK16rocblas_bfloat16PKfKPfEviiT3_lPKT2_lT1_lSA_lSB_lS7_lPT4_lSB_li.uses_vcc, 1
	.set _ZL20rocblas_gemvn_kernelILi64ELi16EiPK16rocblas_bfloat16PKfKPfEviiT3_lPKT2_lT1_lSA_lSB_lS7_lPT4_lSB_li.uses_flat_scratch, 1
	.set _ZL20rocblas_gemvn_kernelILi64ELi16EiPK16rocblas_bfloat16PKfKPfEviiT3_lPKT2_lT1_lSA_lSB_lS7_lPT4_lSB_li.has_dyn_sized_stack, 0
	.set _ZL20rocblas_gemvn_kernelILi64ELi16EiPK16rocblas_bfloat16PKfKPfEviiT3_lPKT2_lT1_lSA_lSB_lS7_lPT4_lSB_li.has_recursion, 0
	.set _ZL20rocblas_gemvn_kernelILi64ELi16EiPK16rocblas_bfloat16PKfKPfEviiT3_lPKT2_lT1_lSA_lSB_lS7_lPT4_lSB_li.has_indirect_call, 0
	.section	.AMDGPU.csdata,"",@progbits
; Kernel info:
; codeLenInByte = 3368
; TotalNumSgprs: 52
; NumVgprs: 61
; ScratchSize: 0
; MemoryBound: 0
; FloatMode: 240
; IeeeMode: 1
; LDSByteSize: 16384 bytes/workgroup (compile time only)
; SGPRBlocks: 0
; VGPRBlocks: 3
; NumSGPRsForWavesPerEU: 52
; NumVGPRsForWavesPerEU: 61
; NamedBarCnt: 0
; Occupancy: 16
; WaveLimiterHint : 1
; COMPUTE_PGM_RSRC2:SCRATCH_EN: 0
; COMPUTE_PGM_RSRC2:USER_SGPR: 2
; COMPUTE_PGM_RSRC2:TRAP_HANDLER: 0
; COMPUTE_PGM_RSRC2:TGID_X_EN: 1
; COMPUTE_PGM_RSRC2:TGID_Y_EN: 0
; COMPUTE_PGM_RSRC2:TGID_Z_EN: 1
; COMPUTE_PGM_RSRC2:TIDIG_COMP_CNT: 1
	.section	.text._ZL20rocblas_gemvn_kernelILi64ELi16ElPK16rocblas_bfloat16PKfKPfEviiT3_lPKT2_lT1_lSA_lSB_lS7_lPT4_lSB_li,"axG",@progbits,_ZL20rocblas_gemvn_kernelILi64ELi16ElPK16rocblas_bfloat16PKfKPfEviiT3_lPKT2_lT1_lSA_lSB_lS7_lPT4_lSB_li,comdat
	.globl	_ZL20rocblas_gemvn_kernelILi64ELi16ElPK16rocblas_bfloat16PKfKPfEviiT3_lPKT2_lT1_lSA_lSB_lS7_lPT4_lSB_li ; -- Begin function _ZL20rocblas_gemvn_kernelILi64ELi16ElPK16rocblas_bfloat16PKfKPfEviiT3_lPKT2_lT1_lSA_lSB_lS7_lPT4_lSB_li
	.p2align	8
	.type	_ZL20rocblas_gemvn_kernelILi64ELi16ElPK16rocblas_bfloat16PKfKPfEviiT3_lPKT2_lT1_lSA_lSB_lS7_lPT4_lSB_li,@function
_ZL20rocblas_gemvn_kernelILi64ELi16ElPK16rocblas_bfloat16PKfKPfEviiT3_lPKT2_lT1_lSA_lSB_lS7_lPT4_lSB_li: ; @_ZL20rocblas_gemvn_kernelILi64ELi16ElPK16rocblas_bfloat16PKfKPfEviiT3_lPKT2_lT1_lSA_lSB_lS7_lPT4_lSB_li
; %bb.0:
	s_clause 0x1
	s_load_b64 s[2:3], s[0:1], 0x9c
	s_load_b32 s33, s[0:1], 0x88
	s_bfe_u32 s4, ttmp6, 0x40014
	s_lshr_b32 s5, ttmp7, 16
	s_add_co_i32 s4, s4, 1
	s_bfe_u32 s6, ttmp6, 0x40008
	s_mul_i32 s7, s5, s4
	s_getreg_b32 s4, hwreg(HW_REG_IB_STS2, 6, 4)
	s_add_co_i32 s6, s6, s7
	s_mov_b32 s11, 0
	s_wait_kmcnt 0x0
	s_lshr_b32 s7, s2, 16
	s_and_b32 s2, s2, 0xffff
	s_and_b32 s3, s3, 0xffff
	s_mul_i32 s2, s7, s2
	s_cmp_eq_u32 s4, 0
	s_mul_i32 s2, s2, s3
	s_cselect_b32 s10, s5, s6
	s_cmp_lg_u32 s2, 0x400
	s_cselect_b32 s2, -1, 0
	s_cmp_ge_u32 s10, s33
	s_cselect_b32 s3, -1, 0
	s_delay_alu instid0(SALU_CYCLE_1) | instskip(NEXT) | instid1(SALU_CYCLE_1)
	s_or_b32 s2, s2, s3
	s_and_b32 vcc_lo, exec_lo, s2
	s_cbranch_vccnz .LBB673_56
; %bb.1:
	s_clause 0x2
	s_load_b64 s[34:35], s[0:1], 0x0
	s_load_b64 s[36:37], s[0:1], 0x28
	;; [unrolled: 1-line block ×3, first 2 shown]
	s_bfe_u32 s5, ttmp6, 0x4000c
	v_and_b32_e32 v28, 0x3ff, v0
	s_add_co_i32 s5, s5, 1
	v_bfe_u32 v6, v0, 10, 10
	s_clause 0x1
	s_load_b64 s[38:39], s[0:1], 0x48
	s_load_b128 s[28:31], s[0:1], 0x38
	s_and_b32 s6, ttmp6, 15
	s_mul_i32 s5, ttmp9, s5
	v_lshl_add_u32 v29, v6, 6, v28
	s_add_co_i32 s6, s6, s5
	s_cmp_eq_u32 s4, 0
	s_load_b256 s[12:19], s[0:1], 0x8
	s_cselect_b32 s4, ttmp9, s6
	s_load_b256 s[20:27], s[0:1], 0x58
	s_lshl_b32 s6, s4, 8
	s_delay_alu instid0(SALU_CYCLE_1)
	v_dual_mov_b32 v1, 0 :: v_dual_add_nc_u32 v0, s6, v29
	v_lshlrev_b32_e32 v52, 2, v6
	s_wait_kmcnt 0x0
	s_ashr_i32 s5, s34, 31
	s_mov_b32 s4, s34
	v_mov_b32_e32 v7, v1
	v_mul_u64_e32 v[2:3], s[2:3], v[0:1]
	v_cmp_gt_i64_e32 vcc_lo, s[4:5], v[0:1]
	v_dual_add_nc_u32 v14, s6, v28 :: v_dual_bitop2_b32 v16, s6, v29 bitop3:0x54
	v_or_b32_e32 v0, 3, v52
	v_mul_u64_e32 v[8:9], s[38:39], v[6:7]
	v_mul_u64_e32 v[18:19], s[36:37], v[6:7]
	s_delay_alu instid0(VALU_DEP_4) | instskip(NEXT) | instid1(VALU_DEP_4)
	v_dual_ashrrev_i32 v15, 31, v14 :: v_dual_ashrrev_i32 v17, 31, v16
	v_mul_u64_e32 v[10:11], s[36:37], v[0:1]
	v_mul_u64_e32 v[12:13], s[38:39], v[0:1]
	v_or_b32_e32 v0, 2, v52
	v_mad_nc_u64_u32 v[24:25], s38, v52, s[38:39]
	v_mad_nc_u64_u32 v[26:27], s36, v52, s[36:37]
	s_ashr_i32 s4, s35, 31
	v_add_nc_u32_e32 v7, 0x80, v14
	v_mul_u64_e32 v[20:21], s[36:37], v[0:1]
	v_mul_u64_e32 v[22:23], s[38:39], v[0:1]
	v_add_nc_u32_e32 v0, 64, v14
	v_mul_u64_e32 v[4:5], s[2:3], v[16:17]
	s_lshr_b32 s4, s4, 26
	v_add_nc_u32_e32 v17, 0xc0, v14
	s_add_co_i32 s44, s35, s4
	v_mad_u32 v25, s39, v52, v25
	v_mad_u32 v27, s37, v52, v27
	v_cmp_gt_i32_e64 s2, s34, v0
	v_lshlrev_b32_e32 v0, 2, v28
	s_and_not1_b32 s44, s44, 63
	v_cmp_gt_i32_e64 s1, s34, v14
	s_sub_co_i32 s4, s35, s44
	v_cmp_gt_i32_e64 s3, s34, v7
	s_cmp_gt_i32 s4, 0
	v_cmp_gt_i32_e64 s4, s34, v17
	v_lshl_add_u32 v53, v6, 10, v0
	v_cmp_gt_u32_e64 s5, 0x100, v29
	v_lshl_add_u32 v54, v6, 8, v0
	v_cmp_gt_i32_e64 s6, s34, v16
	v_lshlrev_b64_e32 v[6:7], 3, v[8:9]
	v_lshlrev_b64_e32 v[8:9], 1, v[14:15]
	;; [unrolled: 1-line block ×3, first 2 shown]
	v_cmp_gt_i32_e64 s0, s44, v52
	v_lshlrev_b64_e32 v[10:11], 1, v[10:11]
	v_lshlrev_b64_e32 v[12:13], 1, v[12:13]
	s_cselect_b32 s45, -1, 0
	s_and_b32 s34, s5, vcc_lo
	s_lshl_b64 s[40:41], s[38:39], 7
	s_lshl_b64 s[42:43], s[36:37], 7
	;; [unrolled: 1-line block ×3, first 2 shown]
	v_lshlrev_b64_e32 v[16:17], 1, v[20:21]
	v_lshlrev_b64_e32 v[18:19], 1, v[22:23]
	;; [unrolled: 1-line block ×4, first 2 shown]
	s_lshl_b64 s[30:31], s[30:31], 1
	s_lshl_b64 s[26:27], s[26:27], 2
	s_branch .LBB673_4
.LBB673_2:                              ;   in Loop: Header=BB673_4 Depth=1
	s_wait_xcnt 0x0
	s_or_b32 exec_lo, exec_lo, s7
.LBB673_3:                              ;   in Loop: Header=BB673_4 Depth=1
	s_add_co_i32 s10, s10, 0x10000
	s_delay_alu instid0(SALU_CYCLE_1)
	s_cmp_lt_u32 s10, s33
	s_cbranch_scc0 .LBB673_56
.LBB673_4:                              ; =>This Loop Header: Depth=1
                                        ;     Child Loop BB673_24 Depth 2
	s_mul_u64 s[8:9], s[14:15], s[10:11]
	s_mul_u64 s[46:47], s[22:23], s[10:11]
	s_lshl_b64 s[8:9], s[8:9], 2
	s_lshl_b64 s[46:47], s[46:47], 2
	s_add_nc_u64 s[8:9], s[12:13], s[8:9]
	s_add_nc_u64 s[46:47], s[20:21], s[46:47]
	s_clause 0x1
	global_load_b32 v55, v1, s[8:9]
	global_load_b32 v0, v1, s[46:47]
	s_wait_loadcnt 0x1
	v_cmp_eq_f32_e64 s7, 0, v55
	s_wait_loadcnt 0x0
	v_cmp_eq_f32_e32 vcc_lo, 1.0, v0
	s_wait_xcnt 0x0
	v_readfirstlane_b32 s46, v0
	s_and_b32 s8, s7, vcc_lo
	s_delay_alu instid0(SALU_CYCLE_1)
	s_and_b32 vcc_lo, exec_lo, s8
	s_cbranch_vccnz .LBB673_3
; %bb.5:                                ;   in Loop: Header=BB673_4 Depth=1
	v_mov_b64_e32 v[28:29], 0
	v_mov_b64_e32 v[26:27], 0
	v_cmp_neq_f32_e64 s8, 0, v55
	s_and_b32 vcc_lo, exec_lo, s7
	s_cbranch_vccnz .LBB673_7
; %bb.6:                                ;   in Loop: Header=BB673_4 Depth=1
	s_lshl_b64 s[48:49], s[10:11], 3
	s_delay_alu instid0(SALU_CYCLE_1)
	s_add_nc_u64 s[48:49], s[16:17], s[48:49]
	global_load_b64 v[24:25], v1, s[48:49]
	s_wait_loadcnt 0x0
	v_add_nc_u64_e32 v[26:27], s[18:19], v[24:25]
.LBB673_7:                              ;   in Loop: Header=BB673_4 Depth=1
	s_and_not1_b32 vcc_lo, exec_lo, s8
	s_cbranch_vccnz .LBB673_9
; %bb.8:                                ;   in Loop: Header=BB673_4 Depth=1
	s_lshl_b64 s[8:9], s[10:11], 3
	s_delay_alu instid0(SALU_CYCLE_1)
	s_add_nc_u64 s[8:9], s[28:29], s[8:9]
	global_load_b64 v[24:25], v1, s[8:9]
	s_wait_loadcnt 0x0
	v_add_nc_u64_e32 v[28:29], s[30:31], v[24:25]
.LBB673_9:                              ;   in Loop: Header=BB673_4 Depth=1
	s_wait_xcnt 0x0
	s_lshl_b64 s[8:9], s[10:11], 3
	s_and_not1_b32 vcc_lo, exec_lo, s7
	s_add_nc_u64 s[8:9], s[24:25], s[8:9]
	global_load_b64 v[24:25], v1, s[8:9]
	s_wait_loadcnt 0x0
	v_add_nc_u64_e32 v[24:25], s[26:27], v[24:25]
	s_cbranch_vccnz .LBB673_13
; %bb.10:                               ;   in Loop: Header=BB673_4 Depth=1
	s_mov_b32 s7, 0
	s_mov_b32 s47, 0
                                        ; implicit-def: $vgpr0
	s_wait_xcnt 0x0
	s_and_saveexec_b32 s8, s34
	s_cbranch_execz .LBB673_14
; %bb.11:                               ;   in Loop: Header=BB673_4 Depth=1
	s_cmp_eq_f32 s46, 0
	s_cbranch_scc1 .LBB673_16
; %bb.12:                               ;   in Loop: Header=BB673_4 Depth=1
	v_lshl_add_u64 v[30:31], v[2:3], 2, v[24:25]
	flat_load_b32 v0, v[30:31]
	s_wait_loadcnt_dscnt 0x0
	v_mul_f32_e32 v0, s46, v0
	s_branch .LBB673_17
.LBB673_13:                             ;   in Loop: Header=BB673_4 Depth=1
	s_mov_b32 s47, 0
                                        ; implicit-def: $vgpr0
	s_cbranch_execz .LBB673_15
	s_branch .LBB673_18
.LBB673_14:                             ;   in Loop: Header=BB673_4 Depth=1
	s_or_b32 exec_lo, exec_lo, s8
	s_delay_alu instid0(SALU_CYCLE_1)
	s_and_b32 vcc_lo, exec_lo, s7
	s_cbranch_vccnz .LBB673_18
.LBB673_15:                             ;   in Loop: Header=BB673_4 Depth=1
	v_mov_b64_e32 v[26:27], v[2:3]
	s_wait_xcnt 0x0
	s_and_saveexec_b32 s7, s47
	s_cbranch_execz .LBB673_2
	s_branch .LBB673_55
.LBB673_16:                             ;   in Loop: Header=BB673_4 Depth=1
	v_mov_b32_e32 v0, 0
.LBB673_17:                             ;   in Loop: Header=BB673_4 Depth=1
	s_mov_b32 s47, exec_lo
	s_wait_xcnt 0x0
	s_or_b32 exec_lo, exec_lo, s8
	s_delay_alu instid0(SALU_CYCLE_1)
	s_and_b32 vcc_lo, exec_lo, s7
	s_cbranch_vccz .LBB673_15
.LBB673_18:                             ;   in Loop: Header=BB673_4 Depth=1
	v_dual_mov_b32 v56, 0 :: v_dual_mov_b32 v0, v52
	v_dual_mov_b32 v57, 0 :: v_dual_mov_b32 v58, 0
	v_mov_b32_e32 v59, 0
	s_wait_xcnt 0x0
	s_and_saveexec_b32 s7, s0
	s_cbranch_execz .LBB673_30
; %bb.19:                               ;   in Loop: Header=BB673_4 Depth=1
	v_add_nc_u64_e32 v[30:31], v[26:27], v[10:11]
	v_add_nc_u64_e32 v[32:33], v[26:27], v[14:15]
	;; [unrolled: 1-line block ×4, first 2 shown]
	v_mov_b64_e32 v[38:39], v[28:29]
	v_dual_mov_b32 v56, 0 :: v_dual_mov_b32 v0, v52
	v_dual_mov_b32 v57, 0 :: v_dual_mov_b32 v58, 0
	v_mov_b32_e32 v59, 0
	s_mov_b32 s8, 0
	s_branch .LBB673_24
.LBB673_20:                             ;   in Loop: Header=BB673_24 Depth=2
	s_or_b32 exec_lo, exec_lo, s50
	s_wait_loadcnt_dscnt 0x202
	v_dual_lshlrev_b32 v45, 16, v71 :: v_dual_lshlrev_b32 v44, 16, v70
	s_delay_alu instid0(VALU_DEP_1) | instskip(SKIP_1) | instid1(VALU_DEP_1)
	v_pk_mul_f32 v[44:45], v[42:43], v[44:45]
	s_wait_loadcnt_dscnt 0x0
	v_dual_add_f32 v44, v58, v44 :: v_dual_lshlrev_b32 v47, 16, v69
	s_delay_alu instid0(VALU_DEP_1) | instskip(NEXT) | instid1(VALU_DEP_1)
	v_dual_lshlrev_b32 v46, 16, v68 :: v_dual_add_f32 v48, v44, v45
	v_pk_mul_f32 v[44:45], v[40:41], v[46:47]
	s_delay_alu instid0(VALU_DEP_1) | instskip(NEXT) | instid1(VALU_DEP_1)
	v_add_f32_e32 v44, v48, v44
	v_add_f32_e32 v58, v44, v45
.LBB673_21:                             ;   in Loop: Header=BB673_24 Depth=2
	s_or_b32 exec_lo, exec_lo, s49
	s_wait_loadcnt_dscnt 0x202
	v_dual_lshlrev_b32 v45, 16, v67 :: v_dual_lshlrev_b32 v44, 16, v66
	s_delay_alu instid0(VALU_DEP_1) | instskip(SKIP_1) | instid1(VALU_DEP_1)
	v_pk_mul_f32 v[44:45], v[42:43], v[44:45]
	s_wait_loadcnt_dscnt 0x0
	v_dual_add_f32 v44, v57, v44 :: v_dual_lshlrev_b32 v47, 16, v65
	s_delay_alu instid0(VALU_DEP_1) | instskip(NEXT) | instid1(VALU_DEP_1)
	v_dual_lshlrev_b32 v46, 16, v64 :: v_dual_add_f32 v48, v44, v45
	v_pk_mul_f32 v[44:45], v[40:41], v[46:47]
	s_delay_alu instid0(VALU_DEP_1) | instskip(NEXT) | instid1(VALU_DEP_1)
	v_add_f32_e32 v44, v48, v44
	v_add_f32_e32 v57, v44, v45
.LBB673_22:                             ;   in Loop: Header=BB673_24 Depth=2
	s_or_b32 exec_lo, exec_lo, s48
	s_wait_loadcnt_dscnt 0x202
	v_dual_lshlrev_b32 v45, 16, v63 :: v_dual_lshlrev_b32 v44, 16, v62
	s_delay_alu instid0(VALU_DEP_1) | instskip(SKIP_1) | instid1(VALU_DEP_1)
	v_pk_mul_f32 v[42:43], v[42:43], v[44:45]
	s_wait_loadcnt_dscnt 0x0
	v_dual_add_f32 v42, v56, v42 :: v_dual_lshlrev_b32 v45, 16, v61
	s_delay_alu instid0(VALU_DEP_1) | instskip(NEXT) | instid1(VALU_DEP_1)
	v_dual_lshlrev_b32 v44, 16, v60 :: v_dual_add_f32 v42, v42, v43
	v_pk_mul_f32 v[40:41], v[40:41], v[44:45]
	s_delay_alu instid0(VALU_DEP_1) | instskip(NEXT) | instid1(VALU_DEP_1)
	v_add_f32_e32 v40, v42, v40
	v_add_f32_e32 v56, v40, v41
.LBB673_23:                             ;   in Loop: Header=BB673_24 Depth=2
	s_or_b32 exec_lo, exec_lo, s9
	v_add_nc_u32_e32 v0, 64, v0
	v_add_nc_u64_e32 v[38:39], s[40:41], v[38:39]
	v_add_nc_u64_e32 v[30:31], s[42:43], v[30:31]
	;; [unrolled: 1-line block ×4, first 2 shown]
	v_cmp_le_i32_e32 vcc_lo, s44, v0
	v_add_nc_u64_e32 v[36:37], s[42:43], v[36:37]
	s_or_b32 s8, vcc_lo, s8
	s_delay_alu instid0(SALU_CYCLE_1)
	s_and_not1_b32 exec_lo, exec_lo, s8
	s_cbranch_execz .LBB673_29
.LBB673_24:                             ;   Parent Loop BB673_4 Depth=1
                                        ; =>  This Inner Loop Header: Depth=2
	s_and_saveexec_b32 s9, s1
	s_cbranch_execz .LBB673_23
; %bb.25:                               ;   in Loop: Header=BB673_24 Depth=2
	v_add_nc_u64_e32 v[42:43], v[38:39], v[20:21]
	v_add_nc_u64_e32 v[40:41], v[38:39], v[6:7]
	;; [unrolled: 1-line block ×8, first 2 shown]
	s_clause 0x3
	flat_load_u16 v42, v[42:43]
	flat_load_u16 v40, v[40:41]
	;; [unrolled: 1-line block ×4, first 2 shown]
                                        ; kill: killed $vgpr60_vgpr61
                                        ; kill: killed $vgpr62_vgpr63
	flat_load_u16 v62, v[48:49]
	flat_load_u16 v63, v[50:51]
	;; [unrolled: 1-line block ×4, first 2 shown]
	s_wait_loadcnt_dscnt 0x606
	v_dual_lshlrev_b32 v43, 16, v42 :: v_dual_lshlrev_b32 v42, 16, v40
	s_wait_loadcnt_dscnt 0x404
	v_dual_lshlrev_b32 v41, 16, v41 :: v_dual_lshlrev_b32 v40, 16, v64
	s_wait_xcnt 0x0
	s_and_saveexec_b32 s48, s2
	s_cbranch_execz .LBB673_22
; %bb.26:                               ;   in Loop: Header=BB673_24 Depth=2
	flat_load_u16 v66, v[48:49] offset:128
	flat_load_u16 v67, v[50:51] offset:128
	flat_load_u16 v64, v[44:45] offset:128
	flat_load_u16 v65, v[46:47] offset:128
	s_wait_xcnt 0x0
	s_and_saveexec_b32 s49, s3
	s_cbranch_execz .LBB673_21
; %bb.27:                               ;   in Loop: Header=BB673_24 Depth=2
	flat_load_u16 v70, v[48:49] offset:256
	flat_load_u16 v71, v[50:51] offset:256
	flat_load_u16 v68, v[44:45] offset:256
	flat_load_u16 v69, v[46:47] offset:256
	;; [unrolled: 8-line block ×3, first 2 shown]
	s_wait_loadcnt_dscnt 0x202
	s_wait_xcnt 0x0
	v_dual_lshlrev_b32 v45, 16, v50 :: v_dual_lshlrev_b32 v44, 16, v48
	s_delay_alu instid0(VALU_DEP_1) | instskip(SKIP_1) | instid1(VALU_DEP_1)
	v_pk_mul_f32 v[44:45], v[42:43], v[44:45]
	s_wait_loadcnt_dscnt 0x101
	v_dual_add_f32 v44, v59, v44 :: v_dual_lshlrev_b32 v47, 16, v46
	s_delay_alu instid0(VALU_DEP_1) | instskip(SKIP_2) | instid1(VALU_DEP_1)
	v_add_f32_e32 v48, v44, v45
	s_wait_loadcnt_dscnt 0x0
	v_lshlrev_b32_e32 v46, 16, v49
	v_pk_mul_f32 v[44:45], v[40:41], v[46:47]
	s_delay_alu instid0(VALU_DEP_1) | instskip(NEXT) | instid1(VALU_DEP_1)
	v_add_f32_e32 v44, v48, v44
	v_add_f32_e32 v59, v44, v45
	s_branch .LBB673_20
.LBB673_29:                             ;   in Loop: Header=BB673_4 Depth=1
	s_or_b32 exec_lo, exec_lo, s8
.LBB673_30:                             ;   in Loop: Header=BB673_4 Depth=1
	s_delay_alu instid0(SALU_CYCLE_1) | instskip(NEXT) | instid1(SALU_CYCLE_1)
	s_or_b32 exec_lo, exec_lo, s7
	s_and_not1_b32 vcc_lo, exec_lo, s45
	s_cbranch_vccnz .LBB673_48
; %bb.31:                               ;   in Loop: Header=BB673_4 Depth=1
	v_dual_mov_b32 v30, 0 :: v_dual_bitop2_b32 v34, 1, v0 bitop3:0x54
	v_cmp_gt_i32_e32 vcc_lo, s35, v0
	s_delay_alu instid0(VALU_DEP_2)
	v_dual_mov_b32 v31, v30 :: v_dual_mov_b32 v32, v30
	v_mov_b32_e32 v33, v30
	s_and_saveexec_b32 s8, vcc_lo
	s_cbranch_execz .LBB673_39
; %bb.32:                               ;   in Loop: Header=BB673_4 Depth=1
	v_mul_u64_e32 v[30:31], s[38:39], v[0:1]
	v_mov_b32_e32 v33, 0
	s_mov_b32 s9, exec_lo
	s_delay_alu instid0(VALU_DEP_2)
	v_lshl_add_u64 v[30:31], v[30:31], 1, v[28:29]
	flat_load_u16 v36, v[30:31]
	s_wait_xcnt 0x0
	v_dual_mov_b32 v31, 0 :: v_dual_mov_b32 v30, 0
	v_cmpx_gt_i32_e64 s35, v34
	s_cbranch_execz .LBB673_38
; %bb.33:                               ;   in Loop: Header=BB673_4 Depth=1
	v_dual_mov_b32 v35, v1 :: v_dual_bitop2_b32 v32, 2, v0 bitop3:0x54
	s_mov_b32 s48, exec_lo
	s_delay_alu instid0(VALU_DEP_1) | instskip(NEXT) | instid1(VALU_DEP_1)
	v_mul_u64_e32 v[30:31], s[38:39], v[34:35]
	v_lshl_add_u64 v[30:31], v[30:31], 1, v[28:29]
	flat_load_u16 v35, v[30:31]
	s_wait_xcnt 0x0
	v_dual_mov_b32 v31, 0 :: v_dual_mov_b32 v30, 0
	v_cmpx_gt_i32_e64 s35, v32
	s_cbranch_execz .LBB673_37
; %bb.34:                               ;   in Loop: Header=BB673_4 Depth=1
	v_mov_b32_e32 v33, v1
	s_mov_b32 s49, exec_lo
	s_delay_alu instid0(VALU_DEP_1) | instskip(NEXT) | instid1(VALU_DEP_1)
	v_mul_u64_e32 v[30:31], s[38:39], v[32:33]
	v_lshl_add_u64 v[30:31], v[30:31], 1, v[28:29]
	flat_load_u16 v32, v[30:31]
	s_wait_xcnt 0x0
	v_dual_mov_b32 v31, 0 :: v_dual_bitop2_b32 v30, 3, v0 bitop3:0x54
	s_delay_alu instid0(VALU_DEP_1)
	v_cmpx_gt_i32_e64 s35, v30
	s_cbranch_execz .LBB673_36
; %bb.35:                               ;   in Loop: Header=BB673_4 Depth=1
	v_mov_b32_e32 v31, v1
	s_delay_alu instid0(VALU_DEP_1) | instskip(NEXT) | instid1(VALU_DEP_1)
	v_mul_u64_e32 v[30:31], s[38:39], v[30:31]
	v_lshl_add_u64 v[28:29], v[30:31], 1, v[28:29]
	flat_load_u16 v28, v[28:29]
	s_wait_loadcnt_dscnt 0x0
	v_lshlrev_b32_e32 v31, 16, v28
.LBB673_36:                             ;   in Loop: Header=BB673_4 Depth=1
	s_wait_xcnt 0x0
	s_or_b32 exec_lo, exec_lo, s49
	s_wait_loadcnt_dscnt 0x0
	v_lshlrev_b32_e32 v30, 16, v32
.LBB673_37:                             ;   in Loop: Header=BB673_4 Depth=1
	s_or_b32 exec_lo, exec_lo, s48
	s_wait_loadcnt_dscnt 0x0
	v_lshlrev_b32_e32 v33, 16, v35
.LBB673_38:                             ;   in Loop: Header=BB673_4 Depth=1
	s_or_b32 exec_lo, exec_lo, s9
	s_wait_loadcnt_dscnt 0x0
	v_lshlrev_b32_e32 v32, 16, v36
.LBB673_39:                             ;   in Loop: Header=BB673_4 Depth=1
	s_or_b32 exec_lo, exec_lo, s8
	s_and_saveexec_b32 s48, s1
	s_cbranch_execz .LBB673_47
; %bb.40:                               ;   in Loop: Header=BB673_4 Depth=1
	v_dual_mov_b32 v35, v1 :: v_dual_bitop2_b32 v28, 2, v0 bitop3:0x54
	v_mov_b32_e32 v29, v1
	v_mul_u64_e32 v[36:37], s[36:37], v[0:1]
	v_or_b32_e32 v0, 3, v0
	s_delay_alu instid0(VALU_DEP_4)
	v_mul_u64_e32 v[38:39], s[36:37], v[34:35]
	v_cmp_gt_i32_e64 s7, s35, v34
	v_mul_u64_e32 v[40:41], s[36:37], v[28:29]
	v_cmp_gt_i32_e64 s8, s35, v28
	;; [unrolled: 2-line block ×3, first 2 shown]
	v_dual_cndmask_b32 v29, 0, v37 :: v_dual_cndmask_b32 v28, 0, v36
	v_dual_cndmask_b32 v35, 0, v39, s7 :: v_dual_cndmask_b32 v34, 0, v38, s7
	v_dual_cndmask_b32 v39, 0, v41, s8 :: v_dual_cndmask_b32 v38, 0, v40, s8
	s_delay_alu instid0(VALU_DEP_4) | instskip(NEXT) | instid1(VALU_DEP_3)
	v_dual_cndmask_b32 v41, 0, v43, s9 :: v_dual_cndmask_b32 v40, 0, v42, s9
	v_lshl_add_u64 v[34:35], v[34:35], 1, v[26:27]
	s_delay_alu instid0(VALU_DEP_3) | instskip(NEXT) | instid1(VALU_DEP_3)
	v_lshl_add_u64 v[36:37], v[38:39], 1, v[26:27]
	v_lshl_add_u64 v[38:39], v[40:41], 1, v[26:27]
	;; [unrolled: 1-line block ×3, first 2 shown]
	s_delay_alu instid0(VALU_DEP_4) | instskip(NEXT) | instid1(VALU_DEP_4)
	v_add_nc_u64_e32 v[26:27], v[34:35], v[8:9]
	v_add_nc_u64_e32 v[28:29], v[36:37], v[8:9]
	s_delay_alu instid0(VALU_DEP_4) | instskip(NEXT) | instid1(VALU_DEP_4)
	v_add_nc_u64_e32 v[34:35], v[38:39], v[8:9]
	v_add_nc_u64_e32 v[36:37], v[40:41], v[8:9]
	s_clause 0x3
	flat_load_u16 v39, v[26:27]
	flat_load_u16 v0, v[28:29]
	;; [unrolled: 1-line block ×4, first 2 shown]
	s_wait_xcnt 0x0
	s_and_saveexec_b32 s7, s2
	s_cbranch_execz .LBB673_46
; %bb.41:                               ;   in Loop: Header=BB673_4 Depth=1
	s_clause 0x3
	flat_load_u16 v43, v[36:37] offset:128
	flat_load_u16 v44, v[26:27] offset:128
	flat_load_u16 v41, v[28:29] offset:128
	flat_load_u16 v42, v[34:35] offset:128
	s_wait_xcnt 0x0
	s_and_saveexec_b32 s8, s3
	s_cbranch_execz .LBB673_45
; %bb.42:                               ;   in Loop: Header=BB673_4 Depth=1
	s_clause 0x3
	flat_load_u16 v47, v[36:37] offset:256
	flat_load_u16 v48, v[26:27] offset:256
	flat_load_u16 v45, v[28:29] offset:256
	flat_load_u16 v46, v[34:35] offset:256
	s_wait_xcnt 0x0
	s_and_saveexec_b32 s9, s4
	s_cbranch_execz .LBB673_44
; %bb.43:                               ;   in Loop: Header=BB673_4 Depth=1
	s_clause 0x3
	flat_load_u16 v49, v[26:27] offset:384
	flat_load_u16 v50, v[36:37] offset:384
	flat_load_u16 v51, v[34:35] offset:384
	flat_load_u16 v60, v[28:29] offset:384
	s_wait_loadcnt_dscnt 0x202
	s_wait_xcnt 0x3
	v_dual_lshlrev_b32 v27, 16, v49 :: v_dual_lshlrev_b32 v26, 16, v50
	s_delay_alu instid0(VALU_DEP_1) | instskip(SKIP_2) | instid1(VALU_DEP_1)
	v_pk_mul_f32 v[26:27], v[32:33], v[26:27]
	s_wait_loadcnt_dscnt 0x101
	s_wait_xcnt 0x0
	v_dual_add_f32 v26, v59, v26 :: v_dual_lshlrev_b32 v29, 16, v51
	s_wait_loadcnt_dscnt 0x0
	s_delay_alu instid0(VALU_DEP_1) | instskip(NEXT) | instid1(VALU_DEP_1)
	v_dual_lshlrev_b32 v28, 16, v60 :: v_dual_add_f32 v34, v26, v27
	v_pk_mul_f32 v[26:27], v[30:31], v[28:29]
	s_delay_alu instid0(VALU_DEP_1) | instskip(NEXT) | instid1(VALU_DEP_1)
	v_add_f32_e32 v26, v34, v26
	v_add_f32_e32 v59, v26, v27
.LBB673_44:                             ;   in Loop: Header=BB673_4 Depth=1
	s_or_b32 exec_lo, exec_lo, s9
	s_wait_loadcnt_dscnt 0x202
	v_dual_lshlrev_b32 v27, 16, v48 :: v_dual_lshlrev_b32 v26, 16, v47
	s_wait_loadcnt_dscnt 0x0
	v_dual_lshlrev_b32 v29, 16, v46 :: v_dual_lshlrev_b32 v28, 16, v45
	s_delay_alu instid0(VALU_DEP_2) | instskip(NEXT) | instid1(VALU_DEP_1)
	v_pk_mul_f32 v[26:27], v[32:33], v[26:27]
	v_add_f32_e32 v26, v58, v26
	s_delay_alu instid0(VALU_DEP_1) | instskip(NEXT) | instid1(VALU_DEP_4)
	v_add_f32_e32 v34, v26, v27
	v_pk_mul_f32 v[26:27], v[30:31], v[28:29]
	s_delay_alu instid0(VALU_DEP_1) | instskip(NEXT) | instid1(VALU_DEP_1)
	v_add_f32_e32 v26, v34, v26
	v_add_f32_e32 v58, v26, v27
.LBB673_45:                             ;   in Loop: Header=BB673_4 Depth=1
	s_or_b32 exec_lo, exec_lo, s8
	s_wait_loadcnt_dscnt 0x202
	v_dual_lshlrev_b32 v27, 16, v44 :: v_dual_lshlrev_b32 v26, 16, v43
	s_wait_loadcnt_dscnt 0x0
	v_dual_lshlrev_b32 v29, 16, v42 :: v_dual_lshlrev_b32 v28, 16, v41
	s_delay_alu instid0(VALU_DEP_2) | instskip(NEXT) | instid1(VALU_DEP_1)
	v_pk_mul_f32 v[26:27], v[32:33], v[26:27]
	v_add_f32_e32 v26, v57, v26
	s_delay_alu instid0(VALU_DEP_1) | instskip(NEXT) | instid1(VALU_DEP_4)
	v_add_f32_e32 v34, v26, v27
	v_pk_mul_f32 v[26:27], v[30:31], v[28:29]
	s_delay_alu instid0(VALU_DEP_1) | instskip(NEXT) | instid1(VALU_DEP_1)
	v_add_f32_e32 v26, v34, v26
	v_add_f32_e32 v57, v26, v27
.LBB673_46:                             ;   in Loop: Header=BB673_4 Depth=1
	s_or_b32 exec_lo, exec_lo, s7
	s_wait_loadcnt_dscnt 0x0
	v_dual_lshlrev_b32 v27, 16, v39 :: v_dual_lshlrev_b32 v26, 16, v40
	v_dual_lshlrev_b32 v29, 16, v38 :: v_dual_lshlrev_b32 v28, 16, v0
	s_delay_alu instid0(VALU_DEP_2) | instskip(NEXT) | instid1(VALU_DEP_1)
	v_pk_mul_f32 v[26:27], v[32:33], v[26:27]
	v_add_f32_e32 v26, v56, v26
	s_delay_alu instid0(VALU_DEP_1) | instskip(NEXT) | instid1(VALU_DEP_4)
	v_add_f32_e32 v0, v26, v27
	v_pk_mul_f32 v[26:27], v[30:31], v[28:29]
	s_delay_alu instid0(VALU_DEP_1) | instskip(NEXT) | instid1(VALU_DEP_1)
	v_add_f32_e32 v0, v0, v26
	v_add_f32_e32 v56, v0, v27
.LBB673_47:                             ;   in Loop: Header=BB673_4 Depth=1
	s_or_b32 exec_lo, exec_lo, s48
.LBB673_48:                             ;   in Loop: Header=BB673_4 Depth=1
	ds_store_2addr_stride64_b32 v53, v56, v57 offset1:1
	ds_store_2addr_stride64_b32 v53, v58, v59 offset0:2 offset1:3
	s_wait_dscnt 0x0
	s_barrier_signal -1
	s_barrier_wait -1
                                        ; implicit-def: $vgpr0
	s_and_saveexec_b32 s7, s5
	s_cbranch_execz .LBB673_54
; %bb.49:                               ;   in Loop: Header=BB673_4 Depth=1
	ds_load_2addr_stride64_b32 v[26:27], v54 offset1:4
	ds_load_2addr_stride64_b32 v[28:29], v54 offset0:8 offset1:12
	ds_load_2addr_stride64_b32 v[30:31], v54 offset0:16 offset1:20
	s_mov_b32 s9, s47
	s_wait_dscnt 0x2
	v_add_f32_e32 v0, v26, v27
	ds_load_2addr_stride64_b32 v[26:27], v54 offset0:24 offset1:28
	s_wait_dscnt 0x2
	v_add_f32_e32 v0, v28, v0
	s_delay_alu instid0(VALU_DEP_1) | instskip(SKIP_3) | instid1(VALU_DEP_1)
	v_add_f32_e32 v0, v29, v0
	ds_load_2addr_stride64_b32 v[28:29], v54 offset0:32 offset1:36
	s_wait_dscnt 0x2
	v_add_f32_e32 v0, v30, v0
	v_add_f32_e32 v0, v31, v0
	ds_load_2addr_stride64_b32 v[30:31], v54 offset0:40 offset1:44
	s_wait_dscnt 0x2
	v_add_f32_e32 v0, v26, v0
	s_delay_alu instid0(VALU_DEP_1) | instskip(SKIP_3) | instid1(VALU_DEP_1)
	v_add_f32_e32 v0, v27, v0
	ds_load_2addr_stride64_b32 v[26:27], v54 offset0:48 offset1:52
	s_wait_dscnt 0x2
	v_add_f32_e32 v0, v28, v0
	v_add_f32_e32 v0, v29, v0
	ds_load_2addr_stride64_b32 v[28:29], v54 offset0:56 offset1:60
	s_wait_dscnt 0x2
	v_add_f32_e32 v0, v30, v0
	s_delay_alu instid0(VALU_DEP_1) | instskip(SKIP_1) | instid1(VALU_DEP_1)
	v_add_f32_e32 v0, v31, v0
	s_wait_dscnt 0x1
	v_add_f32_e32 v0, v26, v0
	s_delay_alu instid0(VALU_DEP_1) | instskip(SKIP_1) | instid1(VALU_DEP_1)
	v_add_f32_e32 v0, v27, v0
	s_wait_dscnt 0x0
	v_add_f32_e32 v0, v28, v0
	s_delay_alu instid0(VALU_DEP_1)
	v_add_f32_e32 v26, v29, v0
                                        ; implicit-def: $vgpr0
	ds_store_b32 v54, v26
	s_and_saveexec_b32 s8, s6
	s_cbranch_execz .LBB673_53
; %bb.50:                               ;   in Loop: Header=BB673_4 Depth=1
	v_mul_f32_e32 v0, v55, v26
	s_cmp_eq_f32 s46, 0
	s_cbranch_scc1 .LBB673_52
; %bb.51:                               ;   in Loop: Header=BB673_4 Depth=1
	v_lshl_add_u64 v[26:27], v[4:5], 2, v[24:25]
	flat_load_b32 v26, v[26:27]
	s_wait_loadcnt_dscnt 0x0
	v_fmac_f32_e32 v0, s46, v26
.LBB673_52:                             ;   in Loop: Header=BB673_4 Depth=1
	s_or_b32 s9, s47, exec_lo
.LBB673_53:                             ;   in Loop: Header=BB673_4 Depth=1
	s_wait_xcnt 0x0
	s_or_b32 exec_lo, exec_lo, s8
	s_delay_alu instid0(SALU_CYCLE_1) | instskip(SKIP_1) | instid1(SALU_CYCLE_1)
	s_and_not1_b32 s8, s47, exec_lo
	s_and_b32 s9, s9, exec_lo
	s_or_b32 s47, s8, s9
.LBB673_54:                             ;   in Loop: Header=BB673_4 Depth=1
	s_or_b32 exec_lo, exec_lo, s7
	v_mov_b64_e32 v[26:27], v[4:5]
	s_and_saveexec_b32 s7, s47
	s_cbranch_execz .LBB673_2
.LBB673_55:                             ;   in Loop: Header=BB673_4 Depth=1
	s_delay_alu instid0(VALU_DEP_1)
	v_lshl_add_u64 v[24:25], v[26:27], 2, v[24:25]
	flat_store_b32 v[24:25], v0
	s_branch .LBB673_2
.LBB673_56:
	s_sendmsg sendmsg(MSG_DEALLOC_VGPRS)
	s_endpgm
	.section	.rodata,"a",@progbits
	.p2align	6, 0x0
	.amdhsa_kernel _ZL20rocblas_gemvn_kernelILi64ELi16ElPK16rocblas_bfloat16PKfKPfEviiT3_lPKT2_lT1_lSA_lSB_lS7_lPT4_lSB_li
		.amdhsa_group_segment_fixed_size 16384
		.amdhsa_private_segment_fixed_size 0
		.amdhsa_kernarg_size 400
		.amdhsa_user_sgpr_count 2
		.amdhsa_user_sgpr_dispatch_ptr 0
		.amdhsa_user_sgpr_queue_ptr 0
		.amdhsa_user_sgpr_kernarg_segment_ptr 1
		.amdhsa_user_sgpr_dispatch_id 0
		.amdhsa_user_sgpr_kernarg_preload_length 0
		.amdhsa_user_sgpr_kernarg_preload_offset 0
		.amdhsa_user_sgpr_private_segment_size 0
		.amdhsa_wavefront_size32 1
		.amdhsa_uses_dynamic_stack 0
		.amdhsa_enable_private_segment 0
		.amdhsa_system_sgpr_workgroup_id_x 1
		.amdhsa_system_sgpr_workgroup_id_y 0
		.amdhsa_system_sgpr_workgroup_id_z 1
		.amdhsa_system_sgpr_workgroup_info 0
		.amdhsa_system_vgpr_workitem_id 1
		.amdhsa_next_free_vgpr 72
		.amdhsa_next_free_sgpr 51
		.amdhsa_named_barrier_count 0
		.amdhsa_reserve_vcc 1
		.amdhsa_float_round_mode_32 0
		.amdhsa_float_round_mode_16_64 0
		.amdhsa_float_denorm_mode_32 3
		.amdhsa_float_denorm_mode_16_64 3
		.amdhsa_fp16_overflow 0
		.amdhsa_memory_ordered 1
		.amdhsa_forward_progress 1
		.amdhsa_inst_pref_size 26
		.amdhsa_round_robin_scheduling 0
		.amdhsa_exception_fp_ieee_invalid_op 0
		.amdhsa_exception_fp_denorm_src 0
		.amdhsa_exception_fp_ieee_div_zero 0
		.amdhsa_exception_fp_ieee_overflow 0
		.amdhsa_exception_fp_ieee_underflow 0
		.amdhsa_exception_fp_ieee_inexact 0
		.amdhsa_exception_int_div_zero 0
	.end_amdhsa_kernel
	.section	.text._ZL20rocblas_gemvn_kernelILi64ELi16ElPK16rocblas_bfloat16PKfKPfEviiT3_lPKT2_lT1_lSA_lSB_lS7_lPT4_lSB_li,"axG",@progbits,_ZL20rocblas_gemvn_kernelILi64ELi16ElPK16rocblas_bfloat16PKfKPfEviiT3_lPKT2_lT1_lSA_lSB_lS7_lPT4_lSB_li,comdat
.Lfunc_end673:
	.size	_ZL20rocblas_gemvn_kernelILi64ELi16ElPK16rocblas_bfloat16PKfKPfEviiT3_lPKT2_lT1_lSA_lSB_lS7_lPT4_lSB_li, .Lfunc_end673-_ZL20rocblas_gemvn_kernelILi64ELi16ElPK16rocblas_bfloat16PKfKPfEviiT3_lPKT2_lT1_lSA_lSB_lS7_lPT4_lSB_li
                                        ; -- End function
	.set _ZL20rocblas_gemvn_kernelILi64ELi16ElPK16rocblas_bfloat16PKfKPfEviiT3_lPKT2_lT1_lSA_lSB_lS7_lPT4_lSB_li.num_vgpr, 72
	.set _ZL20rocblas_gemvn_kernelILi64ELi16ElPK16rocblas_bfloat16PKfKPfEviiT3_lPKT2_lT1_lSA_lSB_lS7_lPT4_lSB_li.num_agpr, 0
	.set _ZL20rocblas_gemvn_kernelILi64ELi16ElPK16rocblas_bfloat16PKfKPfEviiT3_lPKT2_lT1_lSA_lSB_lS7_lPT4_lSB_li.numbered_sgpr, 51
	.set _ZL20rocblas_gemvn_kernelILi64ELi16ElPK16rocblas_bfloat16PKfKPfEviiT3_lPKT2_lT1_lSA_lSB_lS7_lPT4_lSB_li.num_named_barrier, 0
	.set _ZL20rocblas_gemvn_kernelILi64ELi16ElPK16rocblas_bfloat16PKfKPfEviiT3_lPKT2_lT1_lSA_lSB_lS7_lPT4_lSB_li.private_seg_size, 0
	.set _ZL20rocblas_gemvn_kernelILi64ELi16ElPK16rocblas_bfloat16PKfKPfEviiT3_lPKT2_lT1_lSA_lSB_lS7_lPT4_lSB_li.uses_vcc, 1
	.set _ZL20rocblas_gemvn_kernelILi64ELi16ElPK16rocblas_bfloat16PKfKPfEviiT3_lPKT2_lT1_lSA_lSB_lS7_lPT4_lSB_li.uses_flat_scratch, 1
	.set _ZL20rocblas_gemvn_kernelILi64ELi16ElPK16rocblas_bfloat16PKfKPfEviiT3_lPKT2_lT1_lSA_lSB_lS7_lPT4_lSB_li.has_dyn_sized_stack, 0
	.set _ZL20rocblas_gemvn_kernelILi64ELi16ElPK16rocblas_bfloat16PKfKPfEviiT3_lPKT2_lT1_lSA_lSB_lS7_lPT4_lSB_li.has_recursion, 0
	.set _ZL20rocblas_gemvn_kernelILi64ELi16ElPK16rocblas_bfloat16PKfKPfEviiT3_lPKT2_lT1_lSA_lSB_lS7_lPT4_lSB_li.has_indirect_call, 0
	.section	.AMDGPU.csdata,"",@progbits
; Kernel info:
; codeLenInByte = 3240
; TotalNumSgprs: 53
; NumVgprs: 72
; ScratchSize: 0
; MemoryBound: 0
; FloatMode: 240
; IeeeMode: 1
; LDSByteSize: 16384 bytes/workgroup (compile time only)
; SGPRBlocks: 0
; VGPRBlocks: 4
; NumSGPRsForWavesPerEU: 53
; NumVGPRsForWavesPerEU: 72
; NamedBarCnt: 0
; Occupancy: 12
; WaveLimiterHint : 1
; COMPUTE_PGM_RSRC2:SCRATCH_EN: 0
; COMPUTE_PGM_RSRC2:USER_SGPR: 2
; COMPUTE_PGM_RSRC2:TRAP_HANDLER: 0
; COMPUTE_PGM_RSRC2:TGID_X_EN: 1
; COMPUTE_PGM_RSRC2:TGID_Y_EN: 0
; COMPUTE_PGM_RSRC2:TGID_Z_EN: 1
; COMPUTE_PGM_RSRC2:TIDIG_COMP_CNT: 1
	.section	.text._ZL20rocblas_gemvn_kernelILi64ELi16EiPK16rocblas_bfloat16fKPfEviiT3_lPKT2_lT1_lS8_lS9_lS5_lPT4_lS9_li,"axG",@progbits,_ZL20rocblas_gemvn_kernelILi64ELi16EiPK16rocblas_bfloat16fKPfEviiT3_lPKT2_lT1_lS8_lS9_lS5_lPT4_lS9_li,comdat
	.globl	_ZL20rocblas_gemvn_kernelILi64ELi16EiPK16rocblas_bfloat16fKPfEviiT3_lPKT2_lT1_lS8_lS9_lS5_lPT4_lS9_li ; -- Begin function _ZL20rocblas_gemvn_kernelILi64ELi16EiPK16rocblas_bfloat16fKPfEviiT3_lPKT2_lT1_lS8_lS9_lS5_lPT4_lS9_li
	.p2align	8
	.type	_ZL20rocblas_gemvn_kernelILi64ELi16EiPK16rocblas_bfloat16fKPfEviiT3_lPKT2_lT1_lS8_lS9_lS5_lPT4_lS9_li,@function
_ZL20rocblas_gemvn_kernelILi64ELi16EiPK16rocblas_bfloat16fKPfEviiT3_lPKT2_lT1_lS8_lS9_lS5_lPT4_lS9_li: ; @_ZL20rocblas_gemvn_kernelILi64ELi16EiPK16rocblas_bfloat16fKPfEviiT3_lPKT2_lT1_lS8_lS9_lS5_lPT4_lS9_li
; %bb.0:
	s_clause 0x1
	s_load_b64 s[2:3], s[0:1], 0x9c
	s_load_b32 s23, s[0:1], 0x88
	s_bfe_u32 s4, ttmp6, 0x40014
	s_lshr_b32 s5, ttmp7, 16
	s_add_co_i32 s4, s4, 1
	s_bfe_u32 s6, ttmp6, 0x40008
	s_mul_i32 s7, s5, s4
	s_getreg_b32 s4, hwreg(HW_REG_IB_STS2, 6, 4)
	s_add_co_i32 s6, s6, s7
	s_mov_b32 s25, 0
	s_wait_kmcnt 0x0
	s_lshr_b32 s7, s2, 16
	s_and_b32 s2, s2, 0xffff
	s_and_b32 s3, s3, 0xffff
	s_mul_i32 s2, s7, s2
	s_cmp_eq_u32 s4, 0
	s_mul_i32 s2, s2, s3
	s_cselect_b32 s24, s5, s6
	s_cmp_lg_u32 s2, 0x400
	s_cselect_b32 s2, -1, 0
	s_cmp_ge_u32 s24, s23
	s_cselect_b32 s3, -1, 0
	s_delay_alu instid0(SALU_CYCLE_1) | instskip(NEXT) | instid1(SALU_CYCLE_1)
	s_or_b32 s2, s2, s3
	s_and_b32 vcc_lo, exec_lo, s2
	s_cbranch_vccnz .LBB674_58
; %bb.1:
	s_clause 0x7
	s_load_b32 s2, s[0:1], 0x78
	s_load_b96 s[20:22], s[0:1], 0x0
	s_load_b32 s26, s[0:1], 0x58
	s_load_b128 s[8:11], s[0:1], 0x68
	s_load_b32 s27, s[0:1], 0x28
	s_load_b128 s[12:15], s[0:1], 0x38
	;; [unrolled: 2-line block ×3, first 2 shown]
	v_and_b32_e32 v6, 0x3ff, v0
	v_bfe_u32 v7, v0, 10, 10
	s_delay_alu instid0(VALU_DEP_2) | instskip(NEXT) | instid1(VALU_DEP_2)
	v_dual_mov_b32 v1, 0 :: v_dual_lshlrev_b32 v0, 2, v6
	v_lshl_add_u32 v2, v7, 6, v6
	s_delay_alu instid0(VALU_DEP_2)
	v_lshl_add_u32 v25, v7, 10, v0
	v_lshl_add_u32 v26, v7, 8, v0
	s_wait_kmcnt 0x0
	s_ashr_i32 s3, s2, 31
	s_cmp_eq_f32 s22, 0
	v_cmp_gt_u32_e64 s0, 0x100, v2
	s_mov_b32 s6, s20
	s_cselect_b32 s29, -1, 0
	s_cmp_neq_f32 s26, 1.0
	s_cselect_b32 s1, -1, 0
	s_cmp_neq_f32 s22, 0
	s_cselect_b32 s5, -1, 0
	s_bfe_u32 s7, ttmp6, 0x4000c
	s_and_b32 s31, ttmp6, 15
	s_add_co_i32 s7, s7, 1
	s_or_b32 s30, s5, s1
	s_mul_i32 s7, ttmp9, s7
	v_cndmask_b32_e64 v27, 0, 1, s5
	s_add_co_i32 s31, s31, s7
	s_cmp_eq_u32 s4, 0
	s_cselect_b32 s1, ttmp9, s31
	s_ashr_i32 s7, s20, 31
	s_lshl_b32 s31, s1, 8
	s_delay_alu instid0(SALU_CYCLE_1) | instskip(SKIP_3) | instid1(VALU_DEP_3)
	v_dual_lshlrev_b32 v24, 2, v7 :: v_dual_add_nc_u32 v0, s31, v2
	v_add_nc_u32_e32 v28, s31, v6
	v_or_b32_e32 v5, s31, v2
	s_cmp_neq_f32 s26, 0
	v_or_b32_e32 v8, 2, v24
	v_mul_u64_e32 v[2:3], s[2:3], v[0:1]
	v_add_nc_u32_e32 v10, 0x80, v28
	v_add_nc_u32_e32 v11, 0xc0, v28
	v_mul_lo_u32 v9, s27, v24
	v_cmp_gt_i64_e32 vcc_lo, s[6:7], v[0:1]
	v_add_nc_u32_e32 v0, 64, v28
	v_mul_lo_u32 v4, s2, v5
	v_cmp_gt_i32_e64 s4, s20, v10
	v_cmp_gt_i32_e64 s5, s20, v11
	v_mul_lo_u32 v10, v7, s27
	v_or_b32_e32 v11, 3, v24
	v_mul_lo_u32 v7, v7, s28
	s_cselect_b32 s33, -1, 0
	s_ashr_i32 s1, s21, 31
	v_mad_u32 v29, s27, v8, v6
	s_lshr_b32 s3, s1, 26
	v_mad_u32 v30, s27, v11, v6
	s_add_co_i32 s34, s21, s3
	v_mad_u32 v31, s28, v24, s28
	v_mul_lo_u32 v32, s28, v8
	v_mul_lo_u32 v33, s28, v11
	s_and_not1_b32 s34, s34, 63
	v_cmp_gt_i32_e64 s1, s20, v28
	s_sub_co_i32 s6, s21, s34
	v_cmp_gt_i32_e64 s2, s20, v5
	v_cmp_gt_i32_e64 s3, s20, v0
	s_cmp_gt_i32 s6, 0
	v_cmp_gt_i32_e64 s6, s34, v24
	v_dual_ashrrev_i32 v5, 31, v4 :: v_dual_lshlrev_b32 v35, 2, v7
	v_add3_u32 v0, v9, s27, v6
	v_lshl_add_u32 v34, v10, 2, v6
	s_cselect_b32 s20, -1, 0
	s_and_b32 s35, s0, vcc_lo
	s_lshl_b32 s36, s27, 6
	s_lshl_b32 s37, s28, 6
	s_lshl_b64 s[18:19], s[18:19], 1
	s_lshl_b64 s[14:15], s[14:15], 1
	;; [unrolled: 1-line block ×3, first 2 shown]
	s_branch .LBB674_4
.LBB674_2:                              ;   in Loop: Header=BB674_4 Depth=1
	s_wait_xcnt 0x0
	s_or_b32 exec_lo, exec_lo, s7
.LBB674_3:                              ;   in Loop: Header=BB674_4 Depth=1
	s_add_co_i32 s24, s24, 0x10000
	s_delay_alu instid0(SALU_CYCLE_1)
	s_cmp_lt_u32 s24, s23
	s_cbranch_scc0 .LBB674_58
.LBB674_4:                              ; =>This Loop Header: Depth=1
                                        ;     Child Loop BB674_26 Depth 2
	s_and_not1_b32 vcc_lo, exec_lo, s30
	s_cbranch_vccnz .LBB674_3
; %bb.5:                                ;   in Loop: Header=BB674_4 Depth=1
	s_and_not1_b32 vcc_lo, exec_lo, s29
	s_cbranch_vccnz .LBB674_7
; %bb.6:                                ;   in Loop: Header=BB674_4 Depth=1
	v_mov_b64_e32 v[10:11], 0
	v_mov_b64_e32 v[8:9], 0
	s_cbranch_execz .LBB674_8
	s_branch .LBB674_9
.LBB674_7:                              ;   in Loop: Header=BB674_4 Depth=1
	v_mov_b64_e32 v[10:11], 0
	v_mov_b64_e32 v[8:9], 0
.LBB674_8:                              ;   in Loop: Header=BB674_4 Depth=1
	s_lshl_b64 s[38:39], s[24:25], 3
	s_delay_alu instid0(SALU_CYCLE_1)
	s_add_nc_u64 s[38:39], s[16:17], s[38:39]
	global_load_b64 v[6:7], v1, s[38:39]
	s_wait_loadcnt 0x0
	v_add_nc_u64_e32 v[8:9], s[18:19], v[6:7]
.LBB674_9:                              ;   in Loop: Header=BB674_4 Depth=1
	v_cmp_ne_u32_e32 vcc_lo, 1, v27
	s_cbranch_vccnz .LBB674_11
; %bb.10:                               ;   in Loop: Header=BB674_4 Depth=1
	s_wait_xcnt 0x0
	s_lshl_b64 s[38:39], s[24:25], 3
	s_delay_alu instid0(SALU_CYCLE_1)
	s_add_nc_u64 s[38:39], s[12:13], s[38:39]
	global_load_b64 v[6:7], v1, s[38:39]
	s_wait_loadcnt 0x0
	v_add_nc_u64_e32 v[10:11], s[14:15], v[6:7]
.LBB674_11:                             ;   in Loop: Header=BB674_4 Depth=1
	s_wait_xcnt 0x0
	s_lshl_b64 s[38:39], s[24:25], 3
	s_and_not1_b32 vcc_lo, exec_lo, s29
	s_add_nc_u64 s[38:39], s[8:9], s[38:39]
	global_load_b64 v[6:7], v1, s[38:39]
	s_wait_loadcnt 0x0
	v_add_nc_u64_e32 v[6:7], s[10:11], v[6:7]
	s_cbranch_vccnz .LBB674_15
; %bb.12:                               ;   in Loop: Header=BB674_4 Depth=1
	s_mov_b32 s7, 0
	s_wait_xcnt 0x0
	s_mov_b32 s38, 0
                                        ; implicit-def: $vgpr12
	s_and_saveexec_b32 s39, s35
	s_cbranch_execz .LBB674_16
; %bb.13:                               ;   in Loop: Header=BB674_4 Depth=1
	s_and_not1_b32 vcc_lo, exec_lo, s33
	s_cbranch_vccnz .LBB674_18
; %bb.14:                               ;   in Loop: Header=BB674_4 Depth=1
	v_lshl_add_u64 v[12:13], v[2:3], 2, v[6:7]
	flat_load_b32 v12, v[12:13]
	s_wait_loadcnt_dscnt 0x0
	s_wait_xcnt 0x0
	v_mul_f32_e32 v12, s26, v12
	s_branch .LBB674_19
.LBB674_15:                             ;   in Loop: Header=BB674_4 Depth=1
	s_wait_xcnt 0x0
	s_mov_b32 s38, 0
                                        ; implicit-def: $vgpr12
	s_cbranch_execz .LBB674_17
	s_branch .LBB674_20
.LBB674_16:                             ;   in Loop: Header=BB674_4 Depth=1
	s_or_b32 exec_lo, exec_lo, s39
	s_delay_alu instid0(SALU_CYCLE_1)
	s_and_b32 vcc_lo, exec_lo, s7
	s_cbranch_vccnz .LBB674_20
.LBB674_17:                             ;   in Loop: Header=BB674_4 Depth=1
	v_mov_b64_e32 v[8:9], v[2:3]
	s_and_saveexec_b32 s7, s38
	s_cbranch_execz .LBB674_2
	s_branch .LBB674_57
.LBB674_18:                             ;   in Loop: Header=BB674_4 Depth=1
	v_mov_b32_e32 v12, 0
.LBB674_19:                             ;   in Loop: Header=BB674_4 Depth=1
	s_mov_b32 s38, exec_lo
	s_or_b32 exec_lo, exec_lo, s39
	s_delay_alu instid0(SALU_CYCLE_1)
	s_and_b32 vcc_lo, exec_lo, s7
	s_cbranch_vccz .LBB674_17
.LBB674_20:                             ;   in Loop: Header=BB674_4 Depth=1
	v_dual_mov_b32 v36, 0 :: v_dual_mov_b32 v40, v24
	v_dual_mov_b32 v37, 0 :: v_dual_mov_b32 v38, 0
	v_mov_b32_e32 v39, 0
	s_and_saveexec_b32 s7, s6
	s_cbranch_execz .LBB674_32
; %bb.21:                               ;   in Loop: Header=BB674_4 Depth=1
	v_dual_mov_b32 v36, 0 :: v_dual_mov_b32 v41, v34
	v_dual_mov_b32 v42, v30 :: v_dual_mov_b32 v43, v29
	;; [unrolled: 1-line block ×4, first 2 shown]
	v_mov_b32_e32 v39, 0
	s_mov_b32 s39, 0
	s_mov_b32 s40, 0
	s_branch .LBB674_26
.LBB674_22:                             ;   in Loop: Header=BB674_26 Depth=2
	s_or_b32 exec_lo, exec_lo, s44
	s_wait_loadcnt_dscnt 0x202
	v_dual_lshlrev_b32 v17, 16, v56 :: v_dual_lshlrev_b32 v16, 16, v55
	s_delay_alu instid0(VALU_DEP_1) | instskip(SKIP_1) | instid1(VALU_DEP_1)
	v_pk_mul_f32 v[16:17], v[14:15], v[16:17]
	s_wait_loadcnt_dscnt 0x0
	v_dual_add_f32 v16, v38, v16 :: v_dual_lshlrev_b32 v19, 16, v54
	s_delay_alu instid0(VALU_DEP_1) | instskip(SKIP_1) | instid1(VALU_DEP_1)
	v_add_f32_e32 v20, v16, v17
	v_lshlrev_b32_e32 v18, 16, v53
	v_pk_mul_f32 v[16:17], v[12:13], v[18:19]
	s_delay_alu instid0(VALU_DEP_1) | instskip(NEXT) | instid1(VALU_DEP_1)
	v_add_f32_e32 v16, v20, v16
	v_add_f32_e32 v38, v16, v17
.LBB674_23:                             ;   in Loop: Header=BB674_26 Depth=2
	s_or_b32 exec_lo, exec_lo, s43
	s_wait_loadcnt_dscnt 0x202
	v_dual_lshlrev_b32 v17, 16, v52 :: v_dual_lshlrev_b32 v16, 16, v51
	s_delay_alu instid0(VALU_DEP_1) | instskip(SKIP_1) | instid1(VALU_DEP_1)
	v_pk_mul_f32 v[16:17], v[14:15], v[16:17]
	s_wait_loadcnt_dscnt 0x0
	v_dual_add_f32 v16, v37, v16 :: v_dual_lshlrev_b32 v19, 16, v50
	s_delay_alu instid0(VALU_DEP_1) | instskip(SKIP_1) | instid1(VALU_DEP_1)
	v_add_f32_e32 v20, v16, v17
	v_lshlrev_b32_e32 v18, 16, v49
	v_pk_mul_f32 v[16:17], v[12:13], v[18:19]
	s_delay_alu instid0(VALU_DEP_1) | instskip(NEXT) | instid1(VALU_DEP_1)
	v_add_f32_e32 v16, v20, v16
	v_add_f32_e32 v37, v16, v17
.LBB674_24:                             ;   in Loop: Header=BB674_26 Depth=2
	s_or_b32 exec_lo, exec_lo, s42
	s_wait_loadcnt_dscnt 0x202
	v_dual_lshlrev_b32 v17, 16, v48 :: v_dual_lshlrev_b32 v16, 16, v47
	s_delay_alu instid0(VALU_DEP_1) | instskip(SKIP_2) | instid1(VALU_DEP_2)
	v_pk_mul_f32 v[14:15], v[14:15], v[16:17]
	s_wait_loadcnt_dscnt 0x0
	v_dual_lshlrev_b32 v17, 16, v46 :: v_dual_lshlrev_b32 v16, 16, v45
	v_add_f32_e32 v14, v36, v14
	s_delay_alu instid0(VALU_DEP_2) | instskip(NEXT) | instid1(VALU_DEP_2)
	v_pk_mul_f32 v[12:13], v[12:13], v[16:17]
	v_add_f32_e32 v14, v14, v15
	s_delay_alu instid0(VALU_DEP_1) | instskip(NEXT) | instid1(VALU_DEP_1)
	v_add_f32_e32 v12, v14, v12
	v_add_f32_e32 v36, v12, v13
.LBB674_25:                             ;   in Loop: Header=BB674_26 Depth=2
	s_or_b32 exec_lo, exec_lo, s41
	v_dual_add_nc_u32 v40, 64, v40 :: v_dual_add_nc_u32 v43, s36, v43
	v_dual_add_nc_u32 v44, s36, v44 :: v_dual_add_nc_u32 v42, s36, v42
	v_add_nc_u32_e32 v41, s36, v41
	s_delay_alu instid0(VALU_DEP_3) | instskip(SKIP_2) | instid1(SALU_CYCLE_1)
	v_cmp_le_i32_e32 vcc_lo, s34, v40
	s_add_co_i32 s40, s40, s37
	s_or_b32 s39, vcc_lo, s39
	s_and_not1_b32 exec_lo, exec_lo, s39
	s_cbranch_execz .LBB674_31
.LBB674_26:                             ;   Parent Loop BB674_4 Depth=1
                                        ; =>  This Inner Loop Header: Depth=2
	s_and_saveexec_b32 s41, s1
	s_cbranch_execz .LBB674_25
; %bb.27:                               ;   in Loop: Header=BB674_26 Depth=2
	v_dual_add_nc_u32 v12, s40, v35 :: v_dual_add_nc_u32 v14, s40, v32
	v_readfirstlane_b32 s42, v10
	v_readfirstlane_b32 s43, v11
	v_dual_add_nc_u32 v13, s40, v31 :: v_dual_add_nc_u32 v15, s40, v33
	s_clause 0x3
	flat_load_u16 v17, v12, s[42:43] scale_offset
	flat_load_u16 v19, v13, s[42:43] scale_offset
	flat_load_u16 v21, v14, s[42:43] scale_offset
	flat_load_u16 v23, v15, s[42:43] scale_offset
	v_dual_add_nc_u32 v16, s31, v41 :: v_dual_add_nc_u32 v18, s31, v44
	s_wait_xcnt 0x0
	v_readfirstlane_b32 s42, v8
	v_readfirstlane_b32 s43, v9
	v_dual_add_nc_u32 v20, s31, v43 :: v_dual_add_nc_u32 v22, s31, v42
	s_clause 0x3
	flat_load_u16 v47, v16, s[42:43] scale_offset
	flat_load_u16 v48, v18, s[42:43] scale_offset
	;; [unrolled: 1-line block ×4, first 2 shown]
	s_wait_loadcnt_dscnt 0x606
	v_dual_lshlrev_b32 v14, 16, v17 :: v_dual_lshlrev_b32 v15, 16, v19
	s_wait_loadcnt_dscnt 0x404
	v_dual_lshlrev_b32 v12, 16, v21 :: v_dual_lshlrev_b32 v13, 16, v23
	s_wait_xcnt 0x0
	s_and_saveexec_b32 s42, s3
	s_cbranch_execz .LBB674_24
; %bb.28:                               ;   in Loop: Header=BB674_26 Depth=2
	v_dual_ashrrev_i32 v17, 31, v16 :: v_dual_ashrrev_i32 v19, 31, v18
	v_dual_ashrrev_i32 v21, 31, v20 :: v_dual_ashrrev_i32 v23, 31, v22
	s_delay_alu instid0(VALU_DEP_2) | instskip(NEXT) | instid1(VALU_DEP_3)
	v_lshl_add_u64 v[16:17], v[16:17], 1, v[8:9]
	v_lshl_add_u64 v[18:19], v[18:19], 1, v[8:9]
	s_delay_alu instid0(VALU_DEP_3) | instskip(NEXT) | instid1(VALU_DEP_4)
	v_lshl_add_u64 v[20:21], v[20:21], 1, v[8:9]
	v_lshl_add_u64 v[22:23], v[22:23], 1, v[8:9]
	s_clause 0x3
	flat_load_u16 v51, v[16:17] offset:128
	flat_load_u16 v52, v[18:19] offset:128
	;; [unrolled: 1-line block ×4, first 2 shown]
	s_wait_xcnt 0x0
	s_and_saveexec_b32 s43, s4
	s_cbranch_execz .LBB674_23
; %bb.29:                               ;   in Loop: Header=BB674_26 Depth=2
	s_clause 0x3
	flat_load_u16 v55, v[16:17] offset:256
	flat_load_u16 v56, v[18:19] offset:256
	;; [unrolled: 1-line block ×4, first 2 shown]
	s_wait_xcnt 0x0
	s_and_saveexec_b32 s44, s5
	s_cbranch_execz .LBB674_22
; %bb.30:                               ;   in Loop: Header=BB674_26 Depth=2
	s_clause 0x3
	flat_load_u16 v57, v[18:19] offset:384
	flat_load_u16 v58, v[16:17] offset:384
	;; [unrolled: 1-line block ×4, first 2 shown]
	s_wait_loadcnt_dscnt 0x202
	s_wait_xcnt 0x2
	v_dual_lshlrev_b32 v17, 16, v57 :: v_dual_lshlrev_b32 v16, 16, v58
	s_delay_alu instid0(VALU_DEP_1) | instskip(SKIP_1) | instid1(VALU_DEP_1)
	v_pk_mul_f32 v[16:17], v[14:15], v[16:17]
	s_wait_loadcnt_dscnt 0x101
	v_dual_add_f32 v16, v39, v16 :: v_dual_lshlrev_b32 v19, 16, v59
	s_wait_loadcnt_dscnt 0x0
	s_wait_xcnt 0x0
	s_delay_alu instid0(VALU_DEP_1) | instskip(NEXT) | instid1(VALU_DEP_1)
	v_dual_lshlrev_b32 v18, 16, v60 :: v_dual_add_f32 v20, v16, v17
	v_pk_mul_f32 v[16:17], v[12:13], v[18:19]
	s_delay_alu instid0(VALU_DEP_1) | instskip(NEXT) | instid1(VALU_DEP_1)
	v_add_f32_e32 v16, v20, v16
	v_add_f32_e32 v39, v16, v17
	s_branch .LBB674_22
.LBB674_31:                             ;   in Loop: Header=BB674_4 Depth=1
	s_or_b32 exec_lo, exec_lo, s39
.LBB674_32:                             ;   in Loop: Header=BB674_4 Depth=1
	s_delay_alu instid0(SALU_CYCLE_1) | instskip(NEXT) | instid1(SALU_CYCLE_1)
	s_or_b32 exec_lo, exec_lo, s7
	s_and_not1_b32 vcc_lo, exec_lo, s20
	s_cbranch_vccnz .LBB674_50
; %bb.33:                               ;   in Loop: Header=BB674_4 Depth=1
	v_dual_mov_b32 v12, 0 :: v_dual_bitop2_b32 v16, 1, v40 bitop3:0x54
	v_cmp_gt_i32_e32 vcc_lo, s21, v40
	s_delay_alu instid0(VALU_DEP_2)
	v_dual_mov_b32 v13, v12 :: v_dual_mov_b32 v14, v12
	v_mov_b32_e32 v15, v12
	s_and_saveexec_b32 s39, vcc_lo
	s_cbranch_execz .LBB674_41
; %bb.34:                               ;   in Loop: Header=BB674_4 Depth=1
	v_mul_lo_u32 v12, v40, s28
	v_readfirstlane_b32 s40, v10
	v_readfirstlane_b32 s41, v11
	v_dual_mov_b32 v15, 0 :: v_dual_mov_b32 v13, 0
	flat_load_u16 v14, v12, s[40:41] scale_offset
	s_wait_xcnt 0x0
	v_mov_b32_e32 v12, 0
	s_mov_b32 s40, exec_lo
	v_cmpx_gt_i32_e64 s21, v16
	s_cbranch_execz .LBB674_40
; %bb.35:                               ;   in Loop: Header=BB674_4 Depth=1
	v_mul_lo_u32 v12, v16, s28
	v_readfirstlane_b32 s42, v10
	v_readfirstlane_b32 s43, v11
	v_dual_mov_b32 v13, 0 :: v_dual_bitop2_b32 v17, 2, v40 bitop3:0x54
	s_mov_b32 s41, exec_lo
	flat_load_u16 v15, v12, s[42:43] scale_offset
	s_wait_xcnt 0x0
	v_mov_b32_e32 v12, 0
	v_cmpx_gt_i32_e64 s21, v17
	s_cbranch_execz .LBB674_39
; %bb.36:                               ;   in Loop: Header=BB674_4 Depth=1
	v_mul_lo_u32 v12, v17, s28
	v_readfirstlane_b32 s42, v10
	v_readfirstlane_b32 s43, v11
	v_dual_mov_b32 v13, 0 :: v_dual_bitop2_b32 v17, 3, v40 bitop3:0x54
	flat_load_u16 v12, v12, s[42:43] scale_offset
	s_wait_xcnt 0x0
	s_mov_b32 s42, exec_lo
	v_cmpx_gt_i32_e64 s21, v17
	s_cbranch_execz .LBB674_38
; %bb.37:                               ;   in Loop: Header=BB674_4 Depth=1
	v_mul_lo_u32 v13, v17, s28
	v_readfirstlane_b32 s44, v10
	v_readfirstlane_b32 s45, v11
	flat_load_u16 v10, v13, s[44:45] scale_offset
	s_wait_loadcnt_dscnt 0x0
	s_wait_xcnt 0x0
	v_lshlrev_b32_e32 v13, 16, v10
.LBB674_38:                             ;   in Loop: Header=BB674_4 Depth=1
	s_or_b32 exec_lo, exec_lo, s42
	s_wait_loadcnt_dscnt 0x0
	v_lshlrev_b32_e32 v12, 16, v12
.LBB674_39:                             ;   in Loop: Header=BB674_4 Depth=1
	s_or_b32 exec_lo, exec_lo, s41
	s_wait_loadcnt_dscnt 0x0
	v_lshlrev_b32_e32 v15, 16, v15
.LBB674_40:                             ;   in Loop: Header=BB674_4 Depth=1
	s_or_b32 exec_lo, exec_lo, s40
	s_wait_loadcnt_dscnt 0x0
	v_lshlrev_b32_e32 v14, 16, v14
.LBB674_41:                             ;   in Loop: Header=BB674_4 Depth=1
	s_or_b32 exec_lo, exec_lo, s39
	s_and_saveexec_b32 s39, s1
	s_cbranch_execz .LBB674_49
; %bb.42:                               ;   in Loop: Header=BB674_4 Depth=1
	v_mul_lo_u32 v17, v16, s27
	v_cmp_gt_i32_e64 s7, s21, v16
	v_or_b32_e32 v10, 2, v40
	v_mul_lo_u32 v20, v40, s27
	v_readfirstlane_b32 s40, v8
	v_readfirstlane_b32 s41, v9
	v_cndmask_b32_e64 v16, 0, v17, s7
	v_mul_lo_u32 v18, v10, s27
	v_cmp_gt_i32_e64 s7, s21, v10
	v_or_b32_e32 v11, 3, v40
	s_delay_alu instid0(VALU_DEP_2) | instskip(NEXT) | instid1(VALU_DEP_2)
	v_dual_cndmask_b32 v17, 0, v20, vcc_lo :: v_dual_cndmask_b32 v10, 0, v18, s7
	v_mul_lo_u32 v19, v11, s27
	v_cmp_gt_i32_e64 s7, s21, v11
	s_delay_alu instid0(VALU_DEP_3) | instskip(NEXT) | instid1(VALU_DEP_2)
	v_dual_add_nc_u32 v16, v16, v28 :: v_dual_add_nc_u32 v18, v10, v28
	v_dual_add_nc_u32 v10, v17, v28 :: v_dual_cndmask_b32 v11, 0, v19, s7
	s_delay_alu instid0(VALU_DEP_1)
	v_add_nc_u32_e32 v20, v11, v28
	s_clause 0x3
	flat_load_u16 v40, v16, s[40:41] scale_offset
	flat_load_u16 v22, v18, s[40:41] scale_offset
	;; [unrolled: 1-line block ×4, first 2 shown]
	s_wait_xcnt 0x0
	s_and_saveexec_b32 s7, s3
	s_cbranch_execz .LBB674_48
; %bb.43:                               ;   in Loop: Header=BB674_4 Depth=1
	v_dual_ashrrev_i32 v11, 31, v10 :: v_dual_ashrrev_i32 v17, 31, v16
	v_dual_ashrrev_i32 v19, 31, v18 :: v_dual_ashrrev_i32 v21, 31, v20
	s_delay_alu instid0(VALU_DEP_2) | instskip(NEXT) | instid1(VALU_DEP_3)
	v_lshl_add_u64 v[10:11], v[10:11], 1, v[8:9]
	v_lshl_add_u64 v[16:17], v[16:17], 1, v[8:9]
	s_delay_alu instid0(VALU_DEP_3) | instskip(NEXT) | instid1(VALU_DEP_4)
	v_lshl_add_u64 v[18:19], v[18:19], 1, v[8:9]
	v_lshl_add_u64 v[8:9], v[20:21], 1, v[8:9]
	s_clause 0x3
	flat_load_u16 v42, v[10:11] offset:128
	flat_load_u16 v43, v[16:17] offset:128
	;; [unrolled: 1-line block ×4, first 2 shown]
	s_wait_xcnt 0x0
	s_and_saveexec_b32 s40, s4
	s_cbranch_execz .LBB674_47
; %bb.44:                               ;   in Loop: Header=BB674_4 Depth=1
	s_clause 0x3
	flat_load_u16 v46, v[10:11] offset:256
	flat_load_u16 v47, v[16:17] offset:256
	;; [unrolled: 1-line block ×4, first 2 shown]
	s_wait_xcnt 0x0
	s_and_saveexec_b32 s41, s5
	s_cbranch_execz .LBB674_46
; %bb.45:                               ;   in Loop: Header=BB674_4 Depth=1
	s_clause 0x3
	flat_load_u16 v48, v[16:17] offset:384
	flat_load_u16 v49, v[10:11] offset:384
	;; [unrolled: 1-line block ×4, first 2 shown]
	s_wait_loadcnt_dscnt 0x202
	s_wait_xcnt 0x1
	v_dual_lshlrev_b32 v9, 16, v48 :: v_dual_lshlrev_b32 v8, 16, v49
	s_delay_alu instid0(VALU_DEP_1) | instskip(SKIP_1) | instid1(VALU_DEP_1)
	v_pk_mul_f32 v[8:9], v[14:15], v[8:9]
	s_wait_loadcnt_dscnt 0x101
	v_dual_add_f32 v8, v39, v8 :: v_dual_lshlrev_b32 v11, 16, v50
	s_wait_loadcnt_dscnt 0x0
	s_delay_alu instid0(VALU_DEP_1) | instskip(NEXT) | instid1(VALU_DEP_1)
	v_dual_lshlrev_b32 v10, 16, v51 :: v_dual_add_f32 v16, v8, v9
	v_pk_mul_f32 v[8:9], v[12:13], v[10:11]
	s_delay_alu instid0(VALU_DEP_1) | instskip(NEXT) | instid1(VALU_DEP_1)
	v_add_f32_e32 v8, v16, v8
	v_add_f32_e32 v39, v8, v9
.LBB674_46:                             ;   in Loop: Header=BB674_4 Depth=1
	s_wait_xcnt 0x0
	s_or_b32 exec_lo, exec_lo, s41
	s_wait_loadcnt_dscnt 0x202
	v_dual_lshlrev_b32 v9, 16, v47 :: v_dual_lshlrev_b32 v8, 16, v46
	s_delay_alu instid0(VALU_DEP_1) | instskip(SKIP_1) | instid1(VALU_DEP_1)
	v_pk_mul_f32 v[8:9], v[14:15], v[8:9]
	s_wait_loadcnt_dscnt 0x0
	v_dual_add_f32 v8, v38, v8 :: v_dual_lshlrev_b32 v11, 16, v45
	s_delay_alu instid0(VALU_DEP_1) | instskip(NEXT) | instid1(VALU_DEP_1)
	v_dual_lshlrev_b32 v10, 16, v44 :: v_dual_add_f32 v16, v8, v9
	v_pk_mul_f32 v[8:9], v[12:13], v[10:11]
	s_delay_alu instid0(VALU_DEP_1) | instskip(NEXT) | instid1(VALU_DEP_1)
	v_add_f32_e32 v8, v16, v8
	v_add_f32_e32 v38, v8, v9
.LBB674_47:                             ;   in Loop: Header=BB674_4 Depth=1
	s_or_b32 exec_lo, exec_lo, s40
	s_wait_loadcnt_dscnt 0x202
	v_dual_lshlrev_b32 v9, 16, v43 :: v_dual_lshlrev_b32 v8, 16, v42
	s_delay_alu instid0(VALU_DEP_1) | instskip(SKIP_1) | instid1(VALU_DEP_1)
	v_pk_mul_f32 v[8:9], v[14:15], v[8:9]
	s_wait_loadcnt_dscnt 0x0
	v_dual_add_f32 v8, v37, v8 :: v_dual_lshlrev_b32 v11, 16, v21
	s_delay_alu instid0(VALU_DEP_1) | instskip(NEXT) | instid1(VALU_DEP_1)
	v_dual_lshlrev_b32 v10, 16, v20 :: v_dual_add_f32 v16, v8, v9
	v_pk_mul_f32 v[8:9], v[12:13], v[10:11]
	s_delay_alu instid0(VALU_DEP_1) | instskip(NEXT) | instid1(VALU_DEP_1)
	v_add_f32_e32 v8, v16, v8
	v_add_f32_e32 v37, v8, v9
.LBB674_48:                             ;   in Loop: Header=BB674_4 Depth=1
	s_or_b32 exec_lo, exec_lo, s7
	s_wait_loadcnt_dscnt 0x0
	v_dual_lshlrev_b32 v9, 16, v40 :: v_dual_lshlrev_b32 v8, 16, v41
	s_delay_alu instid0(VALU_DEP_1) | instskip(NEXT) | instid1(VALU_DEP_1)
	v_pk_mul_f32 v[8:9], v[14:15], v[8:9]
	v_dual_add_f32 v8, v36, v8 :: v_dual_lshlrev_b32 v11, 16, v23
	s_delay_alu instid0(VALU_DEP_1) | instskip(NEXT) | instid1(VALU_DEP_1)
	v_dual_lshlrev_b32 v10, 16, v22 :: v_dual_add_f32 v14, v8, v9
	v_pk_mul_f32 v[8:9], v[12:13], v[10:11]
	s_delay_alu instid0(VALU_DEP_1) | instskip(NEXT) | instid1(VALU_DEP_1)
	v_add_f32_e32 v8, v14, v8
	v_add_f32_e32 v36, v8, v9
.LBB674_49:                             ;   in Loop: Header=BB674_4 Depth=1
	s_or_b32 exec_lo, exec_lo, s39
.LBB674_50:                             ;   in Loop: Header=BB674_4 Depth=1
	ds_store_2addr_stride64_b32 v25, v36, v37 offset1:1
	ds_store_2addr_stride64_b32 v25, v38, v39 offset0:2 offset1:3
	s_wait_dscnt 0x0
	s_barrier_signal -1
	s_barrier_wait -1
                                        ; implicit-def: $vgpr12
	s_and_saveexec_b32 s7, s0
	s_cbranch_execz .LBB674_56
; %bb.51:                               ;   in Loop: Header=BB674_4 Depth=1
	ds_load_2addr_stride64_b32 v[8:9], v26 offset1:4
	ds_load_2addr_stride64_b32 v[10:11], v26 offset0:8 offset1:12
	ds_load_2addr_stride64_b32 v[12:13], v26 offset0:16 offset1:20
	s_mov_b32 s40, s38
	s_wait_dscnt 0x2
	v_add_f32_e32 v14, v8, v9
	ds_load_2addr_stride64_b32 v[8:9], v26 offset0:24 offset1:28
	s_wait_dscnt 0x2
	v_add_f32_e32 v10, v10, v14
	s_delay_alu instid0(VALU_DEP_1) | instskip(SKIP_3) | instid1(VALU_DEP_1)
	v_add_f32_e32 v14, v11, v10
	ds_load_2addr_stride64_b32 v[10:11], v26 offset0:32 offset1:36
	s_wait_dscnt 0x2
	v_add_f32_e32 v12, v12, v14
	v_add_f32_e32 v14, v13, v12
	ds_load_2addr_stride64_b32 v[12:13], v26 offset0:40 offset1:44
	s_wait_dscnt 0x2
	v_add_f32_e32 v8, v8, v14
	s_delay_alu instid0(VALU_DEP_1) | instskip(SKIP_1) | instid1(VALU_DEP_1)
	v_add_f32_e32 v8, v9, v8
	s_wait_dscnt 0x1
	v_add_f32_e32 v10, v10, v8
	ds_load_2addr_stride64_b32 v[8:9], v26 offset0:48 offset1:52
	v_add_f32_e32 v10, v11, v10
	s_wait_dscnt 0x1
	s_delay_alu instid0(VALU_DEP_1) | instskip(SKIP_3) | instid1(VALU_DEP_1)
	v_add_f32_e32 v12, v12, v10
	ds_load_2addr_stride64_b32 v[10:11], v26 offset0:56 offset1:60
	v_add_f32_e32 v12, v13, v12
	s_wait_dscnt 0x1
	v_add_f32_e32 v8, v8, v12
                                        ; implicit-def: $vgpr12
	s_delay_alu instid0(VALU_DEP_1) | instskip(SKIP_1) | instid1(VALU_DEP_1)
	v_add_f32_e32 v8, v9, v8
	s_wait_dscnt 0x0
	v_add_f32_e32 v8, v10, v8
	s_delay_alu instid0(VALU_DEP_1)
	v_add_f32_e32 v8, v11, v8
	ds_store_b32 v26, v8
	s_and_saveexec_b32 s39, s2
	s_cbranch_execz .LBB674_55
; %bb.52:                               ;   in Loop: Header=BB674_4 Depth=1
	v_mul_f32_e32 v12, s22, v8
	s_and_not1_b32 vcc_lo, exec_lo, s33
	s_cbranch_vccnz .LBB674_54
; %bb.53:                               ;   in Loop: Header=BB674_4 Depth=1
	v_lshl_add_u64 v[8:9], v[4:5], 2, v[6:7]
	flat_load_b32 v8, v[8:9]
	s_wait_loadcnt_dscnt 0x0
	v_fmac_f32_e32 v12, s26, v8
.LBB674_54:                             ;   in Loop: Header=BB674_4 Depth=1
	s_or_b32 s40, s38, exec_lo
.LBB674_55:                             ;   in Loop: Header=BB674_4 Depth=1
	s_wait_xcnt 0x0
	s_or_b32 exec_lo, exec_lo, s39
	s_delay_alu instid0(SALU_CYCLE_1) | instskip(SKIP_1) | instid1(SALU_CYCLE_1)
	s_and_not1_b32 s38, s38, exec_lo
	s_and_b32 s39, s40, exec_lo
	s_or_b32 s38, s38, s39
.LBB674_56:                             ;   in Loop: Header=BB674_4 Depth=1
	s_or_b32 exec_lo, exec_lo, s7
	v_mov_b64_e32 v[8:9], v[4:5]
	s_and_saveexec_b32 s7, s38
	s_cbranch_execz .LBB674_2
.LBB674_57:                             ;   in Loop: Header=BB674_4 Depth=1
	s_delay_alu instid0(VALU_DEP_1)
	v_lshl_add_u64 v[6:7], v[8:9], 2, v[6:7]
	flat_store_b32 v[6:7], v12
	s_branch .LBB674_2
.LBB674_58:
	s_endpgm
	.section	.rodata,"a",@progbits
	.p2align	6, 0x0
	.amdhsa_kernel _ZL20rocblas_gemvn_kernelILi64ELi16EiPK16rocblas_bfloat16fKPfEviiT3_lPKT2_lT1_lS8_lS9_lS5_lPT4_lS9_li
		.amdhsa_group_segment_fixed_size 16384
		.amdhsa_private_segment_fixed_size 0
		.amdhsa_kernarg_size 400
		.amdhsa_user_sgpr_count 2
		.amdhsa_user_sgpr_dispatch_ptr 0
		.amdhsa_user_sgpr_queue_ptr 0
		.amdhsa_user_sgpr_kernarg_segment_ptr 1
		.amdhsa_user_sgpr_dispatch_id 0
		.amdhsa_user_sgpr_kernarg_preload_length 0
		.amdhsa_user_sgpr_kernarg_preload_offset 0
		.amdhsa_user_sgpr_private_segment_size 0
		.amdhsa_wavefront_size32 1
		.amdhsa_uses_dynamic_stack 0
		.amdhsa_enable_private_segment 0
		.amdhsa_system_sgpr_workgroup_id_x 1
		.amdhsa_system_sgpr_workgroup_id_y 0
		.amdhsa_system_sgpr_workgroup_id_z 1
		.amdhsa_system_sgpr_workgroup_info 0
		.amdhsa_system_vgpr_workitem_id 1
		.amdhsa_next_free_vgpr 61
		.amdhsa_next_free_sgpr 46
		.amdhsa_named_barrier_count 0
		.amdhsa_reserve_vcc 1
		.amdhsa_float_round_mode_32 0
		.amdhsa_float_round_mode_16_64 0
		.amdhsa_float_denorm_mode_32 3
		.amdhsa_float_denorm_mode_16_64 3
		.amdhsa_fp16_overflow 0
		.amdhsa_memory_ordered 1
		.amdhsa_forward_progress 1
		.amdhsa_inst_pref_size 27
		.amdhsa_round_robin_scheduling 0
		.amdhsa_exception_fp_ieee_invalid_op 0
		.amdhsa_exception_fp_denorm_src 0
		.amdhsa_exception_fp_ieee_div_zero 0
		.amdhsa_exception_fp_ieee_overflow 0
		.amdhsa_exception_fp_ieee_underflow 0
		.amdhsa_exception_fp_ieee_inexact 0
		.amdhsa_exception_int_div_zero 0
	.end_amdhsa_kernel
	.section	.text._ZL20rocblas_gemvn_kernelILi64ELi16EiPK16rocblas_bfloat16fKPfEviiT3_lPKT2_lT1_lS8_lS9_lS5_lPT4_lS9_li,"axG",@progbits,_ZL20rocblas_gemvn_kernelILi64ELi16EiPK16rocblas_bfloat16fKPfEviiT3_lPKT2_lT1_lS8_lS9_lS5_lPT4_lS9_li,comdat
.Lfunc_end674:
	.size	_ZL20rocblas_gemvn_kernelILi64ELi16EiPK16rocblas_bfloat16fKPfEviiT3_lPKT2_lT1_lS8_lS9_lS5_lPT4_lS9_li, .Lfunc_end674-_ZL20rocblas_gemvn_kernelILi64ELi16EiPK16rocblas_bfloat16fKPfEviiT3_lPKT2_lT1_lS8_lS9_lS5_lPT4_lS9_li
                                        ; -- End function
	.set _ZL20rocblas_gemvn_kernelILi64ELi16EiPK16rocblas_bfloat16fKPfEviiT3_lPKT2_lT1_lS8_lS9_lS5_lPT4_lS9_li.num_vgpr, 61
	.set _ZL20rocblas_gemvn_kernelILi64ELi16EiPK16rocblas_bfloat16fKPfEviiT3_lPKT2_lT1_lS8_lS9_lS5_lPT4_lS9_li.num_agpr, 0
	.set _ZL20rocblas_gemvn_kernelILi64ELi16EiPK16rocblas_bfloat16fKPfEviiT3_lPKT2_lT1_lS8_lS9_lS5_lPT4_lS9_li.numbered_sgpr, 46
	.set _ZL20rocblas_gemvn_kernelILi64ELi16EiPK16rocblas_bfloat16fKPfEviiT3_lPKT2_lT1_lS8_lS9_lS5_lPT4_lS9_li.num_named_barrier, 0
	.set _ZL20rocblas_gemvn_kernelILi64ELi16EiPK16rocblas_bfloat16fKPfEviiT3_lPKT2_lT1_lS8_lS9_lS5_lPT4_lS9_li.private_seg_size, 0
	.set _ZL20rocblas_gemvn_kernelILi64ELi16EiPK16rocblas_bfloat16fKPfEviiT3_lPKT2_lT1_lS8_lS9_lS5_lPT4_lS9_li.uses_vcc, 1
	.set _ZL20rocblas_gemvn_kernelILi64ELi16EiPK16rocblas_bfloat16fKPfEviiT3_lPKT2_lT1_lS8_lS9_lS5_lPT4_lS9_li.uses_flat_scratch, 1
	.set _ZL20rocblas_gemvn_kernelILi64ELi16EiPK16rocblas_bfloat16fKPfEviiT3_lPKT2_lT1_lS8_lS9_lS5_lPT4_lS9_li.has_dyn_sized_stack, 0
	.set _ZL20rocblas_gemvn_kernelILi64ELi16EiPK16rocblas_bfloat16fKPfEviiT3_lPKT2_lT1_lS8_lS9_lS5_lPT4_lS9_li.has_recursion, 0
	.set _ZL20rocblas_gemvn_kernelILi64ELi16EiPK16rocblas_bfloat16fKPfEviiT3_lPKT2_lT1_lS8_lS9_lS5_lPT4_lS9_li.has_indirect_call, 0
	.section	.AMDGPU.csdata,"",@progbits
; Kernel info:
; codeLenInByte = 3336
; TotalNumSgprs: 48
; NumVgprs: 61
; ScratchSize: 0
; MemoryBound: 0
; FloatMode: 240
; IeeeMode: 1
; LDSByteSize: 16384 bytes/workgroup (compile time only)
; SGPRBlocks: 0
; VGPRBlocks: 3
; NumSGPRsForWavesPerEU: 48
; NumVGPRsForWavesPerEU: 61
; NamedBarCnt: 0
; Occupancy: 16
; WaveLimiterHint : 1
; COMPUTE_PGM_RSRC2:SCRATCH_EN: 0
; COMPUTE_PGM_RSRC2:USER_SGPR: 2
; COMPUTE_PGM_RSRC2:TRAP_HANDLER: 0
; COMPUTE_PGM_RSRC2:TGID_X_EN: 1
; COMPUTE_PGM_RSRC2:TGID_Y_EN: 0
; COMPUTE_PGM_RSRC2:TGID_Z_EN: 1
; COMPUTE_PGM_RSRC2:TIDIG_COMP_CNT: 1
	.section	.text._ZL20rocblas_gemvn_kernelILi64ELi16ElPK16rocblas_bfloat16fKPfEviiT3_lPKT2_lT1_lS8_lS9_lS5_lPT4_lS9_li,"axG",@progbits,_ZL20rocblas_gemvn_kernelILi64ELi16ElPK16rocblas_bfloat16fKPfEviiT3_lPKT2_lT1_lS8_lS9_lS5_lPT4_lS9_li,comdat
	.globl	_ZL20rocblas_gemvn_kernelILi64ELi16ElPK16rocblas_bfloat16fKPfEviiT3_lPKT2_lT1_lS8_lS9_lS5_lPT4_lS9_li ; -- Begin function _ZL20rocblas_gemvn_kernelILi64ELi16ElPK16rocblas_bfloat16fKPfEviiT3_lPKT2_lT1_lS8_lS9_lS5_lPT4_lS9_li
	.p2align	8
	.type	_ZL20rocblas_gemvn_kernelILi64ELi16ElPK16rocblas_bfloat16fKPfEviiT3_lPKT2_lT1_lS8_lS9_lS5_lPT4_lS9_li,@function
_ZL20rocblas_gemvn_kernelILi64ELi16ElPK16rocblas_bfloat16fKPfEviiT3_lPKT2_lT1_lS8_lS9_lS5_lPT4_lS9_li: ; @_ZL20rocblas_gemvn_kernelILi64ELi16ElPK16rocblas_bfloat16fKPfEviiT3_lPKT2_lT1_lS8_lS9_lS5_lPT4_lS9_li
; %bb.0:
	s_clause 0x1
	s_load_b64 s[2:3], s[0:1], 0x9c
	s_load_b32 s27, s[0:1], 0x88
	s_bfe_u32 s4, ttmp6, 0x40014
	s_lshr_b32 s5, ttmp7, 16
	s_add_co_i32 s4, s4, 1
	s_bfe_u32 s6, ttmp6, 0x40008
	s_mul_i32 s7, s5, s4
	s_getreg_b32 s4, hwreg(HW_REG_IB_STS2, 6, 4)
	s_add_co_i32 s6, s6, s7
	s_mov_b32 s11, 0
	s_wait_kmcnt 0x0
	s_lshr_b32 s7, s2, 16
	s_and_b32 s2, s2, 0xffff
	s_and_b32 s3, s3, 0xffff
	s_mul_i32 s2, s7, s2
	s_cmp_eq_u32 s4, 0
	s_mul_i32 s2, s2, s3
	s_cselect_b32 s10, s5, s6
	s_cmp_lg_u32 s2, 0x400
	s_cselect_b32 s2, -1, 0
	s_cmp_ge_u32 s10, s27
	s_cselect_b32 s3, -1, 0
	s_delay_alu instid0(SALU_CYCLE_1) | instskip(NEXT) | instid1(SALU_CYCLE_1)
	s_or_b32 s2, s2, s3
	s_and_b32 vcc_lo, exec_lo, s2
	s_cbranch_vccnz .LBB675_58
; %bb.1:
	s_clause 0x7
	s_load_b96 s[24:26], s[0:1], 0x0
	s_load_b32 s33, s[0:1], 0x58
	s_load_b64 s[28:29], s[0:1], 0x48
	s_load_b128 s[12:15], s[0:1], 0x18
	s_load_b64 s[30:31], s[0:1], 0x28
	s_load_b128 s[16:19], s[0:1], 0x38
	;; [unrolled: 2-line block ×3, first 2 shown]
	v_bfe_u32 v4, v0, 10, 10
	v_and_b32_e32 v15, 0x3ff, v0
	s_delay_alu instid0(VALU_DEP_2) | instskip(NEXT) | instid1(VALU_DEP_2)
	v_dual_mov_b32 v1, 0 :: v_dual_lshlrev_b32 v52, 2, v4
	v_lshl_add_u32 v14, v4, 6, v15
	s_delay_alu instid0(VALU_DEP_2) | instskip(NEXT) | instid1(VALU_DEP_1)
	v_dual_mov_b32 v5, v1 :: v_dual_lshlrev_b32 v20, 2, v15
	v_lshl_add_u32 v54, v4, 10, v20
	s_wait_kmcnt 0x0
	s_cmp_eq_f32 s26, 0
	v_lshl_add_u32 v55, v4, 8, v20
	v_mad_nc_u64_u32 v[6:7], s28, v52, s[28:29]
	v_mul_u64_e32 v[10:11], s[28:29], v[4:5]
	s_cselect_b32 s38, -1, 0
	s_cmp_neq_f32 s33, 1.0
	v_mad_nc_u64_u32 v[8:9], s30, v52, s[30:31]
	v_mul_u64_e32 v[12:13], s[30:31], v[4:5]
	s_cselect_b32 s0, -1, 0
	s_cmp_neq_f32 s26, 0
	s_delay_alu instid0(VALU_DEP_4)
	v_mad_u32 v7, s29, v52, v7
	s_cselect_b32 s1, -1, 0
	s_bfe_u32 s5, ttmp6, 0x4000c
	s_and_b32 s6, ttmp6, 15
	s_add_co_i32 s5, s5, 1
	s_or_b32 s39, s1, s0
	s_mul_i32 s5, ttmp9, s5
	v_cndmask_b32_e64 v53, 0, 1, s1
	s_add_co_i32 s6, s6, s5
	s_cmp_eq_u32 s4, 0
	s_mov_b32 s0, s24
	s_cselect_b32 s1, ttmp9, s6
	v_mad_u32 v9, s31, v52, v9
	s_lshl_b32 s4, s1, 8
	s_ashr_i32 s1, s24, 31
	v_add_nc_u32_e32 v0, s4, v14
	v_lshlrev_b64_e32 v[4:5], 1, v[6:7]
	v_add_nc_u32_e32 v24, s4, v15
	s_cmp_neq_f32 s33, 0
	s_delay_alu instid0(VALU_DEP_3)
	v_cmp_gt_i64_e32 vcc_lo, s[0:1], v[0:1]
	v_cmp_gt_u32_e64 s0, 0x100, v14
	v_or_b32_e32 v14, s4, v14
	v_mul_u64_e32 v[2:3], s[2:3], v[0:1]
	v_or_b32_e32 v0, 3, v52
	v_lshlrev_b64_e32 v[6:7], 1, v[8:9]
	s_cselect_b32 s40, -1, 0
	v_ashrrev_i32_e32 v15, 31, v14
	s_ashr_i32 s1, s25, 31
	v_mul_u64_e32 v[16:17], s[30:31], v[0:1]
	v_mul_u64_e32 v[18:19], s[28:29], v[0:1]
	v_or_b32_e32 v0, 2, v52
	v_mul_u64_e32 v[8:9], s[2:3], v[14:15]
	s_lshr_b32 s4, s1, 26
	v_ashrrev_i32_e32 v25, 31, v24
	v_add_nc_u32_e32 v15, 0x80, v24
	v_mul_u64_e32 v[20:21], s[30:31], v[0:1]
	v_mul_u64_e32 v[22:23], s[28:29], v[0:1]
	s_add_co_i32 s41, s25, s4
	v_add_nc_u32_e32 v0, 64, v24
	v_add_nc_u32_e32 v26, 0xc0, v24
	s_and_not1_b32 s41, s41, 63
	v_cmp_gt_i32_e64 s2, s24, v14
	v_lshlrev_b64_e32 v[10:11], 3, v[10:11]
	v_lshlrev_b64_e32 v[12:13], 3, v[12:13]
	v_cmp_gt_i32_e64 s4, s24, v15
	s_sub_co_i32 s6, s25, s41
	v_lshlrev_b64_e32 v[14:15], 1, v[24:25]
	v_cmp_gt_i32_e64 s1, s24, v24
	v_cmp_gt_i32_e64 s3, s24, v0
	;; [unrolled: 1-line block ×3, first 2 shown]
	s_cmp_gt_i32 s6, 0
	v_cmp_gt_i32_e64 s6, s41, v52
	s_cselect_b32 s24, -1, 0
	s_and_b32 s42, s0, vcc_lo
	s_lshl_b64 s[34:35], s[28:29], 7
	s_lshl_b64 s[36:37], s[30:31], 7
	;; [unrolled: 1-line block ×5, first 2 shown]
	v_lshlrev_b64_e32 v[16:17], 1, v[16:17]
	v_lshlrev_b64_e32 v[18:19], 1, v[18:19]
	;; [unrolled: 1-line block ×4, first 2 shown]
	s_branch .LBB675_4
.LBB675_2:                              ;   in Loop: Header=BB675_4 Depth=1
	s_wait_xcnt 0x0
	s_or_b32 exec_lo, exec_lo, s7
.LBB675_3:                              ;   in Loop: Header=BB675_4 Depth=1
	s_add_co_i32 s10, s10, 0x10000
	s_delay_alu instid0(SALU_CYCLE_1)
	s_cmp_lt_u32 s10, s27
	s_cbranch_scc0 .LBB675_58
.LBB675_4:                              ; =>This Loop Header: Depth=1
                                        ;     Child Loop BB675_26 Depth 2
	s_and_not1_b32 vcc_lo, exec_lo, s39
	s_cbranch_vccnz .LBB675_3
; %bb.5:                                ;   in Loop: Header=BB675_4 Depth=1
	s_and_not1_b32 vcc_lo, exec_lo, s38
	s_cbranch_vccnz .LBB675_7
; %bb.6:                                ;   in Loop: Header=BB675_4 Depth=1
	v_mov_b64_e32 v[28:29], 0
	v_mov_b64_e32 v[26:27], 0
	s_cbranch_execz .LBB675_8
	s_branch .LBB675_9
.LBB675_7:                              ;   in Loop: Header=BB675_4 Depth=1
	v_mov_b64_e32 v[28:29], 0
	v_mov_b64_e32 v[26:27], 0
.LBB675_8:                              ;   in Loop: Header=BB675_4 Depth=1
	s_lshl_b64 s[8:9], s[10:11], 3
	s_delay_alu instid0(SALU_CYCLE_1)
	s_add_nc_u64 s[8:9], s[12:13], s[8:9]
	global_load_b64 v[24:25], v1, s[8:9]
	s_wait_loadcnt 0x0
	v_add_nc_u64_e32 v[26:27], s[14:15], v[24:25]
.LBB675_9:                              ;   in Loop: Header=BB675_4 Depth=1
	v_cmp_ne_u32_e32 vcc_lo, 1, v53
	s_cbranch_vccnz .LBB675_11
; %bb.10:                               ;   in Loop: Header=BB675_4 Depth=1
	s_wait_xcnt 0x0
	s_lshl_b64 s[8:9], s[10:11], 3
	s_delay_alu instid0(SALU_CYCLE_1)
	s_add_nc_u64 s[8:9], s[16:17], s[8:9]
	global_load_b64 v[24:25], v1, s[8:9]
	s_wait_loadcnt 0x0
	v_add_nc_u64_e32 v[28:29], s[18:19], v[24:25]
.LBB675_11:                             ;   in Loop: Header=BB675_4 Depth=1
	s_wait_xcnt 0x0
	s_lshl_b64 s[8:9], s[10:11], 3
	s_and_not1_b32 vcc_lo, exec_lo, s38
	s_add_nc_u64 s[8:9], s[20:21], s[8:9]
	global_load_b64 v[24:25], v1, s[8:9]
	s_wait_loadcnt 0x0
	v_add_nc_u64_e32 v[24:25], s[22:23], v[24:25]
	s_cbranch_vccnz .LBB675_15
; %bb.12:                               ;   in Loop: Header=BB675_4 Depth=1
	s_mov_b32 s7, 0
	s_mov_b32 s43, 0
                                        ; implicit-def: $vgpr0
	s_wait_xcnt 0x0
	s_and_saveexec_b32 s8, s42
	s_cbranch_execz .LBB675_16
; %bb.13:                               ;   in Loop: Header=BB675_4 Depth=1
	s_and_not1_b32 vcc_lo, exec_lo, s40
	s_cbranch_vccnz .LBB675_18
; %bb.14:                               ;   in Loop: Header=BB675_4 Depth=1
	v_lshl_add_u64 v[30:31], v[2:3], 2, v[24:25]
	flat_load_b32 v0, v[30:31]
	s_wait_loadcnt_dscnt 0x0
	v_mul_f32_e32 v0, s33, v0
	s_branch .LBB675_19
.LBB675_15:                             ;   in Loop: Header=BB675_4 Depth=1
	s_mov_b32 s43, 0
                                        ; implicit-def: $vgpr0
	s_cbranch_execz .LBB675_17
	s_branch .LBB675_20
.LBB675_16:                             ;   in Loop: Header=BB675_4 Depth=1
	s_or_b32 exec_lo, exec_lo, s8
	s_delay_alu instid0(SALU_CYCLE_1)
	s_and_b32 vcc_lo, exec_lo, s7
	s_cbranch_vccnz .LBB675_20
.LBB675_17:                             ;   in Loop: Header=BB675_4 Depth=1
	v_mov_b64_e32 v[26:27], v[2:3]
	s_wait_xcnt 0x0
	s_and_saveexec_b32 s7, s43
	s_cbranch_execz .LBB675_2
	s_branch .LBB675_57
.LBB675_18:                             ;   in Loop: Header=BB675_4 Depth=1
	v_mov_b32_e32 v0, 0
.LBB675_19:                             ;   in Loop: Header=BB675_4 Depth=1
	s_mov_b32 s43, exec_lo
	s_wait_xcnt 0x0
	s_or_b32 exec_lo, exec_lo, s8
	s_delay_alu instid0(SALU_CYCLE_1)
	s_and_b32 vcc_lo, exec_lo, s7
	s_cbranch_vccz .LBB675_17
.LBB675_20:                             ;   in Loop: Header=BB675_4 Depth=1
	v_dual_mov_b32 v56, 0 :: v_dual_mov_b32 v0, v52
	v_dual_mov_b32 v57, 0 :: v_dual_mov_b32 v58, 0
	v_mov_b32_e32 v59, 0
	s_wait_xcnt 0x0
	s_and_saveexec_b32 s7, s6
	s_cbranch_execz .LBB675_32
; %bb.21:                               ;   in Loop: Header=BB675_4 Depth=1
	v_add_nc_u64_e32 v[30:31], v[26:27], v[16:17]
	v_add_nc_u64_e32 v[32:33], v[26:27], v[12:13]
	;; [unrolled: 1-line block ×4, first 2 shown]
	v_mov_b64_e32 v[38:39], v[28:29]
	v_dual_mov_b32 v56, 0 :: v_dual_mov_b32 v0, v52
	v_dual_mov_b32 v57, 0 :: v_dual_mov_b32 v58, 0
	v_mov_b32_e32 v59, 0
	s_mov_b32 s8, 0
	s_branch .LBB675_26
.LBB675_22:                             ;   in Loop: Header=BB675_26 Depth=2
	s_or_b32 exec_lo, exec_lo, s46
	s_wait_loadcnt_dscnt 0x202
	v_dual_lshlrev_b32 v45, 16, v71 :: v_dual_lshlrev_b32 v44, 16, v70
	s_delay_alu instid0(VALU_DEP_1) | instskip(SKIP_1) | instid1(VALU_DEP_1)
	v_pk_mul_f32 v[44:45], v[42:43], v[44:45]
	s_wait_loadcnt_dscnt 0x0
	v_dual_add_f32 v44, v58, v44 :: v_dual_lshlrev_b32 v47, 16, v69
	s_delay_alu instid0(VALU_DEP_1) | instskip(NEXT) | instid1(VALU_DEP_1)
	v_dual_lshlrev_b32 v46, 16, v68 :: v_dual_add_f32 v48, v44, v45
	v_pk_mul_f32 v[44:45], v[40:41], v[46:47]
	s_delay_alu instid0(VALU_DEP_1) | instskip(NEXT) | instid1(VALU_DEP_1)
	v_add_f32_e32 v44, v48, v44
	v_add_f32_e32 v58, v44, v45
.LBB675_23:                             ;   in Loop: Header=BB675_26 Depth=2
	s_or_b32 exec_lo, exec_lo, s45
	s_wait_loadcnt_dscnt 0x202
	v_dual_lshlrev_b32 v45, 16, v67 :: v_dual_lshlrev_b32 v44, 16, v66
	s_delay_alu instid0(VALU_DEP_1) | instskip(SKIP_1) | instid1(VALU_DEP_1)
	v_pk_mul_f32 v[44:45], v[42:43], v[44:45]
	s_wait_loadcnt_dscnt 0x0
	v_dual_add_f32 v44, v57, v44 :: v_dual_lshlrev_b32 v47, 16, v65
	s_delay_alu instid0(VALU_DEP_1) | instskip(NEXT) | instid1(VALU_DEP_1)
	v_dual_lshlrev_b32 v46, 16, v64 :: v_dual_add_f32 v48, v44, v45
	v_pk_mul_f32 v[44:45], v[40:41], v[46:47]
	s_delay_alu instid0(VALU_DEP_1) | instskip(NEXT) | instid1(VALU_DEP_1)
	v_add_f32_e32 v44, v48, v44
	v_add_f32_e32 v57, v44, v45
.LBB675_24:                             ;   in Loop: Header=BB675_26 Depth=2
	s_or_b32 exec_lo, exec_lo, s44
	s_wait_loadcnt_dscnt 0x202
	v_dual_lshlrev_b32 v45, 16, v63 :: v_dual_lshlrev_b32 v44, 16, v62
	s_delay_alu instid0(VALU_DEP_1) | instskip(SKIP_1) | instid1(VALU_DEP_1)
	v_pk_mul_f32 v[42:43], v[42:43], v[44:45]
	s_wait_loadcnt_dscnt 0x0
	v_dual_add_f32 v42, v56, v42 :: v_dual_lshlrev_b32 v45, 16, v61
	s_delay_alu instid0(VALU_DEP_1) | instskip(NEXT) | instid1(VALU_DEP_1)
	v_dual_lshlrev_b32 v44, 16, v60 :: v_dual_add_f32 v42, v42, v43
	v_pk_mul_f32 v[40:41], v[40:41], v[44:45]
	s_delay_alu instid0(VALU_DEP_1) | instskip(NEXT) | instid1(VALU_DEP_1)
	v_add_f32_e32 v40, v42, v40
	v_add_f32_e32 v56, v40, v41
.LBB675_25:                             ;   in Loop: Header=BB675_26 Depth=2
	s_or_b32 exec_lo, exec_lo, s9
	v_add_nc_u32_e32 v0, 64, v0
	v_add_nc_u64_e32 v[38:39], s[34:35], v[38:39]
	v_add_nc_u64_e32 v[30:31], s[36:37], v[30:31]
	;; [unrolled: 1-line block ×4, first 2 shown]
	v_cmp_le_i32_e32 vcc_lo, s41, v0
	v_add_nc_u64_e32 v[36:37], s[36:37], v[36:37]
	s_or_b32 s8, vcc_lo, s8
	s_delay_alu instid0(SALU_CYCLE_1)
	s_and_not1_b32 exec_lo, exec_lo, s8
	s_cbranch_execz .LBB675_31
.LBB675_26:                             ;   Parent Loop BB675_4 Depth=1
                                        ; =>  This Inner Loop Header: Depth=2
	s_and_saveexec_b32 s9, s1
	s_cbranch_execz .LBB675_25
; %bb.27:                               ;   in Loop: Header=BB675_26 Depth=2
	v_add_nc_u64_e32 v[42:43], v[38:39], v[4:5]
	v_add_nc_u64_e32 v[40:41], v[38:39], v[10:11]
	;; [unrolled: 1-line block ×8, first 2 shown]
	s_clause 0x3
	flat_load_u16 v42, v[42:43]
	flat_load_u16 v40, v[40:41]
	;; [unrolled: 1-line block ×4, first 2 shown]
                                        ; kill: killed $vgpr62_vgpr63
                                        ; kill: killed $vgpr60_vgpr61
	flat_load_u16 v62, v[48:49]
	flat_load_u16 v63, v[50:51]
	flat_load_u16 v60, v[44:45]
	flat_load_u16 v61, v[46:47]
	s_wait_loadcnt_dscnt 0x606
	v_dual_lshlrev_b32 v43, 16, v42 :: v_dual_lshlrev_b32 v42, 16, v40
	s_wait_loadcnt_dscnt 0x404
	v_dual_lshlrev_b32 v41, 16, v41 :: v_dual_lshlrev_b32 v40, 16, v64
	s_wait_xcnt 0x0
	s_and_saveexec_b32 s44, s3
	s_cbranch_execz .LBB675_24
; %bb.28:                               ;   in Loop: Header=BB675_26 Depth=2
	flat_load_u16 v66, v[48:49] offset:128
	flat_load_u16 v67, v[50:51] offset:128
	flat_load_u16 v64, v[44:45] offset:128
	flat_load_u16 v65, v[46:47] offset:128
	s_wait_xcnt 0x0
	s_and_saveexec_b32 s45, s4
	s_cbranch_execz .LBB675_23
; %bb.29:                               ;   in Loop: Header=BB675_26 Depth=2
	flat_load_u16 v70, v[48:49] offset:256
	flat_load_u16 v71, v[50:51] offset:256
	flat_load_u16 v68, v[44:45] offset:256
	flat_load_u16 v69, v[46:47] offset:256
	;; [unrolled: 8-line block ×3, first 2 shown]
	s_wait_loadcnt_dscnt 0x202
	s_wait_xcnt 0x0
	v_dual_lshlrev_b32 v45, 16, v50 :: v_dual_lshlrev_b32 v44, 16, v48
	s_delay_alu instid0(VALU_DEP_1) | instskip(SKIP_1) | instid1(VALU_DEP_1)
	v_pk_mul_f32 v[44:45], v[42:43], v[44:45]
	s_wait_loadcnt_dscnt 0x101
	v_dual_add_f32 v44, v59, v44 :: v_dual_lshlrev_b32 v47, 16, v46
	s_delay_alu instid0(VALU_DEP_1) | instskip(SKIP_2) | instid1(VALU_DEP_1)
	v_add_f32_e32 v48, v44, v45
	s_wait_loadcnt_dscnt 0x0
	v_lshlrev_b32_e32 v46, 16, v49
	v_pk_mul_f32 v[44:45], v[40:41], v[46:47]
	s_delay_alu instid0(VALU_DEP_1) | instskip(NEXT) | instid1(VALU_DEP_1)
	v_add_f32_e32 v44, v48, v44
	v_add_f32_e32 v59, v44, v45
	s_branch .LBB675_22
.LBB675_31:                             ;   in Loop: Header=BB675_4 Depth=1
	s_or_b32 exec_lo, exec_lo, s8
.LBB675_32:                             ;   in Loop: Header=BB675_4 Depth=1
	s_delay_alu instid0(SALU_CYCLE_1) | instskip(NEXT) | instid1(SALU_CYCLE_1)
	s_or_b32 exec_lo, exec_lo, s7
	s_and_not1_b32 vcc_lo, exec_lo, s24
	s_cbranch_vccnz .LBB675_50
; %bb.33:                               ;   in Loop: Header=BB675_4 Depth=1
	v_dual_mov_b32 v30, 0 :: v_dual_bitop2_b32 v34, 1, v0 bitop3:0x54
	v_cmp_gt_i32_e32 vcc_lo, s25, v0
	s_delay_alu instid0(VALU_DEP_2)
	v_dual_mov_b32 v31, v30 :: v_dual_mov_b32 v32, v30
	v_mov_b32_e32 v33, v30
	s_and_saveexec_b32 s8, vcc_lo
	s_cbranch_execz .LBB675_41
; %bb.34:                               ;   in Loop: Header=BB675_4 Depth=1
	v_mul_u64_e32 v[30:31], s[28:29], v[0:1]
	v_mov_b32_e32 v33, 0
	s_mov_b32 s9, exec_lo
	s_delay_alu instid0(VALU_DEP_2)
	v_lshl_add_u64 v[30:31], v[30:31], 1, v[28:29]
	flat_load_u16 v36, v[30:31]
	s_wait_xcnt 0x0
	v_dual_mov_b32 v31, 0 :: v_dual_mov_b32 v30, 0
	v_cmpx_gt_i32_e64 s25, v34
	s_cbranch_execz .LBB675_40
; %bb.35:                               ;   in Loop: Header=BB675_4 Depth=1
	v_dual_mov_b32 v35, v1 :: v_dual_bitop2_b32 v32, 2, v0 bitop3:0x54
	s_mov_b32 s44, exec_lo
	s_delay_alu instid0(VALU_DEP_1) | instskip(NEXT) | instid1(VALU_DEP_1)
	v_mul_u64_e32 v[30:31], s[28:29], v[34:35]
	v_lshl_add_u64 v[30:31], v[30:31], 1, v[28:29]
	flat_load_u16 v35, v[30:31]
	s_wait_xcnt 0x0
	v_dual_mov_b32 v31, 0 :: v_dual_mov_b32 v30, 0
	v_cmpx_gt_i32_e64 s25, v32
	s_cbranch_execz .LBB675_39
; %bb.36:                               ;   in Loop: Header=BB675_4 Depth=1
	v_mov_b32_e32 v33, v1
	s_mov_b32 s45, exec_lo
	s_delay_alu instid0(VALU_DEP_1) | instskip(NEXT) | instid1(VALU_DEP_1)
	v_mul_u64_e32 v[30:31], s[28:29], v[32:33]
	v_lshl_add_u64 v[30:31], v[30:31], 1, v[28:29]
	flat_load_u16 v32, v[30:31]
	s_wait_xcnt 0x0
	v_dual_mov_b32 v31, 0 :: v_dual_bitop2_b32 v30, 3, v0 bitop3:0x54
	s_delay_alu instid0(VALU_DEP_1)
	v_cmpx_gt_i32_e64 s25, v30
	s_cbranch_execz .LBB675_38
; %bb.37:                               ;   in Loop: Header=BB675_4 Depth=1
	v_mov_b32_e32 v31, v1
	s_delay_alu instid0(VALU_DEP_1) | instskip(NEXT) | instid1(VALU_DEP_1)
	v_mul_u64_e32 v[30:31], s[28:29], v[30:31]
	v_lshl_add_u64 v[28:29], v[30:31], 1, v[28:29]
	flat_load_u16 v28, v[28:29]
	s_wait_loadcnt_dscnt 0x0
	v_lshlrev_b32_e32 v31, 16, v28
.LBB675_38:                             ;   in Loop: Header=BB675_4 Depth=1
	s_wait_xcnt 0x0
	s_or_b32 exec_lo, exec_lo, s45
	s_wait_loadcnt_dscnt 0x0
	v_lshlrev_b32_e32 v30, 16, v32
.LBB675_39:                             ;   in Loop: Header=BB675_4 Depth=1
	s_or_b32 exec_lo, exec_lo, s44
	s_wait_loadcnt_dscnt 0x0
	v_lshlrev_b32_e32 v33, 16, v35
.LBB675_40:                             ;   in Loop: Header=BB675_4 Depth=1
	s_or_b32 exec_lo, exec_lo, s9
	s_wait_loadcnt_dscnt 0x0
	v_lshlrev_b32_e32 v32, 16, v36
.LBB675_41:                             ;   in Loop: Header=BB675_4 Depth=1
	s_or_b32 exec_lo, exec_lo, s8
	s_and_saveexec_b32 s44, s1
	s_cbranch_execz .LBB675_49
; %bb.42:                               ;   in Loop: Header=BB675_4 Depth=1
	v_dual_mov_b32 v35, v1 :: v_dual_bitop2_b32 v28, 2, v0 bitop3:0x54
	v_mov_b32_e32 v29, v1
	v_mul_u64_e32 v[36:37], s[30:31], v[0:1]
	v_or_b32_e32 v0, 3, v0
	s_delay_alu instid0(VALU_DEP_4)
	v_mul_u64_e32 v[38:39], s[30:31], v[34:35]
	v_cmp_gt_i32_e64 s7, s25, v34
	v_mul_u64_e32 v[40:41], s[30:31], v[28:29]
	v_cmp_gt_i32_e64 s8, s25, v28
	;; [unrolled: 2-line block ×3, first 2 shown]
	v_dual_cndmask_b32 v29, 0, v37 :: v_dual_cndmask_b32 v28, 0, v36
	v_dual_cndmask_b32 v35, 0, v39, s7 :: v_dual_cndmask_b32 v34, 0, v38, s7
	v_dual_cndmask_b32 v39, 0, v41, s8 :: v_dual_cndmask_b32 v38, 0, v40, s8
	s_delay_alu instid0(VALU_DEP_4) | instskip(NEXT) | instid1(VALU_DEP_3)
	v_dual_cndmask_b32 v41, 0, v43, s9 :: v_dual_cndmask_b32 v40, 0, v42, s9
	v_lshl_add_u64 v[34:35], v[34:35], 1, v[26:27]
	s_delay_alu instid0(VALU_DEP_3) | instskip(NEXT) | instid1(VALU_DEP_3)
	v_lshl_add_u64 v[36:37], v[38:39], 1, v[26:27]
	v_lshl_add_u64 v[38:39], v[40:41], 1, v[26:27]
	;; [unrolled: 1-line block ×3, first 2 shown]
	s_delay_alu instid0(VALU_DEP_4) | instskip(NEXT) | instid1(VALU_DEP_4)
	v_add_nc_u64_e32 v[26:27], v[34:35], v[14:15]
	v_add_nc_u64_e32 v[34:35], v[36:37], v[14:15]
	s_delay_alu instid0(VALU_DEP_4) | instskip(NEXT) | instid1(VALU_DEP_4)
	v_add_nc_u64_e32 v[28:29], v[38:39], v[14:15]
	v_add_nc_u64_e32 v[36:37], v[40:41], v[14:15]
	s_clause 0x3
	flat_load_u16 v39, v[26:27]
	flat_load_u16 v0, v[34:35]
	;; [unrolled: 1-line block ×4, first 2 shown]
	s_wait_xcnt 0x0
	s_and_saveexec_b32 s7, s3
	s_cbranch_execz .LBB675_48
; %bb.43:                               ;   in Loop: Header=BB675_4 Depth=1
	s_clause 0x3
	flat_load_u16 v43, v[36:37] offset:128
	flat_load_u16 v44, v[26:27] offset:128
	flat_load_u16 v41, v[34:35] offset:128
	flat_load_u16 v42, v[28:29] offset:128
	s_wait_xcnt 0x0
	s_and_saveexec_b32 s8, s4
	s_cbranch_execz .LBB675_47
; %bb.44:                               ;   in Loop: Header=BB675_4 Depth=1
	s_clause 0x3
	flat_load_u16 v47, v[36:37] offset:256
	flat_load_u16 v48, v[26:27] offset:256
	flat_load_u16 v45, v[34:35] offset:256
	flat_load_u16 v46, v[28:29] offset:256
	;; [unrolled: 9-line block ×3, first 2 shown]
	s_wait_loadcnt_dscnt 0x202
	s_wait_xcnt 0x3
	v_dual_lshlrev_b32 v27, 16, v49 :: v_dual_lshlrev_b32 v26, 16, v50
	s_delay_alu instid0(VALU_DEP_1) | instskip(SKIP_2) | instid1(VALU_DEP_1)
	v_pk_mul_f32 v[26:27], v[32:33], v[26:27]
	s_wait_loadcnt_dscnt 0x101
	s_wait_xcnt 0x1
	v_dual_add_f32 v26, v59, v26 :: v_dual_lshlrev_b32 v29, 16, v51
	s_wait_loadcnt_dscnt 0x0
	s_wait_xcnt 0x0
	s_delay_alu instid0(VALU_DEP_1) | instskip(NEXT) | instid1(VALU_DEP_1)
	v_dual_lshlrev_b32 v28, 16, v60 :: v_dual_add_f32 v34, v26, v27
	v_pk_mul_f32 v[26:27], v[30:31], v[28:29]
	s_delay_alu instid0(VALU_DEP_1) | instskip(NEXT) | instid1(VALU_DEP_1)
	v_add_f32_e32 v26, v34, v26
	v_add_f32_e32 v59, v26, v27
.LBB675_46:                             ;   in Loop: Header=BB675_4 Depth=1
	s_or_b32 exec_lo, exec_lo, s9
	s_wait_loadcnt_dscnt 0x202
	v_dual_lshlrev_b32 v27, 16, v48 :: v_dual_lshlrev_b32 v26, 16, v47
	s_wait_loadcnt_dscnt 0x0
	v_dual_lshlrev_b32 v29, 16, v46 :: v_dual_lshlrev_b32 v28, 16, v45
	s_delay_alu instid0(VALU_DEP_2) | instskip(NEXT) | instid1(VALU_DEP_1)
	v_pk_mul_f32 v[26:27], v[32:33], v[26:27]
	v_add_f32_e32 v26, v58, v26
	s_delay_alu instid0(VALU_DEP_1) | instskip(NEXT) | instid1(VALU_DEP_4)
	v_add_f32_e32 v34, v26, v27
	v_pk_mul_f32 v[26:27], v[30:31], v[28:29]
	s_delay_alu instid0(VALU_DEP_1) | instskip(NEXT) | instid1(VALU_DEP_1)
	v_add_f32_e32 v26, v34, v26
	v_add_f32_e32 v58, v26, v27
.LBB675_47:                             ;   in Loop: Header=BB675_4 Depth=1
	s_or_b32 exec_lo, exec_lo, s8
	s_wait_loadcnt_dscnt 0x202
	v_dual_lshlrev_b32 v27, 16, v44 :: v_dual_lshlrev_b32 v26, 16, v43
	s_wait_loadcnt_dscnt 0x0
	v_dual_lshlrev_b32 v29, 16, v42 :: v_dual_lshlrev_b32 v28, 16, v41
	s_delay_alu instid0(VALU_DEP_2) | instskip(NEXT) | instid1(VALU_DEP_1)
	v_pk_mul_f32 v[26:27], v[32:33], v[26:27]
	v_add_f32_e32 v26, v57, v26
	s_delay_alu instid0(VALU_DEP_1) | instskip(NEXT) | instid1(VALU_DEP_4)
	v_add_f32_e32 v34, v26, v27
	v_pk_mul_f32 v[26:27], v[30:31], v[28:29]
	s_delay_alu instid0(VALU_DEP_1) | instskip(NEXT) | instid1(VALU_DEP_1)
	v_add_f32_e32 v26, v34, v26
	v_add_f32_e32 v57, v26, v27
.LBB675_48:                             ;   in Loop: Header=BB675_4 Depth=1
	s_or_b32 exec_lo, exec_lo, s7
	s_wait_loadcnt_dscnt 0x0
	v_dual_lshlrev_b32 v27, 16, v39 :: v_dual_lshlrev_b32 v26, 16, v40
	v_dual_lshlrev_b32 v29, 16, v38 :: v_dual_lshlrev_b32 v28, 16, v0
	s_delay_alu instid0(VALU_DEP_2) | instskip(NEXT) | instid1(VALU_DEP_1)
	v_pk_mul_f32 v[26:27], v[32:33], v[26:27]
	v_add_f32_e32 v26, v56, v26
	s_delay_alu instid0(VALU_DEP_1) | instskip(NEXT) | instid1(VALU_DEP_4)
	v_add_f32_e32 v0, v26, v27
	v_pk_mul_f32 v[26:27], v[30:31], v[28:29]
	s_delay_alu instid0(VALU_DEP_1) | instskip(NEXT) | instid1(VALU_DEP_1)
	v_add_f32_e32 v0, v0, v26
	v_add_f32_e32 v56, v0, v27
.LBB675_49:                             ;   in Loop: Header=BB675_4 Depth=1
	s_or_b32 exec_lo, exec_lo, s44
.LBB675_50:                             ;   in Loop: Header=BB675_4 Depth=1
	ds_store_2addr_stride64_b32 v54, v56, v57 offset1:1
	ds_store_2addr_stride64_b32 v54, v58, v59 offset0:2 offset1:3
	s_wait_dscnt 0x0
	s_barrier_signal -1
	s_barrier_wait -1
                                        ; implicit-def: $vgpr0
	s_and_saveexec_b32 s7, s0
	s_cbranch_execz .LBB675_56
; %bb.51:                               ;   in Loop: Header=BB675_4 Depth=1
	ds_load_2addr_stride64_b32 v[26:27], v55 offset1:4
	ds_load_2addr_stride64_b32 v[28:29], v55 offset0:8 offset1:12
	ds_load_2addr_stride64_b32 v[30:31], v55 offset0:16 offset1:20
	s_mov_b32 s9, s43
	s_wait_dscnt 0x2
	v_add_f32_e32 v0, v26, v27
	ds_load_2addr_stride64_b32 v[26:27], v55 offset0:24 offset1:28
	s_wait_dscnt 0x2
	v_add_f32_e32 v0, v28, v0
	s_delay_alu instid0(VALU_DEP_1) | instskip(SKIP_3) | instid1(VALU_DEP_1)
	v_add_f32_e32 v0, v29, v0
	ds_load_2addr_stride64_b32 v[28:29], v55 offset0:32 offset1:36
	s_wait_dscnt 0x2
	v_add_f32_e32 v0, v30, v0
	v_add_f32_e32 v0, v31, v0
	ds_load_2addr_stride64_b32 v[30:31], v55 offset0:40 offset1:44
	s_wait_dscnt 0x2
	v_add_f32_e32 v0, v26, v0
	s_delay_alu instid0(VALU_DEP_1) | instskip(SKIP_3) | instid1(VALU_DEP_1)
	v_add_f32_e32 v0, v27, v0
	ds_load_2addr_stride64_b32 v[26:27], v55 offset0:48 offset1:52
	s_wait_dscnt 0x2
	v_add_f32_e32 v0, v28, v0
	v_add_f32_e32 v0, v29, v0
	ds_load_2addr_stride64_b32 v[28:29], v55 offset0:56 offset1:60
	s_wait_dscnt 0x2
	v_add_f32_e32 v0, v30, v0
	s_delay_alu instid0(VALU_DEP_1) | instskip(SKIP_1) | instid1(VALU_DEP_1)
	v_add_f32_e32 v0, v31, v0
	s_wait_dscnt 0x1
	v_add_f32_e32 v0, v26, v0
	s_delay_alu instid0(VALU_DEP_1) | instskip(SKIP_1) | instid1(VALU_DEP_1)
	v_add_f32_e32 v0, v27, v0
	s_wait_dscnt 0x0
	v_add_f32_e32 v0, v28, v0
	s_delay_alu instid0(VALU_DEP_1)
	v_add_f32_e32 v26, v29, v0
                                        ; implicit-def: $vgpr0
	ds_store_b32 v55, v26
	s_and_saveexec_b32 s8, s2
	s_cbranch_execz .LBB675_55
; %bb.52:                               ;   in Loop: Header=BB675_4 Depth=1
	v_mul_f32_e32 v0, s26, v26
	s_and_not1_b32 vcc_lo, exec_lo, s40
	s_cbranch_vccnz .LBB675_54
; %bb.53:                               ;   in Loop: Header=BB675_4 Depth=1
	v_lshl_add_u64 v[26:27], v[8:9], 2, v[24:25]
	flat_load_b32 v26, v[26:27]
	s_wait_loadcnt_dscnt 0x0
	v_fmac_f32_e32 v0, s33, v26
.LBB675_54:                             ;   in Loop: Header=BB675_4 Depth=1
	s_or_b32 s9, s43, exec_lo
.LBB675_55:                             ;   in Loop: Header=BB675_4 Depth=1
	s_wait_xcnt 0x0
	s_or_b32 exec_lo, exec_lo, s8
	s_delay_alu instid0(SALU_CYCLE_1) | instskip(SKIP_1) | instid1(SALU_CYCLE_1)
	s_and_not1_b32 s8, s43, exec_lo
	s_and_b32 s9, s9, exec_lo
	s_or_b32 s43, s8, s9
.LBB675_56:                             ;   in Loop: Header=BB675_4 Depth=1
	s_or_b32 exec_lo, exec_lo, s7
	v_mov_b64_e32 v[26:27], v[8:9]
	s_and_saveexec_b32 s7, s43
	s_cbranch_execz .LBB675_2
.LBB675_57:                             ;   in Loop: Header=BB675_4 Depth=1
	s_delay_alu instid0(VALU_DEP_1)
	v_lshl_add_u64 v[24:25], v[26:27], 2, v[24:25]
	flat_store_b32 v[24:25], v0
	s_branch .LBB675_2
.LBB675_58:
	s_sendmsg sendmsg(MSG_DEALLOC_VGPRS)
	s_endpgm
	.section	.rodata,"a",@progbits
	.p2align	6, 0x0
	.amdhsa_kernel _ZL20rocblas_gemvn_kernelILi64ELi16ElPK16rocblas_bfloat16fKPfEviiT3_lPKT2_lT1_lS8_lS9_lS5_lPT4_lS9_li
		.amdhsa_group_segment_fixed_size 16384
		.amdhsa_private_segment_fixed_size 0
		.amdhsa_kernarg_size 400
		.amdhsa_user_sgpr_count 2
		.amdhsa_user_sgpr_dispatch_ptr 0
		.amdhsa_user_sgpr_queue_ptr 0
		.amdhsa_user_sgpr_kernarg_segment_ptr 1
		.amdhsa_user_sgpr_dispatch_id 0
		.amdhsa_user_sgpr_kernarg_preload_length 0
		.amdhsa_user_sgpr_kernarg_preload_offset 0
		.amdhsa_user_sgpr_private_segment_size 0
		.amdhsa_wavefront_size32 1
		.amdhsa_uses_dynamic_stack 0
		.amdhsa_enable_private_segment 0
		.amdhsa_system_sgpr_workgroup_id_x 1
		.amdhsa_system_sgpr_workgroup_id_y 0
		.amdhsa_system_sgpr_workgroup_id_z 1
		.amdhsa_system_sgpr_workgroup_info 0
		.amdhsa_system_vgpr_workitem_id 1
		.amdhsa_next_free_vgpr 72
		.amdhsa_next_free_sgpr 47
		.amdhsa_named_barrier_count 0
		.amdhsa_reserve_vcc 1
		.amdhsa_float_round_mode_32 0
		.amdhsa_float_round_mode_16_64 0
		.amdhsa_float_denorm_mode_32 3
		.amdhsa_float_denorm_mode_16_64 3
		.amdhsa_fp16_overflow 0
		.amdhsa_memory_ordered 1
		.amdhsa_forward_progress 1
		.amdhsa_inst_pref_size 26
		.amdhsa_round_robin_scheduling 0
		.amdhsa_exception_fp_ieee_invalid_op 0
		.amdhsa_exception_fp_denorm_src 0
		.amdhsa_exception_fp_ieee_div_zero 0
		.amdhsa_exception_fp_ieee_overflow 0
		.amdhsa_exception_fp_ieee_underflow 0
		.amdhsa_exception_fp_ieee_inexact 0
		.amdhsa_exception_int_div_zero 0
	.end_amdhsa_kernel
	.section	.text._ZL20rocblas_gemvn_kernelILi64ELi16ElPK16rocblas_bfloat16fKPfEviiT3_lPKT2_lT1_lS8_lS9_lS5_lPT4_lS9_li,"axG",@progbits,_ZL20rocblas_gemvn_kernelILi64ELi16ElPK16rocblas_bfloat16fKPfEviiT3_lPKT2_lT1_lS8_lS9_lS5_lPT4_lS9_li,comdat
.Lfunc_end675:
	.size	_ZL20rocblas_gemvn_kernelILi64ELi16ElPK16rocblas_bfloat16fKPfEviiT3_lPKT2_lT1_lS8_lS9_lS5_lPT4_lS9_li, .Lfunc_end675-_ZL20rocblas_gemvn_kernelILi64ELi16ElPK16rocblas_bfloat16fKPfEviiT3_lPKT2_lT1_lS8_lS9_lS5_lPT4_lS9_li
                                        ; -- End function
	.set _ZL20rocblas_gemvn_kernelILi64ELi16ElPK16rocblas_bfloat16fKPfEviiT3_lPKT2_lT1_lS8_lS9_lS5_lPT4_lS9_li.num_vgpr, 72
	.set _ZL20rocblas_gemvn_kernelILi64ELi16ElPK16rocblas_bfloat16fKPfEviiT3_lPKT2_lT1_lS8_lS9_lS5_lPT4_lS9_li.num_agpr, 0
	.set _ZL20rocblas_gemvn_kernelILi64ELi16ElPK16rocblas_bfloat16fKPfEviiT3_lPKT2_lT1_lS8_lS9_lS5_lPT4_lS9_li.numbered_sgpr, 47
	.set _ZL20rocblas_gemvn_kernelILi64ELi16ElPK16rocblas_bfloat16fKPfEviiT3_lPKT2_lT1_lS8_lS9_lS5_lPT4_lS9_li.num_named_barrier, 0
	.set _ZL20rocblas_gemvn_kernelILi64ELi16ElPK16rocblas_bfloat16fKPfEviiT3_lPKT2_lT1_lS8_lS9_lS5_lPT4_lS9_li.private_seg_size, 0
	.set _ZL20rocblas_gemvn_kernelILi64ELi16ElPK16rocblas_bfloat16fKPfEviiT3_lPKT2_lT1_lS8_lS9_lS5_lPT4_lS9_li.uses_vcc, 1
	.set _ZL20rocblas_gemvn_kernelILi64ELi16ElPK16rocblas_bfloat16fKPfEviiT3_lPKT2_lT1_lS8_lS9_lS5_lPT4_lS9_li.uses_flat_scratch, 1
	.set _ZL20rocblas_gemvn_kernelILi64ELi16ElPK16rocblas_bfloat16fKPfEviiT3_lPKT2_lT1_lS8_lS9_lS5_lPT4_lS9_li.has_dyn_sized_stack, 0
	.set _ZL20rocblas_gemvn_kernelILi64ELi16ElPK16rocblas_bfloat16fKPfEviiT3_lPKT2_lT1_lS8_lS9_lS5_lPT4_lS9_li.has_recursion, 0
	.set _ZL20rocblas_gemvn_kernelILi64ELi16ElPK16rocblas_bfloat16fKPfEviiT3_lPKT2_lT1_lS8_lS9_lS5_lPT4_lS9_li.has_indirect_call, 0
	.section	.AMDGPU.csdata,"",@progbits
; Kernel info:
; codeLenInByte = 3216
; TotalNumSgprs: 49
; NumVgprs: 72
; ScratchSize: 0
; MemoryBound: 0
; FloatMode: 240
; IeeeMode: 1
; LDSByteSize: 16384 bytes/workgroup (compile time only)
; SGPRBlocks: 0
; VGPRBlocks: 4
; NumSGPRsForWavesPerEU: 49
; NumVGPRsForWavesPerEU: 72
; NamedBarCnt: 0
; Occupancy: 12
; WaveLimiterHint : 1
; COMPUTE_PGM_RSRC2:SCRATCH_EN: 0
; COMPUTE_PGM_RSRC2:USER_SGPR: 2
; COMPUTE_PGM_RSRC2:TRAP_HANDLER: 0
; COMPUTE_PGM_RSRC2:TGID_X_EN: 1
; COMPUTE_PGM_RSRC2:TGID_Y_EN: 0
; COMPUTE_PGM_RSRC2:TGID_Z_EN: 1
; COMPUTE_PGM_RSRC2:TIDIG_COMP_CNT: 1
	.section	.text._ZL22rocblas_gemvtsm_kernelILb0ELi256EPK16rocblas_bfloat16PKfKPfEviiT2_lPKT1_lilSA_lilS7_lPT3_lil,"axG",@progbits,_ZL22rocblas_gemvtsm_kernelILb0ELi256EPK16rocblas_bfloat16PKfKPfEviiT2_lPKT1_lilSA_lilS7_lPT3_lil,comdat
	.globl	_ZL22rocblas_gemvtsm_kernelILb0ELi256EPK16rocblas_bfloat16PKfKPfEviiT2_lPKT1_lilSA_lilS7_lPT3_lil ; -- Begin function _ZL22rocblas_gemvtsm_kernelILb0ELi256EPK16rocblas_bfloat16PKfKPfEviiT2_lPKT1_lilSA_lilS7_lPT3_lil
	.p2align	8
	.type	_ZL22rocblas_gemvtsm_kernelILb0ELi256EPK16rocblas_bfloat16PKfKPfEviiT2_lPKT1_lilSA_lilS7_lPT3_lil,@function
_ZL22rocblas_gemvtsm_kernelILb0ELi256EPK16rocblas_bfloat16PKfKPfEviiT2_lPKT1_lilSA_lilS7_lPT3_lil: ; @_ZL22rocblas_gemvtsm_kernelILb0ELi256EPK16rocblas_bfloat16PKfKPfEviiT2_lPKT1_lilSA_lilS7_lPT3_lil
; %bb.0:
	s_clause 0x1
	s_load_b256 s[12:19], s[0:1], 0x8
	s_load_b256 s[4:11], s[0:1], 0x58
	s_bfe_u32 s2, ttmp6, 0x4000c
	s_and_b32 s3, ttmp6, 15
	s_add_co_i32 s2, s2, 1
	s_getreg_b32 s20, hwreg(HW_REG_IB_STS2, 6, 4)
	s_mul_i32 s2, ttmp9, s2
	s_delay_alu instid0(SALU_CYCLE_1)
	s_add_co_i32 s2, s3, s2
	s_cmp_eq_u32 s20, 0
	s_mov_b32 s3, 0
	s_cselect_b32 s2, ttmp9, s2
	s_wait_kmcnt 0x0
	s_mul_u64 s[14:15], s[14:15], s[2:3]
	s_mul_u64 s[6:7], s[6:7], s[2:3]
	s_lshl_b64 s[14:15], s[14:15], 2
	s_lshl_b64 s[6:7], s[6:7], 2
	s_add_nc_u64 s[12:13], s[12:13], s[14:15]
	s_add_nc_u64 s[4:5], s[4:5], s[6:7]
	s_load_b32 s21, s[12:13], 0x0
	s_load_b32 s20, s[4:5], 0x0
	s_wait_kmcnt 0x0
	s_cmp_eq_f32 s21, 0
	s_cselect_b32 s4, -1, 0
	s_cmp_eq_f32 s20, 1.0
	s_cselect_b32 s5, -1, 0
	s_delay_alu instid0(SALU_CYCLE_1) | instskip(NEXT) | instid1(SALU_CYCLE_1)
	s_and_b32 s4, s4, s5
	s_and_b32 vcc_lo, exec_lo, s4
	s_cbranch_vccnz .LBB676_62
; %bb.1:
	s_cmp_neq_f32 s21, 0
	s_mov_b64 s[12:13], 0
	s_mov_b64 s[6:7], 0
	s_cselect_b32 s4, -1, 0
	s_cmp_eq_f32 s21, 0
	s_cselect_b32 s5, -1, 0
	s_delay_alu instid0(SALU_CYCLE_1)
	s_and_b32 vcc_lo, exec_lo, s5
	s_cbranch_vccnz .LBB676_3
; %bb.2:
	s_lshl_b64 s[6:7], s[2:3], 3
	s_lshl_b64 s[14:15], s[18:19], 1
	s_add_nc_u64 s[6:7], s[16:17], s[6:7]
	s_load_b64 s[6:7], s[6:7], 0x0
	s_wait_kmcnt 0x0
	s_add_nc_u64 s[6:7], s[6:7], s[14:15]
.LBB676_3:
	s_and_not1_b32 vcc_lo, exec_lo, s4
	s_cbranch_vccnz .LBB676_5
; %bb.4:
	s_load_b128 s[12:15], s[0:1], 0x38
	s_lshl_b64 s[16:17], s[2:3], 3
	s_wait_kmcnt 0x0
	s_add_nc_u64 s[12:13], s[12:13], s[16:17]
	s_lshl_b64 s[14:15], s[14:15], 1
	s_load_b64 s[12:13], s[12:13], 0x0
	s_wait_kmcnt 0x0
	s_add_nc_u64 s[12:13], s[12:13], s[14:15]
.LBB676_5:
	s_lshl_b64 s[2:3], s[2:3], 3
	s_and_not1_b32 vcc_lo, exec_lo, s5
	s_add_nc_u64 s[14:15], s[8:9], s[2:3]
	s_clause 0x1
	s_load_b64 s[2:3], s[0:1], 0x0
	s_load_b32 s4, s[0:1], 0x78
	s_load_b64 s[8:9], s[14:15], 0x0
	s_mov_b32 s5, -1
	s_cbranch_vccnz .LBB676_20
; %bb.6:
	s_wait_kmcnt 0x0
	s_cmp_gt_i32 s3, 0
	s_cselect_b32 s16, -1, 0
	s_cmp_neq_f32 s20, 0
	v_cndmask_b32_e64 v1, 0, 1, s16
	s_delay_alu instid0(VALU_DEP_1)
	v_cmp_ne_u32_e32 vcc_lo, 1, v1
	s_cbranch_scc1 .LBB676_13
; %bb.7:
	s_and_b32 vcc_lo, exec_lo, vcc_lo
	s_cbranch_vccnz .LBB676_12
; %bb.8:
	v_mov_b32_e32 v1, 0
	s_ashr_i32 s5, s4, 31
	s_lshl_b64 s[14:15], s[10:11], 2
	s_delay_alu instid0(SALU_CYCLE_1) | instskip(NEXT) | instid1(VALU_DEP_1)
	s_add_nc_u64 s[14:15], s[8:9], s[14:15]
	v_mul_u64_e32 v[2:3], s[4:5], v[0:1]
	s_delay_alu instid0(VALU_DEP_1)
	v_lshl_add_u64 v[2:3], v[2:3], 2, s[14:15]
	s_lshl_b64 s[14:15], s[4:5], 10
	s_mov_b32 s5, 0
	s_branch .LBB676_10
.LBB676_9:                              ;   in Loop: Header=BB676_10 Depth=1
	s_wait_xcnt 0x0
	s_or_b32 exec_lo, exec_lo, s17
	v_add_nc_u64_e32 v[2:3], s[14:15], v[2:3]
	s_addk_co_i32 s5, 0x100
	s_delay_alu instid0(SALU_CYCLE_1)
	s_cmp_ge_i32 s5, s3
	s_cbranch_scc1 .LBB676_12
.LBB676_10:                             ; =>This Inner Loop Header: Depth=1
	v_add_nc_u32_e32 v4, s5, v0
	s_mov_b32 s17, exec_lo
	s_delay_alu instid0(VALU_DEP_1)
	v_cmpx_gt_i32_e64 s3, v4
	s_cbranch_execz .LBB676_9
; %bb.11:                               ;   in Loop: Header=BB676_10 Depth=1
	flat_store_b32 v[2:3], v1
	s_branch .LBB676_9
.LBB676_12:
	s_mov_b32 s5, 0
.LBB676_13:
	s_delay_alu instid0(SALU_CYCLE_1)
	s_and_not1_b32 vcc_lo, exec_lo, s5
	s_cbranch_vccnz .LBB676_19
; %bb.14:
	s_and_not1_b32 vcc_lo, exec_lo, s16
	s_cbranch_vccnz .LBB676_19
; %bb.15:
	v_mov_b32_e32 v1, 0
	s_ashr_i32 s5, s4, 31
	s_lshl_b64 s[14:15], s[10:11], 2
	s_delay_alu instid0(SALU_CYCLE_1) | instskip(NEXT) | instid1(VALU_DEP_1)
	s_add_nc_u64 s[14:15], s[8:9], s[14:15]
	v_mul_u64_e32 v[2:3], s[4:5], v[0:1]
	s_delay_alu instid0(VALU_DEP_1)
	v_lshl_add_u64 v[2:3], v[2:3], 2, s[14:15]
	s_lshl_b64 s[14:15], s[4:5], 10
	s_mov_b32 s5, 0
	s_branch .LBB676_17
.LBB676_16:                             ;   in Loop: Header=BB676_17 Depth=1
	s_wait_xcnt 0x0
	s_or_b32 exec_lo, exec_lo, s16
	v_add_nc_u64_e32 v[2:3], s[14:15], v[2:3]
	s_addk_co_i32 s5, 0x100
	s_delay_alu instid0(SALU_CYCLE_1)
	s_cmp_ge_i32 s5, s3
	s_cbranch_scc1 .LBB676_19
.LBB676_17:                             ; =>This Inner Loop Header: Depth=1
	v_add_nc_u32_e32 v1, s5, v0
	s_mov_b32 s16, exec_lo
	s_delay_alu instid0(VALU_DEP_1)
	v_cmpx_gt_i32_e64 s3, v1
	s_cbranch_execz .LBB676_16
; %bb.18:                               ;   in Loop: Header=BB676_17 Depth=1
	flat_load_b32 v1, v[2:3]
	s_wait_loadcnt_dscnt 0x0
	v_mul_f32_e32 v1, s20, v1
	flat_store_b32 v[2:3], v1
	s_branch .LBB676_16
.LBB676_19:
	s_mov_b32 s5, 0
.LBB676_20:
	s_delay_alu instid0(SALU_CYCLE_1)
	s_and_not1_b32 vcc_lo, exec_lo, s5
	s_cbranch_vccnz .LBB676_62
; %bb.21:
	s_mov_b32 s5, exec_lo
	s_wait_kmcnt 0x0
	v_cmpx_gt_i32_e64 s2, v0
	s_cbranch_execz .LBB676_27
; %bb.22:
	s_load_b32 s14, s[0:1], 0x48
	v_mov_b32_e32 v1, 0
	s_wait_kmcnt 0x0
	s_ashr_i32 s15, s14, 31
	s_delay_alu instid0(VALU_DEP_1) | instid1(SALU_CYCLE_1)
	v_mul_u64_e32 v[2:3], s[14:15], v[0:1]
	s_delay_alu instid0(VALU_DEP_1) | instskip(SKIP_3) | instid1(VALU_DEP_1)
	v_lshl_add_u64 v[2:3], v[2:3], 1, s[12:13]
	flat_load_u16 v1, v[2:3]
	s_wait_loadcnt_dscnt 0x0
	v_lshlrev_b32_e32 v1, 16, v1
	v_mul_f32_e32 v1, s21, v1
	s_wait_xcnt 0x0
	s_delay_alu instid0(VALU_DEP_1) | instskip(NEXT) | instid1(VALU_DEP_1)
	v_and_b32_e32 v2, 0x7f800000, v1
	v_cmp_ne_u32_e32 vcc_lo, 0x7f800000, v2
                                        ; implicit-def: $vgpr2
	s_and_saveexec_b32 s12, vcc_lo
	s_delay_alu instid0(SALU_CYCLE_1)
	s_xor_b32 s12, exec_lo, s12
; %bb.23:
	v_bfe_u32 v2, v1, 16, 1
	s_delay_alu instid0(VALU_DEP_1)
	v_add3_u32 v2, v1, v2, 0x7fff
                                        ; implicit-def: $vgpr1
; %bb.24:
	s_and_not1_saveexec_b32 s12, s12
; %bb.25:
	v_and_b32_e32 v2, 0xffff, v1
	v_or_b32_e32 v3, 0x10000, v1
	s_delay_alu instid0(VALU_DEP_2) | instskip(NEXT) | instid1(VALU_DEP_2)
	v_cmp_eq_u32_e32 vcc_lo, 0, v2
	v_cndmask_b32_e32 v2, v3, v1, vcc_lo
; %bb.26:
	s_or_b32 exec_lo, exec_lo, s12
	s_delay_alu instid0(VALU_DEP_1)
	v_and_b32_e32 v1, 0xffff0000, v2
	v_lshlrev_b32_e32 v2, 2, v0
	ds_store_b32 v2, v1
.LBB676_27:
	s_or_b32 exec_lo, exec_lo, s5
	s_cmp_lt_i32 s3, 1
	s_wait_storecnt_dscnt 0x0
	s_barrier_signal -1
	s_barrier_wait -1
	s_cbranch_scc1 .LBB676_62
; %bb.28:
	s_load_b32 s16, s[0:1], 0x28
	v_mov_b32_e32 v3, 0
	s_wait_xcnt 0x0
	s_lshl_b64 s[0:1], s[10:11], 2
	s_ashr_i32 s5, s4, 31
	s_add_nc_u64 s[0:1], s[8:9], s[0:1]
	s_mov_b32 s15, 0
	v_mov_b32_e32 v1, v3
	s_wait_kmcnt 0x0
	s_ashr_i32 s17, s16, 31
	s_cmp_neq_f32 s20, 0
	s_delay_alu instid0(VALU_DEP_1)
	v_mul_u64_e32 v[4:5], s[16:17], v[0:1]
	s_cselect_b32 s10, -1, 0
	s_cmp_gt_i32 s2, 0
	s_cselect_b32 s11, -1, 0
	s_and_b32 s12, s2, 3
	s_cmp_gt_u32 s2, 3
	s_cselect_b32 s13, -1, 0
	s_and_b32 s2, s2, 0x7ffffffc
	s_cmp_lg_u32 s12, 0
	s_cselect_b32 s14, -1, 0
	s_lshl_b64 s[8:9], s[16:17], 9
	s_delay_alu instid0(VALU_DEP_1) | instskip(SKIP_1) | instid1(VALU_DEP_1)
	v_lshl_add_u64 v[4:5], v[4:5], 1, s[6:7]
	s_mov_b32 s7, 0
	v_add_nc_u64_e32 v[6:7], 4, v[4:5]
	s_branch .LBB676_31
.LBB676_29:                             ;   in Loop: Header=BB676_31 Depth=1
	flat_store_b32 v[8:9], v1
.LBB676_30:                             ;   in Loop: Header=BB676_31 Depth=1
	s_wait_xcnt 0x0
	s_or_b32 exec_lo, exec_lo, s16
	v_add_nc_u64_e32 v[6:7], s[8:9], v[6:7]
	v_add_nc_u64_e32 v[4:5], s[8:9], v[4:5]
	s_addk_co_i32 s15, 0x100
	s_delay_alu instid0(SALU_CYCLE_1)
	s_cmp_ge_i32 s15, s3
	s_cbranch_scc1 .LBB676_62
.LBB676_31:                             ; =>This Loop Header: Depth=1
                                        ;     Child Loop BB676_38 Depth 2
                                        ;     Child Loop BB676_58 Depth 2
	v_add_nc_u32_e32 v2, s15, v0
	s_mov_b32 s16, exec_lo
	s_delay_alu instid0(VALU_DEP_1)
	v_cmpx_gt_i32_e64 s3, v2
	s_cbranch_execz .LBB676_30
; %bb.32:                               ;   in Loop: Header=BB676_31 Depth=1
	v_mul_u64_e32 v[8:9], s[4:5], v[2:3]
	s_and_not1_b32 vcc_lo, exec_lo, s10
	s_delay_alu instid0(VALU_DEP_1)
	v_lshl_add_u64 v[8:9], v[8:9], 2, s[0:1]
	s_cbranch_vccnz .LBB676_34
; %bb.33:                               ;   in Loop: Header=BB676_31 Depth=1
	flat_load_b32 v1, v[8:9]
	s_wait_loadcnt_dscnt 0x0
	v_mul_f32_e32 v1, s20, v1
	s_and_not1_b32 vcc_lo, exec_lo, s11
	s_cbranch_vccz .LBB676_35
	s_branch .LBB676_29
.LBB676_34:                             ;   in Loop: Header=BB676_31 Depth=1
	v_mov_b32_e32 v1, 0
	s_and_not1_b32 vcc_lo, exec_lo, s11
	s_cbranch_vccnz .LBB676_29
.LBB676_35:                             ;   in Loop: Header=BB676_31 Depth=1
	s_and_not1_b32 vcc_lo, exec_lo, s13
	s_mov_b32 s17, 0
	s_cbranch_vccnz .LBB676_55
; %bb.36:                               ;   in Loop: Header=BB676_31 Depth=1
	v_mov_b64_e32 v[10:11], v[6:7]
	s_mov_b32 s6, 0
	s_branch .LBB676_38
.LBB676_37:                             ;   in Loop: Header=BB676_38 Depth=2
	s_or_b32 exec_lo, exec_lo, s18
	v_and_b32_e32 v2, 0xffff0000, v2
	v_and_b32_e32 v12, 0xffff0000, v12
	v_add_nc_u64_e32 v[10:11], 8, v[10:11]
	s_add_co_i32 s17, s17, 4
	s_add_co_i32 s6, s6, 16
	v_add_f32_e32 v1, v1, v2
	v_and_b32_e32 v2, 0xffff0000, v13
	s_cmp_eq_u32 s2, s17
	s_delay_alu instid0(VALU_DEP_2) | instskip(SKIP_1) | instid1(VALU_DEP_2)
	v_add_f32_e32 v1, v1, v12
	v_and_b32_e32 v12, 0xffff0000, v14
	v_add_f32_e32 v1, v1, v2
	s_delay_alu instid0(VALU_DEP_1)
	v_add_f32_e32 v1, v1, v12
	s_cbranch_scc1 .LBB676_54
.LBB676_38:                             ;   Parent Loop BB676_31 Depth=1
                                        ; =>  This Inner Loop Header: Depth=2
	flat_load_u16 v2, v[10:11] offset:-4
	s_wait_loadcnt_dscnt 0x0
	v_dual_mov_b32 v12, s6 :: v_dual_lshlrev_b32 v2, 16, v2
	ds_load_b32 v12, v12
	s_wait_dscnt 0x0
	v_mul_f32_e32 v12, v12, v2
	s_delay_alu instid0(VALU_DEP_1) | instskip(NEXT) | instid1(VALU_DEP_1)
	v_and_b32_e32 v2, 0x7f800000, v12
	v_cmp_ne_u32_e32 vcc_lo, 0x7f800000, v2
                                        ; implicit-def: $vgpr2
	s_wait_xcnt 0x0
	s_and_saveexec_b32 s18, vcc_lo
	s_delay_alu instid0(SALU_CYCLE_1)
	s_xor_b32 s18, exec_lo, s18
; %bb.39:                               ;   in Loop: Header=BB676_38 Depth=2
	v_bfe_u32 v2, v12, 16, 1
	s_delay_alu instid0(VALU_DEP_1)
	v_add3_u32 v2, v12, v2, 0x7fff
                                        ; implicit-def: $vgpr12
; %bb.40:                               ;   in Loop: Header=BB676_38 Depth=2
	s_and_not1_saveexec_b32 s18, s18
; %bb.41:                               ;   in Loop: Header=BB676_38 Depth=2
	v_and_b32_e32 v2, 0xffff, v12
	v_or_b32_e32 v13, 0x10000, v12
	s_delay_alu instid0(VALU_DEP_2) | instskip(NEXT) | instid1(VALU_DEP_2)
	v_cmp_eq_u32_e32 vcc_lo, 0, v2
	v_cndmask_b32_e32 v2, v13, v12, vcc_lo
; %bb.42:                               ;   in Loop: Header=BB676_38 Depth=2
	s_or_b32 exec_lo, exec_lo, s18
	flat_load_u16 v12, v[10:11] offset:-2
	s_wait_loadcnt_dscnt 0x0
	v_dual_mov_b32 v13, s6 :: v_dual_lshlrev_b32 v12, 16, v12
	ds_load_b32 v13, v13 offset:4
	s_wait_dscnt 0x0
	v_mul_f32_e32 v13, v13, v12
	s_delay_alu instid0(VALU_DEP_1) | instskip(NEXT) | instid1(VALU_DEP_1)
	v_and_b32_e32 v12, 0x7f800000, v13
	v_cmp_ne_u32_e32 vcc_lo, 0x7f800000, v12
                                        ; implicit-def: $vgpr12
	s_wait_xcnt 0x0
	s_and_saveexec_b32 s18, vcc_lo
	s_delay_alu instid0(SALU_CYCLE_1)
	s_xor_b32 s18, exec_lo, s18
; %bb.43:                               ;   in Loop: Header=BB676_38 Depth=2
	v_bfe_u32 v12, v13, 16, 1
	s_delay_alu instid0(VALU_DEP_1)
	v_add3_u32 v12, v13, v12, 0x7fff
                                        ; implicit-def: $vgpr13
; %bb.44:                               ;   in Loop: Header=BB676_38 Depth=2
	s_and_not1_saveexec_b32 s18, s18
; %bb.45:                               ;   in Loop: Header=BB676_38 Depth=2
	v_and_b32_e32 v12, 0xffff, v13
	v_or_b32_e32 v14, 0x10000, v13
	s_delay_alu instid0(VALU_DEP_2) | instskip(NEXT) | instid1(VALU_DEP_2)
	v_cmp_eq_u32_e32 vcc_lo, 0, v12
	v_cndmask_b32_e32 v12, v14, v13, vcc_lo
; %bb.46:                               ;   in Loop: Header=BB676_38 Depth=2
	s_or_b32 exec_lo, exec_lo, s18
	flat_load_u16 v13, v[10:11]
	s_wait_loadcnt_dscnt 0x0
	v_dual_mov_b32 v14, s6 :: v_dual_lshlrev_b32 v13, 16, v13
	ds_load_b32 v14, v14 offset:8
	s_wait_dscnt 0x0
	v_mul_f32_e32 v14, v14, v13
	s_delay_alu instid0(VALU_DEP_1) | instskip(NEXT) | instid1(VALU_DEP_1)
	v_and_b32_e32 v13, 0x7f800000, v14
	v_cmp_ne_u32_e32 vcc_lo, 0x7f800000, v13
                                        ; implicit-def: $vgpr13
	s_wait_xcnt 0x0
	s_and_saveexec_b32 s18, vcc_lo
	s_delay_alu instid0(SALU_CYCLE_1)
	s_xor_b32 s18, exec_lo, s18
; %bb.47:                               ;   in Loop: Header=BB676_38 Depth=2
	v_bfe_u32 v13, v14, 16, 1
	s_delay_alu instid0(VALU_DEP_1)
	v_add3_u32 v13, v14, v13, 0x7fff
                                        ; implicit-def: $vgpr14
; %bb.48:                               ;   in Loop: Header=BB676_38 Depth=2
	s_and_not1_saveexec_b32 s18, s18
; %bb.49:                               ;   in Loop: Header=BB676_38 Depth=2
	v_and_b32_e32 v13, 0xffff, v14
	v_or_b32_e32 v15, 0x10000, v14
	s_delay_alu instid0(VALU_DEP_2) | instskip(NEXT) | instid1(VALU_DEP_2)
	v_cmp_eq_u32_e32 vcc_lo, 0, v13
	v_cndmask_b32_e32 v13, v15, v14, vcc_lo
; %bb.50:                               ;   in Loop: Header=BB676_38 Depth=2
	s_or_b32 exec_lo, exec_lo, s18
	flat_load_u16 v14, v[10:11] offset:2
	s_wait_loadcnt_dscnt 0x0
	v_dual_mov_b32 v15, s6 :: v_dual_lshlrev_b32 v14, 16, v14
	ds_load_b32 v15, v15 offset:12
	s_wait_dscnt 0x0
	v_mul_f32_e32 v15, v15, v14
	s_delay_alu instid0(VALU_DEP_1) | instskip(NEXT) | instid1(VALU_DEP_1)
	v_and_b32_e32 v14, 0x7f800000, v15
	v_cmp_ne_u32_e32 vcc_lo, 0x7f800000, v14
                                        ; implicit-def: $vgpr14
	s_wait_xcnt 0x0
	s_and_saveexec_b32 s18, vcc_lo
	s_delay_alu instid0(SALU_CYCLE_1)
	s_xor_b32 s18, exec_lo, s18
; %bb.51:                               ;   in Loop: Header=BB676_38 Depth=2
	v_bfe_u32 v14, v15, 16, 1
	s_delay_alu instid0(VALU_DEP_1)
	v_add3_u32 v14, v15, v14, 0x7fff
                                        ; implicit-def: $vgpr15
; %bb.52:                               ;   in Loop: Header=BB676_38 Depth=2
	s_and_not1_saveexec_b32 s18, s18
	s_cbranch_execz .LBB676_37
; %bb.53:                               ;   in Loop: Header=BB676_38 Depth=2
	v_and_b32_e32 v14, 0xffff, v15
	v_or_b32_e32 v16, 0x10000, v15
	s_delay_alu instid0(VALU_DEP_2) | instskip(NEXT) | instid1(VALU_DEP_2)
	v_cmp_eq_u32_e32 vcc_lo, 0, v14
	v_cndmask_b32_e32 v14, v16, v15, vcc_lo
	s_branch .LBB676_37
.LBB676_54:                             ;   in Loop: Header=BB676_31 Depth=1
	s_mov_b32 s17, s2
.LBB676_55:                             ;   in Loop: Header=BB676_31 Depth=1
	s_and_not1_b32 vcc_lo, exec_lo, s14
	s_cbranch_vccnz .LBB676_29
; %bb.56:                               ;   in Loop: Header=BB676_31 Depth=1
	s_lshl_b32 s6, s17, 1
	s_delay_alu instid0(SALU_CYCLE_1)
	v_add_nc_u64_e32 v[10:11], s[6:7], v[4:5]
	s_lshl_b32 s6, s17, 2
	s_mov_b32 s17, s12
	s_branch .LBB676_58
.LBB676_57:                             ;   in Loop: Header=BB676_58 Depth=2
	s_or_b32 exec_lo, exec_lo, s18
	s_delay_alu instid0(VALU_DEP_1)
	v_and_b32_e32 v2, 0xffff0000, v12
	v_add_nc_u64_e32 v[10:11], 2, v[10:11]
	s_add_co_i32 s17, s17, -1
	s_add_co_i32 s6, s6, 4
	s_cmp_lg_u32 s17, 0
	v_add_f32_e32 v1, v1, v2
	s_cbranch_scc0 .LBB676_29
.LBB676_58:                             ;   Parent Loop BB676_31 Depth=1
                                        ; =>  This Inner Loop Header: Depth=2
	flat_load_u16 v2, v[10:11]
	s_wait_loadcnt_dscnt 0x0
	v_dual_mov_b32 v12, s6 :: v_dual_lshlrev_b32 v2, 16, v2
	ds_load_b32 v12, v12
	s_wait_dscnt 0x0
	v_mul_f32_e32 v2, v12, v2
	s_delay_alu instid0(VALU_DEP_1) | instskip(NEXT) | instid1(VALU_DEP_1)
	v_and_b32_e32 v12, 0x7f800000, v2
	v_cmp_ne_u32_e32 vcc_lo, 0x7f800000, v12
                                        ; implicit-def: $vgpr12
	s_wait_xcnt 0x0
	s_and_saveexec_b32 s18, vcc_lo
	s_delay_alu instid0(SALU_CYCLE_1)
	s_xor_b32 s18, exec_lo, s18
; %bb.59:                               ;   in Loop: Header=BB676_58 Depth=2
	v_bfe_u32 v12, v2, 16, 1
	s_delay_alu instid0(VALU_DEP_1)
	v_add3_u32 v12, v2, v12, 0x7fff
                                        ; implicit-def: $vgpr2
; %bb.60:                               ;   in Loop: Header=BB676_58 Depth=2
	s_and_not1_saveexec_b32 s18, s18
	s_cbranch_execz .LBB676_57
; %bb.61:                               ;   in Loop: Header=BB676_58 Depth=2
	v_and_b32_e32 v12, 0xffff, v2
	v_or_b32_e32 v13, 0x10000, v2
	s_delay_alu instid0(VALU_DEP_2) | instskip(NEXT) | instid1(VALU_DEP_2)
	v_cmp_eq_u32_e32 vcc_lo, 0, v12
	v_cndmask_b32_e32 v12, v13, v2, vcc_lo
	s_branch .LBB676_57
.LBB676_62:
	s_endpgm
	.section	.rodata,"a",@progbits
	.p2align	6, 0x0
	.amdhsa_kernel _ZL22rocblas_gemvtsm_kernelILb0ELi256EPK16rocblas_bfloat16PKfKPfEviiT2_lPKT1_lilSA_lilS7_lPT3_lil
		.amdhsa_group_segment_fixed_size 256
		.amdhsa_private_segment_fixed_size 0
		.amdhsa_kernarg_size 136
		.amdhsa_user_sgpr_count 2
		.amdhsa_user_sgpr_dispatch_ptr 0
		.amdhsa_user_sgpr_queue_ptr 0
		.amdhsa_user_sgpr_kernarg_segment_ptr 1
		.amdhsa_user_sgpr_dispatch_id 0
		.amdhsa_user_sgpr_kernarg_preload_length 0
		.amdhsa_user_sgpr_kernarg_preload_offset 0
		.amdhsa_user_sgpr_private_segment_size 0
		.amdhsa_wavefront_size32 1
		.amdhsa_uses_dynamic_stack 0
		.amdhsa_enable_private_segment 0
		.amdhsa_system_sgpr_workgroup_id_x 1
		.amdhsa_system_sgpr_workgroup_id_y 0
		.amdhsa_system_sgpr_workgroup_id_z 0
		.amdhsa_system_sgpr_workgroup_info 0
		.amdhsa_system_vgpr_workitem_id 0
		.amdhsa_next_free_vgpr 17
		.amdhsa_next_free_sgpr 22
		.amdhsa_named_barrier_count 0
		.amdhsa_reserve_vcc 1
		.amdhsa_float_round_mode_32 0
		.amdhsa_float_round_mode_16_64 0
		.amdhsa_float_denorm_mode_32 3
		.amdhsa_float_denorm_mode_16_64 3
		.amdhsa_fp16_overflow 0
		.amdhsa_memory_ordered 1
		.amdhsa_forward_progress 1
		.amdhsa_inst_pref_size 16
		.amdhsa_round_robin_scheduling 0
		.amdhsa_exception_fp_ieee_invalid_op 0
		.amdhsa_exception_fp_denorm_src 0
		.amdhsa_exception_fp_ieee_div_zero 0
		.amdhsa_exception_fp_ieee_overflow 0
		.amdhsa_exception_fp_ieee_underflow 0
		.amdhsa_exception_fp_ieee_inexact 0
		.amdhsa_exception_int_div_zero 0
	.end_amdhsa_kernel
	.section	.text._ZL22rocblas_gemvtsm_kernelILb0ELi256EPK16rocblas_bfloat16PKfKPfEviiT2_lPKT1_lilSA_lilS7_lPT3_lil,"axG",@progbits,_ZL22rocblas_gemvtsm_kernelILb0ELi256EPK16rocblas_bfloat16PKfKPfEviiT2_lPKT1_lilSA_lilS7_lPT3_lil,comdat
.Lfunc_end676:
	.size	_ZL22rocblas_gemvtsm_kernelILb0ELi256EPK16rocblas_bfloat16PKfKPfEviiT2_lPKT1_lilSA_lilS7_lPT3_lil, .Lfunc_end676-_ZL22rocblas_gemvtsm_kernelILb0ELi256EPK16rocblas_bfloat16PKfKPfEviiT2_lPKT1_lilSA_lilS7_lPT3_lil
                                        ; -- End function
	.set _ZL22rocblas_gemvtsm_kernelILb0ELi256EPK16rocblas_bfloat16PKfKPfEviiT2_lPKT1_lilSA_lilS7_lPT3_lil.num_vgpr, 17
	.set _ZL22rocblas_gemvtsm_kernelILb0ELi256EPK16rocblas_bfloat16PKfKPfEviiT2_lPKT1_lilSA_lilS7_lPT3_lil.num_agpr, 0
	.set _ZL22rocblas_gemvtsm_kernelILb0ELi256EPK16rocblas_bfloat16PKfKPfEviiT2_lPKT1_lilSA_lilS7_lPT3_lil.numbered_sgpr, 22
	.set _ZL22rocblas_gemvtsm_kernelILb0ELi256EPK16rocblas_bfloat16PKfKPfEviiT2_lPKT1_lilSA_lilS7_lPT3_lil.num_named_barrier, 0
	.set _ZL22rocblas_gemvtsm_kernelILb0ELi256EPK16rocblas_bfloat16PKfKPfEviiT2_lPKT1_lilSA_lilS7_lPT3_lil.private_seg_size, 0
	.set _ZL22rocblas_gemvtsm_kernelILb0ELi256EPK16rocblas_bfloat16PKfKPfEviiT2_lPKT1_lilSA_lilS7_lPT3_lil.uses_vcc, 1
	.set _ZL22rocblas_gemvtsm_kernelILb0ELi256EPK16rocblas_bfloat16PKfKPfEviiT2_lPKT1_lilSA_lilS7_lPT3_lil.uses_flat_scratch, 0
	.set _ZL22rocblas_gemvtsm_kernelILb0ELi256EPK16rocblas_bfloat16PKfKPfEviiT2_lPKT1_lilSA_lilS7_lPT3_lil.has_dyn_sized_stack, 0
	.set _ZL22rocblas_gemvtsm_kernelILb0ELi256EPK16rocblas_bfloat16PKfKPfEviiT2_lPKT1_lilSA_lilS7_lPT3_lil.has_recursion, 0
	.set _ZL22rocblas_gemvtsm_kernelILb0ELi256EPK16rocblas_bfloat16PKfKPfEviiT2_lPKT1_lilSA_lilS7_lPT3_lil.has_indirect_call, 0
	.section	.AMDGPU.csdata,"",@progbits
; Kernel info:
; codeLenInByte = 2008
; TotalNumSgprs: 24
; NumVgprs: 17
; ScratchSize: 0
; MemoryBound: 0
; FloatMode: 240
; IeeeMode: 1
; LDSByteSize: 256 bytes/workgroup (compile time only)
; SGPRBlocks: 0
; VGPRBlocks: 1
; NumSGPRsForWavesPerEU: 24
; NumVGPRsForWavesPerEU: 17
; NamedBarCnt: 0
; Occupancy: 16
; WaveLimiterHint : 1
; COMPUTE_PGM_RSRC2:SCRATCH_EN: 0
; COMPUTE_PGM_RSRC2:USER_SGPR: 2
; COMPUTE_PGM_RSRC2:TRAP_HANDLER: 0
; COMPUTE_PGM_RSRC2:TGID_X_EN: 1
; COMPUTE_PGM_RSRC2:TGID_Y_EN: 0
; COMPUTE_PGM_RSRC2:TGID_Z_EN: 0
; COMPUTE_PGM_RSRC2:TIDIG_COMP_CNT: 0
	.section	.text._ZL22rocblas_gemvtsm_kernelILb0ELi256EPK16rocblas_bfloat16fKPfEviiT2_lPKT1_lilS8_lilS5_lPT3_lil,"axG",@progbits,_ZL22rocblas_gemvtsm_kernelILb0ELi256EPK16rocblas_bfloat16fKPfEviiT2_lPKT1_lilS8_lilS5_lPT3_lil,comdat
	.globl	_ZL22rocblas_gemvtsm_kernelILb0ELi256EPK16rocblas_bfloat16fKPfEviiT2_lPKT1_lilS8_lilS5_lPT3_lil ; -- Begin function _ZL22rocblas_gemvtsm_kernelILb0ELi256EPK16rocblas_bfloat16fKPfEviiT2_lPKT1_lilS8_lilS5_lPT3_lil
	.p2align	8
	.type	_ZL22rocblas_gemvtsm_kernelILb0ELi256EPK16rocblas_bfloat16fKPfEviiT2_lPKT1_lilS8_lilS5_lPT3_lil,@function
_ZL22rocblas_gemvtsm_kernelILb0ELi256EPK16rocblas_bfloat16fKPfEviiT2_lPKT1_lilS8_lilS5_lPT3_lil: ; @_ZL22rocblas_gemvtsm_kernelILb0ELi256EPK16rocblas_bfloat16fKPfEviiT2_lPKT1_lilS8_lilS5_lPT3_lil
; %bb.0:
	s_clause 0x1
	s_load_b96 s[8:10], s[0:1], 0x0
	s_load_b32 s11, s[0:1], 0x58
	s_mov_b32 s5, 0
	s_wait_kmcnt 0x0
	s_cmp_eq_f32 s10, 0
	s_cselect_b32 s2, -1, 0
	s_cmp_eq_f32 s11, 1.0
	s_cselect_b32 s3, -1, 0
	s_delay_alu instid0(SALU_CYCLE_1) | instskip(NEXT) | instid1(SALU_CYCLE_1)
	s_and_b32 s2, s2, s3
	s_and_b32 vcc_lo, exec_lo, s2
	s_cbranch_vccnz .LBB677_64
; %bb.1:
	s_bfe_u32 s2, ttmp6, 0x4000c
	s_and_b32 s3, ttmp6, 15
	s_add_co_i32 s2, s2, 1
	s_getreg_b32 s4, hwreg(HW_REG_IB_STS2, 6, 4)
	s_mul_i32 s2, ttmp9, s2
	s_delay_alu instid0(SALU_CYCLE_1)
	s_add_co_i32 s3, s3, s2
	s_cmp_eq_u32 s4, 0
	s_cselect_b32 s4, ttmp9, s3
	s_cmp_neq_f32 s10, 0
	s_cselect_b32 s6, -1, 0
	s_cmp_eq_f32 s10, 0
	s_cselect_b32 s16, -1, 0
	s_and_b32 vcc_lo, exec_lo, s6
	s_cbranch_vccnz .LBB677_3
; %bb.2:
	s_mov_b32 s3, 0
	s_mov_b32 s2, s4
	;; [unrolled: 1-line block ×3, first 2 shown]
	s_mov_b64 s[14:15], 0
	s_and_not1_b32 vcc_lo, exec_lo, s7
	s_mov_b64 s[12:13], 0
	s_cbranch_vccz .LBB677_4
	s_branch .LBB677_5
.LBB677_3:
	s_mov_b64 s[2:3], s[4:5]
	s_mov_b64 s[14:15], 0
	;; [unrolled: 1-line block ×3, first 2 shown]
.LBB677_4:
	s_load_b128 s[20:23], s[0:1], 0x18
	s_lshl_b64 s[4:5], s[4:5], 3
	s_wait_kmcnt 0x0
	s_add_nc_u64 s[4:5], s[20:21], s[4:5]
	s_lshl_b64 s[12:13], s[22:23], 1
	s_load_b64 s[4:5], s[4:5], 0x0
	s_wait_kmcnt 0x0
	s_add_nc_u64 s[12:13], s[4:5], s[12:13]
.LBB677_5:
	s_and_not1_b32 vcc_lo, exec_lo, s6
	s_cbranch_vccnz .LBB677_7
; %bb.6:
	s_load_b128 s[4:7], s[0:1], 0x38
	s_lshl_b64 s[14:15], s[2:3], 3
	s_wait_kmcnt 0x0
	s_add_nc_u64 s[4:5], s[4:5], s[14:15]
	s_lshl_b64 s[6:7], s[6:7], 1
	s_load_b64 s[4:5], s[4:5], 0x0
	s_wait_kmcnt 0x0
	s_add_nc_u64 s[14:15], s[4:5], s[6:7]
.LBB677_7:
	s_load_b128 s[4:7], s[0:1], 0x68
	s_lshl_b64 s[18:19], s[2:3], 3
	s_load_b32 s2, s[0:1], 0x78
	s_and_not1_b32 vcc_lo, exec_lo, s16
	s_mov_b32 s3, -1
	s_wait_kmcnt 0x0
	s_add_nc_u64 s[4:5], s[4:5], s[18:19]
	s_load_b64 s[4:5], s[4:5], 0x0
	s_cbranch_vccnz .LBB677_22
; %bb.8:
	s_cmp_gt_i32 s9, 0
	s_cselect_b32 s18, -1, 0
	s_cmp_neq_f32 s11, 0
	v_cndmask_b32_e64 v1, 0, 1, s18
	s_delay_alu instid0(VALU_DEP_1)
	v_cmp_ne_u32_e32 vcc_lo, 1, v1
	s_cbranch_scc1 .LBB677_15
; %bb.9:
	s_and_b32 vcc_lo, exec_lo, vcc_lo
	s_cbranch_vccnz .LBB677_14
; %bb.10:
	v_mov_b32_e32 v1, 0
	s_ashr_i32 s3, s2, 31
	s_lshl_b64 s[16:17], s[6:7], 2
	s_wait_kmcnt 0x0
	s_add_nc_u64 s[16:17], s[4:5], s[16:17]
	v_mul_u64_e32 v[2:3], s[2:3], v[0:1]
	s_delay_alu instid0(VALU_DEP_1)
	v_lshl_add_u64 v[2:3], v[2:3], 2, s[16:17]
	s_lshl_b64 s[16:17], s[2:3], 10
	s_mov_b32 s3, 0
	s_branch .LBB677_12
.LBB677_11:                             ;   in Loop: Header=BB677_12 Depth=1
	s_wait_xcnt 0x0
	s_or_b32 exec_lo, exec_lo, s19
	v_add_nc_u64_e32 v[2:3], s[16:17], v[2:3]
	s_addk_co_i32 s3, 0x100
	s_delay_alu instid0(SALU_CYCLE_1)
	s_cmp_ge_i32 s3, s9
	s_cbranch_scc1 .LBB677_14
.LBB677_12:                             ; =>This Inner Loop Header: Depth=1
	v_add_nc_u32_e32 v4, s3, v0
	s_mov_b32 s19, exec_lo
	s_delay_alu instid0(VALU_DEP_1)
	v_cmpx_gt_i32_e64 s9, v4
	s_cbranch_execz .LBB677_11
; %bb.13:                               ;   in Loop: Header=BB677_12 Depth=1
	flat_store_b32 v[2:3], v1
	s_branch .LBB677_11
.LBB677_14:
	s_mov_b32 s3, 0
.LBB677_15:
	s_delay_alu instid0(SALU_CYCLE_1)
	s_and_not1_b32 vcc_lo, exec_lo, s3
	s_cbranch_vccnz .LBB677_21
; %bb.16:
	s_and_not1_b32 vcc_lo, exec_lo, s18
	s_cbranch_vccnz .LBB677_21
; %bb.17:
	v_mov_b32_e32 v1, 0
	s_ashr_i32 s3, s2, 31
	s_lshl_b64 s[16:17], s[6:7], 2
	s_wait_kmcnt 0x0
	s_add_nc_u64 s[16:17], s[4:5], s[16:17]
	v_mul_u64_e32 v[2:3], s[2:3], v[0:1]
	s_delay_alu instid0(VALU_DEP_1)
	v_lshl_add_u64 v[2:3], v[2:3], 2, s[16:17]
	s_lshl_b64 s[16:17], s[2:3], 10
	s_mov_b32 s3, 0
	s_branch .LBB677_19
.LBB677_18:                             ;   in Loop: Header=BB677_19 Depth=1
	s_wait_xcnt 0x0
	s_or_b32 exec_lo, exec_lo, s18
	v_add_nc_u64_e32 v[2:3], s[16:17], v[2:3]
	s_addk_co_i32 s3, 0x100
	s_delay_alu instid0(SALU_CYCLE_1)
	s_cmp_ge_i32 s3, s9
	s_cbranch_scc1 .LBB677_21
.LBB677_19:                             ; =>This Inner Loop Header: Depth=1
	v_add_nc_u32_e32 v1, s3, v0
	s_mov_b32 s18, exec_lo
	s_delay_alu instid0(VALU_DEP_1)
	v_cmpx_gt_i32_e64 s9, v1
	s_cbranch_execz .LBB677_18
; %bb.20:                               ;   in Loop: Header=BB677_19 Depth=1
	flat_load_b32 v1, v[2:3]
	s_wait_loadcnt_dscnt 0x0
	v_mul_f32_e32 v1, s11, v1
	flat_store_b32 v[2:3], v1
	s_branch .LBB677_18
.LBB677_21:
	s_mov_b32 s3, 0
.LBB677_22:
	s_delay_alu instid0(SALU_CYCLE_1)
	s_and_not1_b32 vcc_lo, exec_lo, s3
	s_cbranch_vccnz .LBB677_64
; %bb.23:
	s_mov_b32 s3, exec_lo
	v_cmpx_gt_i32_e64 s8, v0
	s_cbranch_execz .LBB677_29
; %bb.24:
	s_load_b32 s16, s[0:1], 0x48
	v_mov_b32_e32 v1, 0
	s_wait_kmcnt 0x0
	s_ashr_i32 s17, s16, 31
	s_delay_alu instid0(VALU_DEP_1) | instid1(SALU_CYCLE_1)
	v_mul_u64_e32 v[2:3], s[16:17], v[0:1]
	s_delay_alu instid0(VALU_DEP_1) | instskip(SKIP_3) | instid1(VALU_DEP_1)
	v_lshl_add_u64 v[2:3], v[2:3], 1, s[14:15]
	flat_load_u16 v1, v[2:3]
	s_wait_loadcnt_dscnt 0x0
	v_lshlrev_b32_e32 v1, 16, v1
	v_mul_f32_e32 v1, s10, v1
	s_wait_xcnt 0x0
	s_delay_alu instid0(VALU_DEP_1) | instskip(NEXT) | instid1(VALU_DEP_1)
	v_and_b32_e32 v2, 0x7f800000, v1
	v_cmp_ne_u32_e32 vcc_lo, 0x7f800000, v2
                                        ; implicit-def: $vgpr2
	s_and_saveexec_b32 s10, vcc_lo
	s_delay_alu instid0(SALU_CYCLE_1)
	s_xor_b32 s10, exec_lo, s10
; %bb.25:
	v_bfe_u32 v2, v1, 16, 1
	s_delay_alu instid0(VALU_DEP_1)
	v_add3_u32 v2, v1, v2, 0x7fff
                                        ; implicit-def: $vgpr1
; %bb.26:
	s_and_not1_saveexec_b32 s10, s10
; %bb.27:
	v_and_b32_e32 v2, 0xffff, v1
	v_or_b32_e32 v3, 0x10000, v1
	s_delay_alu instid0(VALU_DEP_2) | instskip(NEXT) | instid1(VALU_DEP_2)
	v_cmp_eq_u32_e32 vcc_lo, 0, v2
	v_cndmask_b32_e32 v2, v3, v1, vcc_lo
; %bb.28:
	s_or_b32 exec_lo, exec_lo, s10
	s_delay_alu instid0(VALU_DEP_1)
	v_and_b32_e32 v1, 0xffff0000, v2
	v_lshlrev_b32_e32 v2, 2, v0
	ds_store_b32 v2, v1
.LBB677_29:
	s_or_b32 exec_lo, exec_lo, s3
	s_cmp_lt_i32 s9, 1
	s_wait_storecnt_dscnt 0x0
	s_barrier_signal -1
	s_barrier_wait -1
	s_cbranch_scc1 .LBB677_64
; %bb.30:
	s_load_b32 s16, s[0:1], 0x28
	v_mov_b32_e32 v3, 0
	s_wait_xcnt 0x0
	s_lshl_b64 s[0:1], s[6:7], 2
	s_ashr_i32 s3, s2, 31
	s_wait_kmcnt 0x0
	s_add_nc_u64 s[0:1], s[4:5], s[0:1]
	s_mov_b32 s5, 0
	v_mov_b32_e32 v1, v3
	s_ashr_i32 s17, s16, 31
	s_cmp_neq_f32 s11, 0
	s_delay_alu instid0(VALU_DEP_1)
	v_mul_u64_e32 v[4:5], s[16:17], v[0:1]
	s_cselect_b32 s10, -1, 0
	s_cmp_gt_i32 s8, 0
	s_cselect_b32 s14, -1, 0
	s_and_b32 s15, s8, 3
	s_cmp_gt_u32 s8, 3
	s_delay_alu instid0(VALU_DEP_1)
	v_lshl_add_u64 v[4:5], v[4:5], 1, s[12:13]
	s_cselect_b32 s12, -1, 0
	s_and_b32 s8, s8, 0x7ffffffc
	s_cmp_lg_u32 s15, 0
	s_cselect_b32 s13, -1, 0
	v_add_nc_u64_e32 v[6:7], 4, v[4:5]
	s_lshl_b64 s[6:7], s[16:17], 9
	s_mov_b32 s16, 0
	s_branch .LBB677_33
.LBB677_31:                             ;   in Loop: Header=BB677_33 Depth=1
	flat_store_b32 v[8:9], v1
.LBB677_32:                             ;   in Loop: Header=BB677_33 Depth=1
	s_wait_xcnt 0x0
	s_or_b32 exec_lo, exec_lo, s17
	v_add_nc_u64_e32 v[6:7], s[6:7], v[6:7]
	v_add_nc_u64_e32 v[4:5], s[6:7], v[4:5]
	s_addk_co_i32 s16, 0x100
	s_delay_alu instid0(SALU_CYCLE_1)
	s_cmp_ge_i32 s16, s9
	s_cbranch_scc1 .LBB677_64
.LBB677_33:                             ; =>This Loop Header: Depth=1
                                        ;     Child Loop BB677_40 Depth 2
                                        ;     Child Loop BB677_60 Depth 2
	v_add_nc_u32_e32 v2, s16, v0
	s_mov_b32 s17, exec_lo
	s_delay_alu instid0(VALU_DEP_1)
	v_cmpx_gt_i32_e64 s9, v2
	s_cbranch_execz .LBB677_32
; %bb.34:                               ;   in Loop: Header=BB677_33 Depth=1
	v_mul_u64_e32 v[8:9], s[2:3], v[2:3]
	s_and_not1_b32 vcc_lo, exec_lo, s10
	s_delay_alu instid0(VALU_DEP_1)
	v_lshl_add_u64 v[8:9], v[8:9], 2, s[0:1]
	s_cbranch_vccnz .LBB677_36
; %bb.35:                               ;   in Loop: Header=BB677_33 Depth=1
	flat_load_b32 v1, v[8:9]
	s_wait_loadcnt_dscnt 0x0
	v_mul_f32_e32 v1, s11, v1
	s_and_not1_b32 vcc_lo, exec_lo, s14
	s_cbranch_vccz .LBB677_37
	s_branch .LBB677_31
.LBB677_36:                             ;   in Loop: Header=BB677_33 Depth=1
	v_mov_b32_e32 v1, 0
	s_and_not1_b32 vcc_lo, exec_lo, s14
	s_cbranch_vccnz .LBB677_31
.LBB677_37:                             ;   in Loop: Header=BB677_33 Depth=1
	s_and_not1_b32 vcc_lo, exec_lo, s12
	s_mov_b32 s18, 0
	s_cbranch_vccnz .LBB677_57
; %bb.38:                               ;   in Loop: Header=BB677_33 Depth=1
	v_mov_b64_e32 v[10:11], v[6:7]
	s_mov_b32 s4, 0
	s_branch .LBB677_40
.LBB677_39:                             ;   in Loop: Header=BB677_40 Depth=2
	s_or_b32 exec_lo, exec_lo, s19
	v_and_b32_e32 v2, 0xffff0000, v2
	v_and_b32_e32 v12, 0xffff0000, v12
	v_add_nc_u64_e32 v[10:11], 8, v[10:11]
	s_add_co_i32 s18, s18, 4
	s_add_co_i32 s4, s4, 16
	v_add_f32_e32 v1, v1, v2
	v_and_b32_e32 v2, 0xffff0000, v13
	s_cmp_eq_u32 s8, s18
	s_delay_alu instid0(VALU_DEP_2) | instskip(SKIP_1) | instid1(VALU_DEP_2)
	v_add_f32_e32 v1, v1, v12
	v_and_b32_e32 v12, 0xffff0000, v14
	v_add_f32_e32 v1, v1, v2
	s_delay_alu instid0(VALU_DEP_1)
	v_add_f32_e32 v1, v1, v12
	s_cbranch_scc1 .LBB677_56
.LBB677_40:                             ;   Parent Loop BB677_33 Depth=1
                                        ; =>  This Inner Loop Header: Depth=2
	flat_load_u16 v2, v[10:11] offset:-4
	s_wait_loadcnt_dscnt 0x0
	v_dual_mov_b32 v12, s4 :: v_dual_lshlrev_b32 v2, 16, v2
	ds_load_b32 v12, v12
	s_wait_dscnt 0x0
	v_mul_f32_e32 v12, v12, v2
	s_delay_alu instid0(VALU_DEP_1) | instskip(NEXT) | instid1(VALU_DEP_1)
	v_and_b32_e32 v2, 0x7f800000, v12
	v_cmp_ne_u32_e32 vcc_lo, 0x7f800000, v2
                                        ; implicit-def: $vgpr2
	s_wait_xcnt 0x0
	s_and_saveexec_b32 s19, vcc_lo
	s_delay_alu instid0(SALU_CYCLE_1)
	s_xor_b32 s19, exec_lo, s19
; %bb.41:                               ;   in Loop: Header=BB677_40 Depth=2
	v_bfe_u32 v2, v12, 16, 1
	s_delay_alu instid0(VALU_DEP_1)
	v_add3_u32 v2, v12, v2, 0x7fff
                                        ; implicit-def: $vgpr12
; %bb.42:                               ;   in Loop: Header=BB677_40 Depth=2
	s_and_not1_saveexec_b32 s19, s19
; %bb.43:                               ;   in Loop: Header=BB677_40 Depth=2
	v_and_b32_e32 v2, 0xffff, v12
	v_or_b32_e32 v13, 0x10000, v12
	s_delay_alu instid0(VALU_DEP_2) | instskip(NEXT) | instid1(VALU_DEP_2)
	v_cmp_eq_u32_e32 vcc_lo, 0, v2
	v_cndmask_b32_e32 v2, v13, v12, vcc_lo
; %bb.44:                               ;   in Loop: Header=BB677_40 Depth=2
	s_or_b32 exec_lo, exec_lo, s19
	flat_load_u16 v12, v[10:11] offset:-2
	s_wait_loadcnt_dscnt 0x0
	v_dual_mov_b32 v13, s4 :: v_dual_lshlrev_b32 v12, 16, v12
	ds_load_b32 v13, v13 offset:4
	s_wait_dscnt 0x0
	v_mul_f32_e32 v13, v13, v12
	s_delay_alu instid0(VALU_DEP_1) | instskip(NEXT) | instid1(VALU_DEP_1)
	v_and_b32_e32 v12, 0x7f800000, v13
	v_cmp_ne_u32_e32 vcc_lo, 0x7f800000, v12
                                        ; implicit-def: $vgpr12
	s_wait_xcnt 0x0
	s_and_saveexec_b32 s19, vcc_lo
	s_delay_alu instid0(SALU_CYCLE_1)
	s_xor_b32 s19, exec_lo, s19
; %bb.45:                               ;   in Loop: Header=BB677_40 Depth=2
	v_bfe_u32 v12, v13, 16, 1
	s_delay_alu instid0(VALU_DEP_1)
	v_add3_u32 v12, v13, v12, 0x7fff
                                        ; implicit-def: $vgpr13
; %bb.46:                               ;   in Loop: Header=BB677_40 Depth=2
	s_and_not1_saveexec_b32 s19, s19
; %bb.47:                               ;   in Loop: Header=BB677_40 Depth=2
	v_and_b32_e32 v12, 0xffff, v13
	v_or_b32_e32 v14, 0x10000, v13
	s_delay_alu instid0(VALU_DEP_2) | instskip(NEXT) | instid1(VALU_DEP_2)
	v_cmp_eq_u32_e32 vcc_lo, 0, v12
	v_cndmask_b32_e32 v12, v14, v13, vcc_lo
; %bb.48:                               ;   in Loop: Header=BB677_40 Depth=2
	s_or_b32 exec_lo, exec_lo, s19
	flat_load_u16 v13, v[10:11]
	s_wait_loadcnt_dscnt 0x0
	v_dual_mov_b32 v14, s4 :: v_dual_lshlrev_b32 v13, 16, v13
	ds_load_b32 v14, v14 offset:8
	s_wait_dscnt 0x0
	v_mul_f32_e32 v14, v14, v13
	s_delay_alu instid0(VALU_DEP_1) | instskip(NEXT) | instid1(VALU_DEP_1)
	v_and_b32_e32 v13, 0x7f800000, v14
	v_cmp_ne_u32_e32 vcc_lo, 0x7f800000, v13
                                        ; implicit-def: $vgpr13
	s_wait_xcnt 0x0
	s_and_saveexec_b32 s19, vcc_lo
	s_delay_alu instid0(SALU_CYCLE_1)
	s_xor_b32 s19, exec_lo, s19
; %bb.49:                               ;   in Loop: Header=BB677_40 Depth=2
	v_bfe_u32 v13, v14, 16, 1
	s_delay_alu instid0(VALU_DEP_1)
	v_add3_u32 v13, v14, v13, 0x7fff
                                        ; implicit-def: $vgpr14
; %bb.50:                               ;   in Loop: Header=BB677_40 Depth=2
	s_and_not1_saveexec_b32 s19, s19
; %bb.51:                               ;   in Loop: Header=BB677_40 Depth=2
	v_and_b32_e32 v13, 0xffff, v14
	v_or_b32_e32 v15, 0x10000, v14
	s_delay_alu instid0(VALU_DEP_2) | instskip(NEXT) | instid1(VALU_DEP_2)
	v_cmp_eq_u32_e32 vcc_lo, 0, v13
	v_cndmask_b32_e32 v13, v15, v14, vcc_lo
; %bb.52:                               ;   in Loop: Header=BB677_40 Depth=2
	s_or_b32 exec_lo, exec_lo, s19
	flat_load_u16 v14, v[10:11] offset:2
	s_wait_loadcnt_dscnt 0x0
	v_dual_mov_b32 v15, s4 :: v_dual_lshlrev_b32 v14, 16, v14
	ds_load_b32 v15, v15 offset:12
	s_wait_dscnt 0x0
	v_mul_f32_e32 v15, v15, v14
	s_delay_alu instid0(VALU_DEP_1) | instskip(NEXT) | instid1(VALU_DEP_1)
	v_and_b32_e32 v14, 0x7f800000, v15
	v_cmp_ne_u32_e32 vcc_lo, 0x7f800000, v14
                                        ; implicit-def: $vgpr14
	s_wait_xcnt 0x0
	s_and_saveexec_b32 s19, vcc_lo
	s_delay_alu instid0(SALU_CYCLE_1)
	s_xor_b32 s19, exec_lo, s19
; %bb.53:                               ;   in Loop: Header=BB677_40 Depth=2
	v_bfe_u32 v14, v15, 16, 1
	s_delay_alu instid0(VALU_DEP_1)
	v_add3_u32 v14, v15, v14, 0x7fff
                                        ; implicit-def: $vgpr15
; %bb.54:                               ;   in Loop: Header=BB677_40 Depth=2
	s_and_not1_saveexec_b32 s19, s19
	s_cbranch_execz .LBB677_39
; %bb.55:                               ;   in Loop: Header=BB677_40 Depth=2
	v_and_b32_e32 v14, 0xffff, v15
	v_or_b32_e32 v16, 0x10000, v15
	s_delay_alu instid0(VALU_DEP_2) | instskip(NEXT) | instid1(VALU_DEP_2)
	v_cmp_eq_u32_e32 vcc_lo, 0, v14
	v_cndmask_b32_e32 v14, v16, v15, vcc_lo
	s_branch .LBB677_39
.LBB677_56:                             ;   in Loop: Header=BB677_33 Depth=1
	s_mov_b32 s18, s8
.LBB677_57:                             ;   in Loop: Header=BB677_33 Depth=1
	s_and_not1_b32 vcc_lo, exec_lo, s13
	s_cbranch_vccnz .LBB677_31
; %bb.58:                               ;   in Loop: Header=BB677_33 Depth=1
	s_lshl_b32 s4, s18, 1
	s_delay_alu instid0(SALU_CYCLE_1)
	v_add_nc_u64_e32 v[10:11], s[4:5], v[4:5]
	s_lshl_b32 s4, s18, 2
	s_mov_b32 s18, s15
	s_branch .LBB677_60
.LBB677_59:                             ;   in Loop: Header=BB677_60 Depth=2
	s_or_b32 exec_lo, exec_lo, s19
	s_delay_alu instid0(VALU_DEP_1)
	v_and_b32_e32 v2, 0xffff0000, v12
	v_add_nc_u64_e32 v[10:11], 2, v[10:11]
	s_add_co_i32 s18, s18, -1
	s_add_co_i32 s4, s4, 4
	s_cmp_lg_u32 s18, 0
	v_add_f32_e32 v1, v1, v2
	s_cbranch_scc0 .LBB677_31
.LBB677_60:                             ;   Parent Loop BB677_33 Depth=1
                                        ; =>  This Inner Loop Header: Depth=2
	flat_load_u16 v2, v[10:11]
	s_wait_loadcnt_dscnt 0x0
	v_dual_mov_b32 v12, s4 :: v_dual_lshlrev_b32 v2, 16, v2
	ds_load_b32 v12, v12
	s_wait_dscnt 0x0
	v_mul_f32_e32 v2, v12, v2
	s_delay_alu instid0(VALU_DEP_1) | instskip(NEXT) | instid1(VALU_DEP_1)
	v_and_b32_e32 v12, 0x7f800000, v2
	v_cmp_ne_u32_e32 vcc_lo, 0x7f800000, v12
                                        ; implicit-def: $vgpr12
	s_wait_xcnt 0x0
	s_and_saveexec_b32 s19, vcc_lo
	s_delay_alu instid0(SALU_CYCLE_1)
	s_xor_b32 s19, exec_lo, s19
; %bb.61:                               ;   in Loop: Header=BB677_60 Depth=2
	v_bfe_u32 v12, v2, 16, 1
	s_delay_alu instid0(VALU_DEP_1)
	v_add3_u32 v12, v2, v12, 0x7fff
                                        ; implicit-def: $vgpr2
; %bb.62:                               ;   in Loop: Header=BB677_60 Depth=2
	s_and_not1_saveexec_b32 s19, s19
	s_cbranch_execz .LBB677_59
; %bb.63:                               ;   in Loop: Header=BB677_60 Depth=2
	v_and_b32_e32 v12, 0xffff, v2
	v_or_b32_e32 v13, 0x10000, v2
	s_delay_alu instid0(VALU_DEP_2) | instskip(NEXT) | instid1(VALU_DEP_2)
	v_cmp_eq_u32_e32 vcc_lo, 0, v12
	v_cndmask_b32_e32 v12, v13, v2, vcc_lo
	s_branch .LBB677_59
.LBB677_64:
	s_endpgm
	.section	.rodata,"a",@progbits
	.p2align	6, 0x0
	.amdhsa_kernel _ZL22rocblas_gemvtsm_kernelILb0ELi256EPK16rocblas_bfloat16fKPfEviiT2_lPKT1_lilS8_lilS5_lPT3_lil
		.amdhsa_group_segment_fixed_size 256
		.amdhsa_private_segment_fixed_size 0
		.amdhsa_kernarg_size 136
		.amdhsa_user_sgpr_count 2
		.amdhsa_user_sgpr_dispatch_ptr 0
		.amdhsa_user_sgpr_queue_ptr 0
		.amdhsa_user_sgpr_kernarg_segment_ptr 1
		.amdhsa_user_sgpr_dispatch_id 0
		.amdhsa_user_sgpr_kernarg_preload_length 0
		.amdhsa_user_sgpr_kernarg_preload_offset 0
		.amdhsa_user_sgpr_private_segment_size 0
		.amdhsa_wavefront_size32 1
		.amdhsa_uses_dynamic_stack 0
		.amdhsa_enable_private_segment 0
		.amdhsa_system_sgpr_workgroup_id_x 1
		.amdhsa_system_sgpr_workgroup_id_y 0
		.amdhsa_system_sgpr_workgroup_id_z 0
		.amdhsa_system_sgpr_workgroup_info 0
		.amdhsa_system_vgpr_workitem_id 0
		.amdhsa_next_free_vgpr 17
		.amdhsa_next_free_sgpr 24
		.amdhsa_named_barrier_count 0
		.amdhsa_reserve_vcc 1
		.amdhsa_float_round_mode_32 0
		.amdhsa_float_round_mode_16_64 0
		.amdhsa_float_denorm_mode_32 3
		.amdhsa_float_denorm_mode_16_64 3
		.amdhsa_fp16_overflow 0
		.amdhsa_memory_ordered 1
		.amdhsa_forward_progress 1
		.amdhsa_inst_pref_size 16
		.amdhsa_round_robin_scheduling 0
		.amdhsa_exception_fp_ieee_invalid_op 0
		.amdhsa_exception_fp_denorm_src 0
		.amdhsa_exception_fp_ieee_div_zero 0
		.amdhsa_exception_fp_ieee_overflow 0
		.amdhsa_exception_fp_ieee_underflow 0
		.amdhsa_exception_fp_ieee_inexact 0
		.amdhsa_exception_int_div_zero 0
	.end_amdhsa_kernel
	.section	.text._ZL22rocblas_gemvtsm_kernelILb0ELi256EPK16rocblas_bfloat16fKPfEviiT2_lPKT1_lilS8_lilS5_lPT3_lil,"axG",@progbits,_ZL22rocblas_gemvtsm_kernelILb0ELi256EPK16rocblas_bfloat16fKPfEviiT2_lPKT1_lilS8_lilS5_lPT3_lil,comdat
.Lfunc_end677:
	.size	_ZL22rocblas_gemvtsm_kernelILb0ELi256EPK16rocblas_bfloat16fKPfEviiT2_lPKT1_lilS8_lilS5_lPT3_lil, .Lfunc_end677-_ZL22rocblas_gemvtsm_kernelILb0ELi256EPK16rocblas_bfloat16fKPfEviiT2_lPKT1_lilS8_lilS5_lPT3_lil
                                        ; -- End function
	.set _ZL22rocblas_gemvtsm_kernelILb0ELi256EPK16rocblas_bfloat16fKPfEviiT2_lPKT1_lilS8_lilS5_lPT3_lil.num_vgpr, 17
	.set _ZL22rocblas_gemvtsm_kernelILb0ELi256EPK16rocblas_bfloat16fKPfEviiT2_lPKT1_lilS8_lilS5_lPT3_lil.num_agpr, 0
	.set _ZL22rocblas_gemvtsm_kernelILb0ELi256EPK16rocblas_bfloat16fKPfEviiT2_lPKT1_lilS8_lilS5_lPT3_lil.numbered_sgpr, 24
	.set _ZL22rocblas_gemvtsm_kernelILb0ELi256EPK16rocblas_bfloat16fKPfEviiT2_lPKT1_lilS8_lilS5_lPT3_lil.num_named_barrier, 0
	.set _ZL22rocblas_gemvtsm_kernelILb0ELi256EPK16rocblas_bfloat16fKPfEviiT2_lPKT1_lilS8_lilS5_lPT3_lil.private_seg_size, 0
	.set _ZL22rocblas_gemvtsm_kernelILb0ELi256EPK16rocblas_bfloat16fKPfEviiT2_lPKT1_lilS8_lilS5_lPT3_lil.uses_vcc, 1
	.set _ZL22rocblas_gemvtsm_kernelILb0ELi256EPK16rocblas_bfloat16fKPfEviiT2_lPKT1_lilS8_lilS5_lPT3_lil.uses_flat_scratch, 0
	.set _ZL22rocblas_gemvtsm_kernelILb0ELi256EPK16rocblas_bfloat16fKPfEviiT2_lPKT1_lilS8_lilS5_lPT3_lil.has_dyn_sized_stack, 0
	.set _ZL22rocblas_gemvtsm_kernelILb0ELi256EPK16rocblas_bfloat16fKPfEviiT2_lPKT1_lilS8_lilS5_lPT3_lil.has_recursion, 0
	.set _ZL22rocblas_gemvtsm_kernelILb0ELi256EPK16rocblas_bfloat16fKPfEviiT2_lPKT1_lilS8_lilS5_lPT3_lil.has_indirect_call, 0
	.section	.AMDGPU.csdata,"",@progbits
; Kernel info:
; codeLenInByte = 2000
; TotalNumSgprs: 26
; NumVgprs: 17
; ScratchSize: 0
; MemoryBound: 0
; FloatMode: 240
; IeeeMode: 1
; LDSByteSize: 256 bytes/workgroup (compile time only)
; SGPRBlocks: 0
; VGPRBlocks: 1
; NumSGPRsForWavesPerEU: 26
; NumVGPRsForWavesPerEU: 17
; NamedBarCnt: 0
; Occupancy: 16
; WaveLimiterHint : 1
; COMPUTE_PGM_RSRC2:SCRATCH_EN: 0
; COMPUTE_PGM_RSRC2:USER_SGPR: 2
; COMPUTE_PGM_RSRC2:TRAP_HANDLER: 0
; COMPUTE_PGM_RSRC2:TGID_X_EN: 1
; COMPUTE_PGM_RSRC2:TGID_Y_EN: 0
; COMPUTE_PGM_RSRC2:TGID_Z_EN: 0
; COMPUTE_PGM_RSRC2:TIDIG_COMP_CNT: 0
	.section	.text._ZL32rocblas_gemvt_warp_reduce_kernelILb0ELi256EiPK16rocblas_bfloat16PKfKPfEviiT3_lPKT2_lT1_lSA_lSB_lS7_lPT4_lSB_li,"axG",@progbits,_ZL32rocblas_gemvt_warp_reduce_kernelILb0ELi256EiPK16rocblas_bfloat16PKfKPfEviiT3_lPKT2_lT1_lSA_lSB_lS7_lPT4_lSB_li,comdat
	.globl	_ZL32rocblas_gemvt_warp_reduce_kernelILb0ELi256EiPK16rocblas_bfloat16PKfKPfEviiT3_lPKT2_lT1_lSA_lSB_lS7_lPT4_lSB_li ; -- Begin function _ZL32rocblas_gemvt_warp_reduce_kernelILb0ELi256EiPK16rocblas_bfloat16PKfKPfEviiT3_lPKT2_lT1_lSA_lSB_lS7_lPT4_lSB_li
	.p2align	8
	.type	_ZL32rocblas_gemvt_warp_reduce_kernelILb0ELi256EiPK16rocblas_bfloat16PKfKPfEviiT3_lPKT2_lT1_lSA_lSB_lS7_lPT4_lSB_li,@function
_ZL32rocblas_gemvt_warp_reduce_kernelILb0ELi256EiPK16rocblas_bfloat16PKfKPfEviiT3_lPKT2_lT1_lSA_lSB_lS7_lPT4_lSB_li: ; @_ZL32rocblas_gemvt_warp_reduce_kernelILb0ELi256EiPK16rocblas_bfloat16PKfKPfEviiT3_lPKT2_lT1_lSA_lSB_lS7_lPT4_lSB_li
; %bb.0:
	s_load_b32 s33, s[0:1], 0x88
	s_bfe_u32 s2, ttmp6, 0x40014
	s_lshr_b32 s3, ttmp7, 16
	s_add_co_i32 s2, s2, 1
	s_bfe_u32 s5, ttmp6, 0x40008
	s_mul_i32 s4, s3, s2
	s_getreg_b32 s2, hwreg(HW_REG_IB_STS2, 6, 4)
	s_add_co_i32 s5, s5, s4
	s_cmp_eq_u32 s2, 0
	s_mov_b32 s29, 0
	s_cselect_b32 s28, s3, s5
	s_wait_kmcnt 0x0
	s_cmp_ge_u32 s28, s33
	s_cbranch_scc1 .LBB678_46
; %bb.1:
	s_clause 0x6
	s_load_b32 s5, s[0:1], 0x0
	s_load_b256 s[8:15], s[0:1], 0x8
	s_load_b32 s4, s[0:1], 0x28
	s_load_b128 s[24:27], s[0:1], 0x38
	s_load_b32 s7, s[0:1], 0x48
	s_load_b256 s[16:23], s[0:1], 0x58
	s_load_b32 s6, s[0:1], 0x78
	s_wait_xcnt 0x0
	s_bfe_u32 s1, ttmp6, 0x4000c
	s_and_b32 s3, ttmp6, 15
	s_add_co_i32 s1, s1, 1
	v_dual_mov_b32 v3, 0 :: v_dual_bitop2_b32 v2, 31, v0 bitop3:0x40
	s_mul_i32 s30, ttmp9, s1
	v_lshrrev_b32_e32 v4, 3, v0
	s_add_co_i32 s3, s3, s30
	s_cmp_eq_u32 s2, 0
	v_lshlrev_b32_e32 v14, 2, v2
	s_cselect_b32 s31, ttmp9, s3
	v_mbcnt_lo_u32_b32 v1, -1, 0
	v_cmp_eq_u32_e64 s0, 0, v0
	s_wait_kmcnt 0x0
	s_ashr_i32 s3, s5, 31
	v_cmp_gt_i32_e32 vcc_lo, s5, v0
	s_lshr_b32 s3, s3, 24
	v_cmp_gt_u32_e64 s1, 32, v0
	s_add_co_i32 s3, s5, s3
	v_mul_lo_u32 v16, v0, s7
	s_and_b32 s30, s3, 0xffffff00
	v_cmp_eq_u32_e64 s3, 0, v2
	v_dual_cndmask_b32 v2, 0, v0, vcc_lo :: v_dual_bitop2_b32 v5, s30, v0 bitop3:0x54
	v_and_b32_e32 v15, 28, v4
	s_mul_i32 s6, s6, s31
	v_cmp_gt_u32_e64 s2, 8, v0
	s_delay_alu instid0(VALU_DEP_3)
	v_mul_lo_u32 v4, s7, v5
	s_mul_i32 s34, s4, s31
	v_lshlrev_b32_e32 v2, 1, v2
	v_cmp_gt_i32_e64 s4, s30, v0
	v_cmp_gt_i32_e64 s5, s5, v5
	v_lshl_or_b32 v17, v1, 2, 64
	s_lshl_b32 s38, s7, 8
	s_ashr_i32 s7, s6, 31
	s_lshl_b64 s[14:15], s[14:15], 1
	s_ashr_i32 s35, s34, 31
	s_ashr_i32 s31, s30, 31
	v_ashrrev_i32_e32 v5, 31, v4
	s_lshl_b64 s[26:27], s[26:27], 1
	s_lshl_b64 s[22:23], s[22:23], 2
	;; [unrolled: 1-line block ×3, first 2 shown]
	s_branch .LBB678_4
.LBB678_2:                              ;   in Loop: Header=BB678_4 Depth=1
	s_wait_xcnt 0x0
	s_or_b32 exec_lo, exec_lo, s7
.LBB678_3:                              ;   in Loop: Header=BB678_4 Depth=1
	s_add_co_i32 s28, s28, 0x10000
	s_delay_alu instid0(SALU_CYCLE_1)
	s_cmp_lt_u32 s28, s33
	s_cbranch_scc0 .LBB678_46
.LBB678_4:                              ; =>This Loop Header: Depth=1
                                        ;     Child Loop BB678_28 Depth 2
	s_mul_u64 s[6:7], s[10:11], s[28:29]
	s_wait_xcnt 0x0
	s_mul_u64 s[40:41], s[18:19], s[28:29]
	s_lshl_b64 s[6:7], s[6:7], 2
	s_lshl_b64 s[40:41], s[40:41], 2
	s_add_nc_u64 s[6:7], s[8:9], s[6:7]
	s_add_nc_u64 s[40:41], s[16:17], s[40:41]
	s_clause 0x1
	global_load_b32 v18, v3, s[6:7]
	global_load_b32 v6, v3, s[40:41]
	s_wait_loadcnt 0x1
	s_wait_xcnt 0x1
	v_cmp_eq_f32_e64 s6, 0, v18
	s_wait_loadcnt 0x0
	v_cmp_eq_f32_e32 vcc_lo, 1.0, v6
	v_readfirstlane_b32 s39, v6
	s_and_b32 s7, s6, vcc_lo
	s_delay_alu instid0(SALU_CYCLE_1)
	s_and_b32 vcc_lo, exec_lo, s7
	s_cbranch_vccnz .LBB678_3
; %bb.5:                                ;   in Loop: Header=BB678_4 Depth=1
	v_mov_b64_e32 v[8:9], 0
	s_wait_dscnt 0x0
	v_mov_b64_e32 v[10:11], 0
	v_cmp_neq_f32_e64 s7, 0, v18
	s_and_b32 vcc_lo, exec_lo, s6
	s_cbranch_vccnz .LBB678_7
; %bb.6:                                ;   in Loop: Header=BB678_4 Depth=1
	s_wait_xcnt 0x0
	s_lshl_b64 s[40:41], s[28:29], 3
	s_delay_alu instid0(SALU_CYCLE_1)
	s_add_nc_u64 s[40:41], s[12:13], s[40:41]
	global_load_b64 v[6:7], v3, s[40:41]
	s_wait_loadcnt 0x0
	v_add_nc_u64_e32 v[10:11], s[14:15], v[6:7]
.LBB678_7:                              ;   in Loop: Header=BB678_4 Depth=1
	s_and_not1_b32 vcc_lo, exec_lo, s7
	s_cbranch_vccnz .LBB678_9
; %bb.8:                                ;   in Loop: Header=BB678_4 Depth=1
	s_wait_xcnt 0x0
	s_lshl_b64 s[40:41], s[28:29], 3
	s_delay_alu instid0(SALU_CYCLE_1)
	s_add_nc_u64 s[40:41], s[24:25], s[40:41]
	global_load_b64 v[6:7], v3, s[40:41]
	s_wait_loadcnt 0x0
	v_add_nc_u64_e32 v[8:9], s[26:27], v[6:7]
.LBB678_9:                              ;   in Loop: Header=BB678_4 Depth=1
	s_wait_xcnt 0x0
	s_lshl_b64 s[40:41], s[28:29], 3
	s_and_not1_b32 vcc_lo, exec_lo, s6
	s_add_nc_u64 s[40:41], s[20:21], s[40:41]
	global_load_b64 v[6:7], v3, s[40:41]
	s_wait_loadcnt 0x0
	v_add_nc_u64_e32 v[6:7], s[22:23], v[6:7]
	s_cbranch_vccnz .LBB678_13
; %bb.10:                               ;   in Loop: Header=BB678_4 Depth=1
	s_mov_b32 s7, 0
	s_mov_b32 s6, 0
                                        ; implicit-def: $vgpr12
	s_wait_xcnt 0x0
	s_and_saveexec_b32 s40, s0
	s_cbranch_execz .LBB678_14
; %bb.11:                               ;   in Loop: Header=BB678_4 Depth=1
	s_cmp_eq_f32 s39, 0
	s_cbranch_scc1 .LBB678_15
; %bb.12:                               ;   in Loop: Header=BB678_4 Depth=1
	v_add_nc_u64_e32 v[12:13], s[36:37], v[6:7]
	flat_load_b32 v12, v[12:13]
	s_wait_loadcnt_dscnt 0x0
	s_wait_xcnt 0x0
	v_mul_f32_e32 v12, s39, v12
	s_branch .LBB678_16
.LBB678_13:                             ;   in Loop: Header=BB678_4 Depth=1
	s_mov_b32 s6, 0
                                        ; implicit-def: $vgpr12
	s_cbranch_execnz .LBB678_17
	s_branch .LBB678_38
.LBB678_14:                             ;   in Loop: Header=BB678_4 Depth=1
	s_or_b32 exec_lo, exec_lo, s40
	s_delay_alu instid0(SALU_CYCLE_1)
	s_and_b32 vcc_lo, exec_lo, s7
	s_cbranch_vccnz .LBB678_17
	s_branch .LBB678_38
.LBB678_15:                             ;   in Loop: Header=BB678_4 Depth=1
	v_mov_b32_e32 v12, 0
.LBB678_16:                             ;   in Loop: Header=BB678_4 Depth=1
	s_mov_b32 s6, exec_lo
	s_or_b32 exec_lo, exec_lo, s40
	s_delay_alu instid0(SALU_CYCLE_1)
	s_and_b32 vcc_lo, exec_lo, s7
	s_cbranch_vccz .LBB678_38
.LBB678_17:                             ;   in Loop: Header=BB678_4 Depth=1
	v_add_nc_u64_e32 v[10:11], v[10:11], v[2:3]
	v_mov_b32_e32 v19, 0
	s_delay_alu instid0(VALU_DEP_2)
	v_lshl_add_u64 v[10:11], s[34:35], 1, v[10:11]
	s_wait_xcnt 0x0
	s_and_saveexec_b32 s7, s4
	s_cbranch_execnz .LBB678_26
; %bb.18:                               ;   in Loop: Header=BB678_4 Depth=1
	s_or_b32 exec_lo, exec_lo, s7
	s_and_saveexec_b32 s7, s5
	s_cbranch_execnz .LBB678_41
.LBB678_19:                             ;   in Loop: Header=BB678_4 Depth=1
	s_or_b32 exec_lo, exec_lo, s7
	s_and_saveexec_b32 s7, s1
.LBB678_20:                             ;   in Loop: Header=BB678_4 Depth=1
	ds_store_b32 v14, v3
.LBB678_21:                             ;   in Loop: Header=BB678_4 Depth=1
	s_or_b32 exec_lo, exec_lo, s7
	ds_bpermute_b32 v8, v17, v19
	v_cmp_gt_u32_e32 vcc_lo, 24, v1
	s_wait_dscnt 0x0
	s_barrier_signal -1
	s_barrier_wait -1
	v_cndmask_b32_e64 v9, 0, 8, vcc_lo
	v_cmp_gt_u32_e32 vcc_lo, 28, v1
	s_delay_alu instid0(VALU_DEP_2)
	v_add_lshl_u32 v9, v9, v1, 2
	v_add_f32_e32 v10, v19, v8
	v_cndmask_b32_e64 v8, 0, 4, vcc_lo
	v_cmp_gt_u32_e32 vcc_lo, 30, v1
	ds_bpermute_b32 v9, v9, v10
	v_add_lshl_u32 v8, v8, v1, 2
	s_wait_dscnt 0x0
	v_add_f32_e32 v10, v10, v9
	v_cndmask_b32_e64 v9, 0, 2, vcc_lo
	v_cmp_ne_u32_e32 vcc_lo, 31, v1
	ds_bpermute_b32 v11, v8, v10
	v_add_lshl_u32 v9, v9, v1, 2
	v_add_co_ci_u32_e64 v12, null, 0, v1, vcc_lo
	s_wait_dscnt 0x0
	v_add_f32_e32 v10, v10, v11
	ds_bpermute_b32 v11, v9, v10
	s_wait_dscnt 0x0
	v_dual_add_f32 v11, v10, v11 :: v_dual_lshlrev_b32 v10, 2, v12
	ds_bpermute_b32 v12, v10, v11
	s_and_saveexec_b32 s7, s3
	s_cbranch_execz .LBB678_23
; %bb.22:                               ;   in Loop: Header=BB678_4 Depth=1
	s_wait_dscnt 0x0
	v_add_f32_e32 v11, v11, v12
	ds_store_b32 v15, v11
.LBB678_23:                             ;   in Loop: Header=BB678_4 Depth=1
	s_or_b32 exec_lo, exec_lo, s7
	v_mov_b32_e32 v11, 0
	s_wait_dscnt 0x0
	s_barrier_signal -1
	s_barrier_wait -1
	s_and_saveexec_b32 s7, s2
	s_cbranch_execnz .LBB678_32
; %bb.24:                               ;   in Loop: Header=BB678_4 Depth=1
	s_or_b32 exec_lo, exec_lo, s7
	s_and_saveexec_b32 s7, s1
	s_cbranch_execnz .LBB678_33
.LBB678_25:                             ;   in Loop: Header=BB678_4 Depth=1
	s_or_b32 exec_lo, exec_lo, s7
                                        ; implicit-def: $vgpr12
	s_and_saveexec_b32 s7, s0
	s_cbranch_execnz .LBB678_34
	s_branch .LBB678_37
.LBB678_26:                             ;   in Loop: Header=BB678_4 Depth=1
	s_delay_alu instid0(VALU_DEP_1)
	v_mov_b64_e32 v[12:13], v[10:11]
	v_dual_mov_b32 v19, 0 :: v_dual_mov_b32 v20, v16
	v_mov_b32_e32 v21, v0
	s_mov_b32 s40, 0
	s_branch .LBB678_28
.LBB678_27:                             ;   in Loop: Header=BB678_28 Depth=2
	s_or_b32 exec_lo, exec_lo, s41
	v_add_nc_u32_e32 v21, 0x100, v21
	s_delay_alu instid0(VALU_DEP_2) | instskip(SKIP_2) | instid1(VALU_DEP_4)
	v_and_b32_e32 v22, 0xffff0000, v23
	v_add_nc_u64_e32 v[12:13], 0x200, v[12:13]
	v_add_nc_u32_e32 v20, s38, v20
	v_cmp_le_i32_e32 vcc_lo, s30, v21
	s_delay_alu instid0(VALU_DEP_4) | instskip(SKIP_1) | instid1(SALU_CYCLE_1)
	v_add_f32_e32 v19, v19, v22
	s_or_b32 s40, vcc_lo, s40
	s_and_not1_b32 exec_lo, exec_lo, s40
	s_cbranch_execz .LBB678_40
.LBB678_28:                             ;   Parent Loop BB678_4 Depth=1
                                        ; =>  This Inner Loop Header: Depth=2
	v_readfirstlane_b32 s42, v8
	v_readfirstlane_b32 s43, v9
	flat_load_u16 v22, v[12:13]
	flat_load_u16 v23, v20, s[42:43] scale_offset
	s_wait_loadcnt_dscnt 0x0
	v_dual_lshlrev_b32 v22, 16, v22 :: v_dual_lshlrev_b32 v23, 16, v23
	s_delay_alu instid0(VALU_DEP_1) | instskip(NEXT) | instid1(VALU_DEP_1)
	v_mul_f32_e32 v22, v23, v22
	v_and_b32_e32 v23, 0x7f800000, v22
	s_delay_alu instid0(VALU_DEP_1) | instskip(SKIP_2) | instid1(SALU_CYCLE_1)
	v_cmp_ne_u32_e32 vcc_lo, 0x7f800000, v23
                                        ; implicit-def: $vgpr23
	s_wait_xcnt 0x0
	s_and_saveexec_b32 s41, vcc_lo
	s_xor_b32 s41, exec_lo, s41
; %bb.29:                               ;   in Loop: Header=BB678_28 Depth=2
	v_bfe_u32 v23, v22, 16, 1
	s_delay_alu instid0(VALU_DEP_1)
	v_add3_u32 v23, v22, v23, 0x7fff
                                        ; implicit-def: $vgpr22
; %bb.30:                               ;   in Loop: Header=BB678_28 Depth=2
	s_and_not1_saveexec_b32 s41, s41
	s_cbranch_execz .LBB678_27
; %bb.31:                               ;   in Loop: Header=BB678_28 Depth=2
	v_and_b32_e32 v23, 0xffff, v22
	v_or_b32_e32 v24, 0x10000, v22
	s_delay_alu instid0(VALU_DEP_2) | instskip(NEXT) | instid1(VALU_DEP_2)
	v_cmp_eq_u32_e32 vcc_lo, 0, v23
	v_cndmask_b32_e32 v23, v24, v22, vcc_lo
	s_branch .LBB678_27
.LBB678_32:                             ;   in Loop: Header=BB678_4 Depth=1
	ds_load_b32 v11, v14
	s_or_b32 exec_lo, exec_lo, s7
	s_and_saveexec_b32 s7, s1
	s_cbranch_execz .LBB678_25
.LBB678_33:                             ;   in Loop: Header=BB678_4 Depth=1
	s_wait_dscnt 0x0
	ds_bpermute_b32 v8, v8, v11
	s_wait_dscnt 0x0
	v_add_f32_e32 v8, v11, v8
	ds_bpermute_b32 v9, v9, v8
	s_wait_dscnt 0x0
	v_add_f32_e32 v8, v8, v9
	;; [unrolled: 3-line block ×3, first 2 shown]
	s_or_b32 exec_lo, exec_lo, s7
                                        ; implicit-def: $vgpr12
	s_and_saveexec_b32 s7, s0
	s_cbranch_execz .LBB678_37
.LBB678_34:                             ;   in Loop: Header=BB678_4 Depth=1
	s_wait_dscnt 0x0
	v_mul_f32_e32 v12, v18, v11
	s_cmp_eq_f32 s39, 0
	s_cbranch_scc1 .LBB678_36
; %bb.35:                               ;   in Loop: Header=BB678_4 Depth=1
	v_add_nc_u64_e32 v[8:9], s[36:37], v[6:7]
	flat_load_b32 v8, v[8:9]
	s_wait_loadcnt_dscnt 0x0
	v_fmac_f32_e32 v12, s39, v8
.LBB678_36:                             ;   in Loop: Header=BB678_4 Depth=1
	s_or_b32 s6, s6, exec_lo
.LBB678_37:                             ;   in Loop: Header=BB678_4 Depth=1
	s_wait_xcnt 0x0
	s_or_b32 exec_lo, exec_lo, s7
.LBB678_38:                             ;   in Loop: Header=BB678_4 Depth=1
	s_wait_xcnt 0x0
	s_and_saveexec_b32 s7, s6
	s_cbranch_execz .LBB678_2
; %bb.39:                               ;   in Loop: Header=BB678_4 Depth=1
	v_add_nc_u64_e32 v[6:7], s[36:37], v[6:7]
	flat_store_b32 v[6:7], v12
	s_branch .LBB678_2
.LBB678_40:                             ;   in Loop: Header=BB678_4 Depth=1
	s_or_b32 exec_lo, exec_lo, s40
	s_delay_alu instid0(SALU_CYCLE_1)
	s_or_b32 exec_lo, exec_lo, s7
	s_and_saveexec_b32 s7, s5
	s_cbranch_execz .LBB678_19
.LBB678_41:                             ;   in Loop: Header=BB678_4 Depth=1
	v_lshl_add_u64 v[10:11], s[30:31], 1, v[10:11]
	v_lshl_add_u64 v[8:9], v[4:5], 1, v[8:9]
	flat_load_u16 v12, v[10:11]
	flat_load_u16 v13, v[8:9]
	s_wait_loadcnt_dscnt 0x0
	s_wait_xcnt 0x0
	v_dual_lshlrev_b32 v8, 16, v12 :: v_dual_lshlrev_b32 v9, 16, v13
	s_delay_alu instid0(VALU_DEP_1) | instskip(NEXT) | instid1(VALU_DEP_1)
	v_mul_f32_e32 v8, v9, v8
	v_and_b32_e32 v9, 0x7f800000, v8
	s_delay_alu instid0(VALU_DEP_1) | instskip(SKIP_1) | instid1(SALU_CYCLE_1)
	v_cmp_ne_u32_e32 vcc_lo, 0x7f800000, v9
                                        ; implicit-def: $vgpr9
	s_and_saveexec_b32 s40, vcc_lo
	s_xor_b32 s40, exec_lo, s40
; %bb.42:                               ;   in Loop: Header=BB678_4 Depth=1
	v_bfe_u32 v9, v8, 16, 1
	s_delay_alu instid0(VALU_DEP_1)
	v_add3_u32 v9, v8, v9, 0x7fff
                                        ; implicit-def: $vgpr8
; %bb.43:                               ;   in Loop: Header=BB678_4 Depth=1
	s_and_not1_saveexec_b32 s40, s40
; %bb.44:                               ;   in Loop: Header=BB678_4 Depth=1
	v_and_b32_e32 v9, 0xffff, v8
	v_or_b32_e32 v10, 0x10000, v8
	s_delay_alu instid0(VALU_DEP_2) | instskip(NEXT) | instid1(VALU_DEP_2)
	v_cmp_eq_u32_e32 vcc_lo, 0, v9
	v_cndmask_b32_e32 v9, v10, v8, vcc_lo
; %bb.45:                               ;   in Loop: Header=BB678_4 Depth=1
	s_or_b32 exec_lo, exec_lo, s40
	s_delay_alu instid0(VALU_DEP_1) | instskip(NEXT) | instid1(VALU_DEP_1)
	v_and_b32_e32 v8, 0xffff0000, v9
	v_add_f32_e32 v19, v19, v8
	s_or_b32 exec_lo, exec_lo, s7
	s_and_saveexec_b32 s7, s1
	s_cbranch_execnz .LBB678_20
	s_branch .LBB678_21
.LBB678_46:
	s_endpgm
	.section	.rodata,"a",@progbits
	.p2align	6, 0x0
	.amdhsa_kernel _ZL32rocblas_gemvt_warp_reduce_kernelILb0ELi256EiPK16rocblas_bfloat16PKfKPfEviiT3_lPKT2_lT1_lSA_lSB_lS7_lPT4_lSB_li
		.amdhsa_group_segment_fixed_size 128
		.amdhsa_private_segment_fixed_size 0
		.amdhsa_kernarg_size 140
		.amdhsa_user_sgpr_count 2
		.amdhsa_user_sgpr_dispatch_ptr 0
		.amdhsa_user_sgpr_queue_ptr 0
		.amdhsa_user_sgpr_kernarg_segment_ptr 1
		.amdhsa_user_sgpr_dispatch_id 0
		.amdhsa_user_sgpr_kernarg_preload_length 0
		.amdhsa_user_sgpr_kernarg_preload_offset 0
		.amdhsa_user_sgpr_private_segment_size 0
		.amdhsa_wavefront_size32 1
		.amdhsa_uses_dynamic_stack 0
		.amdhsa_enable_private_segment 0
		.amdhsa_system_sgpr_workgroup_id_x 1
		.amdhsa_system_sgpr_workgroup_id_y 0
		.amdhsa_system_sgpr_workgroup_id_z 1
		.amdhsa_system_sgpr_workgroup_info 0
		.amdhsa_system_vgpr_workitem_id 0
		.amdhsa_next_free_vgpr 25
		.amdhsa_next_free_sgpr 44
		.amdhsa_named_barrier_count 0
		.amdhsa_reserve_vcc 1
		.amdhsa_float_round_mode_32 0
		.amdhsa_float_round_mode_16_64 0
		.amdhsa_float_denorm_mode_32 3
		.amdhsa_float_denorm_mode_16_64 3
		.amdhsa_fp16_overflow 0
		.amdhsa_memory_ordered 1
		.amdhsa_forward_progress 1
		.amdhsa_inst_pref_size 14
		.amdhsa_round_robin_scheduling 0
		.amdhsa_exception_fp_ieee_invalid_op 0
		.amdhsa_exception_fp_denorm_src 0
		.amdhsa_exception_fp_ieee_div_zero 0
		.amdhsa_exception_fp_ieee_overflow 0
		.amdhsa_exception_fp_ieee_underflow 0
		.amdhsa_exception_fp_ieee_inexact 0
		.amdhsa_exception_int_div_zero 0
	.end_amdhsa_kernel
	.section	.text._ZL32rocblas_gemvt_warp_reduce_kernelILb0ELi256EiPK16rocblas_bfloat16PKfKPfEviiT3_lPKT2_lT1_lSA_lSB_lS7_lPT4_lSB_li,"axG",@progbits,_ZL32rocblas_gemvt_warp_reduce_kernelILb0ELi256EiPK16rocblas_bfloat16PKfKPfEviiT3_lPKT2_lT1_lSA_lSB_lS7_lPT4_lSB_li,comdat
.Lfunc_end678:
	.size	_ZL32rocblas_gemvt_warp_reduce_kernelILb0ELi256EiPK16rocblas_bfloat16PKfKPfEviiT3_lPKT2_lT1_lSA_lSB_lS7_lPT4_lSB_li, .Lfunc_end678-_ZL32rocblas_gemvt_warp_reduce_kernelILb0ELi256EiPK16rocblas_bfloat16PKfKPfEviiT3_lPKT2_lT1_lSA_lSB_lS7_lPT4_lSB_li
                                        ; -- End function
	.set _ZL32rocblas_gemvt_warp_reduce_kernelILb0ELi256EiPK16rocblas_bfloat16PKfKPfEviiT3_lPKT2_lT1_lSA_lSB_lS7_lPT4_lSB_li.num_vgpr, 25
	.set _ZL32rocblas_gemvt_warp_reduce_kernelILb0ELi256EiPK16rocblas_bfloat16PKfKPfEviiT3_lPKT2_lT1_lSA_lSB_lS7_lPT4_lSB_li.num_agpr, 0
	.set _ZL32rocblas_gemvt_warp_reduce_kernelILb0ELi256EiPK16rocblas_bfloat16PKfKPfEviiT3_lPKT2_lT1_lSA_lSB_lS7_lPT4_lSB_li.numbered_sgpr, 44
	.set _ZL32rocblas_gemvt_warp_reduce_kernelILb0ELi256EiPK16rocblas_bfloat16PKfKPfEviiT3_lPKT2_lT1_lSA_lSB_lS7_lPT4_lSB_li.num_named_barrier, 0
	.set _ZL32rocblas_gemvt_warp_reduce_kernelILb0ELi256EiPK16rocblas_bfloat16PKfKPfEviiT3_lPKT2_lT1_lSA_lSB_lS7_lPT4_lSB_li.private_seg_size, 0
	.set _ZL32rocblas_gemvt_warp_reduce_kernelILb0ELi256EiPK16rocblas_bfloat16PKfKPfEviiT3_lPKT2_lT1_lSA_lSB_lS7_lPT4_lSB_li.uses_vcc, 1
	.set _ZL32rocblas_gemvt_warp_reduce_kernelILb0ELi256EiPK16rocblas_bfloat16PKfKPfEviiT3_lPKT2_lT1_lSA_lSB_lS7_lPT4_lSB_li.uses_flat_scratch, 0
	.set _ZL32rocblas_gemvt_warp_reduce_kernelILb0ELi256EiPK16rocblas_bfloat16PKfKPfEviiT3_lPKT2_lT1_lSA_lSB_lS7_lPT4_lSB_li.has_dyn_sized_stack, 0
	.set _ZL32rocblas_gemvt_warp_reduce_kernelILb0ELi256EiPK16rocblas_bfloat16PKfKPfEviiT3_lPKT2_lT1_lSA_lSB_lS7_lPT4_lSB_li.has_recursion, 0
	.set _ZL32rocblas_gemvt_warp_reduce_kernelILb0ELi256EiPK16rocblas_bfloat16PKfKPfEviiT3_lPKT2_lT1_lSA_lSB_lS7_lPT4_lSB_li.has_indirect_call, 0
	.section	.AMDGPU.csdata,"",@progbits
; Kernel info:
; codeLenInByte = 1680
; TotalNumSgprs: 46
; NumVgprs: 25
; ScratchSize: 0
; MemoryBound: 0
; FloatMode: 240
; IeeeMode: 1
; LDSByteSize: 128 bytes/workgroup (compile time only)
; SGPRBlocks: 0
; VGPRBlocks: 1
; NumSGPRsForWavesPerEU: 46
; NumVGPRsForWavesPerEU: 25
; NamedBarCnt: 0
; Occupancy: 16
; WaveLimiterHint : 1
; COMPUTE_PGM_RSRC2:SCRATCH_EN: 0
; COMPUTE_PGM_RSRC2:USER_SGPR: 2
; COMPUTE_PGM_RSRC2:TRAP_HANDLER: 0
; COMPUTE_PGM_RSRC2:TGID_X_EN: 1
; COMPUTE_PGM_RSRC2:TGID_Y_EN: 0
; COMPUTE_PGM_RSRC2:TGID_Z_EN: 1
; COMPUTE_PGM_RSRC2:TIDIG_COMP_CNT: 0
	.section	.text._ZL32rocblas_gemvt_warp_reduce_kernelILb0ELi256ElPK16rocblas_bfloat16PKfKPfEviiT3_lPKT2_lT1_lSA_lSB_lS7_lPT4_lSB_li,"axG",@progbits,_ZL32rocblas_gemvt_warp_reduce_kernelILb0ELi256ElPK16rocblas_bfloat16PKfKPfEviiT3_lPKT2_lT1_lSA_lSB_lS7_lPT4_lSB_li,comdat
	.globl	_ZL32rocblas_gemvt_warp_reduce_kernelILb0ELi256ElPK16rocblas_bfloat16PKfKPfEviiT3_lPKT2_lT1_lSA_lSB_lS7_lPT4_lSB_li ; -- Begin function _ZL32rocblas_gemvt_warp_reduce_kernelILb0ELi256ElPK16rocblas_bfloat16PKfKPfEviiT3_lPKT2_lT1_lSA_lSB_lS7_lPT4_lSB_li
	.p2align	8
	.type	_ZL32rocblas_gemvt_warp_reduce_kernelILb0ELi256ElPK16rocblas_bfloat16PKfKPfEviiT3_lPKT2_lT1_lSA_lSB_lS7_lPT4_lSB_li,@function
_ZL32rocblas_gemvt_warp_reduce_kernelILb0ELi256ElPK16rocblas_bfloat16PKfKPfEviiT3_lPKT2_lT1_lSA_lSB_lS7_lPT4_lSB_li: ; @_ZL32rocblas_gemvt_warp_reduce_kernelILb0ELi256ElPK16rocblas_bfloat16PKfKPfEviiT3_lPKT2_lT1_lSA_lSB_lS7_lPT4_lSB_li
; %bb.0:
	s_load_b32 s33, s[0:1], 0x88
	s_bfe_u32 s2, ttmp6, 0x40014
	s_lshr_b32 s3, ttmp7, 16
	s_add_co_i32 s2, s2, 1
	s_bfe_u32 s5, ttmp6, 0x40008
	s_mul_i32 s4, s3, s2
	s_getreg_b32 s2, hwreg(HW_REG_IB_STS2, 6, 4)
	s_add_co_i32 s5, s5, s4
	s_cmp_eq_u32 s2, 0
	s_mov_b32 s29, 0
	s_cselect_b32 s28, s3, s5
	s_wait_kmcnt 0x0
	s_cmp_ge_u32 s28, s33
	s_cbranch_scc1 .LBB679_46
; %bb.1:
	s_clause 0x1
	s_load_b32 s31, s[0:1], 0x0
	s_load_b64 s[6:7], s[0:1], 0x48
	s_bfe_u32 s3, ttmp6, 0x4000c
	s_and_b32 s4, ttmp6, 15
	s_add_co_i32 s3, s3, 1
	s_clause 0x2
	s_load_b256 s[8:15], s[0:1], 0x8
	s_load_b128 s[24:27], s[0:1], 0x38
	s_load_b256 s[16:23], s[0:1], 0x58
	s_mul_i32 s3, ttmp9, s3
	v_mbcnt_lo_u32_b32 v19, -1, 0
	s_add_co_i32 s4, s4, s3
	s_cmp_eq_u32 s2, 0
	s_load_b64 s[34:35], s[0:1], 0x28
	s_cselect_b32 s2, ttmp9, s4
	s_load_b64 s[4:5], s[0:1], 0x78
	s_wait_xcnt 0x0
	v_cmp_eq_u32_e64 s0, 0, v0
	v_lshl_or_b32 v20, v19, 2, 64
	s_wait_kmcnt 0x0
	s_ashr_i32 s3, s31, 31
	v_cmp_gt_i32_e32 vcc_lo, s31, v0
	s_lshr_b32 s3, s3, 24
	s_lshl_b64 s[36:37], s[6:7], 9
	s_add_co_i32 s3, s31, s3
	s_lshl_b64 s[14:15], s[14:15], 1
	s_and_b32 s30, s3, 0xffffff00
	s_delay_alu instid0(SALU_CYCLE_1) | instskip(SKIP_3) | instid1(VALU_DEP_2)
	v_dual_mov_b32 v3, 0 :: v_dual_bitop2_b32 v6, s30, v0 bitop3:0x54
	s_ashr_i32 s3, s2, 31
	v_cndmask_b32_e32 v2, 0, v0, vcc_lo
	s_mul_u64 s[34:35], s[34:35], s[2:3]
	v_dual_mov_b32 v1, v3 :: v_dual_ashrrev_i32 v7, 31, v6
	s_mul_u64 s[38:39], s[4:5], s[2:3]
	v_cmp_gt_i32_e64 s2, s31, v6
	v_cmp_gt_i32_e64 s1, s30, v0
	s_delay_alu instid0(VALU_DEP_3) | instskip(SKIP_4) | instid1(VALU_DEP_3)
	v_mul_u64_e32 v[8:9], s[6:7], v[0:1]
	v_mul_u64_e32 v[4:5], s[6:7], v[6:7]
	v_dual_lshrrev_b32 v6, 3, v0 :: v_dual_bitop2_b32 v7, 31, v0 bitop3:0x40
	v_cmp_gt_u32_e64 s3, 32, v0
	v_cmp_gt_u32_e64 s5, 8, v0
	v_dual_lshlrev_b32 v2, 1, v2 :: v_dual_lshlrev_b32 v1, 2, v7
	v_cmp_eq_u32_e64 s4, 0, v7
	v_and_b32_e32 v18, 28, v6
	s_ashr_i32 s31, s30, 31
	s_lshl_b64 s[26:27], s[26:27], 1
	s_lshl_b64 s[22:23], s[22:23], 2
	s_lshl_b64 s[38:39], s[38:39], 2
	v_lshlrev_b64_e32 v[6:7], 1, v[8:9]
	s_branch .LBB679_4
.LBB679_2:                              ;   in Loop: Header=BB679_4 Depth=1
	s_wait_xcnt 0x0
	s_or_b32 exec_lo, exec_lo, s7
.LBB679_3:                              ;   in Loop: Header=BB679_4 Depth=1
	s_add_co_i32 s28, s28, 0x10000
	s_delay_alu instid0(SALU_CYCLE_1)
	s_cmp_lt_u32 s28, s33
	s_cbranch_scc0 .LBB679_46
.LBB679_4:                              ; =>This Loop Header: Depth=1
                                        ;     Child Loop BB679_28 Depth 2
	s_mul_u64 s[6:7], s[10:11], s[28:29]
	s_mul_u64 s[40:41], s[18:19], s[28:29]
	s_lshl_b64 s[6:7], s[6:7], 2
	s_lshl_b64 s[40:41], s[40:41], 2
	s_add_nc_u64 s[6:7], s[8:9], s[6:7]
	s_add_nc_u64 s[40:41], s[16:17], s[40:41]
	s_clause 0x1
	global_load_b32 v21, v3, s[6:7]
	global_load_b32 v8, v3, s[40:41]
	s_wait_loadcnt 0x1
	s_wait_xcnt 0x1
	v_cmp_eq_f32_e64 s6, 0, v21
	s_wait_loadcnt 0x0
	v_cmp_eq_f32_e32 vcc_lo, 1.0, v8
	s_wait_xcnt 0x0
	v_readfirstlane_b32 s40, v8
	s_and_b32 s7, s6, vcc_lo
	s_delay_alu instid0(SALU_CYCLE_1)
	s_and_b32 vcc_lo, exec_lo, s7
	s_cbranch_vccnz .LBB679_3
; %bb.5:                                ;   in Loop: Header=BB679_4 Depth=1
	v_mov_b64_e32 v[10:11], 0
	s_wait_dscnt 0x0
	v_mov_b64_e32 v[12:13], 0
	v_cmp_neq_f32_e64 s7, 0, v21
	s_and_b32 vcc_lo, exec_lo, s6
	s_cbranch_vccnz .LBB679_7
; %bb.6:                                ;   in Loop: Header=BB679_4 Depth=1
	s_lshl_b64 s[42:43], s[28:29], 3
	s_delay_alu instid0(SALU_CYCLE_1)
	s_add_nc_u64 s[42:43], s[12:13], s[42:43]
	global_load_b64 v[8:9], v3, s[42:43]
	s_wait_loadcnt 0x0
	v_add_nc_u64_e32 v[12:13], s[14:15], v[8:9]
.LBB679_7:                              ;   in Loop: Header=BB679_4 Depth=1
	s_and_not1_b32 vcc_lo, exec_lo, s7
	s_cbranch_vccnz .LBB679_9
; %bb.8:                                ;   in Loop: Header=BB679_4 Depth=1
	s_wait_xcnt 0x0
	s_lshl_b64 s[42:43], s[28:29], 3
	s_delay_alu instid0(SALU_CYCLE_1)
	s_add_nc_u64 s[42:43], s[24:25], s[42:43]
	global_load_b64 v[8:9], v3, s[42:43]
	s_wait_loadcnt 0x0
	v_add_nc_u64_e32 v[10:11], s[26:27], v[8:9]
.LBB679_9:                              ;   in Loop: Header=BB679_4 Depth=1
	s_wait_xcnt 0x0
	s_lshl_b64 s[42:43], s[28:29], 3
	s_and_not1_b32 vcc_lo, exec_lo, s6
	s_add_nc_u64 s[42:43], s[20:21], s[42:43]
	global_load_b64 v[8:9], v3, s[42:43]
	s_wait_loadcnt 0x0
	v_add_nc_u64_e32 v[8:9], s[22:23], v[8:9]
	s_cbranch_vccnz .LBB679_13
; %bb.10:                               ;   in Loop: Header=BB679_4 Depth=1
	s_mov_b32 s7, 0
	s_mov_b32 s6, 0
                                        ; implicit-def: $vgpr14
	s_wait_xcnt 0x0
	s_and_saveexec_b32 s41, s0
	s_cbranch_execz .LBB679_14
; %bb.11:                               ;   in Loop: Header=BB679_4 Depth=1
	s_cmp_eq_f32 s40, 0
	s_cbranch_scc1 .LBB679_15
; %bb.12:                               ;   in Loop: Header=BB679_4 Depth=1
	v_add_nc_u64_e32 v[14:15], s[38:39], v[8:9]
	flat_load_b32 v14, v[14:15]
	s_wait_loadcnt_dscnt 0x0
	s_wait_xcnt 0x0
	v_mul_f32_e32 v14, s40, v14
	s_branch .LBB679_16
.LBB679_13:                             ;   in Loop: Header=BB679_4 Depth=1
	s_mov_b32 s6, 0
                                        ; implicit-def: $vgpr14
	s_cbranch_execnz .LBB679_17
	s_branch .LBB679_38
.LBB679_14:                             ;   in Loop: Header=BB679_4 Depth=1
	s_or_b32 exec_lo, exec_lo, s41
	s_delay_alu instid0(SALU_CYCLE_1)
	s_and_b32 vcc_lo, exec_lo, s7
	s_cbranch_vccnz .LBB679_17
	s_branch .LBB679_38
.LBB679_15:                             ;   in Loop: Header=BB679_4 Depth=1
	v_mov_b32_e32 v14, 0
.LBB679_16:                             ;   in Loop: Header=BB679_4 Depth=1
	s_mov_b32 s6, exec_lo
	s_or_b32 exec_lo, exec_lo, s41
	s_delay_alu instid0(SALU_CYCLE_1)
	s_and_b32 vcc_lo, exec_lo, s7
	s_cbranch_vccz .LBB679_38
.LBB679_17:                             ;   in Loop: Header=BB679_4 Depth=1
	v_add_nc_u64_e32 v[12:13], v[12:13], v[2:3]
	v_mov_b32_e32 v22, 0
	s_delay_alu instid0(VALU_DEP_2)
	v_lshl_add_u64 v[12:13], s[34:35], 1, v[12:13]
	s_wait_xcnt 0x0
	s_and_saveexec_b32 s7, s1
	s_cbranch_execnz .LBB679_26
; %bb.18:                               ;   in Loop: Header=BB679_4 Depth=1
	s_or_b32 exec_lo, exec_lo, s7
	s_and_saveexec_b32 s7, s2
	s_cbranch_execnz .LBB679_41
.LBB679_19:                             ;   in Loop: Header=BB679_4 Depth=1
	s_or_b32 exec_lo, exec_lo, s7
	s_and_saveexec_b32 s7, s3
.LBB679_20:                             ;   in Loop: Header=BB679_4 Depth=1
	ds_store_b32 v1, v3
.LBB679_21:                             ;   in Loop: Header=BB679_4 Depth=1
	s_or_b32 exec_lo, exec_lo, s7
	ds_bpermute_b32 v10, v20, v22
	v_cmp_gt_u32_e32 vcc_lo, 24, v19
	s_wait_dscnt 0x0
	s_barrier_signal -1
	s_barrier_wait -1
	v_cndmask_b32_e64 v11, 0, 8, vcc_lo
	v_cmp_gt_u32_e32 vcc_lo, 28, v19
	s_delay_alu instid0(VALU_DEP_2)
	v_add_lshl_u32 v11, v11, v19, 2
	v_add_f32_e32 v12, v22, v10
	v_cndmask_b32_e64 v10, 0, 4, vcc_lo
	v_cmp_gt_u32_e32 vcc_lo, 30, v19
	ds_bpermute_b32 v11, v11, v12
	v_add_lshl_u32 v10, v10, v19, 2
	s_wait_dscnt 0x0
	v_add_f32_e32 v12, v12, v11
	v_cndmask_b32_e64 v11, 0, 2, vcc_lo
	v_cmp_ne_u32_e32 vcc_lo, 31, v19
	ds_bpermute_b32 v13, v10, v12
	v_add_lshl_u32 v11, v11, v19, 2
	v_add_co_ci_u32_e64 v14, null, 0, v19, vcc_lo
	s_wait_dscnt 0x0
	v_add_f32_e32 v12, v12, v13
	ds_bpermute_b32 v13, v11, v12
	s_wait_dscnt 0x0
	v_dual_add_f32 v13, v12, v13 :: v_dual_lshlrev_b32 v12, 2, v14
	ds_bpermute_b32 v14, v12, v13
	s_and_saveexec_b32 s7, s4
	s_cbranch_execz .LBB679_23
; %bb.22:                               ;   in Loop: Header=BB679_4 Depth=1
	s_wait_dscnt 0x0
	v_add_f32_e32 v13, v13, v14
	ds_store_b32 v18, v13
.LBB679_23:                             ;   in Loop: Header=BB679_4 Depth=1
	s_or_b32 exec_lo, exec_lo, s7
	v_mov_b32_e32 v13, 0
	s_wait_dscnt 0x0
	s_barrier_signal -1
	s_barrier_wait -1
	s_and_saveexec_b32 s7, s5
	s_cbranch_execnz .LBB679_32
; %bb.24:                               ;   in Loop: Header=BB679_4 Depth=1
	s_or_b32 exec_lo, exec_lo, s7
	s_and_saveexec_b32 s7, s3
	s_cbranch_execnz .LBB679_33
.LBB679_25:                             ;   in Loop: Header=BB679_4 Depth=1
	s_or_b32 exec_lo, exec_lo, s7
                                        ; implicit-def: $vgpr14
	s_and_saveexec_b32 s7, s0
	s_cbranch_execnz .LBB679_34
	s_branch .LBB679_37
.LBB679_26:                             ;   in Loop: Header=BB679_4 Depth=1
	v_add_nc_u64_e32 v[14:15], v[10:11], v[6:7]
	v_mov_b64_e32 v[16:17], v[12:13]
	v_dual_mov_b32 v22, 0 :: v_dual_mov_b32 v23, v0
	s_mov_b32 s41, 0
	s_branch .LBB679_28
.LBB679_27:                             ;   in Loop: Header=BB679_28 Depth=2
	s_or_b32 exec_lo, exec_lo, s42
	s_delay_alu instid0(VALU_DEP_1) | instskip(SKIP_3) | instid1(VALU_DEP_4)
	v_and_b32_e32 v24, 0xffff0000, v25
	v_add_nc_u32_e32 v23, 0x100, v23
	v_add_nc_u64_e32 v[16:17], 0x200, v[16:17]
	v_add_nc_u64_e32 v[14:15], s[36:37], v[14:15]
	v_add_f32_e32 v22, v22, v24
	s_delay_alu instid0(VALU_DEP_4) | instskip(SKIP_1) | instid1(SALU_CYCLE_1)
	v_cmp_le_i32_e32 vcc_lo, s30, v23
	s_or_b32 s41, vcc_lo, s41
	s_and_not1_b32 exec_lo, exec_lo, s41
	s_cbranch_execz .LBB679_40
.LBB679_28:                             ;   Parent Loop BB679_4 Depth=1
                                        ; =>  This Inner Loop Header: Depth=2
	flat_load_u16 v24, v[16:17]
	flat_load_u16 v25, v[14:15]
	s_wait_loadcnt_dscnt 0x0
	v_dual_lshlrev_b32 v24, 16, v24 :: v_dual_lshlrev_b32 v25, 16, v25
	s_delay_alu instid0(VALU_DEP_1) | instskip(NEXT) | instid1(VALU_DEP_1)
	v_mul_f32_e32 v24, v25, v24
	v_and_b32_e32 v25, 0x7f800000, v24
	s_delay_alu instid0(VALU_DEP_1) | instskip(SKIP_2) | instid1(SALU_CYCLE_1)
	v_cmp_ne_u32_e32 vcc_lo, 0x7f800000, v25
                                        ; implicit-def: $vgpr25
	s_wait_xcnt 0x0
	s_and_saveexec_b32 s42, vcc_lo
	s_xor_b32 s42, exec_lo, s42
; %bb.29:                               ;   in Loop: Header=BB679_28 Depth=2
	v_bfe_u32 v25, v24, 16, 1
	s_delay_alu instid0(VALU_DEP_1)
	v_add3_u32 v25, v24, v25, 0x7fff
                                        ; implicit-def: $vgpr24
; %bb.30:                               ;   in Loop: Header=BB679_28 Depth=2
	s_and_not1_saveexec_b32 s42, s42
	s_cbranch_execz .LBB679_27
; %bb.31:                               ;   in Loop: Header=BB679_28 Depth=2
	v_and_b32_e32 v25, 0xffff, v24
	v_or_b32_e32 v26, 0x10000, v24
	s_delay_alu instid0(VALU_DEP_2) | instskip(NEXT) | instid1(VALU_DEP_2)
	v_cmp_eq_u32_e32 vcc_lo, 0, v25
	v_cndmask_b32_e32 v25, v26, v24, vcc_lo
	s_branch .LBB679_27
.LBB679_32:                             ;   in Loop: Header=BB679_4 Depth=1
	ds_load_b32 v13, v1
	s_or_b32 exec_lo, exec_lo, s7
	s_and_saveexec_b32 s7, s3
	s_cbranch_execz .LBB679_25
.LBB679_33:                             ;   in Loop: Header=BB679_4 Depth=1
	s_wait_dscnt 0x0
	ds_bpermute_b32 v10, v10, v13
	s_wait_dscnt 0x0
	v_add_f32_e32 v10, v13, v10
	ds_bpermute_b32 v11, v11, v10
	s_wait_dscnt 0x0
	v_add_f32_e32 v10, v10, v11
	ds_bpermute_b32 v11, v12, v10
	s_wait_dscnt 0x0
	v_add_f32_e32 v13, v10, v11
	s_or_b32 exec_lo, exec_lo, s7
                                        ; implicit-def: $vgpr14
	s_and_saveexec_b32 s7, s0
	s_cbranch_execz .LBB679_37
.LBB679_34:                             ;   in Loop: Header=BB679_4 Depth=1
	s_wait_dscnt 0x0
	v_mul_f32_e32 v14, v21, v13
	s_cmp_eq_f32 s40, 0
	s_cbranch_scc1 .LBB679_36
; %bb.35:                               ;   in Loop: Header=BB679_4 Depth=1
	v_add_nc_u64_e32 v[10:11], s[38:39], v[8:9]
	flat_load_b32 v10, v[10:11]
	s_wait_loadcnt_dscnt 0x0
	v_fmac_f32_e32 v14, s40, v10
.LBB679_36:                             ;   in Loop: Header=BB679_4 Depth=1
	s_or_b32 s6, s6, exec_lo
.LBB679_37:                             ;   in Loop: Header=BB679_4 Depth=1
	s_wait_xcnt 0x0
	s_or_b32 exec_lo, exec_lo, s7
.LBB679_38:                             ;   in Loop: Header=BB679_4 Depth=1
	s_wait_xcnt 0x0
	s_and_saveexec_b32 s7, s6
	s_cbranch_execz .LBB679_2
; %bb.39:                               ;   in Loop: Header=BB679_4 Depth=1
	v_add_nc_u64_e32 v[8:9], s[38:39], v[8:9]
	flat_store_b32 v[8:9], v14
	s_branch .LBB679_2
.LBB679_40:                             ;   in Loop: Header=BB679_4 Depth=1
	s_or_b32 exec_lo, exec_lo, s41
	s_delay_alu instid0(SALU_CYCLE_1)
	s_or_b32 exec_lo, exec_lo, s7
	s_and_saveexec_b32 s7, s2
	s_cbranch_execz .LBB679_19
.LBB679_41:                             ;   in Loop: Header=BB679_4 Depth=1
	v_lshl_add_u64 v[12:13], s[30:31], 1, v[12:13]
	v_lshl_add_u64 v[10:11], v[4:5], 1, v[10:11]
	flat_load_u16 v14, v[12:13]
	flat_load_u16 v15, v[10:11]
	s_wait_loadcnt_dscnt 0x0
	s_wait_xcnt 0x0
	v_dual_lshlrev_b32 v10, 16, v14 :: v_dual_lshlrev_b32 v11, 16, v15
	s_delay_alu instid0(VALU_DEP_1) | instskip(NEXT) | instid1(VALU_DEP_1)
	v_mul_f32_e32 v10, v11, v10
	v_and_b32_e32 v11, 0x7f800000, v10
	s_delay_alu instid0(VALU_DEP_1) | instskip(SKIP_1) | instid1(SALU_CYCLE_1)
	v_cmp_ne_u32_e32 vcc_lo, 0x7f800000, v11
                                        ; implicit-def: $vgpr11
	s_and_saveexec_b32 s41, vcc_lo
	s_xor_b32 s41, exec_lo, s41
; %bb.42:                               ;   in Loop: Header=BB679_4 Depth=1
	v_bfe_u32 v11, v10, 16, 1
	s_delay_alu instid0(VALU_DEP_1)
	v_add3_u32 v11, v10, v11, 0x7fff
                                        ; implicit-def: $vgpr10
; %bb.43:                               ;   in Loop: Header=BB679_4 Depth=1
	s_and_not1_saveexec_b32 s41, s41
; %bb.44:                               ;   in Loop: Header=BB679_4 Depth=1
	v_and_b32_e32 v11, 0xffff, v10
	v_or_b32_e32 v12, 0x10000, v10
	s_delay_alu instid0(VALU_DEP_2) | instskip(NEXT) | instid1(VALU_DEP_2)
	v_cmp_eq_u32_e32 vcc_lo, 0, v11
	v_cndmask_b32_e32 v11, v12, v10, vcc_lo
; %bb.45:                               ;   in Loop: Header=BB679_4 Depth=1
	s_or_b32 exec_lo, exec_lo, s41
	s_delay_alu instid0(VALU_DEP_1) | instskip(NEXT) | instid1(VALU_DEP_1)
	v_and_b32_e32 v10, 0xffff0000, v11
	v_add_f32_e32 v22, v22, v10
	s_or_b32 exec_lo, exec_lo, s7
	s_and_saveexec_b32 s7, s3
	s_cbranch_execnz .LBB679_20
	s_branch .LBB679_21
.LBB679_46:
	s_endpgm
	.section	.rodata,"a",@progbits
	.p2align	6, 0x0
	.amdhsa_kernel _ZL32rocblas_gemvt_warp_reduce_kernelILb0ELi256ElPK16rocblas_bfloat16PKfKPfEviiT3_lPKT2_lT1_lSA_lSB_lS7_lPT4_lSB_li
		.amdhsa_group_segment_fixed_size 128
		.amdhsa_private_segment_fixed_size 0
		.amdhsa_kernarg_size 140
		.amdhsa_user_sgpr_count 2
		.amdhsa_user_sgpr_dispatch_ptr 0
		.amdhsa_user_sgpr_queue_ptr 0
		.amdhsa_user_sgpr_kernarg_segment_ptr 1
		.amdhsa_user_sgpr_dispatch_id 0
		.amdhsa_user_sgpr_kernarg_preload_length 0
		.amdhsa_user_sgpr_kernarg_preload_offset 0
		.amdhsa_user_sgpr_private_segment_size 0
		.amdhsa_wavefront_size32 1
		.amdhsa_uses_dynamic_stack 0
		.amdhsa_enable_private_segment 0
		.amdhsa_system_sgpr_workgroup_id_x 1
		.amdhsa_system_sgpr_workgroup_id_y 0
		.amdhsa_system_sgpr_workgroup_id_z 1
		.amdhsa_system_sgpr_workgroup_info 0
		.amdhsa_system_vgpr_workitem_id 0
		.amdhsa_next_free_vgpr 27
		.amdhsa_next_free_sgpr 44
		.amdhsa_named_barrier_count 0
		.amdhsa_reserve_vcc 1
		.amdhsa_float_round_mode_32 0
		.amdhsa_float_round_mode_16_64 0
		.amdhsa_float_denorm_mode_32 3
		.amdhsa_float_denorm_mode_16_64 3
		.amdhsa_fp16_overflow 0
		.amdhsa_memory_ordered 1
		.amdhsa_forward_progress 1
		.amdhsa_inst_pref_size 14
		.amdhsa_round_robin_scheduling 0
		.amdhsa_exception_fp_ieee_invalid_op 0
		.amdhsa_exception_fp_denorm_src 0
		.amdhsa_exception_fp_ieee_div_zero 0
		.amdhsa_exception_fp_ieee_overflow 0
		.amdhsa_exception_fp_ieee_underflow 0
		.amdhsa_exception_fp_ieee_inexact 0
		.amdhsa_exception_int_div_zero 0
	.end_amdhsa_kernel
	.section	.text._ZL32rocblas_gemvt_warp_reduce_kernelILb0ELi256ElPK16rocblas_bfloat16PKfKPfEviiT3_lPKT2_lT1_lSA_lSB_lS7_lPT4_lSB_li,"axG",@progbits,_ZL32rocblas_gemvt_warp_reduce_kernelILb0ELi256ElPK16rocblas_bfloat16PKfKPfEviiT3_lPKT2_lT1_lSA_lSB_lS7_lPT4_lSB_li,comdat
.Lfunc_end679:
	.size	_ZL32rocblas_gemvt_warp_reduce_kernelILb0ELi256ElPK16rocblas_bfloat16PKfKPfEviiT3_lPKT2_lT1_lSA_lSB_lS7_lPT4_lSB_li, .Lfunc_end679-_ZL32rocblas_gemvt_warp_reduce_kernelILb0ELi256ElPK16rocblas_bfloat16PKfKPfEviiT3_lPKT2_lT1_lSA_lSB_lS7_lPT4_lSB_li
                                        ; -- End function
	.set _ZL32rocblas_gemvt_warp_reduce_kernelILb0ELi256ElPK16rocblas_bfloat16PKfKPfEviiT3_lPKT2_lT1_lSA_lSB_lS7_lPT4_lSB_li.num_vgpr, 27
	.set _ZL32rocblas_gemvt_warp_reduce_kernelILb0ELi256ElPK16rocblas_bfloat16PKfKPfEviiT3_lPKT2_lT1_lSA_lSB_lS7_lPT4_lSB_li.num_agpr, 0
	.set _ZL32rocblas_gemvt_warp_reduce_kernelILb0ELi256ElPK16rocblas_bfloat16PKfKPfEviiT3_lPKT2_lT1_lSA_lSB_lS7_lPT4_lSB_li.numbered_sgpr, 44
	.set _ZL32rocblas_gemvt_warp_reduce_kernelILb0ELi256ElPK16rocblas_bfloat16PKfKPfEviiT3_lPKT2_lT1_lSA_lSB_lS7_lPT4_lSB_li.num_named_barrier, 0
	.set _ZL32rocblas_gemvt_warp_reduce_kernelILb0ELi256ElPK16rocblas_bfloat16PKfKPfEviiT3_lPKT2_lT1_lSA_lSB_lS7_lPT4_lSB_li.private_seg_size, 0
	.set _ZL32rocblas_gemvt_warp_reduce_kernelILb0ELi256ElPK16rocblas_bfloat16PKfKPfEviiT3_lPKT2_lT1_lSA_lSB_lS7_lPT4_lSB_li.uses_vcc, 1
	.set _ZL32rocblas_gemvt_warp_reduce_kernelILb0ELi256ElPK16rocblas_bfloat16PKfKPfEviiT3_lPKT2_lT1_lSA_lSB_lS7_lPT4_lSB_li.uses_flat_scratch, 0
	.set _ZL32rocblas_gemvt_warp_reduce_kernelILb0ELi256ElPK16rocblas_bfloat16PKfKPfEviiT3_lPKT2_lT1_lSA_lSB_lS7_lPT4_lSB_li.has_dyn_sized_stack, 0
	.set _ZL32rocblas_gemvt_warp_reduce_kernelILb0ELi256ElPK16rocblas_bfloat16PKfKPfEviiT3_lPKT2_lT1_lSA_lSB_lS7_lPT4_lSB_li.has_recursion, 0
	.set _ZL32rocblas_gemvt_warp_reduce_kernelILb0ELi256ElPK16rocblas_bfloat16PKfKPfEviiT3_lPKT2_lT1_lSA_lSB_lS7_lPT4_lSB_li.has_indirect_call, 0
	.section	.AMDGPU.csdata,"",@progbits
; Kernel info:
; codeLenInByte = 1676
; TotalNumSgprs: 46
; NumVgprs: 27
; ScratchSize: 0
; MemoryBound: 0
; FloatMode: 240
; IeeeMode: 1
; LDSByteSize: 128 bytes/workgroup (compile time only)
; SGPRBlocks: 0
; VGPRBlocks: 1
; NumSGPRsForWavesPerEU: 46
; NumVGPRsForWavesPerEU: 27
; NamedBarCnt: 0
; Occupancy: 16
; WaveLimiterHint : 1
; COMPUTE_PGM_RSRC2:SCRATCH_EN: 0
; COMPUTE_PGM_RSRC2:USER_SGPR: 2
; COMPUTE_PGM_RSRC2:TRAP_HANDLER: 0
; COMPUTE_PGM_RSRC2:TGID_X_EN: 1
; COMPUTE_PGM_RSRC2:TGID_Y_EN: 0
; COMPUTE_PGM_RSRC2:TGID_Z_EN: 1
; COMPUTE_PGM_RSRC2:TIDIG_COMP_CNT: 0
	.section	.text._ZL32rocblas_gemvt_warp_reduce_kernelILb0ELi256EiPK16rocblas_bfloat16fKPfEviiT3_lPKT2_lT1_lS8_lS9_lS5_lPT4_lS9_li,"axG",@progbits,_ZL32rocblas_gemvt_warp_reduce_kernelILb0ELi256EiPK16rocblas_bfloat16fKPfEviiT3_lPKT2_lT1_lS8_lS9_lS5_lPT4_lS9_li,comdat
	.globl	_ZL32rocblas_gemvt_warp_reduce_kernelILb0ELi256EiPK16rocblas_bfloat16fKPfEviiT3_lPKT2_lT1_lS8_lS9_lS5_lPT4_lS9_li ; -- Begin function _ZL32rocblas_gemvt_warp_reduce_kernelILb0ELi256EiPK16rocblas_bfloat16fKPfEviiT3_lPKT2_lT1_lS8_lS9_lS5_lPT4_lS9_li
	.p2align	8
	.type	_ZL32rocblas_gemvt_warp_reduce_kernelILb0ELi256EiPK16rocblas_bfloat16fKPfEviiT3_lPKT2_lT1_lS8_lS9_lS5_lPT4_lS9_li,@function
_ZL32rocblas_gemvt_warp_reduce_kernelILb0ELi256EiPK16rocblas_bfloat16fKPfEviiT3_lPKT2_lT1_lS8_lS9_lS5_lPT4_lS9_li: ; @_ZL32rocblas_gemvt_warp_reduce_kernelILb0ELi256EiPK16rocblas_bfloat16fKPfEviiT3_lPKT2_lT1_lS8_lS9_lS5_lPT4_lS9_li
; %bb.0:
	s_load_b32 s26, s[0:1], 0x88
	s_bfe_u32 s2, ttmp6, 0x40014
	s_lshr_b32 s4, ttmp7, 16
	s_add_co_i32 s2, s2, 1
	s_bfe_u32 s5, ttmp6, 0x40008
	s_mul_i32 s2, s4, s2
	s_getreg_b32 s3, hwreg(HW_REG_IB_STS2, 6, 4)
	s_add_co_i32 s5, s5, s2
	s_cmp_eq_u32 s3, 0
	s_mov_b32 s7, 0
	s_cselect_b32 s6, s4, s5
	s_wait_kmcnt 0x0
	s_cmp_ge_u32 s6, s26
	s_cbranch_scc1 .LBB680_48
; %bb.1:
	s_clause 0x8
	s_load_b32 s27, s[0:1], 0x8
	s_load_b32 s28, s[0:1], 0x58
	s_load_b128 s[8:11], s[0:1], 0x18
	s_load_b32 s4, s[0:1], 0x28
	s_load_b32 s5, s[0:1], 0x0
	s_load_b128 s[12:15], s[0:1], 0x38
	s_load_b32 s21, s[0:1], 0x48
	s_load_b128 s[16:19], s[0:1], 0x68
	s_load_b32 s22, s[0:1], 0x78
	v_dual_mov_b32 v3, 0 :: v_dual_bitop2_b32 v2, 31, v0 bitop3:0x40
	v_lshrrev_b32_e32 v4, 3, v0
	v_mbcnt_lo_u32_b32 v14, -1, 0
	s_wait_xcnt 0x0
	v_cmp_eq_u32_e64 s0, 0, v0
	v_lshlrev_b32_e32 v15, 2, v2
	s_delay_alu instid0(VALU_DEP_3)
	v_lshl_or_b32 v18, v14, 2, 64
	s_wait_kmcnt 0x0
	s_cmp_eq_f32 s27, 0
	v_cmp_gt_i32_e32 vcc_lo, s5, v0
	v_mul_lo_u32 v17, v0, s21
	s_cselect_b32 s29, -1, 0
	s_cmp_neq_f32 s28, 1.0
	s_cselect_b32 s2, -1, 0
	s_cmp_neq_f32 s27, 0
	s_cselect_b32 s1, -1, 0
	s_delay_alu instid0(SALU_CYCLE_1)
	s_or_b32 s30, s1, s2
	s_cmp_neq_f32 s28, 0
	v_cndmask_b32_e64 v1, 0, 1, s1
	v_cmp_gt_u32_e64 s1, 32, v0
	s_cselect_b32 s31, -1, 0
	s_bfe_u32 s2, ttmp6, 0x4000c
	s_and_b32 s20, ttmp6, 15
	s_add_co_i32 s2, s2, 1
	s_delay_alu instid0(SALU_CYCLE_1)
	s_mul_i32 s23, ttmp9, s2
	v_cmp_gt_u32_e64 s2, 8, v0
	s_add_co_i32 s20, s20, s23
	s_cmp_eq_u32 s3, 0
	s_cselect_b32 s23, ttmp9, s20
	s_ashr_i32 s3, s5, 31
	s_mul_i32 s24, s22, s23
	s_lshr_b32 s20, s3, 24
	v_cmp_eq_u32_e64 s3, 0, v2
	s_add_co_i32 s20, s5, s20
	s_mul_i32 s22, s4, s23
	s_and_b32 s20, s20, 0xffffff00
	s_delay_alu instid0(SALU_CYCLE_1)
	v_dual_cndmask_b32 v2, 0, v0, vcc_lo :: v_dual_bitop2_b32 v5, s20, v0 bitop3:0x54
	v_and_b32_e32 v16, 28, v4
	v_cmp_gt_i32_e64 s4, s20, v0
	s_ashr_i32 s25, s24, 31
	v_lshlrev_b32_e32 v2, 1, v2
	v_mul_lo_u32 v4, s21, v5
	v_cmp_gt_i32_e64 s5, s5, v5
	s_lshl_b32 s33, s21, 8
	s_lshl_b64 s[10:11], s[10:11], 1
	s_ashr_i32 s23, s22, 31
	s_ashr_i32 s21, s20, 31
	s_lshl_b64 s[14:15], s[14:15], 1
	s_lshl_b64 s[18:19], s[18:19], 2
	;; [unrolled: 1-line block ×3, first 2 shown]
	v_ashrrev_i32_e32 v5, 31, v4
	s_branch .LBB680_4
.LBB680_2:                              ;   in Loop: Header=BB680_4 Depth=1
	s_wait_xcnt 0x0
	s_or_b32 exec_lo, exec_lo, s35
.LBB680_3:                              ;   in Loop: Header=BB680_4 Depth=1
	s_add_co_i32 s6, s6, 0x10000
	s_delay_alu instid0(SALU_CYCLE_1)
	s_cmp_lt_u32 s6, s26
	s_cbranch_scc0 .LBB680_48
.LBB680_4:                              ; =>This Loop Header: Depth=1
                                        ;     Child Loop BB680_30 Depth 2
	s_and_not1_b32 vcc_lo, exec_lo, s30
	s_cbranch_vccnz .LBB680_3
; %bb.5:                                ;   in Loop: Header=BB680_4 Depth=1
	s_and_not1_b32 vcc_lo, exec_lo, s29
	s_cbranch_vccnz .LBB680_7
; %bb.6:                                ;   in Loop: Header=BB680_4 Depth=1
	v_mov_b64_e32 v[8:9], 0
	s_wait_dscnt 0x0
	v_mov_b64_e32 v[10:11], 0
	s_cbranch_execz .LBB680_8
	s_branch .LBB680_9
.LBB680_7:                              ;   in Loop: Header=BB680_4 Depth=1
	v_mov_b64_e32 v[8:9], 0
	s_wait_dscnt 0x0
	v_mov_b64_e32 v[10:11], 0
.LBB680_8:                              ;   in Loop: Header=BB680_4 Depth=1
	s_lshl_b64 s[34:35], s[6:7], 3
	s_delay_alu instid0(SALU_CYCLE_1)
	s_add_nc_u64 s[34:35], s[8:9], s[34:35]
	global_load_b64 v[6:7], v3, s[34:35]
	s_wait_loadcnt 0x0
	v_add_nc_u64_e32 v[10:11], s[10:11], v[6:7]
.LBB680_9:                              ;   in Loop: Header=BB680_4 Depth=1
	v_cmp_ne_u32_e32 vcc_lo, 1, v1
	s_cbranch_vccnz .LBB680_11
; %bb.10:                               ;   in Loop: Header=BB680_4 Depth=1
	s_wait_xcnt 0x0
	s_lshl_b64 s[34:35], s[6:7], 3
	s_delay_alu instid0(SALU_CYCLE_1)
	s_add_nc_u64 s[34:35], s[12:13], s[34:35]
	global_load_b64 v[6:7], v3, s[34:35]
	s_wait_loadcnt 0x0
	v_add_nc_u64_e32 v[8:9], s[14:15], v[6:7]
.LBB680_11:                             ;   in Loop: Header=BB680_4 Depth=1
	s_wait_xcnt 0x0
	s_lshl_b64 s[34:35], s[6:7], 3
	s_and_not1_b32 vcc_lo, exec_lo, s29
	s_add_nc_u64 s[34:35], s[16:17], s[34:35]
	global_load_b64 v[6:7], v3, s[34:35]
	s_wait_loadcnt 0x0
	v_add_nc_u64_e32 v[6:7], s[18:19], v[6:7]
	s_cbranch_vccnz .LBB680_15
; %bb.12:                               ;   in Loop: Header=BB680_4 Depth=1
	s_wait_xcnt 0x0
	s_mov_b32 s35, 0
	s_mov_b32 s34, 0
                                        ; implicit-def: $vgpr12
	s_and_saveexec_b32 s36, s0
	s_cbranch_execz .LBB680_16
; %bb.13:                               ;   in Loop: Header=BB680_4 Depth=1
	s_and_not1_b32 vcc_lo, exec_lo, s31
	s_cbranch_vccnz .LBB680_17
; %bb.14:                               ;   in Loop: Header=BB680_4 Depth=1
	v_add_nc_u64_e32 v[12:13], s[24:25], v[6:7]
	flat_load_b32 v12, v[12:13]
	s_wait_loadcnt_dscnt 0x0
	s_wait_xcnt 0x0
	v_mul_f32_e32 v12, s28, v12
	s_branch .LBB680_18
.LBB680_15:                             ;   in Loop: Header=BB680_4 Depth=1
	s_wait_xcnt 0x0
	s_mov_b32 s34, 0
                                        ; implicit-def: $vgpr12
	s_cbranch_execnz .LBB680_19
	s_branch .LBB680_40
.LBB680_16:                             ;   in Loop: Header=BB680_4 Depth=1
	s_or_b32 exec_lo, exec_lo, s36
	s_delay_alu instid0(SALU_CYCLE_1)
	s_and_b32 vcc_lo, exec_lo, s35
	s_cbranch_vccnz .LBB680_19
	s_branch .LBB680_40
.LBB680_17:                             ;   in Loop: Header=BB680_4 Depth=1
	v_mov_b32_e32 v12, 0
.LBB680_18:                             ;   in Loop: Header=BB680_4 Depth=1
	s_mov_b32 s34, exec_lo
	s_or_b32 exec_lo, exec_lo, s36
	s_delay_alu instid0(SALU_CYCLE_1)
	s_and_b32 vcc_lo, exec_lo, s35
	s_cbranch_vccz .LBB680_40
.LBB680_19:                             ;   in Loop: Header=BB680_4 Depth=1
	v_add_nc_u64_e32 v[10:11], v[10:11], v[2:3]
	v_mov_b32_e32 v19, 0
	s_delay_alu instid0(VALU_DEP_2)
	v_lshl_add_u64 v[10:11], s[22:23], 1, v[10:11]
	s_and_saveexec_b32 s35, s4
	s_cbranch_execnz .LBB680_28
; %bb.20:                               ;   in Loop: Header=BB680_4 Depth=1
	s_or_b32 exec_lo, exec_lo, s35
	s_and_saveexec_b32 s35, s5
	s_cbranch_execnz .LBB680_43
.LBB680_21:                             ;   in Loop: Header=BB680_4 Depth=1
	s_or_b32 exec_lo, exec_lo, s35
	s_and_saveexec_b32 s35, s1
.LBB680_22:                             ;   in Loop: Header=BB680_4 Depth=1
	ds_store_b32 v15, v3
.LBB680_23:                             ;   in Loop: Header=BB680_4 Depth=1
	s_or_b32 exec_lo, exec_lo, s35
	ds_bpermute_b32 v8, v18, v19
	v_cmp_gt_u32_e32 vcc_lo, 24, v14
	s_wait_dscnt 0x0
	s_barrier_signal -1
	s_barrier_wait -1
	v_cndmask_b32_e64 v9, 0, 8, vcc_lo
	v_cmp_gt_u32_e32 vcc_lo, 28, v14
	s_delay_alu instid0(VALU_DEP_2)
	v_add_lshl_u32 v9, v9, v14, 2
	v_add_f32_e32 v10, v19, v8
	v_cndmask_b32_e64 v8, 0, 4, vcc_lo
	v_cmp_gt_u32_e32 vcc_lo, 30, v14
	ds_bpermute_b32 v9, v9, v10
	v_add_lshl_u32 v8, v8, v14, 2
	s_wait_dscnt 0x0
	v_add_f32_e32 v10, v10, v9
	v_cndmask_b32_e64 v9, 0, 2, vcc_lo
	v_cmp_ne_u32_e32 vcc_lo, 31, v14
	ds_bpermute_b32 v11, v8, v10
	v_add_lshl_u32 v9, v9, v14, 2
	v_add_co_ci_u32_e64 v12, null, 0, v14, vcc_lo
	s_wait_dscnt 0x0
	v_add_f32_e32 v10, v10, v11
	ds_bpermute_b32 v11, v9, v10
	s_wait_dscnt 0x0
	v_dual_add_f32 v11, v10, v11 :: v_dual_lshlrev_b32 v10, 2, v12
	ds_bpermute_b32 v12, v10, v11
	s_and_saveexec_b32 s35, s3
	s_cbranch_execz .LBB680_25
; %bb.24:                               ;   in Loop: Header=BB680_4 Depth=1
	s_wait_dscnt 0x0
	v_add_f32_e32 v11, v11, v12
	ds_store_b32 v16, v11
.LBB680_25:                             ;   in Loop: Header=BB680_4 Depth=1
	s_or_b32 exec_lo, exec_lo, s35
	v_mov_b32_e32 v11, 0
	s_wait_dscnt 0x0
	s_barrier_signal -1
	s_barrier_wait -1
	s_and_saveexec_b32 s35, s2
	s_cbranch_execnz .LBB680_34
; %bb.26:                               ;   in Loop: Header=BB680_4 Depth=1
	s_or_b32 exec_lo, exec_lo, s35
	s_and_saveexec_b32 s35, s1
	s_cbranch_execnz .LBB680_35
.LBB680_27:                             ;   in Loop: Header=BB680_4 Depth=1
	s_or_b32 exec_lo, exec_lo, s35
                                        ; implicit-def: $vgpr12
	s_and_saveexec_b32 s35, s0
	s_cbranch_execnz .LBB680_36
	s_branch .LBB680_39
.LBB680_28:                             ;   in Loop: Header=BB680_4 Depth=1
	s_delay_alu instid0(VALU_DEP_1)
	v_mov_b64_e32 v[12:13], v[10:11]
	v_dual_mov_b32 v19, 0 :: v_dual_mov_b32 v20, v17
	v_mov_b32_e32 v21, v0
	s_mov_b32 s36, 0
	s_branch .LBB680_30
.LBB680_29:                             ;   in Loop: Header=BB680_30 Depth=2
	s_or_b32 exec_lo, exec_lo, s37
	v_add_nc_u32_e32 v21, 0x100, v21
	s_delay_alu instid0(VALU_DEP_2) | instskip(SKIP_2) | instid1(VALU_DEP_4)
	v_and_b32_e32 v22, 0xffff0000, v23
	v_add_nc_u64_e32 v[12:13], 0x200, v[12:13]
	v_add_nc_u32_e32 v20, s33, v20
	v_cmp_le_i32_e32 vcc_lo, s20, v21
	s_delay_alu instid0(VALU_DEP_4) | instskip(SKIP_1) | instid1(SALU_CYCLE_1)
	v_add_f32_e32 v19, v19, v22
	s_or_b32 s36, vcc_lo, s36
	s_and_not1_b32 exec_lo, exec_lo, s36
	s_cbranch_execz .LBB680_42
.LBB680_30:                             ;   Parent Loop BB680_4 Depth=1
                                        ; =>  This Inner Loop Header: Depth=2
	v_readfirstlane_b32 s38, v8
	v_readfirstlane_b32 s39, v9
	flat_load_u16 v22, v[12:13]
	flat_load_u16 v23, v20, s[38:39] scale_offset
	s_wait_loadcnt_dscnt 0x0
	v_dual_lshlrev_b32 v22, 16, v22 :: v_dual_lshlrev_b32 v23, 16, v23
	s_delay_alu instid0(VALU_DEP_1) | instskip(NEXT) | instid1(VALU_DEP_1)
	v_mul_f32_e32 v22, v23, v22
	v_and_b32_e32 v23, 0x7f800000, v22
	s_delay_alu instid0(VALU_DEP_1) | instskip(SKIP_2) | instid1(SALU_CYCLE_1)
	v_cmp_ne_u32_e32 vcc_lo, 0x7f800000, v23
                                        ; implicit-def: $vgpr23
	s_wait_xcnt 0x0
	s_and_saveexec_b32 s37, vcc_lo
	s_xor_b32 s37, exec_lo, s37
; %bb.31:                               ;   in Loop: Header=BB680_30 Depth=2
	v_bfe_u32 v23, v22, 16, 1
	s_delay_alu instid0(VALU_DEP_1)
	v_add3_u32 v23, v22, v23, 0x7fff
                                        ; implicit-def: $vgpr22
; %bb.32:                               ;   in Loop: Header=BB680_30 Depth=2
	s_and_not1_saveexec_b32 s37, s37
	s_cbranch_execz .LBB680_29
; %bb.33:                               ;   in Loop: Header=BB680_30 Depth=2
	v_and_b32_e32 v23, 0xffff, v22
	v_or_b32_e32 v24, 0x10000, v22
	s_delay_alu instid0(VALU_DEP_2) | instskip(NEXT) | instid1(VALU_DEP_2)
	v_cmp_eq_u32_e32 vcc_lo, 0, v23
	v_cndmask_b32_e32 v23, v24, v22, vcc_lo
	s_branch .LBB680_29
.LBB680_34:                             ;   in Loop: Header=BB680_4 Depth=1
	ds_load_b32 v11, v15
	s_or_b32 exec_lo, exec_lo, s35
	s_and_saveexec_b32 s35, s1
	s_cbranch_execz .LBB680_27
.LBB680_35:                             ;   in Loop: Header=BB680_4 Depth=1
	s_wait_dscnt 0x0
	ds_bpermute_b32 v8, v8, v11
	s_wait_dscnt 0x0
	v_add_f32_e32 v8, v11, v8
	ds_bpermute_b32 v9, v9, v8
	s_wait_dscnt 0x0
	v_add_f32_e32 v8, v8, v9
	;; [unrolled: 3-line block ×3, first 2 shown]
	s_or_b32 exec_lo, exec_lo, s35
                                        ; implicit-def: $vgpr12
	s_and_saveexec_b32 s35, s0
	s_cbranch_execz .LBB680_39
.LBB680_36:                             ;   in Loop: Header=BB680_4 Depth=1
	s_wait_dscnt 0x0
	v_mul_f32_e32 v12, s27, v11
	s_and_not1_b32 vcc_lo, exec_lo, s31
	s_cbranch_vccnz .LBB680_38
; %bb.37:                               ;   in Loop: Header=BB680_4 Depth=1
	v_add_nc_u64_e32 v[8:9], s[24:25], v[6:7]
	flat_load_b32 v8, v[8:9]
	s_wait_loadcnt_dscnt 0x0
	v_fmac_f32_e32 v12, s28, v8
.LBB680_38:                             ;   in Loop: Header=BB680_4 Depth=1
	s_or_b32 s34, s34, exec_lo
.LBB680_39:                             ;   in Loop: Header=BB680_4 Depth=1
	s_wait_xcnt 0x0
	s_or_b32 exec_lo, exec_lo, s35
.LBB680_40:                             ;   in Loop: Header=BB680_4 Depth=1
	s_and_saveexec_b32 s35, s34
	s_cbranch_execz .LBB680_2
; %bb.41:                               ;   in Loop: Header=BB680_4 Depth=1
	v_add_nc_u64_e32 v[6:7], s[24:25], v[6:7]
	flat_store_b32 v[6:7], v12
	s_branch .LBB680_2
.LBB680_42:                             ;   in Loop: Header=BB680_4 Depth=1
	s_or_b32 exec_lo, exec_lo, s36
	s_delay_alu instid0(SALU_CYCLE_1)
	s_or_b32 exec_lo, exec_lo, s35
	s_and_saveexec_b32 s35, s5
	s_cbranch_execz .LBB680_21
.LBB680_43:                             ;   in Loop: Header=BB680_4 Depth=1
	v_lshl_add_u64 v[10:11], s[20:21], 1, v[10:11]
	v_lshl_add_u64 v[8:9], v[4:5], 1, v[8:9]
	flat_load_u16 v12, v[10:11]
	flat_load_u16 v13, v[8:9]
	s_wait_loadcnt_dscnt 0x0
	s_wait_xcnt 0x0
	v_dual_lshlrev_b32 v8, 16, v12 :: v_dual_lshlrev_b32 v9, 16, v13
	s_delay_alu instid0(VALU_DEP_1) | instskip(NEXT) | instid1(VALU_DEP_1)
	v_mul_f32_e32 v8, v9, v8
	v_and_b32_e32 v9, 0x7f800000, v8
	s_delay_alu instid0(VALU_DEP_1) | instskip(SKIP_1) | instid1(SALU_CYCLE_1)
	v_cmp_ne_u32_e32 vcc_lo, 0x7f800000, v9
                                        ; implicit-def: $vgpr9
	s_and_saveexec_b32 s36, vcc_lo
	s_xor_b32 s36, exec_lo, s36
; %bb.44:                               ;   in Loop: Header=BB680_4 Depth=1
	v_bfe_u32 v9, v8, 16, 1
	s_delay_alu instid0(VALU_DEP_1)
	v_add3_u32 v9, v8, v9, 0x7fff
                                        ; implicit-def: $vgpr8
; %bb.45:                               ;   in Loop: Header=BB680_4 Depth=1
	s_and_not1_saveexec_b32 s36, s36
; %bb.46:                               ;   in Loop: Header=BB680_4 Depth=1
	v_and_b32_e32 v9, 0xffff, v8
	v_or_b32_e32 v10, 0x10000, v8
	s_delay_alu instid0(VALU_DEP_2) | instskip(NEXT) | instid1(VALU_DEP_2)
	v_cmp_eq_u32_e32 vcc_lo, 0, v9
	v_cndmask_b32_e32 v9, v10, v8, vcc_lo
; %bb.47:                               ;   in Loop: Header=BB680_4 Depth=1
	s_or_b32 exec_lo, exec_lo, s36
	s_delay_alu instid0(VALU_DEP_1) | instskip(NEXT) | instid1(VALU_DEP_1)
	v_and_b32_e32 v8, 0xffff0000, v9
	v_add_f32_e32 v19, v19, v8
	s_or_b32 exec_lo, exec_lo, s35
	s_and_saveexec_b32 s35, s1
	s_cbranch_execnz .LBB680_22
	s_branch .LBB680_23
.LBB680_48:
	s_endpgm
	.section	.rodata,"a",@progbits
	.p2align	6, 0x0
	.amdhsa_kernel _ZL32rocblas_gemvt_warp_reduce_kernelILb0ELi256EiPK16rocblas_bfloat16fKPfEviiT3_lPKT2_lT1_lS8_lS9_lS5_lPT4_lS9_li
		.amdhsa_group_segment_fixed_size 128
		.amdhsa_private_segment_fixed_size 0
		.amdhsa_kernarg_size 140
		.amdhsa_user_sgpr_count 2
		.amdhsa_user_sgpr_dispatch_ptr 0
		.amdhsa_user_sgpr_queue_ptr 0
		.amdhsa_user_sgpr_kernarg_segment_ptr 1
		.amdhsa_user_sgpr_dispatch_id 0
		.amdhsa_user_sgpr_kernarg_preload_length 0
		.amdhsa_user_sgpr_kernarg_preload_offset 0
		.amdhsa_user_sgpr_private_segment_size 0
		.amdhsa_wavefront_size32 1
		.amdhsa_uses_dynamic_stack 0
		.amdhsa_enable_private_segment 0
		.amdhsa_system_sgpr_workgroup_id_x 1
		.amdhsa_system_sgpr_workgroup_id_y 0
		.amdhsa_system_sgpr_workgroup_id_z 1
		.amdhsa_system_sgpr_workgroup_info 0
		.amdhsa_system_vgpr_workitem_id 0
		.amdhsa_next_free_vgpr 25
		.amdhsa_next_free_sgpr 40
		.amdhsa_named_barrier_count 0
		.amdhsa_reserve_vcc 1
		.amdhsa_float_round_mode_32 0
		.amdhsa_float_round_mode_16_64 0
		.amdhsa_float_denorm_mode_32 3
		.amdhsa_float_denorm_mode_16_64 3
		.amdhsa_fp16_overflow 0
		.amdhsa_memory_ordered 1
		.amdhsa_forward_progress 1
		.amdhsa_inst_pref_size 13
		.amdhsa_round_robin_scheduling 0
		.amdhsa_exception_fp_ieee_invalid_op 0
		.amdhsa_exception_fp_denorm_src 0
		.amdhsa_exception_fp_ieee_div_zero 0
		.amdhsa_exception_fp_ieee_overflow 0
		.amdhsa_exception_fp_ieee_underflow 0
		.amdhsa_exception_fp_ieee_inexact 0
		.amdhsa_exception_int_div_zero 0
	.end_amdhsa_kernel
	.section	.text._ZL32rocblas_gemvt_warp_reduce_kernelILb0ELi256EiPK16rocblas_bfloat16fKPfEviiT3_lPKT2_lT1_lS8_lS9_lS5_lPT4_lS9_li,"axG",@progbits,_ZL32rocblas_gemvt_warp_reduce_kernelILb0ELi256EiPK16rocblas_bfloat16fKPfEviiT3_lPKT2_lT1_lS8_lS9_lS5_lPT4_lS9_li,comdat
.Lfunc_end680:
	.size	_ZL32rocblas_gemvt_warp_reduce_kernelILb0ELi256EiPK16rocblas_bfloat16fKPfEviiT3_lPKT2_lT1_lS8_lS9_lS5_lPT4_lS9_li, .Lfunc_end680-_ZL32rocblas_gemvt_warp_reduce_kernelILb0ELi256EiPK16rocblas_bfloat16fKPfEviiT3_lPKT2_lT1_lS8_lS9_lS5_lPT4_lS9_li
                                        ; -- End function
	.set _ZL32rocblas_gemvt_warp_reduce_kernelILb0ELi256EiPK16rocblas_bfloat16fKPfEviiT3_lPKT2_lT1_lS8_lS9_lS5_lPT4_lS9_li.num_vgpr, 25
	.set _ZL32rocblas_gemvt_warp_reduce_kernelILb0ELi256EiPK16rocblas_bfloat16fKPfEviiT3_lPKT2_lT1_lS8_lS9_lS5_lPT4_lS9_li.num_agpr, 0
	.set _ZL32rocblas_gemvt_warp_reduce_kernelILb0ELi256EiPK16rocblas_bfloat16fKPfEviiT3_lPKT2_lT1_lS8_lS9_lS5_lPT4_lS9_li.numbered_sgpr, 40
	.set _ZL32rocblas_gemvt_warp_reduce_kernelILb0ELi256EiPK16rocblas_bfloat16fKPfEviiT3_lPKT2_lT1_lS8_lS9_lS5_lPT4_lS9_li.num_named_barrier, 0
	.set _ZL32rocblas_gemvt_warp_reduce_kernelILb0ELi256EiPK16rocblas_bfloat16fKPfEviiT3_lPKT2_lT1_lS8_lS9_lS5_lPT4_lS9_li.private_seg_size, 0
	.set _ZL32rocblas_gemvt_warp_reduce_kernelILb0ELi256EiPK16rocblas_bfloat16fKPfEviiT3_lPKT2_lT1_lS8_lS9_lS5_lPT4_lS9_li.uses_vcc, 1
	.set _ZL32rocblas_gemvt_warp_reduce_kernelILb0ELi256EiPK16rocblas_bfloat16fKPfEviiT3_lPKT2_lT1_lS8_lS9_lS5_lPT4_lS9_li.uses_flat_scratch, 0
	.set _ZL32rocblas_gemvt_warp_reduce_kernelILb0ELi256EiPK16rocblas_bfloat16fKPfEviiT3_lPKT2_lT1_lS8_lS9_lS5_lPT4_lS9_li.has_dyn_sized_stack, 0
	.set _ZL32rocblas_gemvt_warp_reduce_kernelILb0ELi256EiPK16rocblas_bfloat16fKPfEviiT3_lPKT2_lT1_lS8_lS9_lS5_lPT4_lS9_li.has_recursion, 0
	.set _ZL32rocblas_gemvt_warp_reduce_kernelILb0ELi256EiPK16rocblas_bfloat16fKPfEviiT3_lPKT2_lT1_lS8_lS9_lS5_lPT4_lS9_li.has_indirect_call, 0
	.section	.AMDGPU.csdata,"",@progbits
; Kernel info:
; codeLenInByte = 1664
; TotalNumSgprs: 42
; NumVgprs: 25
; ScratchSize: 0
; MemoryBound: 0
; FloatMode: 240
; IeeeMode: 1
; LDSByteSize: 128 bytes/workgroup (compile time only)
; SGPRBlocks: 0
; VGPRBlocks: 1
; NumSGPRsForWavesPerEU: 42
; NumVGPRsForWavesPerEU: 25
; NamedBarCnt: 0
; Occupancy: 16
; WaveLimiterHint : 1
; COMPUTE_PGM_RSRC2:SCRATCH_EN: 0
; COMPUTE_PGM_RSRC2:USER_SGPR: 2
; COMPUTE_PGM_RSRC2:TRAP_HANDLER: 0
; COMPUTE_PGM_RSRC2:TGID_X_EN: 1
; COMPUTE_PGM_RSRC2:TGID_Y_EN: 0
; COMPUTE_PGM_RSRC2:TGID_Z_EN: 1
; COMPUTE_PGM_RSRC2:TIDIG_COMP_CNT: 0
	.section	.text._ZL32rocblas_gemvt_warp_reduce_kernelILb0ELi256ElPK16rocblas_bfloat16fKPfEviiT3_lPKT2_lT1_lS8_lS9_lS5_lPT4_lS9_li,"axG",@progbits,_ZL32rocblas_gemvt_warp_reduce_kernelILb0ELi256ElPK16rocblas_bfloat16fKPfEviiT3_lPKT2_lT1_lS8_lS9_lS5_lPT4_lS9_li,comdat
	.globl	_ZL32rocblas_gemvt_warp_reduce_kernelILb0ELi256ElPK16rocblas_bfloat16fKPfEviiT3_lPKT2_lT1_lS8_lS9_lS5_lPT4_lS9_li ; -- Begin function _ZL32rocblas_gemvt_warp_reduce_kernelILb0ELi256ElPK16rocblas_bfloat16fKPfEviiT3_lPKT2_lT1_lS8_lS9_lS5_lPT4_lS9_li
	.p2align	8
	.type	_ZL32rocblas_gemvt_warp_reduce_kernelILb0ELi256ElPK16rocblas_bfloat16fKPfEviiT3_lPKT2_lT1_lS8_lS9_lS5_lPT4_lS9_li,@function
_ZL32rocblas_gemvt_warp_reduce_kernelILb0ELi256ElPK16rocblas_bfloat16fKPfEviiT3_lPKT2_lT1_lS8_lS9_lS5_lPT4_lS9_li: ; @_ZL32rocblas_gemvt_warp_reduce_kernelILb0ELi256ElPK16rocblas_bfloat16fKPfEviiT3_lPKT2_lT1_lS8_lS9_lS5_lPT4_lS9_li
; %bb.0:
	s_load_b32 s28, s[0:1], 0x88
	s_bfe_u32 s2, ttmp6, 0x40014
	s_lshr_b32 s3, ttmp7, 16
	s_add_co_i32 s2, s2, 1
	s_bfe_u32 s5, ttmp6, 0x40008
	s_mul_i32 s4, s3, s2
	s_getreg_b32 s2, hwreg(HW_REG_IB_STS2, 6, 4)
	s_add_co_i32 s5, s5, s4
	s_cmp_eq_u32 s2, 0
	s_mov_b32 s7, 0
	s_cselect_b32 s6, s3, s5
	s_wait_kmcnt 0x0
	s_cmp_ge_u32 s6, s28
	s_cbranch_scc1 .LBB681_48
; %bb.1:
	s_clause 0x7
	s_load_b32 s29, s[0:1], 0x8
	s_load_b32 s30, s[0:1], 0x58
	s_load_b128 s[8:11], s[0:1], 0x18
	s_load_b64 s[4:5], s[0:1], 0x28
	s_load_b32 s21, s[0:1], 0x0
	s_load_b128 s[12:15], s[0:1], 0x68
	s_load_b64 s[24:25], s[0:1], 0x48
	s_load_b64 s[22:23], s[0:1], 0x78
	v_mbcnt_lo_u32_b32 v20, -1, 0
	s_delay_alu instid0(VALU_DEP_1)
	v_lshl_or_b32 v21, v20, 2, 64
	s_wait_kmcnt 0x0
	s_cmp_eq_f32 s29, 0
	s_cselect_b32 s31, -1, 0
	s_cmp_neq_f32 s30, 1.0
	s_cselect_b32 s3, -1, 0
	s_cmp_neq_f32 s29, 0
	s_cselect_b32 s16, -1, 0
	s_delay_alu instid0(SALU_CYCLE_1)
	s_or_b32 s33, s16, s3
	s_cmp_neq_f32 s30, 0
	v_cndmask_b32_e64 v18, 0, 1, s16
	s_cselect_b32 s34, -1, 0
	s_bfe_u32 s3, ttmp6, 0x4000c
	s_and_b32 s16, ttmp6, 15
	s_add_co_i32 s3, s3, 1
	s_delay_alu instid0(SALU_CYCLE_1) | instskip(NEXT) | instid1(SALU_CYCLE_1)
	s_mul_i32 s3, ttmp9, s3
	s_add_co_i32 s16, s16, s3
	s_cmp_eq_u32 s2, 0
	s_cselect_b32 s2, ttmp9, s16
	s_load_b128 s[16:19], s[0:1], 0x38
	s_ashr_i32 s3, s21, 31
	v_cmp_gt_i32_e32 vcc_lo, s21, v0
	s_lshr_b32 s3, s3, 24
	s_wait_xcnt 0x0
	v_cmp_eq_u32_e64 s0, 0, v0
	s_add_co_i32 s3, s21, s3
	s_lshl_b64 s[10:11], s[10:11], 1
	s_and_b32 s20, s3, 0xffffff00
	s_delay_alu instid0(SALU_CYCLE_1) | instskip(SKIP_3) | instid1(VALU_DEP_2)
	v_dual_mov_b32 v3, 0 :: v_dual_bitop2_b32 v8, s20, v0 bitop3:0x54
	s_ashr_i32 s3, s2, 31
	v_cndmask_b32_e32 v2, 0, v0, vcc_lo
	s_mul_u64 s[26:27], s[22:23], s[2:3]
	v_dual_mov_b32 v1, v3 :: v_dual_ashrrev_i32 v9, 31, v8
	s_mul_u64 s[22:23], s[4:5], s[2:3]
	v_cmp_gt_i32_e64 s2, s21, v8
	v_cmp_gt_i32_e64 s1, s20, v0
	s_delay_alu instid0(VALU_DEP_3) | instskip(SKIP_4) | instid1(VALU_DEP_3)
	v_mul_u64_e32 v[6:7], s[24:25], v[0:1]
	v_mul_u64_e32 v[4:5], s[24:25], v[8:9]
	v_dual_lshrrev_b32 v8, 3, v0 :: v_dual_bitop2_b32 v9, 31, v0 bitop3:0x40
	v_cmp_gt_u32_e64 s3, 32, v0
	v_cmp_gt_u32_e64 s5, 8, v0
	v_dual_lshlrev_b32 v2, 1, v2 :: v_dual_lshlrev_b32 v1, 2, v9
	v_cmp_eq_u32_e64 s4, 0, v9
	v_and_b32_e32 v19, 28, v8
	s_ashr_i32 s21, s20, 31
	s_lshl_b64 s[24:25], s[24:25], 9
	s_wait_kmcnt 0x0
	s_lshl_b64 s[18:19], s[18:19], 1
	s_lshl_b64 s[14:15], s[14:15], 2
	;; [unrolled: 1-line block ×3, first 2 shown]
	v_lshlrev_b64_e32 v[6:7], 1, v[6:7]
	s_branch .LBB681_4
.LBB681_2:                              ;   in Loop: Header=BB681_4 Depth=1
	s_wait_xcnt 0x0
	s_or_b32 exec_lo, exec_lo, s36
.LBB681_3:                              ;   in Loop: Header=BB681_4 Depth=1
	s_add_co_i32 s6, s6, 0x10000
	s_delay_alu instid0(SALU_CYCLE_1)
	s_cmp_lt_u32 s6, s28
	s_cbranch_scc0 .LBB681_48
.LBB681_4:                              ; =>This Loop Header: Depth=1
                                        ;     Child Loop BB681_30 Depth 2
	s_and_not1_b32 vcc_lo, exec_lo, s33
	s_cbranch_vccnz .LBB681_3
; %bb.5:                                ;   in Loop: Header=BB681_4 Depth=1
	s_and_not1_b32 vcc_lo, exec_lo, s31
	s_cbranch_vccnz .LBB681_7
; %bb.6:                                ;   in Loop: Header=BB681_4 Depth=1
	v_mov_b64_e32 v[10:11], 0
	s_wait_dscnt 0x0
	v_mov_b64_e32 v[12:13], 0
	s_cbranch_execz .LBB681_8
	s_branch .LBB681_9
.LBB681_7:                              ;   in Loop: Header=BB681_4 Depth=1
	v_mov_b64_e32 v[10:11], 0
	s_wait_dscnt 0x0
	v_mov_b64_e32 v[12:13], 0
.LBB681_8:                              ;   in Loop: Header=BB681_4 Depth=1
	s_lshl_b64 s[36:37], s[6:7], 3
	s_delay_alu instid0(SALU_CYCLE_1)
	s_add_nc_u64 s[36:37], s[8:9], s[36:37]
	global_load_b64 v[8:9], v3, s[36:37]
	s_wait_loadcnt 0x0
	v_add_nc_u64_e32 v[12:13], s[10:11], v[8:9]
.LBB681_9:                              ;   in Loop: Header=BB681_4 Depth=1
	v_cmp_ne_u32_e32 vcc_lo, 1, v18
	s_cbranch_vccnz .LBB681_11
; %bb.10:                               ;   in Loop: Header=BB681_4 Depth=1
	s_wait_xcnt 0x0
	s_lshl_b64 s[36:37], s[6:7], 3
	s_delay_alu instid0(SALU_CYCLE_1)
	s_add_nc_u64 s[36:37], s[16:17], s[36:37]
	global_load_b64 v[8:9], v3, s[36:37]
	s_wait_loadcnt 0x0
	v_add_nc_u64_e32 v[10:11], s[18:19], v[8:9]
.LBB681_11:                             ;   in Loop: Header=BB681_4 Depth=1
	s_wait_xcnt 0x0
	s_lshl_b64 s[36:37], s[6:7], 3
	s_and_not1_b32 vcc_lo, exec_lo, s31
	s_add_nc_u64 s[36:37], s[12:13], s[36:37]
	global_load_b64 v[8:9], v3, s[36:37]
	s_wait_loadcnt 0x0
	v_add_nc_u64_e32 v[8:9], s[14:15], v[8:9]
	s_cbranch_vccnz .LBB681_15
; %bb.12:                               ;   in Loop: Header=BB681_4 Depth=1
	s_wait_xcnt 0x0
	s_mov_b32 s36, 0
	s_mov_b32 s35, 0
                                        ; implicit-def: $vgpr14
	s_and_saveexec_b32 s37, s0
	s_cbranch_execz .LBB681_16
; %bb.13:                               ;   in Loop: Header=BB681_4 Depth=1
	s_and_not1_b32 vcc_lo, exec_lo, s34
	s_cbranch_vccnz .LBB681_17
; %bb.14:                               ;   in Loop: Header=BB681_4 Depth=1
	v_add_nc_u64_e32 v[14:15], s[26:27], v[8:9]
	flat_load_b32 v14, v[14:15]
	s_wait_loadcnt_dscnt 0x0
	s_wait_xcnt 0x0
	v_mul_f32_e32 v14, s30, v14
	s_branch .LBB681_18
.LBB681_15:                             ;   in Loop: Header=BB681_4 Depth=1
	s_wait_xcnt 0x0
	s_mov_b32 s35, 0
                                        ; implicit-def: $vgpr14
	s_cbranch_execnz .LBB681_19
	s_branch .LBB681_40
.LBB681_16:                             ;   in Loop: Header=BB681_4 Depth=1
	s_or_b32 exec_lo, exec_lo, s37
	s_delay_alu instid0(SALU_CYCLE_1)
	s_and_b32 vcc_lo, exec_lo, s36
	s_cbranch_vccnz .LBB681_19
	s_branch .LBB681_40
.LBB681_17:                             ;   in Loop: Header=BB681_4 Depth=1
	v_mov_b32_e32 v14, 0
.LBB681_18:                             ;   in Loop: Header=BB681_4 Depth=1
	s_mov_b32 s35, exec_lo
	s_or_b32 exec_lo, exec_lo, s37
	s_delay_alu instid0(SALU_CYCLE_1)
	s_and_b32 vcc_lo, exec_lo, s36
	s_cbranch_vccz .LBB681_40
.LBB681_19:                             ;   in Loop: Header=BB681_4 Depth=1
	v_add_nc_u64_e32 v[12:13], v[12:13], v[2:3]
	v_mov_b32_e32 v22, 0
	s_delay_alu instid0(VALU_DEP_2)
	v_lshl_add_u64 v[12:13], s[22:23], 1, v[12:13]
	s_and_saveexec_b32 s36, s1
	s_cbranch_execnz .LBB681_28
; %bb.20:                               ;   in Loop: Header=BB681_4 Depth=1
	s_or_b32 exec_lo, exec_lo, s36
	s_and_saveexec_b32 s36, s2
	s_cbranch_execnz .LBB681_43
.LBB681_21:                             ;   in Loop: Header=BB681_4 Depth=1
	s_or_b32 exec_lo, exec_lo, s36
	s_and_saveexec_b32 s36, s3
.LBB681_22:                             ;   in Loop: Header=BB681_4 Depth=1
	ds_store_b32 v1, v3
.LBB681_23:                             ;   in Loop: Header=BB681_4 Depth=1
	s_or_b32 exec_lo, exec_lo, s36
	ds_bpermute_b32 v10, v21, v22
	v_cmp_gt_u32_e32 vcc_lo, 24, v20
	s_wait_dscnt 0x0
	s_barrier_signal -1
	s_barrier_wait -1
	v_cndmask_b32_e64 v11, 0, 8, vcc_lo
	v_cmp_gt_u32_e32 vcc_lo, 28, v20
	s_delay_alu instid0(VALU_DEP_2)
	v_add_lshl_u32 v11, v11, v20, 2
	v_add_f32_e32 v12, v22, v10
	v_cndmask_b32_e64 v10, 0, 4, vcc_lo
	v_cmp_gt_u32_e32 vcc_lo, 30, v20
	ds_bpermute_b32 v11, v11, v12
	v_add_lshl_u32 v10, v10, v20, 2
	s_wait_dscnt 0x0
	v_add_f32_e32 v12, v12, v11
	v_cndmask_b32_e64 v11, 0, 2, vcc_lo
	v_cmp_ne_u32_e32 vcc_lo, 31, v20
	ds_bpermute_b32 v13, v10, v12
	v_add_lshl_u32 v11, v11, v20, 2
	v_add_co_ci_u32_e64 v14, null, 0, v20, vcc_lo
	s_wait_dscnt 0x0
	v_add_f32_e32 v12, v12, v13
	ds_bpermute_b32 v13, v11, v12
	s_wait_dscnt 0x0
	v_dual_add_f32 v13, v12, v13 :: v_dual_lshlrev_b32 v12, 2, v14
	ds_bpermute_b32 v14, v12, v13
	s_and_saveexec_b32 s36, s4
	s_cbranch_execz .LBB681_25
; %bb.24:                               ;   in Loop: Header=BB681_4 Depth=1
	s_wait_dscnt 0x0
	v_add_f32_e32 v13, v13, v14
	ds_store_b32 v19, v13
.LBB681_25:                             ;   in Loop: Header=BB681_4 Depth=1
	s_or_b32 exec_lo, exec_lo, s36
	v_mov_b32_e32 v13, 0
	s_wait_dscnt 0x0
	s_barrier_signal -1
	s_barrier_wait -1
	s_and_saveexec_b32 s36, s5
	s_cbranch_execnz .LBB681_34
; %bb.26:                               ;   in Loop: Header=BB681_4 Depth=1
	s_or_b32 exec_lo, exec_lo, s36
	s_and_saveexec_b32 s36, s3
	s_cbranch_execnz .LBB681_35
.LBB681_27:                             ;   in Loop: Header=BB681_4 Depth=1
	s_or_b32 exec_lo, exec_lo, s36
                                        ; implicit-def: $vgpr14
	s_and_saveexec_b32 s36, s0
	s_cbranch_execnz .LBB681_36
	s_branch .LBB681_39
.LBB681_28:                             ;   in Loop: Header=BB681_4 Depth=1
	v_add_nc_u64_e32 v[14:15], v[10:11], v[6:7]
	s_delay_alu instid0(VALU_DEP_2)
	v_mov_b64_e32 v[16:17], v[12:13]
	v_dual_mov_b32 v22, 0 :: v_dual_mov_b32 v23, v0
	s_mov_b32 s37, 0
	s_branch .LBB681_30
.LBB681_29:                             ;   in Loop: Header=BB681_30 Depth=2
	s_or_b32 exec_lo, exec_lo, s38
	s_delay_alu instid0(VALU_DEP_1) | instskip(SKIP_3) | instid1(VALU_DEP_4)
	v_and_b32_e32 v24, 0xffff0000, v25
	v_add_nc_u32_e32 v23, 0x100, v23
	v_add_nc_u64_e32 v[16:17], 0x200, v[16:17]
	v_add_nc_u64_e32 v[14:15], s[24:25], v[14:15]
	v_add_f32_e32 v22, v22, v24
	s_delay_alu instid0(VALU_DEP_4) | instskip(SKIP_1) | instid1(SALU_CYCLE_1)
	v_cmp_le_i32_e32 vcc_lo, s20, v23
	s_or_b32 s37, vcc_lo, s37
	s_and_not1_b32 exec_lo, exec_lo, s37
	s_cbranch_execz .LBB681_42
.LBB681_30:                             ;   Parent Loop BB681_4 Depth=1
                                        ; =>  This Inner Loop Header: Depth=2
	flat_load_u16 v24, v[16:17]
	flat_load_u16 v25, v[14:15]
	s_wait_loadcnt_dscnt 0x0
	v_dual_lshlrev_b32 v24, 16, v24 :: v_dual_lshlrev_b32 v25, 16, v25
	s_delay_alu instid0(VALU_DEP_1) | instskip(NEXT) | instid1(VALU_DEP_1)
	v_mul_f32_e32 v24, v25, v24
	v_and_b32_e32 v25, 0x7f800000, v24
	s_delay_alu instid0(VALU_DEP_1) | instskip(SKIP_2) | instid1(SALU_CYCLE_1)
	v_cmp_ne_u32_e32 vcc_lo, 0x7f800000, v25
                                        ; implicit-def: $vgpr25
	s_wait_xcnt 0x0
	s_and_saveexec_b32 s38, vcc_lo
	s_xor_b32 s38, exec_lo, s38
; %bb.31:                               ;   in Loop: Header=BB681_30 Depth=2
	v_bfe_u32 v25, v24, 16, 1
	s_delay_alu instid0(VALU_DEP_1)
	v_add3_u32 v25, v24, v25, 0x7fff
                                        ; implicit-def: $vgpr24
; %bb.32:                               ;   in Loop: Header=BB681_30 Depth=2
	s_and_not1_saveexec_b32 s38, s38
	s_cbranch_execz .LBB681_29
; %bb.33:                               ;   in Loop: Header=BB681_30 Depth=2
	v_and_b32_e32 v25, 0xffff, v24
	v_or_b32_e32 v26, 0x10000, v24
	s_delay_alu instid0(VALU_DEP_2) | instskip(NEXT) | instid1(VALU_DEP_2)
	v_cmp_eq_u32_e32 vcc_lo, 0, v25
	v_cndmask_b32_e32 v25, v26, v24, vcc_lo
	s_branch .LBB681_29
.LBB681_34:                             ;   in Loop: Header=BB681_4 Depth=1
	ds_load_b32 v13, v1
	s_or_b32 exec_lo, exec_lo, s36
	s_and_saveexec_b32 s36, s3
	s_cbranch_execz .LBB681_27
.LBB681_35:                             ;   in Loop: Header=BB681_4 Depth=1
	s_wait_dscnt 0x0
	ds_bpermute_b32 v10, v10, v13
	s_wait_dscnt 0x0
	v_add_f32_e32 v10, v13, v10
	ds_bpermute_b32 v11, v11, v10
	s_wait_dscnt 0x0
	v_add_f32_e32 v10, v10, v11
	;; [unrolled: 3-line block ×3, first 2 shown]
	s_or_b32 exec_lo, exec_lo, s36
                                        ; implicit-def: $vgpr14
	s_and_saveexec_b32 s36, s0
	s_cbranch_execz .LBB681_39
.LBB681_36:                             ;   in Loop: Header=BB681_4 Depth=1
	s_wait_dscnt 0x0
	v_mul_f32_e32 v14, s29, v13
	s_and_not1_b32 vcc_lo, exec_lo, s34
	s_cbranch_vccnz .LBB681_38
; %bb.37:                               ;   in Loop: Header=BB681_4 Depth=1
	v_add_nc_u64_e32 v[10:11], s[26:27], v[8:9]
	flat_load_b32 v10, v[10:11]
	s_wait_loadcnt_dscnt 0x0
	v_fmac_f32_e32 v14, s30, v10
.LBB681_38:                             ;   in Loop: Header=BB681_4 Depth=1
	s_or_b32 s35, s35, exec_lo
.LBB681_39:                             ;   in Loop: Header=BB681_4 Depth=1
	s_wait_xcnt 0x0
	s_or_b32 exec_lo, exec_lo, s36
.LBB681_40:                             ;   in Loop: Header=BB681_4 Depth=1
	s_and_saveexec_b32 s36, s35
	s_cbranch_execz .LBB681_2
; %bb.41:                               ;   in Loop: Header=BB681_4 Depth=1
	v_add_nc_u64_e32 v[8:9], s[26:27], v[8:9]
	flat_store_b32 v[8:9], v14
	s_branch .LBB681_2
.LBB681_42:                             ;   in Loop: Header=BB681_4 Depth=1
	s_or_b32 exec_lo, exec_lo, s37
	s_delay_alu instid0(SALU_CYCLE_1)
	s_or_b32 exec_lo, exec_lo, s36
	s_and_saveexec_b32 s36, s2
	s_cbranch_execz .LBB681_21
.LBB681_43:                             ;   in Loop: Header=BB681_4 Depth=1
	v_lshl_add_u64 v[12:13], s[20:21], 1, v[12:13]
	v_lshl_add_u64 v[10:11], v[4:5], 1, v[10:11]
	flat_load_u16 v14, v[12:13]
	flat_load_u16 v15, v[10:11]
	s_wait_loadcnt_dscnt 0x0
	s_wait_xcnt 0x0
	v_dual_lshlrev_b32 v10, 16, v14 :: v_dual_lshlrev_b32 v11, 16, v15
	s_delay_alu instid0(VALU_DEP_1) | instskip(NEXT) | instid1(VALU_DEP_1)
	v_mul_f32_e32 v10, v11, v10
	v_and_b32_e32 v11, 0x7f800000, v10
	s_delay_alu instid0(VALU_DEP_1) | instskip(SKIP_1) | instid1(SALU_CYCLE_1)
	v_cmp_ne_u32_e32 vcc_lo, 0x7f800000, v11
                                        ; implicit-def: $vgpr11
	s_and_saveexec_b32 s37, vcc_lo
	s_xor_b32 s37, exec_lo, s37
; %bb.44:                               ;   in Loop: Header=BB681_4 Depth=1
	v_bfe_u32 v11, v10, 16, 1
	s_delay_alu instid0(VALU_DEP_1)
	v_add3_u32 v11, v10, v11, 0x7fff
                                        ; implicit-def: $vgpr10
; %bb.45:                               ;   in Loop: Header=BB681_4 Depth=1
	s_and_not1_saveexec_b32 s37, s37
; %bb.46:                               ;   in Loop: Header=BB681_4 Depth=1
	v_and_b32_e32 v11, 0xffff, v10
	v_or_b32_e32 v12, 0x10000, v10
	s_delay_alu instid0(VALU_DEP_2) | instskip(NEXT) | instid1(VALU_DEP_2)
	v_cmp_eq_u32_e32 vcc_lo, 0, v11
	v_cndmask_b32_e32 v11, v12, v10, vcc_lo
; %bb.47:                               ;   in Loop: Header=BB681_4 Depth=1
	s_or_b32 exec_lo, exec_lo, s37
	s_delay_alu instid0(VALU_DEP_1) | instskip(NEXT) | instid1(VALU_DEP_1)
	v_and_b32_e32 v10, 0xffff0000, v11
	v_add_f32_e32 v22, v22, v10
	s_or_b32 exec_lo, exec_lo, s36
	s_and_saveexec_b32 s36, s3
	s_cbranch_execnz .LBB681_22
	s_branch .LBB681_23
.LBB681_48:
	s_endpgm
	.section	.rodata,"a",@progbits
	.p2align	6, 0x0
	.amdhsa_kernel _ZL32rocblas_gemvt_warp_reduce_kernelILb0ELi256ElPK16rocblas_bfloat16fKPfEviiT3_lPKT2_lT1_lS8_lS9_lS5_lPT4_lS9_li
		.amdhsa_group_segment_fixed_size 128
		.amdhsa_private_segment_fixed_size 0
		.amdhsa_kernarg_size 140
		.amdhsa_user_sgpr_count 2
		.amdhsa_user_sgpr_dispatch_ptr 0
		.amdhsa_user_sgpr_queue_ptr 0
		.amdhsa_user_sgpr_kernarg_segment_ptr 1
		.amdhsa_user_sgpr_dispatch_id 0
		.amdhsa_user_sgpr_kernarg_preload_length 0
		.amdhsa_user_sgpr_kernarg_preload_offset 0
		.amdhsa_user_sgpr_private_segment_size 0
		.amdhsa_wavefront_size32 1
		.amdhsa_uses_dynamic_stack 0
		.amdhsa_enable_private_segment 0
		.amdhsa_system_sgpr_workgroup_id_x 1
		.amdhsa_system_sgpr_workgroup_id_y 0
		.amdhsa_system_sgpr_workgroup_id_z 1
		.amdhsa_system_sgpr_workgroup_info 0
		.amdhsa_system_vgpr_workitem_id 0
		.amdhsa_next_free_vgpr 27
		.amdhsa_next_free_sgpr 39
		.amdhsa_named_barrier_count 0
		.amdhsa_reserve_vcc 1
		.amdhsa_float_round_mode_32 0
		.amdhsa_float_round_mode_16_64 0
		.amdhsa_float_denorm_mode_32 3
		.amdhsa_float_denorm_mode_16_64 3
		.amdhsa_fp16_overflow 0
		.amdhsa_memory_ordered 1
		.amdhsa_forward_progress 1
		.amdhsa_inst_pref_size 14
		.amdhsa_round_robin_scheduling 0
		.amdhsa_exception_fp_ieee_invalid_op 0
		.amdhsa_exception_fp_denorm_src 0
		.amdhsa_exception_fp_ieee_div_zero 0
		.amdhsa_exception_fp_ieee_overflow 0
		.amdhsa_exception_fp_ieee_underflow 0
		.amdhsa_exception_fp_ieee_inexact 0
		.amdhsa_exception_int_div_zero 0
	.end_amdhsa_kernel
	.section	.text._ZL32rocblas_gemvt_warp_reduce_kernelILb0ELi256ElPK16rocblas_bfloat16fKPfEviiT3_lPKT2_lT1_lS8_lS9_lS5_lPT4_lS9_li,"axG",@progbits,_ZL32rocblas_gemvt_warp_reduce_kernelILb0ELi256ElPK16rocblas_bfloat16fKPfEviiT3_lPKT2_lT1_lS8_lS9_lS5_lPT4_lS9_li,comdat
.Lfunc_end681:
	.size	_ZL32rocblas_gemvt_warp_reduce_kernelILb0ELi256ElPK16rocblas_bfloat16fKPfEviiT3_lPKT2_lT1_lS8_lS9_lS5_lPT4_lS9_li, .Lfunc_end681-_ZL32rocblas_gemvt_warp_reduce_kernelILb0ELi256ElPK16rocblas_bfloat16fKPfEviiT3_lPKT2_lT1_lS8_lS9_lS5_lPT4_lS9_li
                                        ; -- End function
	.set _ZL32rocblas_gemvt_warp_reduce_kernelILb0ELi256ElPK16rocblas_bfloat16fKPfEviiT3_lPKT2_lT1_lS8_lS9_lS5_lPT4_lS9_li.num_vgpr, 27
	.set _ZL32rocblas_gemvt_warp_reduce_kernelILb0ELi256ElPK16rocblas_bfloat16fKPfEviiT3_lPKT2_lT1_lS8_lS9_lS5_lPT4_lS9_li.num_agpr, 0
	.set _ZL32rocblas_gemvt_warp_reduce_kernelILb0ELi256ElPK16rocblas_bfloat16fKPfEviiT3_lPKT2_lT1_lS8_lS9_lS5_lPT4_lS9_li.numbered_sgpr, 39
	.set _ZL32rocblas_gemvt_warp_reduce_kernelILb0ELi256ElPK16rocblas_bfloat16fKPfEviiT3_lPKT2_lT1_lS8_lS9_lS5_lPT4_lS9_li.num_named_barrier, 0
	.set _ZL32rocblas_gemvt_warp_reduce_kernelILb0ELi256ElPK16rocblas_bfloat16fKPfEviiT3_lPKT2_lT1_lS8_lS9_lS5_lPT4_lS9_li.private_seg_size, 0
	.set _ZL32rocblas_gemvt_warp_reduce_kernelILb0ELi256ElPK16rocblas_bfloat16fKPfEviiT3_lPKT2_lT1_lS8_lS9_lS5_lPT4_lS9_li.uses_vcc, 1
	.set _ZL32rocblas_gemvt_warp_reduce_kernelILb0ELi256ElPK16rocblas_bfloat16fKPfEviiT3_lPKT2_lT1_lS8_lS9_lS5_lPT4_lS9_li.uses_flat_scratch, 0
	.set _ZL32rocblas_gemvt_warp_reduce_kernelILb0ELi256ElPK16rocblas_bfloat16fKPfEviiT3_lPKT2_lT1_lS8_lS9_lS5_lPT4_lS9_li.has_dyn_sized_stack, 0
	.set _ZL32rocblas_gemvt_warp_reduce_kernelILb0ELi256ElPK16rocblas_bfloat16fKPfEviiT3_lPKT2_lT1_lS8_lS9_lS5_lPT4_lS9_li.has_recursion, 0
	.set _ZL32rocblas_gemvt_warp_reduce_kernelILb0ELi256ElPK16rocblas_bfloat16fKPfEviiT3_lPKT2_lT1_lS8_lS9_lS5_lPT4_lS9_li.has_indirect_call, 0
	.section	.AMDGPU.csdata,"",@progbits
; Kernel info:
; codeLenInByte = 1668
; TotalNumSgprs: 41
; NumVgprs: 27
; ScratchSize: 0
; MemoryBound: 0
; FloatMode: 240
; IeeeMode: 1
; LDSByteSize: 128 bytes/workgroup (compile time only)
; SGPRBlocks: 0
; VGPRBlocks: 1
; NumSGPRsForWavesPerEU: 41
; NumVGPRsForWavesPerEU: 27
; NamedBarCnt: 0
; Occupancy: 16
; WaveLimiterHint : 1
; COMPUTE_PGM_RSRC2:SCRATCH_EN: 0
; COMPUTE_PGM_RSRC2:USER_SGPR: 2
; COMPUTE_PGM_RSRC2:TRAP_HANDLER: 0
; COMPUTE_PGM_RSRC2:TGID_X_EN: 1
; COMPUTE_PGM_RSRC2:TGID_Y_EN: 0
; COMPUTE_PGM_RSRC2:TGID_Z_EN: 1
; COMPUTE_PGM_RSRC2:TIDIG_COMP_CNT: 0
	.section	.text._ZL20rocblas_gemvt_kernelILb0ELi256EPK16rocblas_bfloat16PKfKPfEviiT2_lPKT1_lilSA_lilS7_lPT3_lili,"axG",@progbits,_ZL20rocblas_gemvt_kernelILb0ELi256EPK16rocblas_bfloat16PKfKPfEviiT2_lPKT1_lilSA_lilS7_lPT3_lili,comdat
	.globl	_ZL20rocblas_gemvt_kernelILb0ELi256EPK16rocblas_bfloat16PKfKPfEviiT2_lPKT1_lilSA_lilS7_lPT3_lili ; -- Begin function _ZL20rocblas_gemvt_kernelILb0ELi256EPK16rocblas_bfloat16PKfKPfEviiT2_lPKT1_lilSA_lilS7_lPT3_lili
	.p2align	8
	.type	_ZL20rocblas_gemvt_kernelILb0ELi256EPK16rocblas_bfloat16PKfKPfEviiT2_lPKT1_lilSA_lilS7_lPT3_lili,@function
_ZL20rocblas_gemvt_kernelILb0ELi256EPK16rocblas_bfloat16PKfKPfEviiT2_lPKT1_lilSA_lilS7_lPT3_lili: ; @_ZL20rocblas_gemvt_kernelILb0ELi256EPK16rocblas_bfloat16PKfKPfEviiT2_lPKT1_lilSA_lilS7_lPT3_lili
; %bb.0:
	s_load_b32 s11, s[0:1], 0x88
	s_bfe_u32 s2, ttmp6, 0x40014
	s_lshr_b32 s3, ttmp7, 16
	s_add_co_i32 s2, s2, 1
	s_bfe_u32 s5, ttmp6, 0x40008
	s_mul_i32 s4, s3, s2
	s_getreg_b32 s2, hwreg(HW_REG_IB_STS2, 6, 4)
	s_add_co_i32 s5, s5, s4
	s_cmp_eq_u32 s2, 0
	s_mov_b32 s35, 0
	s_cselect_b32 s34, s3, s5
	s_wait_kmcnt 0x0
	s_cmp_ge_u32 s34, s11
	s_cbranch_scc1 .LBB682_53
; %bb.1:
	s_clause 0x3
	s_load_b32 s4, s[0:1], 0x28
	s_load_b32 s40, s[0:1], 0x48
	;; [unrolled: 1-line block ×4, first 2 shown]
	s_bfe_u32 s3, ttmp6, 0x4000c
	s_and_b32 s5, ttmp6, 15
	s_add_co_i32 s3, s3, 1
	s_load_b128 s[28:31], s[0:1], 0x38
	s_mul_i32 s3, ttmp9, s3
	s_clause 0x1
	s_load_b256 s[12:19], s[0:1], 0x8
	s_load_b256 s[20:27], s[0:1], 0x58
	s_add_co_i32 s3, s5, s3
	s_wait_xcnt 0x0
	v_cmp_eq_u32_e64 s0, 0, v0
	v_lshlrev_b32_e32 v16, 2, v0
	s_wait_kmcnt 0x0
	s_ashr_i32 s5, s4, 31
	s_ashr_i32 s41, s40, 31
	;; [unrolled: 1-line block ×3, first 2 shown]
	s_cmp_eq_u32 s2, 0
	v_cmp_gt_i32_e32 vcc_lo, s8, v0
	s_cselect_b32 s2, ttmp9, s3
	s_ashr_i32 s3, s8, 31
	s_delay_alu instid0(SALU_CYCLE_1) | instskip(SKIP_2) | instid1(SALU_CYCLE_1)
	s_lshr_b32 s3, s3, 24
	v_cndmask_b32_e32 v8, 0, v0, vcc_lo
	s_add_co_i32 s3, s8, s3
	s_and_b32 s36, s3, 0xffffff00
	s_delay_alu instid0(SALU_CYCLE_1) | instskip(SKIP_3) | instid1(VALU_DEP_1)
	v_dual_mov_b32 v1, 0 :: v_dual_bitop2_b32 v4, s36, v0 bitop3:0x54
	s_ashr_i32 s3, s2, 31
	s_cmp_gt_i32 s8, 0xff
	s_mul_u64 s[42:43], s[6:7], s[2:3]
	v_mul_u64_e32 v[6:7], s[40:41], v[0:1]
	v_ashrrev_i32_e32 v5, 31, v4
	v_cmp_gt_i32_e64 s1, s8, v4
	s_mul_u64 s[38:39], s[4:5], s[2:3]
	v_cmp_gt_u32_e64 s2, 0x80, v0
	v_cmp_gt_u32_e64 s3, 64, v0
	v_mul_u64_e32 v[2:3], s[40:41], v[4:5]
	v_cmp_gt_u32_e64 s4, 32, v0
	v_cmp_gt_u32_e64 s5, 16, v0
	v_cmp_gt_u32_e64 s6, 8, v0
	v_cmp_gt_u32_e64 s7, 4, v0
	v_cmp_gt_u32_e64 s8, 2, v0
	v_lshlrev_b32_e32 v0, 1, v8
	s_cselect_b32 s33, -1, 0
	s_ashr_i32 s37, s36, 31
	s_lshl_b64 s[40:41], s[40:41], 9
	s_lshl_b64 s[18:19], s[18:19], 1
	;; [unrolled: 1-line block ×5, first 2 shown]
	v_lshlrev_b64_e32 v[4:5], 1, v[6:7]
	s_branch .LBB682_4
.LBB682_2:                              ;   in Loop: Header=BB682_4 Depth=1
	s_wait_xcnt 0x0
	s_or_b32 exec_lo, exec_lo, s10
.LBB682_3:                              ;   in Loop: Header=BB682_4 Depth=1
	s_add_co_i32 s34, s34, 0x10000
	s_delay_alu instid0(SALU_CYCLE_1)
	s_cmp_lt_u32 s34, s11
	s_cbranch_scc0 .LBB682_53
.LBB682_4:                              ; =>This Loop Header: Depth=1
                                        ;     Child Loop BB682_20 Depth 2
	s_mul_u64 s[44:45], s[14:15], s[34:35]
	s_wait_xcnt 0x0
	s_mul_u64 s[46:47], s[22:23], s[34:35]
	s_lshl_b64 s[44:45], s[44:45], 2
	s_lshl_b64 s[46:47], s[46:47], 2
	s_add_nc_u64 s[44:45], s[12:13], s[44:45]
	s_add_nc_u64 s[46:47], s[20:21], s[46:47]
	s_clause 0x1
	global_load_b32 v17, v1, s[44:45]
	global_load_b32 v6, v1, s[46:47]
	s_wait_loadcnt 0x1
	v_cmp_eq_f32_e64 s9, 0, v17
	s_wait_loadcnt 0x0
	v_cmp_eq_f32_e32 vcc_lo, 1.0, v6
	s_wait_xcnt 0x1
	v_readfirstlane_b32 s44, v6
	s_and_b32 s10, s9, vcc_lo
	s_delay_alu instid0(SALU_CYCLE_1)
	s_and_b32 vcc_lo, exec_lo, s10
	s_cbranch_vccnz .LBB682_3
; %bb.5:                                ;   in Loop: Header=BB682_4 Depth=1
	v_mov_b64_e32 v[8:9], 0
	v_mov_b64_e32 v[10:11], 0
	v_cmp_neq_f32_e64 s10, 0, v17
	s_and_b32 vcc_lo, exec_lo, s9
	s_cbranch_vccnz .LBB682_7
; %bb.6:                                ;   in Loop: Header=BB682_4 Depth=1
	s_wait_xcnt 0x0
	s_lshl_b64 s[46:47], s[34:35], 3
	s_delay_alu instid0(SALU_CYCLE_1)
	s_add_nc_u64 s[46:47], s[16:17], s[46:47]
	global_load_b64 v[6:7], v1, s[46:47]
	s_wait_loadcnt 0x0
	v_add_nc_u64_e32 v[10:11], s[18:19], v[6:7]
.LBB682_7:                              ;   in Loop: Header=BB682_4 Depth=1
	s_and_not1_b32 vcc_lo, exec_lo, s10
	s_cbranch_vccnz .LBB682_9
; %bb.8:                                ;   in Loop: Header=BB682_4 Depth=1
	s_wait_xcnt 0x0
	s_lshl_b64 s[46:47], s[34:35], 3
	s_delay_alu instid0(SALU_CYCLE_1)
	s_add_nc_u64 s[46:47], s[28:29], s[46:47]
	global_load_b64 v[6:7], v1, s[46:47]
	s_wait_loadcnt 0x0
	v_add_nc_u64_e32 v[8:9], s[30:31], v[6:7]
.LBB682_9:                              ;   in Loop: Header=BB682_4 Depth=1
	s_wait_xcnt 0x0
	s_lshl_b64 s[46:47], s[34:35], 3
	s_and_not1_b32 vcc_lo, exec_lo, s9
	s_add_nc_u64 s[46:47], s[24:25], s[46:47]
	global_load_b64 v[6:7], v1, s[46:47]
	s_wait_loadcnt 0x0
	v_add_nc_u64_e32 v[6:7], s[26:27], v[6:7]
	s_cbranch_vccnz .LBB682_13
; %bb.10:                               ;   in Loop: Header=BB682_4 Depth=1
	s_mov_b32 s10, 0
	s_mov_b32 s9, 0
                                        ; implicit-def: $vgpr12
	s_wait_xcnt 0x0
	s_and_saveexec_b32 s45, s0
	s_cbranch_execz .LBB682_14
; %bb.11:                               ;   in Loop: Header=BB682_4 Depth=1
	s_cmp_eq_f32 s44, 0
	s_cbranch_scc1 .LBB682_15
; %bb.12:                               ;   in Loop: Header=BB682_4 Depth=1
	v_add_nc_u64_e32 v[12:13], s[42:43], v[6:7]
	flat_load_b32 v12, v[12:13]
	s_wait_loadcnt_dscnt 0x0
	s_wait_xcnt 0x0
	v_mul_f32_e32 v12, s44, v12
	s_branch .LBB682_16
.LBB682_13:                             ;   in Loop: Header=BB682_4 Depth=1
	s_mov_b32 s9, 0
                                        ; implicit-def: $vgpr12
	s_cbranch_execnz .LBB682_17
	s_branch .LBB682_51
.LBB682_14:                             ;   in Loop: Header=BB682_4 Depth=1
	s_or_b32 exec_lo, exec_lo, s45
	s_delay_alu instid0(SALU_CYCLE_1)
	s_and_b32 vcc_lo, exec_lo, s10
	s_cbranch_vccnz .LBB682_17
	s_branch .LBB682_51
.LBB682_15:                             ;   in Loop: Header=BB682_4 Depth=1
	v_mov_b32_e32 v12, 0
.LBB682_16:                             ;   in Loop: Header=BB682_4 Depth=1
	s_mov_b32 s9, exec_lo
	s_or_b32 exec_lo, exec_lo, s45
	s_delay_alu instid0(SALU_CYCLE_1)
	s_and_b32 vcc_lo, exec_lo, s10
	s_cbranch_vccz .LBB682_51
.LBB682_17:                             ;   in Loop: Header=BB682_4 Depth=1
	v_add_nc_u64_e32 v[10:11], v[10:11], v[0:1]
	v_mov_b32_e32 v18, 0
	s_and_not1_b32 vcc_lo, exec_lo, s33
	s_delay_alu instid0(VALU_DEP_2)
	v_lshl_add_u64 v[10:11], s[38:39], 1, v[10:11]
	s_cbranch_vccnz .LBB682_24
; %bb.18:                               ;   in Loop: Header=BB682_4 Depth=1
	v_add_nc_u64_e32 v[12:13], v[8:9], v[4:5]
	s_delay_alu instid0(VALU_DEP_2)
	v_mov_b64_e32 v[14:15], v[10:11]
	v_mov_b32_e32 v18, 0
	s_mov_b32 s10, 0
	s_branch .LBB682_20
.LBB682_19:                             ;   in Loop: Header=BB682_20 Depth=2
	s_or_b32 exec_lo, exec_lo, s45
	s_delay_alu instid0(VALU_DEP_1) | instskip(SKIP_3) | instid1(SALU_CYCLE_1)
	v_and_b32_e32 v19, 0xffff0000, v20
	v_add_nc_u64_e32 v[12:13], s[40:41], v[12:13]
	v_add_nc_u64_e32 v[14:15], 0x200, v[14:15]
	s_addk_co_i32 s10, 0x100
	s_cmp_ge_i32 s10, s36
	v_add_f32_e32 v18, v18, v19
	s_cbranch_scc1 .LBB682_24
.LBB682_20:                             ;   Parent Loop BB682_4 Depth=1
                                        ; =>  This Inner Loop Header: Depth=2
	flat_load_u16 v19, v[14:15]
	flat_load_u16 v20, v[12:13]
	s_wait_loadcnt_dscnt 0x0
	v_dual_lshlrev_b32 v19, 16, v19 :: v_dual_lshlrev_b32 v20, 16, v20
	s_delay_alu instid0(VALU_DEP_1) | instskip(NEXT) | instid1(VALU_DEP_1)
	v_mul_f32_e32 v19, v20, v19
	v_and_b32_e32 v20, 0x7f800000, v19
	s_delay_alu instid0(VALU_DEP_1) | instskip(SKIP_2) | instid1(SALU_CYCLE_1)
	v_cmp_ne_u32_e32 vcc_lo, 0x7f800000, v20
                                        ; implicit-def: $vgpr20
	s_wait_xcnt 0x0
	s_and_saveexec_b32 s45, vcc_lo
	s_xor_b32 s45, exec_lo, s45
; %bb.21:                               ;   in Loop: Header=BB682_20 Depth=2
	v_bfe_u32 v20, v19, 16, 1
	s_delay_alu instid0(VALU_DEP_1)
	v_add3_u32 v20, v19, v20, 0x7fff
                                        ; implicit-def: $vgpr19
; %bb.22:                               ;   in Loop: Header=BB682_20 Depth=2
	s_and_not1_saveexec_b32 s45, s45
	s_cbranch_execz .LBB682_19
; %bb.23:                               ;   in Loop: Header=BB682_20 Depth=2
	v_and_b32_e32 v20, 0xffff, v19
	v_or_b32_e32 v21, 0x10000, v19
	s_delay_alu instid0(VALU_DEP_2) | instskip(NEXT) | instid1(VALU_DEP_2)
	v_cmp_eq_u32_e32 vcc_lo, 0, v20
	v_cndmask_b32_e32 v20, v21, v19, vcc_lo
	s_branch .LBB682_19
.LBB682_24:                             ;   in Loop: Header=BB682_4 Depth=1
	s_wait_xcnt 0x0
	s_and_saveexec_b32 s10, s1
	s_cbranch_execz .LBB682_30
; %bb.25:                               ;   in Loop: Header=BB682_4 Depth=1
	v_lshl_add_u64 v[10:11], s[36:37], 1, v[10:11]
	v_lshl_add_u64 v[8:9], v[2:3], 1, v[8:9]
	flat_load_u16 v12, v[10:11]
	flat_load_u16 v13, v[8:9]
	s_wait_loadcnt_dscnt 0x0
	s_wait_xcnt 0x0
	v_dual_lshlrev_b32 v8, 16, v12 :: v_dual_lshlrev_b32 v9, 16, v13
	s_delay_alu instid0(VALU_DEP_1) | instskip(NEXT) | instid1(VALU_DEP_1)
	v_mul_f32_e32 v8, v9, v8
	v_and_b32_e32 v9, 0x7f800000, v8
	s_delay_alu instid0(VALU_DEP_1) | instskip(SKIP_1) | instid1(SALU_CYCLE_1)
	v_cmp_ne_u32_e32 vcc_lo, 0x7f800000, v9
                                        ; implicit-def: $vgpr9
	s_and_saveexec_b32 s45, vcc_lo
	s_xor_b32 s45, exec_lo, s45
; %bb.26:                               ;   in Loop: Header=BB682_4 Depth=1
	v_bfe_u32 v9, v8, 16, 1
	s_delay_alu instid0(VALU_DEP_1)
	v_add3_u32 v9, v8, v9, 0x7fff
                                        ; implicit-def: $vgpr8
; %bb.27:                               ;   in Loop: Header=BB682_4 Depth=1
	s_and_not1_saveexec_b32 s45, s45
; %bb.28:                               ;   in Loop: Header=BB682_4 Depth=1
	v_and_b32_e32 v9, 0xffff, v8
	v_or_b32_e32 v10, 0x10000, v8
	s_delay_alu instid0(VALU_DEP_2) | instskip(NEXT) | instid1(VALU_DEP_2)
	v_cmp_eq_u32_e32 vcc_lo, 0, v9
	v_cndmask_b32_e32 v9, v10, v8, vcc_lo
; %bb.29:                               ;   in Loop: Header=BB682_4 Depth=1
	s_or_b32 exec_lo, exec_lo, s45
	s_delay_alu instid0(VALU_DEP_1) | instskip(NEXT) | instid1(VALU_DEP_1)
	v_and_b32_e32 v8, 0xffff0000, v9
	v_add_f32_e32 v18, v18, v8
.LBB682_30:                             ;   in Loop: Header=BB682_4 Depth=1
	s_or_b32 exec_lo, exec_lo, s10
	ds_store_b32 v16, v18
	s_wait_dscnt 0x0
	s_barrier_signal -1
	s_barrier_wait -1
	s_and_saveexec_b32 s10, s2
	s_cbranch_execz .LBB682_32
; %bb.31:                               ;   in Loop: Header=BB682_4 Depth=1
	ds_load_2addr_stride64_b32 v[8:9], v16 offset1:2
	s_wait_dscnt 0x0
	v_add_f32_e32 v8, v9, v8
	ds_store_b32 v16, v8
.LBB682_32:                             ;   in Loop: Header=BB682_4 Depth=1
	s_or_b32 exec_lo, exec_lo, s10
	s_wait_dscnt 0x0
	s_barrier_signal -1
	s_barrier_wait -1
	s_and_saveexec_b32 s10, s3
	s_cbranch_execz .LBB682_34
; %bb.33:                               ;   in Loop: Header=BB682_4 Depth=1
	ds_load_2addr_stride64_b32 v[8:9], v16 offset1:1
	s_wait_dscnt 0x0
	v_add_f32_e32 v8, v9, v8
	ds_store_b32 v16, v8
.LBB682_34:                             ;   in Loop: Header=BB682_4 Depth=1
	s_or_b32 exec_lo, exec_lo, s10
	s_wait_dscnt 0x0
	s_barrier_signal -1
	s_barrier_wait -1
	s_and_saveexec_b32 s10, s4
	s_cbranch_execz .LBB682_36
; %bb.35:                               ;   in Loop: Header=BB682_4 Depth=1
	ds_load_2addr_b32 v[8:9], v16 offset1:32
	s_wait_dscnt 0x0
	v_add_f32_e32 v8, v9, v8
	ds_store_b32 v16, v8
.LBB682_36:                             ;   in Loop: Header=BB682_4 Depth=1
	s_or_b32 exec_lo, exec_lo, s10
	s_wait_dscnt 0x0
	s_barrier_signal -1
	s_barrier_wait -1
	s_and_saveexec_b32 s10, s5
	s_cbranch_execz .LBB682_38
; %bb.37:                               ;   in Loop: Header=BB682_4 Depth=1
	ds_load_2addr_b32 v[8:9], v16 offset1:16
	s_wait_dscnt 0x0
	v_add_f32_e32 v8, v9, v8
	ds_store_b32 v16, v8
.LBB682_38:                             ;   in Loop: Header=BB682_4 Depth=1
	;; [unrolled: 12-line block ×5, first 2 shown]
	s_or_b32 exec_lo, exec_lo, s10
	s_wait_dscnt 0x0
	s_barrier_signal -1
	s_barrier_wait -1
	s_and_saveexec_b32 s10, s0
	s_cbranch_execz .LBB682_46
; %bb.45:                               ;   in Loop: Header=BB682_4 Depth=1
	ds_load_b64 v[8:9], v1
	s_wait_dscnt 0x0
	v_add_f32_e32 v8, v9, v8
	ds_store_b32 v1, v8
.LBB682_46:                             ;   in Loop: Header=BB682_4 Depth=1
	s_or_b32 exec_lo, exec_lo, s10
	s_wait_dscnt 0x0
	s_barrier_signal -1
	s_barrier_wait -1
                                        ; implicit-def: $vgpr12
	s_and_saveexec_b32 s10, s0
	s_cbranch_execz .LBB682_50
; %bb.47:                               ;   in Loop: Header=BB682_4 Depth=1
	ds_load_b32 v8, v1
	s_cmp_eq_f32 s44, 0
	s_wait_dscnt 0x0
	v_mul_f32_e32 v12, v17, v8
	s_cbranch_scc1 .LBB682_49
; %bb.48:                               ;   in Loop: Header=BB682_4 Depth=1
	v_add_nc_u64_e32 v[8:9], s[42:43], v[6:7]
	flat_load_b32 v8, v[8:9]
	s_wait_loadcnt_dscnt 0x0
	v_fmac_f32_e32 v12, s44, v8
.LBB682_49:                             ;   in Loop: Header=BB682_4 Depth=1
	s_or_b32 s9, s9, exec_lo
.LBB682_50:                             ;   in Loop: Header=BB682_4 Depth=1
	s_wait_xcnt 0x0
	s_or_b32 exec_lo, exec_lo, s10
.LBB682_51:                             ;   in Loop: Header=BB682_4 Depth=1
	s_wait_xcnt 0x0
	s_and_saveexec_b32 s10, s9
	s_cbranch_execz .LBB682_2
; %bb.52:                               ;   in Loop: Header=BB682_4 Depth=1
	v_add_nc_u64_e32 v[6:7], s[42:43], v[6:7]
	flat_store_b32 v[6:7], v12
	s_branch .LBB682_2
.LBB682_53:
	s_endpgm
	.section	.rodata,"a",@progbits
	.p2align	6, 0x0
	.amdhsa_kernel _ZL20rocblas_gemvt_kernelILb0ELi256EPK16rocblas_bfloat16PKfKPfEviiT2_lPKT1_lilSA_lilS7_lPT3_lili
		.amdhsa_group_segment_fixed_size 1024
		.amdhsa_private_segment_fixed_size 0
		.amdhsa_kernarg_size 140
		.amdhsa_user_sgpr_count 2
		.amdhsa_user_sgpr_dispatch_ptr 0
		.amdhsa_user_sgpr_queue_ptr 0
		.amdhsa_user_sgpr_kernarg_segment_ptr 1
		.amdhsa_user_sgpr_dispatch_id 0
		.amdhsa_user_sgpr_kernarg_preload_length 0
		.amdhsa_user_sgpr_kernarg_preload_offset 0
		.amdhsa_user_sgpr_private_segment_size 0
		.amdhsa_wavefront_size32 1
		.amdhsa_uses_dynamic_stack 0
		.amdhsa_enable_private_segment 0
		.amdhsa_system_sgpr_workgroup_id_x 1
		.amdhsa_system_sgpr_workgroup_id_y 0
		.amdhsa_system_sgpr_workgroup_id_z 1
		.amdhsa_system_sgpr_workgroup_info 0
		.amdhsa_system_vgpr_workitem_id 0
		.amdhsa_next_free_vgpr 22
		.amdhsa_next_free_sgpr 48
		.amdhsa_named_barrier_count 0
		.amdhsa_reserve_vcc 1
		.amdhsa_float_round_mode_32 0
		.amdhsa_float_round_mode_16_64 0
		.amdhsa_float_denorm_mode_32 3
		.amdhsa_float_denorm_mode_16_64 3
		.amdhsa_fp16_overflow 0
		.amdhsa_memory_ordered 1
		.amdhsa_forward_progress 1
		.amdhsa_inst_pref_size 14
		.amdhsa_round_robin_scheduling 0
		.amdhsa_exception_fp_ieee_invalid_op 0
		.amdhsa_exception_fp_denorm_src 0
		.amdhsa_exception_fp_ieee_div_zero 0
		.amdhsa_exception_fp_ieee_overflow 0
		.amdhsa_exception_fp_ieee_underflow 0
		.amdhsa_exception_fp_ieee_inexact 0
		.amdhsa_exception_int_div_zero 0
	.end_amdhsa_kernel
	.section	.text._ZL20rocblas_gemvt_kernelILb0ELi256EPK16rocblas_bfloat16PKfKPfEviiT2_lPKT1_lilSA_lilS7_lPT3_lili,"axG",@progbits,_ZL20rocblas_gemvt_kernelILb0ELi256EPK16rocblas_bfloat16PKfKPfEviiT2_lPKT1_lilSA_lilS7_lPT3_lili,comdat
.Lfunc_end682:
	.size	_ZL20rocblas_gemvt_kernelILb0ELi256EPK16rocblas_bfloat16PKfKPfEviiT2_lPKT1_lilSA_lilS7_lPT3_lili, .Lfunc_end682-_ZL20rocblas_gemvt_kernelILb0ELi256EPK16rocblas_bfloat16PKfKPfEviiT2_lPKT1_lilSA_lilS7_lPT3_lili
                                        ; -- End function
	.set _ZL20rocblas_gemvt_kernelILb0ELi256EPK16rocblas_bfloat16PKfKPfEviiT2_lPKT1_lilSA_lilS7_lPT3_lili.num_vgpr, 22
	.set _ZL20rocblas_gemvt_kernelILb0ELi256EPK16rocblas_bfloat16PKfKPfEviiT2_lPKT1_lilSA_lilS7_lPT3_lili.num_agpr, 0
	.set _ZL20rocblas_gemvt_kernelILb0ELi256EPK16rocblas_bfloat16PKfKPfEviiT2_lPKT1_lilSA_lilS7_lPT3_lili.numbered_sgpr, 48
	.set _ZL20rocblas_gemvt_kernelILb0ELi256EPK16rocblas_bfloat16PKfKPfEviiT2_lPKT1_lilSA_lilS7_lPT3_lili.num_named_barrier, 0
	.set _ZL20rocblas_gemvt_kernelILb0ELi256EPK16rocblas_bfloat16PKfKPfEviiT2_lPKT1_lilSA_lilS7_lPT3_lili.private_seg_size, 0
	.set _ZL20rocblas_gemvt_kernelILb0ELi256EPK16rocblas_bfloat16PKfKPfEviiT2_lPKT1_lilSA_lilS7_lPT3_lili.uses_vcc, 1
	.set _ZL20rocblas_gemvt_kernelILb0ELi256EPK16rocblas_bfloat16PKfKPfEviiT2_lPKT1_lilSA_lilS7_lPT3_lili.uses_flat_scratch, 0
	.set _ZL20rocblas_gemvt_kernelILb0ELi256EPK16rocblas_bfloat16PKfKPfEviiT2_lPKT1_lilSA_lilS7_lPT3_lili.has_dyn_sized_stack, 0
	.set _ZL20rocblas_gemvt_kernelILb0ELi256EPK16rocblas_bfloat16PKfKPfEviiT2_lPKT1_lilSA_lilS7_lPT3_lili.has_recursion, 0
	.set _ZL20rocblas_gemvt_kernelILb0ELi256EPK16rocblas_bfloat16PKfKPfEviiT2_lPKT1_lilSA_lilS7_lPT3_lili.has_indirect_call, 0
	.section	.AMDGPU.csdata,"",@progbits
; Kernel info:
; codeLenInByte = 1708
; TotalNumSgprs: 50
; NumVgprs: 22
; ScratchSize: 0
; MemoryBound: 0
; FloatMode: 240
; IeeeMode: 1
; LDSByteSize: 1024 bytes/workgroup (compile time only)
; SGPRBlocks: 0
; VGPRBlocks: 1
; NumSGPRsForWavesPerEU: 50
; NumVGPRsForWavesPerEU: 22
; NamedBarCnt: 0
; Occupancy: 16
; WaveLimiterHint : 1
; COMPUTE_PGM_RSRC2:SCRATCH_EN: 0
; COMPUTE_PGM_RSRC2:USER_SGPR: 2
; COMPUTE_PGM_RSRC2:TRAP_HANDLER: 0
; COMPUTE_PGM_RSRC2:TGID_X_EN: 1
; COMPUTE_PGM_RSRC2:TGID_Y_EN: 0
; COMPUTE_PGM_RSRC2:TGID_Z_EN: 1
; COMPUTE_PGM_RSRC2:TIDIG_COMP_CNT: 0
	.section	.text._ZL20rocblas_gemvt_kernelILb0ELi256EPK16rocblas_bfloat16fKPfEviiT2_lPKT1_lilS8_lilS5_lPT3_lili,"axG",@progbits,_ZL20rocblas_gemvt_kernelILb0ELi256EPK16rocblas_bfloat16fKPfEviiT2_lPKT1_lilS8_lilS5_lPT3_lili,comdat
	.globl	_ZL20rocblas_gemvt_kernelILb0ELi256EPK16rocblas_bfloat16fKPfEviiT2_lPKT1_lilS8_lilS5_lPT3_lili ; -- Begin function _ZL20rocblas_gemvt_kernelILb0ELi256EPK16rocblas_bfloat16fKPfEviiT2_lPKT1_lilS8_lilS5_lPT3_lili
	.p2align	8
	.type	_ZL20rocblas_gemvt_kernelILb0ELi256EPK16rocblas_bfloat16fKPfEviiT2_lPKT1_lilS8_lilS5_lPT3_lili,@function
_ZL20rocblas_gemvt_kernelILb0ELi256EPK16rocblas_bfloat16fKPfEviiT2_lPKT1_lilS8_lilS5_lPT3_lili: ; @_ZL20rocblas_gemvt_kernelILb0ELi256EPK16rocblas_bfloat16fKPfEviiT2_lPKT1_lilS8_lilS5_lPT3_lili
; %bb.0:
	s_load_b32 s9, s[0:1], 0x88
	s_bfe_u32 s2, ttmp6, 0x40014
	s_lshr_b32 s3, ttmp7, 16
	s_add_co_i32 s2, s2, 1
	s_bfe_u32 s5, ttmp6, 0x40008
	s_mul_i32 s2, s3, s2
	s_getreg_b32 s4, hwreg(HW_REG_IB_STS2, 6, 4)
	s_add_co_i32 s5, s5, s2
	s_cmp_eq_u32 s4, 0
	s_mov_b32 s11, 0
	s_cselect_b32 s10, s3, s5
	s_wait_kmcnt 0x0
	s_cmp_ge_u32 s10, s9
	s_cbranch_scc1 .LBB683_55
; %bb.1:
	s_clause 0x7
	s_load_b32 s2, s[0:1], 0x28
	s_load_b32 s28, s[0:1], 0x48
	;; [unrolled: 1-line block ×5, first 2 shown]
	s_load_b128 s[12:15], s[0:1], 0x18
	s_load_b32 s8, s[0:1], 0x0
	s_load_b128 s[20:23], s[0:1], 0x68
	v_lshlrev_b32_e32 v17, 2, v0
	s_wait_kmcnt 0x0
	s_ashr_i32 s3, s2, 31
	s_ashr_i32 s29, s28, 31
	;; [unrolled: 1-line block ×3, first 2 shown]
	s_cmp_eq_f32 s33, 0
	s_cselect_b32 s35, -1, 0
	s_cmp_neq_f32 s34, 1.0
	s_cselect_b32 s5, -1, 0
	s_cmp_neq_f32 s33, 0
	s_cselect_b32 s16, -1, 0
	s_delay_alu instid0(SALU_CYCLE_1)
	s_or_b32 s36, s16, s5
	s_cmp_neq_f32 s34, 0
	v_cndmask_b32_e64 v16, 0, 1, s16
	s_cselect_b32 s37, -1, 0
	s_bfe_u32 s5, ttmp6, 0x4000c
	s_and_b32 s16, ttmp6, 15
	s_add_co_i32 s5, s5, 1
	s_delay_alu instid0(SALU_CYCLE_1) | instskip(NEXT) | instid1(SALU_CYCLE_1)
	s_mul_i32 s5, ttmp9, s5
	s_add_co_i32 s16, s16, s5
	s_cmp_eq_u32 s4, 0
	s_cselect_b32 s4, ttmp9, s16
	s_load_b128 s[16:19], s[0:1], 0x38
	s_ashr_i32 s5, s8, 31
	v_cmp_gt_i32_e32 vcc_lo, s8, v0
	s_lshr_b32 s5, s5, 24
	s_wait_xcnt 0x0
	v_cmp_eq_u32_e64 s0, 0, v0
	s_add_co_i32 s5, s8, s5
	s_delay_alu instid0(SALU_CYCLE_1) | instskip(NEXT) | instid1(SALU_CYCLE_1)
	s_and_b32 s24, s5, 0xffffff00
	v_dual_mov_b32 v1, 0 :: v_dual_bitop2_b32 v6, s24, v0 bitop3:0x54
	v_cndmask_b32_e32 v8, 0, v0, vcc_lo
	s_ashr_i32 s5, s4, 31
	s_cmp_gt_i32 s8, 0xff
	s_delay_alu instid0(VALU_DEP_2)
	v_mul_u64_e32 v[4:5], s[28:29], v[0:1]
	v_ashrrev_i32_e32 v7, 31, v6
	s_mul_u64 s[30:31], s[6:7], s[4:5]
	s_mul_u64 s[26:27], s[2:3], s[4:5]
	v_cmp_gt_i32_e64 s1, s8, v6
	v_cmp_gt_u32_e64 s2, 0x80, v0
	v_mul_u64_e32 v[2:3], s[28:29], v[6:7]
	v_cmp_gt_u32_e64 s3, 64, v0
	v_cmp_gt_u32_e64 s4, 32, v0
	;; [unrolled: 1-line block ×6, first 2 shown]
	v_lshlrev_b32_e32 v0, 1, v8
	s_cselect_b32 s38, -1, 0
	s_ashr_i32 s25, s24, 31
	s_lshl_b64 s[28:29], s[28:29], 9
	s_lshl_b64 s[14:15], s[14:15], 1
	s_wait_kmcnt 0x0
	s_lshl_b64 s[18:19], s[18:19], 1
	s_lshl_b64 s[22:23], s[22:23], 2
	;; [unrolled: 1-line block ×3, first 2 shown]
	v_lshlrev_b64_e32 v[4:5], 1, v[4:5]
	s_branch .LBB683_4
.LBB683_2:                              ;   in Loop: Header=BB683_4 Depth=1
	s_wait_xcnt 0x0
	s_or_b32 exec_lo, exec_lo, s40
.LBB683_3:                              ;   in Loop: Header=BB683_4 Depth=1
	s_add_co_i32 s10, s10, 0x10000
	s_delay_alu instid0(SALU_CYCLE_1)
	s_cmp_lt_u32 s10, s9
	s_cbranch_scc0 .LBB683_55
.LBB683_4:                              ; =>This Loop Header: Depth=1
                                        ;     Child Loop BB683_22 Depth 2
	s_and_not1_b32 vcc_lo, exec_lo, s36
	s_cbranch_vccnz .LBB683_3
; %bb.5:                                ;   in Loop: Header=BB683_4 Depth=1
	s_and_not1_b32 vcc_lo, exec_lo, s35
	s_cbranch_vccnz .LBB683_7
; %bb.6:                                ;   in Loop: Header=BB683_4 Depth=1
	v_mov_b64_e32 v[8:9], 0
	v_mov_b64_e32 v[10:11], 0
	s_cbranch_execz .LBB683_8
	s_branch .LBB683_9
.LBB683_7:                              ;   in Loop: Header=BB683_4 Depth=1
	v_mov_b64_e32 v[8:9], 0
	v_mov_b64_e32 v[10:11], 0
.LBB683_8:                              ;   in Loop: Header=BB683_4 Depth=1
	s_lshl_b64 s[40:41], s[10:11], 3
	s_delay_alu instid0(SALU_CYCLE_1)
	s_add_nc_u64 s[40:41], s[12:13], s[40:41]
	global_load_b64 v[6:7], v1, s[40:41]
	s_wait_loadcnt 0x0
	v_add_nc_u64_e32 v[10:11], s[14:15], v[6:7]
.LBB683_9:                              ;   in Loop: Header=BB683_4 Depth=1
	v_cmp_ne_u32_e32 vcc_lo, 1, v16
	s_cbranch_vccnz .LBB683_11
; %bb.10:                               ;   in Loop: Header=BB683_4 Depth=1
	s_wait_xcnt 0x0
	s_lshl_b64 s[40:41], s[10:11], 3
	s_delay_alu instid0(SALU_CYCLE_1)
	s_add_nc_u64 s[40:41], s[16:17], s[40:41]
	global_load_b64 v[6:7], v1, s[40:41]
	s_wait_loadcnt 0x0
	v_add_nc_u64_e32 v[8:9], s[18:19], v[6:7]
.LBB683_11:                             ;   in Loop: Header=BB683_4 Depth=1
	s_wait_xcnt 0x0
	s_lshl_b64 s[40:41], s[10:11], 3
	s_and_not1_b32 vcc_lo, exec_lo, s35
	s_add_nc_u64 s[40:41], s[20:21], s[40:41]
	global_load_b64 v[6:7], v1, s[40:41]
	s_wait_loadcnt 0x0
	v_add_nc_u64_e32 v[6:7], s[22:23], v[6:7]
	s_cbranch_vccnz .LBB683_15
; %bb.12:                               ;   in Loop: Header=BB683_4 Depth=1
	s_wait_xcnt 0x0
	s_mov_b32 s40, 0
	s_mov_b32 s39, 0
                                        ; implicit-def: $vgpr12
	s_and_saveexec_b32 s41, s0
	s_cbranch_execz .LBB683_16
; %bb.13:                               ;   in Loop: Header=BB683_4 Depth=1
	s_and_not1_b32 vcc_lo, exec_lo, s37
	s_cbranch_vccnz .LBB683_17
; %bb.14:                               ;   in Loop: Header=BB683_4 Depth=1
	v_add_nc_u64_e32 v[12:13], s[30:31], v[6:7]
	flat_load_b32 v12, v[12:13]
	s_wait_loadcnt_dscnt 0x0
	s_wait_xcnt 0x0
	v_mul_f32_e32 v12, s34, v12
	s_branch .LBB683_18
.LBB683_15:                             ;   in Loop: Header=BB683_4 Depth=1
	s_wait_xcnt 0x0
	s_mov_b32 s39, 0
                                        ; implicit-def: $vgpr12
	s_cbranch_execnz .LBB683_19
	s_branch .LBB683_53
.LBB683_16:                             ;   in Loop: Header=BB683_4 Depth=1
	s_or_b32 exec_lo, exec_lo, s41
	s_delay_alu instid0(SALU_CYCLE_1)
	s_and_b32 vcc_lo, exec_lo, s40
	s_cbranch_vccnz .LBB683_19
	s_branch .LBB683_53
.LBB683_17:                             ;   in Loop: Header=BB683_4 Depth=1
	v_mov_b32_e32 v12, 0
.LBB683_18:                             ;   in Loop: Header=BB683_4 Depth=1
	s_mov_b32 s39, exec_lo
	s_or_b32 exec_lo, exec_lo, s41
	s_delay_alu instid0(SALU_CYCLE_1)
	s_and_b32 vcc_lo, exec_lo, s40
	s_cbranch_vccz .LBB683_53
.LBB683_19:                             ;   in Loop: Header=BB683_4 Depth=1
	v_add_nc_u64_e32 v[10:11], v[10:11], v[0:1]
	v_mov_b32_e32 v18, 0
	s_and_not1_b32 vcc_lo, exec_lo, s38
	s_delay_alu instid0(VALU_DEP_2)
	v_lshl_add_u64 v[10:11], s[26:27], 1, v[10:11]
	s_cbranch_vccnz .LBB683_26
; %bb.20:                               ;   in Loop: Header=BB683_4 Depth=1
	v_add_nc_u64_e32 v[12:13], v[8:9], v[4:5]
	s_delay_alu instid0(VALU_DEP_2)
	v_mov_b64_e32 v[14:15], v[10:11]
	v_mov_b32_e32 v18, 0
	s_mov_b32 s40, 0
	s_branch .LBB683_22
.LBB683_21:                             ;   in Loop: Header=BB683_22 Depth=2
	s_or_b32 exec_lo, exec_lo, s41
	s_delay_alu instid0(VALU_DEP_1) | instskip(SKIP_3) | instid1(SALU_CYCLE_1)
	v_and_b32_e32 v19, 0xffff0000, v20
	v_add_nc_u64_e32 v[12:13], s[28:29], v[12:13]
	v_add_nc_u64_e32 v[14:15], 0x200, v[14:15]
	s_addk_co_i32 s40, 0x100
	s_cmp_ge_i32 s40, s24
	v_add_f32_e32 v18, v18, v19
	s_cbranch_scc1 .LBB683_26
.LBB683_22:                             ;   Parent Loop BB683_4 Depth=1
                                        ; =>  This Inner Loop Header: Depth=2
	flat_load_u16 v19, v[14:15]
	flat_load_u16 v20, v[12:13]
	s_wait_loadcnt_dscnt 0x0
	v_dual_lshlrev_b32 v19, 16, v19 :: v_dual_lshlrev_b32 v20, 16, v20
	s_delay_alu instid0(VALU_DEP_1) | instskip(NEXT) | instid1(VALU_DEP_1)
	v_mul_f32_e32 v19, v20, v19
	v_and_b32_e32 v20, 0x7f800000, v19
	s_delay_alu instid0(VALU_DEP_1) | instskip(SKIP_2) | instid1(SALU_CYCLE_1)
	v_cmp_ne_u32_e32 vcc_lo, 0x7f800000, v20
                                        ; implicit-def: $vgpr20
	s_wait_xcnt 0x0
	s_and_saveexec_b32 s41, vcc_lo
	s_xor_b32 s41, exec_lo, s41
; %bb.23:                               ;   in Loop: Header=BB683_22 Depth=2
	v_bfe_u32 v20, v19, 16, 1
	s_delay_alu instid0(VALU_DEP_1)
	v_add3_u32 v20, v19, v20, 0x7fff
                                        ; implicit-def: $vgpr19
; %bb.24:                               ;   in Loop: Header=BB683_22 Depth=2
	s_and_not1_saveexec_b32 s41, s41
	s_cbranch_execz .LBB683_21
; %bb.25:                               ;   in Loop: Header=BB683_22 Depth=2
	v_and_b32_e32 v20, 0xffff, v19
	v_or_b32_e32 v21, 0x10000, v19
	s_delay_alu instid0(VALU_DEP_2) | instskip(NEXT) | instid1(VALU_DEP_2)
	v_cmp_eq_u32_e32 vcc_lo, 0, v20
	v_cndmask_b32_e32 v20, v21, v19, vcc_lo
	s_branch .LBB683_21
.LBB683_26:                             ;   in Loop: Header=BB683_4 Depth=1
	s_and_saveexec_b32 s40, s1
	s_cbranch_execz .LBB683_32
; %bb.27:                               ;   in Loop: Header=BB683_4 Depth=1
	s_delay_alu instid0(VALU_DEP_1)
	v_lshl_add_u64 v[10:11], s[24:25], 1, v[10:11]
	v_lshl_add_u64 v[8:9], v[2:3], 1, v[8:9]
	flat_load_u16 v12, v[10:11]
	flat_load_u16 v13, v[8:9]
	s_wait_loadcnt_dscnt 0x0
	s_wait_xcnt 0x0
	v_dual_lshlrev_b32 v8, 16, v12 :: v_dual_lshlrev_b32 v9, 16, v13
	s_delay_alu instid0(VALU_DEP_1) | instskip(NEXT) | instid1(VALU_DEP_1)
	v_mul_f32_e32 v8, v9, v8
	v_and_b32_e32 v9, 0x7f800000, v8
	s_delay_alu instid0(VALU_DEP_1) | instskip(SKIP_1) | instid1(SALU_CYCLE_1)
	v_cmp_ne_u32_e32 vcc_lo, 0x7f800000, v9
                                        ; implicit-def: $vgpr9
	s_and_saveexec_b32 s41, vcc_lo
	s_xor_b32 s41, exec_lo, s41
; %bb.28:                               ;   in Loop: Header=BB683_4 Depth=1
	v_bfe_u32 v9, v8, 16, 1
	s_delay_alu instid0(VALU_DEP_1)
	v_add3_u32 v9, v8, v9, 0x7fff
                                        ; implicit-def: $vgpr8
; %bb.29:                               ;   in Loop: Header=BB683_4 Depth=1
	s_and_not1_saveexec_b32 s41, s41
; %bb.30:                               ;   in Loop: Header=BB683_4 Depth=1
	v_and_b32_e32 v9, 0xffff, v8
	v_or_b32_e32 v10, 0x10000, v8
	s_delay_alu instid0(VALU_DEP_2) | instskip(NEXT) | instid1(VALU_DEP_2)
	v_cmp_eq_u32_e32 vcc_lo, 0, v9
	v_cndmask_b32_e32 v9, v10, v8, vcc_lo
; %bb.31:                               ;   in Loop: Header=BB683_4 Depth=1
	s_or_b32 exec_lo, exec_lo, s41
	s_delay_alu instid0(VALU_DEP_1) | instskip(NEXT) | instid1(VALU_DEP_1)
	v_and_b32_e32 v8, 0xffff0000, v9
	v_add_f32_e32 v18, v18, v8
.LBB683_32:                             ;   in Loop: Header=BB683_4 Depth=1
	s_or_b32 exec_lo, exec_lo, s40
	ds_store_b32 v17, v18
	s_wait_dscnt 0x0
	s_barrier_signal -1
	s_barrier_wait -1
	s_and_saveexec_b32 s40, s2
	s_cbranch_execz .LBB683_34
; %bb.33:                               ;   in Loop: Header=BB683_4 Depth=1
	ds_load_2addr_stride64_b32 v[8:9], v17 offset1:2
	s_wait_dscnt 0x0
	v_add_f32_e32 v8, v9, v8
	ds_store_b32 v17, v8
.LBB683_34:                             ;   in Loop: Header=BB683_4 Depth=1
	s_or_b32 exec_lo, exec_lo, s40
	s_wait_dscnt 0x0
	s_barrier_signal -1
	s_barrier_wait -1
	s_and_saveexec_b32 s40, s3
	s_cbranch_execz .LBB683_36
; %bb.35:                               ;   in Loop: Header=BB683_4 Depth=1
	ds_load_2addr_stride64_b32 v[8:9], v17 offset1:1
	s_wait_dscnt 0x0
	v_add_f32_e32 v8, v9, v8
	ds_store_b32 v17, v8
.LBB683_36:                             ;   in Loop: Header=BB683_4 Depth=1
	s_or_b32 exec_lo, exec_lo, s40
	s_wait_dscnt 0x0
	s_barrier_signal -1
	s_barrier_wait -1
	s_and_saveexec_b32 s40, s4
	s_cbranch_execz .LBB683_38
; %bb.37:                               ;   in Loop: Header=BB683_4 Depth=1
	ds_load_2addr_b32 v[8:9], v17 offset1:32
	s_wait_dscnt 0x0
	v_add_f32_e32 v8, v9, v8
	ds_store_b32 v17, v8
.LBB683_38:                             ;   in Loop: Header=BB683_4 Depth=1
	s_or_b32 exec_lo, exec_lo, s40
	s_wait_dscnt 0x0
	s_barrier_signal -1
	s_barrier_wait -1
	s_and_saveexec_b32 s40, s5
	s_cbranch_execz .LBB683_40
; %bb.39:                               ;   in Loop: Header=BB683_4 Depth=1
	ds_load_2addr_b32 v[8:9], v17 offset1:16
	s_wait_dscnt 0x0
	v_add_f32_e32 v8, v9, v8
	ds_store_b32 v17, v8
.LBB683_40:                             ;   in Loop: Header=BB683_4 Depth=1
	;; [unrolled: 12-line block ×5, first 2 shown]
	s_or_b32 exec_lo, exec_lo, s40
	s_wait_dscnt 0x0
	s_barrier_signal -1
	s_barrier_wait -1
	s_and_saveexec_b32 s40, s0
	s_cbranch_execz .LBB683_48
; %bb.47:                               ;   in Loop: Header=BB683_4 Depth=1
	ds_load_b64 v[8:9], v1
	s_wait_dscnt 0x0
	v_add_f32_e32 v8, v9, v8
	ds_store_b32 v1, v8
.LBB683_48:                             ;   in Loop: Header=BB683_4 Depth=1
	s_or_b32 exec_lo, exec_lo, s40
	s_wait_dscnt 0x0
	s_barrier_signal -1
	s_barrier_wait -1
                                        ; implicit-def: $vgpr12
	s_and_saveexec_b32 s40, s0
	s_cbranch_execz .LBB683_52
; %bb.49:                               ;   in Loop: Header=BB683_4 Depth=1
	ds_load_b32 v8, v1
	s_and_not1_b32 vcc_lo, exec_lo, s37
	s_wait_dscnt 0x0
	v_mul_f32_e32 v12, s33, v8
	s_cbranch_vccnz .LBB683_51
; %bb.50:                               ;   in Loop: Header=BB683_4 Depth=1
	v_add_nc_u64_e32 v[8:9], s[30:31], v[6:7]
	flat_load_b32 v8, v[8:9]
	s_wait_loadcnt_dscnt 0x0
	v_fmac_f32_e32 v12, s34, v8
.LBB683_51:                             ;   in Loop: Header=BB683_4 Depth=1
	s_or_b32 s39, s39, exec_lo
.LBB683_52:                             ;   in Loop: Header=BB683_4 Depth=1
	s_wait_xcnt 0x0
	s_or_b32 exec_lo, exec_lo, s40
.LBB683_53:                             ;   in Loop: Header=BB683_4 Depth=1
	s_and_saveexec_b32 s40, s39
	s_cbranch_execz .LBB683_2
; %bb.54:                               ;   in Loop: Header=BB683_4 Depth=1
	v_add_nc_u64_e32 v[6:7], s[30:31], v[6:7]
	flat_store_b32 v[6:7], v12
	s_branch .LBB683_2
.LBB683_55:
	s_endpgm
	.section	.rodata,"a",@progbits
	.p2align	6, 0x0
	.amdhsa_kernel _ZL20rocblas_gemvt_kernelILb0ELi256EPK16rocblas_bfloat16fKPfEviiT2_lPKT1_lilS8_lilS5_lPT3_lili
		.amdhsa_group_segment_fixed_size 1024
		.amdhsa_private_segment_fixed_size 0
		.amdhsa_kernarg_size 140
		.amdhsa_user_sgpr_count 2
		.amdhsa_user_sgpr_dispatch_ptr 0
		.amdhsa_user_sgpr_queue_ptr 0
		.amdhsa_user_sgpr_kernarg_segment_ptr 1
		.amdhsa_user_sgpr_dispatch_id 0
		.amdhsa_user_sgpr_kernarg_preload_length 0
		.amdhsa_user_sgpr_kernarg_preload_offset 0
		.amdhsa_user_sgpr_private_segment_size 0
		.amdhsa_wavefront_size32 1
		.amdhsa_uses_dynamic_stack 0
		.amdhsa_enable_private_segment 0
		.amdhsa_system_sgpr_workgroup_id_x 1
		.amdhsa_system_sgpr_workgroup_id_y 0
		.amdhsa_system_sgpr_workgroup_id_z 1
		.amdhsa_system_sgpr_workgroup_info 0
		.amdhsa_system_vgpr_workitem_id 0
		.amdhsa_next_free_vgpr 22
		.amdhsa_next_free_sgpr 42
		.amdhsa_named_barrier_count 0
		.amdhsa_reserve_vcc 1
		.amdhsa_float_round_mode_32 0
		.amdhsa_float_round_mode_16_64 0
		.amdhsa_float_denorm_mode_32 3
		.amdhsa_float_denorm_mode_16_64 3
		.amdhsa_fp16_overflow 0
		.amdhsa_memory_ordered 1
		.amdhsa_forward_progress 1
		.amdhsa_inst_pref_size 14
		.amdhsa_round_robin_scheduling 0
		.amdhsa_exception_fp_ieee_invalid_op 0
		.amdhsa_exception_fp_denorm_src 0
		.amdhsa_exception_fp_ieee_div_zero 0
		.amdhsa_exception_fp_ieee_overflow 0
		.amdhsa_exception_fp_ieee_underflow 0
		.amdhsa_exception_fp_ieee_inexact 0
		.amdhsa_exception_int_div_zero 0
	.end_amdhsa_kernel
	.section	.text._ZL20rocblas_gemvt_kernelILb0ELi256EPK16rocblas_bfloat16fKPfEviiT2_lPKT1_lilS8_lilS5_lPT3_lili,"axG",@progbits,_ZL20rocblas_gemvt_kernelILb0ELi256EPK16rocblas_bfloat16fKPfEviiT2_lPKT1_lilS8_lilS5_lPT3_lili,comdat
.Lfunc_end683:
	.size	_ZL20rocblas_gemvt_kernelILb0ELi256EPK16rocblas_bfloat16fKPfEviiT2_lPKT1_lilS8_lilS5_lPT3_lili, .Lfunc_end683-_ZL20rocblas_gemvt_kernelILb0ELi256EPK16rocblas_bfloat16fKPfEviiT2_lPKT1_lilS8_lilS5_lPT3_lili
                                        ; -- End function
	.set _ZL20rocblas_gemvt_kernelILb0ELi256EPK16rocblas_bfloat16fKPfEviiT2_lPKT1_lilS8_lilS5_lPT3_lili.num_vgpr, 22
	.set _ZL20rocblas_gemvt_kernelILb0ELi256EPK16rocblas_bfloat16fKPfEviiT2_lPKT1_lilS8_lilS5_lPT3_lili.num_agpr, 0
	.set _ZL20rocblas_gemvt_kernelILb0ELi256EPK16rocblas_bfloat16fKPfEviiT2_lPKT1_lilS8_lilS5_lPT3_lili.numbered_sgpr, 42
	.set _ZL20rocblas_gemvt_kernelILb0ELi256EPK16rocblas_bfloat16fKPfEviiT2_lPKT1_lilS8_lilS5_lPT3_lili.num_named_barrier, 0
	.set _ZL20rocblas_gemvt_kernelILb0ELi256EPK16rocblas_bfloat16fKPfEviiT2_lPKT1_lilS8_lilS5_lPT3_lili.private_seg_size, 0
	.set _ZL20rocblas_gemvt_kernelILb0ELi256EPK16rocblas_bfloat16fKPfEviiT2_lPKT1_lilS8_lilS5_lPT3_lili.uses_vcc, 1
	.set _ZL20rocblas_gemvt_kernelILb0ELi256EPK16rocblas_bfloat16fKPfEviiT2_lPKT1_lilS8_lilS5_lPT3_lili.uses_flat_scratch, 0
	.set _ZL20rocblas_gemvt_kernelILb0ELi256EPK16rocblas_bfloat16fKPfEviiT2_lPKT1_lilS8_lilS5_lPT3_lili.has_dyn_sized_stack, 0
	.set _ZL20rocblas_gemvt_kernelILb0ELi256EPK16rocblas_bfloat16fKPfEviiT2_lPKT1_lilS8_lilS5_lPT3_lili.has_recursion, 0
	.set _ZL20rocblas_gemvt_kernelILb0ELi256EPK16rocblas_bfloat16fKPfEviiT2_lPKT1_lilS8_lilS5_lPT3_lili.has_indirect_call, 0
	.section	.AMDGPU.csdata,"",@progbits
; Kernel info:
; codeLenInByte = 1688
; TotalNumSgprs: 44
; NumVgprs: 22
; ScratchSize: 0
; MemoryBound: 0
; FloatMode: 240
; IeeeMode: 1
; LDSByteSize: 1024 bytes/workgroup (compile time only)
; SGPRBlocks: 0
; VGPRBlocks: 1
; NumSGPRsForWavesPerEU: 44
; NumVGPRsForWavesPerEU: 22
; NamedBarCnt: 0
; Occupancy: 16
; WaveLimiterHint : 1
; COMPUTE_PGM_RSRC2:SCRATCH_EN: 0
; COMPUTE_PGM_RSRC2:USER_SGPR: 2
; COMPUTE_PGM_RSRC2:TRAP_HANDLER: 0
; COMPUTE_PGM_RSRC2:TGID_X_EN: 1
; COMPUTE_PGM_RSRC2:TGID_Y_EN: 0
; COMPUTE_PGM_RSRC2:TGID_Z_EN: 1
; COMPUTE_PGM_RSRC2:TIDIG_COMP_CNT: 0
	.section	.text._ZL32rocblas_gemvt_warp_reduce_kernelILb0ELi1024EiPK16rocblas_bfloat16PKfKPfEviiT3_lPKT2_lT1_lSA_lSB_lS7_lPT4_lSB_li,"axG",@progbits,_ZL32rocblas_gemvt_warp_reduce_kernelILb0ELi1024EiPK16rocblas_bfloat16PKfKPfEviiT3_lPKT2_lT1_lSA_lSB_lS7_lPT4_lSB_li,comdat
	.globl	_ZL32rocblas_gemvt_warp_reduce_kernelILb0ELi1024EiPK16rocblas_bfloat16PKfKPfEviiT3_lPKT2_lT1_lSA_lSB_lS7_lPT4_lSB_li ; -- Begin function _ZL32rocblas_gemvt_warp_reduce_kernelILb0ELi1024EiPK16rocblas_bfloat16PKfKPfEviiT3_lPKT2_lT1_lSA_lSB_lS7_lPT4_lSB_li
	.p2align	8
	.type	_ZL32rocblas_gemvt_warp_reduce_kernelILb0ELi1024EiPK16rocblas_bfloat16PKfKPfEviiT3_lPKT2_lT1_lSA_lSB_lS7_lPT4_lSB_li,@function
_ZL32rocblas_gemvt_warp_reduce_kernelILb0ELi1024EiPK16rocblas_bfloat16PKfKPfEviiT3_lPKT2_lT1_lSA_lSB_lS7_lPT4_lSB_li: ; @_ZL32rocblas_gemvt_warp_reduce_kernelILb0ELi1024EiPK16rocblas_bfloat16PKfKPfEviiT3_lPKT2_lT1_lSA_lSB_lS7_lPT4_lSB_li
; %bb.0:
	s_load_b32 s7, s[0:1], 0x88
	s_bfe_u32 s2, ttmp6, 0x40014
	s_lshr_b32 s3, ttmp7, 16
	s_add_co_i32 s2, s2, 1
	s_bfe_u32 s5, ttmp6, 0x40008
	s_mul_i32 s4, s3, s2
	s_getreg_b32 s2, hwreg(HW_REG_IB_STS2, 6, 4)
	s_add_co_i32 s5, s5, s4
	s_cmp_eq_u32 s2, 0
	s_mov_b32 s29, 0
	s_cselect_b32 s28, s3, s5
	s_wait_kmcnt 0x0
	s_cmp_ge_u32 s28, s7
	s_cbranch_scc1 .LBB684_46
; %bb.1:
	s_clause 0x6
	s_load_b32 s4, s[0:1], 0x0
	s_load_b256 s[8:15], s[0:1], 0x8
	s_load_b32 s3, s[0:1], 0x28
	s_load_b128 s[24:27], s[0:1], 0x38
	s_load_b32 s5, s[0:1], 0x48
	s_load_b256 s[16:23], s[0:1], 0x58
	s_load_b32 s6, s[0:1], 0x78
	s_wait_xcnt 0x0
	s_bfe_u32 s1, ttmp6, 0x4000c
	s_and_b32 s30, ttmp6, 15
	s_add_co_i32 s1, s1, 1
	v_dual_mov_b32 v3, 0 :: v_dual_bitop2_b32 v2, 31, v0 bitop3:0x40
	s_mul_i32 s1, ttmp9, s1
	v_lshrrev_b32_e32 v4, 3, v0
	s_add_co_i32 s30, s30, s1
	s_cmp_eq_u32 s2, 0
	v_lshlrev_b32_e32 v14, 2, v2
	s_cselect_b32 s31, ttmp9, s30
	v_and_b32_e32 v15, 0x7c, v4
	v_mbcnt_lo_u32_b32 v1, -1, 0
	s_wait_kmcnt 0x0
	s_ashr_i32 s2, s4, 31
	v_cmp_gt_i32_e32 vcc_lo, s4, v0
	s_lshr_b32 s2, s2, 22
	v_cmp_eq_u32_e64 s0, 0, v0
	s_add_co_i32 s2, s4, s2
	v_mul_lo_u32 v16, v0, s5
	s_and_b32 s30, s2, 0xfffffc00
	v_cmp_eq_u32_e64 s2, 0, v2
	v_dual_cndmask_b32 v2, 0, v0, vcc_lo :: v_dual_bitop2_b32 v5, s30, v0 bitop3:0x54
	s_mul_i32 s36, s6, s31
	v_cmp_gt_u32_e64 s1, 32, v0
	s_mul_i32 s34, s3, s31
	v_mul_lo_u32 v4, s5, v5
	v_lshlrev_b32_e32 v2, 1, v2
	v_cmp_gt_i32_e64 s3, s30, v0
	v_cmp_gt_i32_e64 s4, s4, v5
	v_lshl_or_b32 v17, v1, 2, 64
	s_ashr_i32 s37, s36, 31
	s_lshl_b32 s33, s5, 10
	s_lshl_b64 s[14:15], s[14:15], 1
	s_ashr_i32 s35, s34, 31
	s_ashr_i32 s31, s30, 31
	s_lshl_b64 s[26:27], s[26:27], 1
	v_ashrrev_i32_e32 v5, 31, v4
	s_lshl_b64 s[22:23], s[22:23], 2
	s_lshl_b64 s[36:37], s[36:37], 2
	s_branch .LBB684_4
.LBB684_2:                              ;   in Loop: Header=BB684_4 Depth=1
	s_wait_xcnt 0x0
	s_or_b32 exec_lo, exec_lo, s6
.LBB684_3:                              ;   in Loop: Header=BB684_4 Depth=1
	s_add_co_i32 s28, s28, 0x10000
	s_delay_alu instid0(SALU_CYCLE_1)
	s_cmp_lt_u32 s28, s7
	s_cbranch_scc0 .LBB684_46
.LBB684_4:                              ; =>This Loop Header: Depth=1
                                        ;     Child Loop BB684_28 Depth 2
	s_mul_u64 s[38:39], s[10:11], s[28:29]
	s_wait_xcnt 0x0
	s_mul_u64 s[40:41], s[18:19], s[28:29]
	s_lshl_b64 s[38:39], s[38:39], 2
	s_lshl_b64 s[40:41], s[40:41], 2
	s_add_nc_u64 s[38:39], s[8:9], s[38:39]
	s_add_nc_u64 s[40:41], s[16:17], s[40:41]
	s_clause 0x1
	global_load_b32 v18, v3, s[38:39]
	global_load_b32 v6, v3, s[40:41]
	s_wait_loadcnt 0x1
	v_cmp_eq_f32_e64 s5, 0, v18
	s_wait_loadcnt 0x0
	v_cmp_eq_f32_e32 vcc_lo, 1.0, v6
	s_wait_xcnt 0x1
	v_readfirstlane_b32 s38, v6
	s_and_b32 s6, s5, vcc_lo
	s_delay_alu instid0(SALU_CYCLE_1)
	s_and_b32 vcc_lo, exec_lo, s6
	s_cbranch_vccnz .LBB684_3
; %bb.5:                                ;   in Loop: Header=BB684_4 Depth=1
	v_mov_b64_e32 v[8:9], 0
	v_mov_b64_e32 v[10:11], 0
	v_cmp_neq_f32_e64 s6, 0, v18
	s_and_b32 vcc_lo, exec_lo, s5
	s_cbranch_vccnz .LBB684_7
; %bb.6:                                ;   in Loop: Header=BB684_4 Depth=1
	s_wait_xcnt 0x0
	s_lshl_b64 s[40:41], s[28:29], 3
	s_delay_alu instid0(SALU_CYCLE_1)
	s_add_nc_u64 s[40:41], s[12:13], s[40:41]
	global_load_b64 v[6:7], v3, s[40:41]
	s_wait_loadcnt 0x0
	v_add_nc_u64_e32 v[10:11], s[14:15], v[6:7]
.LBB684_7:                              ;   in Loop: Header=BB684_4 Depth=1
	s_and_not1_b32 vcc_lo, exec_lo, s6
	s_cbranch_vccnz .LBB684_9
; %bb.8:                                ;   in Loop: Header=BB684_4 Depth=1
	s_wait_xcnt 0x0
	s_lshl_b64 s[40:41], s[28:29], 3
	s_delay_alu instid0(SALU_CYCLE_1)
	s_add_nc_u64 s[40:41], s[24:25], s[40:41]
	global_load_b64 v[6:7], v3, s[40:41]
	s_wait_loadcnt 0x0
	v_add_nc_u64_e32 v[8:9], s[26:27], v[6:7]
.LBB684_9:                              ;   in Loop: Header=BB684_4 Depth=1
	s_wait_xcnt 0x0
	s_lshl_b64 s[40:41], s[28:29], 3
	s_and_not1_b32 vcc_lo, exec_lo, s5
	s_add_nc_u64 s[40:41], s[20:21], s[40:41]
	global_load_b64 v[6:7], v3, s[40:41]
	s_wait_loadcnt 0x0
	v_add_nc_u64_e32 v[6:7], s[22:23], v[6:7]
	s_cbranch_vccnz .LBB684_13
; %bb.10:                               ;   in Loop: Header=BB684_4 Depth=1
	s_mov_b32 s6, 0
	s_mov_b32 s5, 0
                                        ; implicit-def: $vgpr12
	s_wait_xcnt 0x0
	s_and_saveexec_b32 s39, s0
	s_cbranch_execz .LBB684_14
; %bb.11:                               ;   in Loop: Header=BB684_4 Depth=1
	s_cmp_eq_f32 s38, 0
	s_cbranch_scc1 .LBB684_15
; %bb.12:                               ;   in Loop: Header=BB684_4 Depth=1
	s_wait_dscnt 0x0
	v_add_nc_u64_e32 v[12:13], s[36:37], v[6:7]
	flat_load_b32 v12, v[12:13]
	s_wait_loadcnt_dscnt 0x0
	s_wait_xcnt 0x0
	v_mul_f32_e32 v12, s38, v12
	s_branch .LBB684_16
.LBB684_13:                             ;   in Loop: Header=BB684_4 Depth=1
	s_mov_b32 s5, 0
                                        ; implicit-def: $vgpr12
	s_cbranch_execnz .LBB684_17
	s_branch .LBB684_38
.LBB684_14:                             ;   in Loop: Header=BB684_4 Depth=1
	s_or_b32 exec_lo, exec_lo, s39
	s_delay_alu instid0(SALU_CYCLE_1)
	s_and_b32 vcc_lo, exec_lo, s6
	s_cbranch_vccnz .LBB684_17
	s_branch .LBB684_38
.LBB684_15:                             ;   in Loop: Header=BB684_4 Depth=1
	v_mov_b32_e32 v12, 0
.LBB684_16:                             ;   in Loop: Header=BB684_4 Depth=1
	s_mov_b32 s5, exec_lo
	s_or_b32 exec_lo, exec_lo, s39
	s_delay_alu instid0(SALU_CYCLE_1)
	s_and_b32 vcc_lo, exec_lo, s6
	s_cbranch_vccz .LBB684_38
.LBB684_17:                             ;   in Loop: Header=BB684_4 Depth=1
	v_add_nc_u64_e32 v[10:11], v[10:11], v[2:3]
	v_mov_b32_e32 v19, 0
	s_delay_alu instid0(VALU_DEP_2)
	v_lshl_add_u64 v[10:11], s[34:35], 1, v[10:11]
	s_wait_xcnt 0x0
	s_and_saveexec_b32 s6, s3
	s_cbranch_execnz .LBB684_26
; %bb.18:                               ;   in Loop: Header=BB684_4 Depth=1
	s_or_b32 exec_lo, exec_lo, s6
	s_and_saveexec_b32 s6, s4
	s_cbranch_execnz .LBB684_41
.LBB684_19:                             ;   in Loop: Header=BB684_4 Depth=1
	s_or_b32 exec_lo, exec_lo, s6
	s_and_saveexec_b32 s6, s1
.LBB684_20:                             ;   in Loop: Header=BB684_4 Depth=1
	ds_store_b32 v14, v3
.LBB684_21:                             ;   in Loop: Header=BB684_4 Depth=1
	s_or_b32 exec_lo, exec_lo, s6
	ds_bpermute_b32 v9, v17, v19
	v_cmp_gt_u32_e32 vcc_lo, 24, v1
	s_wait_dscnt 0x0
	s_barrier_signal -1
	s_barrier_wait -1
	v_cndmask_b32_e64 v8, 0, 8, vcc_lo
	v_cmp_gt_u32_e32 vcc_lo, 28, v1
	s_delay_alu instid0(VALU_DEP_2)
	v_add_lshl_u32 v8, v8, v1, 2
	v_add_f32_e32 v10, v19, v9
	v_cndmask_b32_e64 v9, 0, 4, vcc_lo
	v_cmp_gt_u32_e32 vcc_lo, 30, v1
	ds_bpermute_b32 v11, v8, v10
	v_add_lshl_u32 v9, v9, v1, 2
	s_wait_dscnt 0x0
	v_add_f32_e32 v11, v10, v11
	v_cndmask_b32_e64 v10, 0, 2, vcc_lo
	v_cmp_ne_u32_e32 vcc_lo, 31, v1
	ds_bpermute_b32 v12, v9, v11
	v_add_lshl_u32 v10, v10, v1, 2
	v_add_co_ci_u32_e64 v13, null, 0, v1, vcc_lo
	s_wait_dscnt 0x0
	v_add_f32_e32 v11, v11, v12
	ds_bpermute_b32 v12, v10, v11
	s_wait_dscnt 0x0
	v_dual_add_f32 v12, v11, v12 :: v_dual_lshlrev_b32 v11, 2, v13
	ds_bpermute_b32 v13, v11, v12
	s_and_saveexec_b32 s6, s2
	s_cbranch_execz .LBB684_23
; %bb.22:                               ;   in Loop: Header=BB684_4 Depth=1
	s_wait_dscnt 0x0
	v_add_f32_e32 v12, v12, v13
	ds_store_b32 v15, v12
.LBB684_23:                             ;   in Loop: Header=BB684_4 Depth=1
	s_or_b32 exec_lo, exec_lo, s6
	s_wait_dscnt 0x0
	v_mov_b32_e32 v13, 0
	s_barrier_signal -1
	s_barrier_wait -1
	s_and_saveexec_b32 s6, s1
	s_cbranch_execnz .LBB684_32
; %bb.24:                               ;   in Loop: Header=BB684_4 Depth=1
	s_or_b32 exec_lo, exec_lo, s6
	s_and_saveexec_b32 s6, s1
	s_cbranch_execnz .LBB684_33
.LBB684_25:                             ;   in Loop: Header=BB684_4 Depth=1
	s_or_b32 exec_lo, exec_lo, s6
                                        ; implicit-def: $vgpr12
	s_and_saveexec_b32 s6, s0
	s_cbranch_execnz .LBB684_34
	s_branch .LBB684_37
.LBB684_26:                             ;   in Loop: Header=BB684_4 Depth=1
	s_wait_dscnt 0x0
	v_mov_b64_e32 v[12:13], v[10:11]
	v_dual_mov_b32 v19, 0 :: v_dual_mov_b32 v20, v0
	v_mov_b32_e32 v21, v16
	s_mov_b32 s39, 0
	s_branch .LBB684_28
.LBB684_27:                             ;   in Loop: Header=BB684_28 Depth=2
	s_or_b32 exec_lo, exec_lo, s40
	s_delay_alu instid0(VALU_DEP_1) | instskip(SKIP_2) | instid1(VALU_DEP_3)
	v_and_b32_e32 v22, 0xffff0000, v22
	v_add_nc_u32_e32 v20, 0x400, v20
	v_add_nc_u64_e32 v[12:13], 0x800, v[12:13]
	v_dual_add_nc_u32 v21, s33, v21 :: v_dual_add_f32 v19, v19, v22
	s_delay_alu instid0(VALU_DEP_3) | instskip(SKIP_1) | instid1(SALU_CYCLE_1)
	v_cmp_le_i32_e32 vcc_lo, s30, v20
	s_or_b32 s39, vcc_lo, s39
	s_and_not1_b32 exec_lo, exec_lo, s39
	s_cbranch_execz .LBB684_40
.LBB684_28:                             ;   Parent Loop BB684_4 Depth=1
                                        ; =>  This Inner Loop Header: Depth=2
	v_readfirstlane_b32 s40, v8
	v_readfirstlane_b32 s41, v9
	flat_load_u16 v22, v[12:13]
	flat_load_u16 v23, v21, s[40:41] scale_offset
	s_wait_loadcnt_dscnt 0x0
	v_dual_lshlrev_b32 v22, 16, v22 :: v_dual_lshlrev_b32 v23, 16, v23
	s_delay_alu instid0(VALU_DEP_1) | instskip(NEXT) | instid1(VALU_DEP_1)
	v_mul_f32_e32 v23, v23, v22
	v_and_b32_e32 v22, 0x7f800000, v23
	s_delay_alu instid0(VALU_DEP_1) | instskip(SKIP_2) | instid1(SALU_CYCLE_1)
	v_cmp_ne_u32_e32 vcc_lo, 0x7f800000, v22
                                        ; implicit-def: $vgpr22
	s_wait_xcnt 0x0
	s_and_saveexec_b32 s40, vcc_lo
	s_xor_b32 s40, exec_lo, s40
; %bb.29:                               ;   in Loop: Header=BB684_28 Depth=2
	v_bfe_u32 v22, v23, 16, 1
	s_delay_alu instid0(VALU_DEP_1)
	v_add3_u32 v22, v23, v22, 0x7fff
                                        ; implicit-def: $vgpr23
; %bb.30:                               ;   in Loop: Header=BB684_28 Depth=2
	s_and_not1_saveexec_b32 s40, s40
	s_cbranch_execz .LBB684_27
; %bb.31:                               ;   in Loop: Header=BB684_28 Depth=2
	v_and_b32_e32 v22, 0xffff, v23
	v_or_b32_e32 v24, 0x10000, v23
	s_delay_alu instid0(VALU_DEP_2) | instskip(NEXT) | instid1(VALU_DEP_2)
	v_cmp_eq_u32_e32 vcc_lo, 0, v22
	v_cndmask_b32_e32 v22, v24, v23, vcc_lo
	s_branch .LBB684_27
.LBB684_32:                             ;   in Loop: Header=BB684_4 Depth=1
	ds_load_b32 v13, v14
	s_or_b32 exec_lo, exec_lo, s6
	s_and_saveexec_b32 s6, s1
	s_cbranch_execz .LBB684_25
.LBB684_33:                             ;   in Loop: Header=BB684_4 Depth=1
	s_wait_dscnt 0x0
	ds_bpermute_b32 v12, v17, v13
	s_wait_dscnt 0x0
	v_add_f32_e32 v12, v13, v12
	ds_bpermute_b32 v8, v8, v12
	s_wait_dscnt 0x0
	v_add_f32_e32 v8, v12, v8
	;; [unrolled: 3-line block ×5, first 2 shown]
	s_or_b32 exec_lo, exec_lo, s6
                                        ; implicit-def: $vgpr12
	s_and_saveexec_b32 s6, s0
	s_cbranch_execz .LBB684_37
.LBB684_34:                             ;   in Loop: Header=BB684_4 Depth=1
	s_wait_dscnt 0x0
	v_mul_f32_e32 v12, v18, v13
	s_cmp_eq_f32 s38, 0
	s_cbranch_scc1 .LBB684_36
; %bb.35:                               ;   in Loop: Header=BB684_4 Depth=1
	v_add_nc_u64_e32 v[8:9], s[36:37], v[6:7]
	flat_load_b32 v8, v[8:9]
	s_wait_loadcnt_dscnt 0x0
	v_fmac_f32_e32 v12, s38, v8
.LBB684_36:                             ;   in Loop: Header=BB684_4 Depth=1
	s_or_b32 s5, s5, exec_lo
.LBB684_37:                             ;   in Loop: Header=BB684_4 Depth=1
	s_wait_xcnt 0x0
	s_or_b32 exec_lo, exec_lo, s6
.LBB684_38:                             ;   in Loop: Header=BB684_4 Depth=1
	s_wait_xcnt 0x0
	s_and_saveexec_b32 s6, s5
	s_cbranch_execz .LBB684_2
; %bb.39:                               ;   in Loop: Header=BB684_4 Depth=1
	v_add_nc_u64_e32 v[6:7], s[36:37], v[6:7]
	flat_store_b32 v[6:7], v12
	s_branch .LBB684_2
.LBB684_40:                             ;   in Loop: Header=BB684_4 Depth=1
	s_or_b32 exec_lo, exec_lo, s39
	s_delay_alu instid0(SALU_CYCLE_1)
	s_or_b32 exec_lo, exec_lo, s6
	s_and_saveexec_b32 s6, s4
	s_cbranch_execz .LBB684_19
.LBB684_41:                             ;   in Loop: Header=BB684_4 Depth=1
	v_lshl_add_u64 v[10:11], s[30:31], 1, v[10:11]
	v_lshl_add_u64 v[8:9], v[4:5], 1, v[8:9]
	flat_load_u16 v12, v[10:11]
	s_wait_dscnt 0x1
	flat_load_u16 v13, v[8:9]
	s_wait_loadcnt_dscnt 0x0
	s_wait_xcnt 0x0
	v_dual_lshlrev_b32 v8, 16, v12 :: v_dual_lshlrev_b32 v9, 16, v13
	s_delay_alu instid0(VALU_DEP_1) | instskip(NEXT) | instid1(VALU_DEP_1)
	v_mul_f32_e32 v8, v9, v8
	v_and_b32_e32 v9, 0x7f800000, v8
	s_delay_alu instid0(VALU_DEP_1) | instskip(SKIP_1) | instid1(SALU_CYCLE_1)
	v_cmp_ne_u32_e32 vcc_lo, 0x7f800000, v9
                                        ; implicit-def: $vgpr9
	s_and_saveexec_b32 s39, vcc_lo
	s_xor_b32 s39, exec_lo, s39
; %bb.42:                               ;   in Loop: Header=BB684_4 Depth=1
	v_bfe_u32 v9, v8, 16, 1
	s_delay_alu instid0(VALU_DEP_1)
	v_add3_u32 v9, v8, v9, 0x7fff
                                        ; implicit-def: $vgpr8
; %bb.43:                               ;   in Loop: Header=BB684_4 Depth=1
	s_and_not1_saveexec_b32 s39, s39
; %bb.44:                               ;   in Loop: Header=BB684_4 Depth=1
	v_and_b32_e32 v9, 0xffff, v8
	v_or_b32_e32 v10, 0x10000, v8
	s_delay_alu instid0(VALU_DEP_2) | instskip(NEXT) | instid1(VALU_DEP_2)
	v_cmp_eq_u32_e32 vcc_lo, 0, v9
	v_cndmask_b32_e32 v9, v10, v8, vcc_lo
; %bb.45:                               ;   in Loop: Header=BB684_4 Depth=1
	s_or_b32 exec_lo, exec_lo, s39
	s_delay_alu instid0(VALU_DEP_1) | instskip(NEXT) | instid1(VALU_DEP_1)
	v_and_b32_e32 v8, 0xffff0000, v9
	v_add_f32_e32 v19, v19, v8
	s_or_b32 exec_lo, exec_lo, s6
	s_and_saveexec_b32 s6, s1
	s_cbranch_execnz .LBB684_20
	s_branch .LBB684_21
.LBB684_46:
	s_endpgm
	.section	.rodata,"a",@progbits
	.p2align	6, 0x0
	.amdhsa_kernel _ZL32rocblas_gemvt_warp_reduce_kernelILb0ELi1024EiPK16rocblas_bfloat16PKfKPfEviiT3_lPKT2_lT1_lSA_lSB_lS7_lPT4_lSB_li
		.amdhsa_group_segment_fixed_size 128
		.amdhsa_private_segment_fixed_size 0
		.amdhsa_kernarg_size 140
		.amdhsa_user_sgpr_count 2
		.amdhsa_user_sgpr_dispatch_ptr 0
		.amdhsa_user_sgpr_queue_ptr 0
		.amdhsa_user_sgpr_kernarg_segment_ptr 1
		.amdhsa_user_sgpr_dispatch_id 0
		.amdhsa_user_sgpr_kernarg_preload_length 0
		.amdhsa_user_sgpr_kernarg_preload_offset 0
		.amdhsa_user_sgpr_private_segment_size 0
		.amdhsa_wavefront_size32 1
		.amdhsa_uses_dynamic_stack 0
		.amdhsa_enable_private_segment 0
		.amdhsa_system_sgpr_workgroup_id_x 1
		.amdhsa_system_sgpr_workgroup_id_y 0
		.amdhsa_system_sgpr_workgroup_id_z 1
		.amdhsa_system_sgpr_workgroup_info 0
		.amdhsa_system_vgpr_workitem_id 0
		.amdhsa_next_free_vgpr 25
		.amdhsa_next_free_sgpr 42
		.amdhsa_named_barrier_count 0
		.amdhsa_reserve_vcc 1
		.amdhsa_float_round_mode_32 0
		.amdhsa_float_round_mode_16_64 0
		.amdhsa_float_denorm_mode_32 3
		.amdhsa_float_denorm_mode_16_64 3
		.amdhsa_fp16_overflow 0
		.amdhsa_memory_ordered 1
		.amdhsa_forward_progress 1
		.amdhsa_inst_pref_size 14
		.amdhsa_round_robin_scheduling 0
		.amdhsa_exception_fp_ieee_invalid_op 0
		.amdhsa_exception_fp_denorm_src 0
		.amdhsa_exception_fp_ieee_div_zero 0
		.amdhsa_exception_fp_ieee_overflow 0
		.amdhsa_exception_fp_ieee_underflow 0
		.amdhsa_exception_fp_ieee_inexact 0
		.amdhsa_exception_int_div_zero 0
	.end_amdhsa_kernel
	.section	.text._ZL32rocblas_gemvt_warp_reduce_kernelILb0ELi1024EiPK16rocblas_bfloat16PKfKPfEviiT3_lPKT2_lT1_lSA_lSB_lS7_lPT4_lSB_li,"axG",@progbits,_ZL32rocblas_gemvt_warp_reduce_kernelILb0ELi1024EiPK16rocblas_bfloat16PKfKPfEviiT3_lPKT2_lT1_lSA_lSB_lS7_lPT4_lSB_li,comdat
.Lfunc_end684:
	.size	_ZL32rocblas_gemvt_warp_reduce_kernelILb0ELi1024EiPK16rocblas_bfloat16PKfKPfEviiT3_lPKT2_lT1_lSA_lSB_lS7_lPT4_lSB_li, .Lfunc_end684-_ZL32rocblas_gemvt_warp_reduce_kernelILb0ELi1024EiPK16rocblas_bfloat16PKfKPfEviiT3_lPKT2_lT1_lSA_lSB_lS7_lPT4_lSB_li
                                        ; -- End function
	.set _ZL32rocblas_gemvt_warp_reduce_kernelILb0ELi1024EiPK16rocblas_bfloat16PKfKPfEviiT3_lPKT2_lT1_lSA_lSB_lS7_lPT4_lSB_li.num_vgpr, 25
	.set _ZL32rocblas_gemvt_warp_reduce_kernelILb0ELi1024EiPK16rocblas_bfloat16PKfKPfEviiT3_lPKT2_lT1_lSA_lSB_lS7_lPT4_lSB_li.num_agpr, 0
	.set _ZL32rocblas_gemvt_warp_reduce_kernelILb0ELi1024EiPK16rocblas_bfloat16PKfKPfEviiT3_lPKT2_lT1_lSA_lSB_lS7_lPT4_lSB_li.numbered_sgpr, 42
	.set _ZL32rocblas_gemvt_warp_reduce_kernelILb0ELi1024EiPK16rocblas_bfloat16PKfKPfEviiT3_lPKT2_lT1_lSA_lSB_lS7_lPT4_lSB_li.num_named_barrier, 0
	.set _ZL32rocblas_gemvt_warp_reduce_kernelILb0ELi1024EiPK16rocblas_bfloat16PKfKPfEviiT3_lPKT2_lT1_lSA_lSB_lS7_lPT4_lSB_li.private_seg_size, 0
	.set _ZL32rocblas_gemvt_warp_reduce_kernelILb0ELi1024EiPK16rocblas_bfloat16PKfKPfEviiT3_lPKT2_lT1_lSA_lSB_lS7_lPT4_lSB_li.uses_vcc, 1
	.set _ZL32rocblas_gemvt_warp_reduce_kernelILb0ELi1024EiPK16rocblas_bfloat16PKfKPfEviiT3_lPKT2_lT1_lSA_lSB_lS7_lPT4_lSB_li.uses_flat_scratch, 0
	.set _ZL32rocblas_gemvt_warp_reduce_kernelILb0ELi1024EiPK16rocblas_bfloat16PKfKPfEviiT3_lPKT2_lT1_lSA_lSB_lS7_lPT4_lSB_li.has_dyn_sized_stack, 0
	.set _ZL32rocblas_gemvt_warp_reduce_kernelILb0ELi1024EiPK16rocblas_bfloat16PKfKPfEviiT3_lPKT2_lT1_lSA_lSB_lS7_lPT4_lSB_li.has_recursion, 0
	.set _ZL32rocblas_gemvt_warp_reduce_kernelILb0ELi1024EiPK16rocblas_bfloat16PKfKPfEviiT3_lPKT2_lT1_lSA_lSB_lS7_lPT4_lSB_li.has_indirect_call, 0
	.section	.AMDGPU.csdata,"",@progbits
; Kernel info:
; codeLenInByte = 1712
; TotalNumSgprs: 44
; NumVgprs: 25
; ScratchSize: 0
; MemoryBound: 0
; FloatMode: 240
; IeeeMode: 1
; LDSByteSize: 128 bytes/workgroup (compile time only)
; SGPRBlocks: 0
; VGPRBlocks: 1
; NumSGPRsForWavesPerEU: 44
; NumVGPRsForWavesPerEU: 25
; NamedBarCnt: 0
; Occupancy: 16
; WaveLimiterHint : 1
; COMPUTE_PGM_RSRC2:SCRATCH_EN: 0
; COMPUTE_PGM_RSRC2:USER_SGPR: 2
; COMPUTE_PGM_RSRC2:TRAP_HANDLER: 0
; COMPUTE_PGM_RSRC2:TGID_X_EN: 1
; COMPUTE_PGM_RSRC2:TGID_Y_EN: 0
; COMPUTE_PGM_RSRC2:TGID_Z_EN: 1
; COMPUTE_PGM_RSRC2:TIDIG_COMP_CNT: 0
	.section	.text._ZL32rocblas_gemvt_warp_reduce_kernelILb0ELi1024ElPK16rocblas_bfloat16PKfKPfEviiT3_lPKT2_lT1_lSA_lSB_lS7_lPT4_lSB_li,"axG",@progbits,_ZL32rocblas_gemvt_warp_reduce_kernelILb0ELi1024ElPK16rocblas_bfloat16PKfKPfEviiT3_lPKT2_lT1_lSA_lSB_lS7_lPT4_lSB_li,comdat
	.globl	_ZL32rocblas_gemvt_warp_reduce_kernelILb0ELi1024ElPK16rocblas_bfloat16PKfKPfEviiT3_lPKT2_lT1_lSA_lSB_lS7_lPT4_lSB_li ; -- Begin function _ZL32rocblas_gemvt_warp_reduce_kernelILb0ELi1024ElPK16rocblas_bfloat16PKfKPfEviiT3_lPKT2_lT1_lSA_lSB_lS7_lPT4_lSB_li
	.p2align	8
	.type	_ZL32rocblas_gemvt_warp_reduce_kernelILb0ELi1024ElPK16rocblas_bfloat16PKfKPfEviiT3_lPKT2_lT1_lSA_lSB_lS7_lPT4_lSB_li,@function
_ZL32rocblas_gemvt_warp_reduce_kernelILb0ELi1024ElPK16rocblas_bfloat16PKfKPfEviiT3_lPKT2_lT1_lSA_lSB_lS7_lPT4_lSB_li: ; @_ZL32rocblas_gemvt_warp_reduce_kernelILb0ELi1024ElPK16rocblas_bfloat16PKfKPfEviiT3_lPKT2_lT1_lSA_lSB_lS7_lPT4_lSB_li
; %bb.0:
	s_load_b32 s7, s[0:1], 0x88
	s_bfe_u32 s2, ttmp6, 0x40014
	s_lshr_b32 s3, ttmp7, 16
	s_add_co_i32 s2, s2, 1
	s_bfe_u32 s5, ttmp6, 0x40008
	s_mul_i32 s4, s3, s2
	s_getreg_b32 s2, hwreg(HW_REG_IB_STS2, 6, 4)
	s_add_co_i32 s5, s5, s4
	s_cmp_eq_u32 s2, 0
	s_mov_b32 s29, 0
	s_cselect_b32 s28, s3, s5
	s_wait_kmcnt 0x0
	s_cmp_ge_u32 s28, s7
	s_cbranch_scc1 .LBB685_46
; %bb.1:
	s_clause 0x1
	s_load_b32 s6, s[0:1], 0x0
	s_load_b64 s[36:37], s[0:1], 0x48
	s_bfe_u32 s3, ttmp6, 0x4000c
	s_and_b32 s4, ttmp6, 15
	s_add_co_i32 s3, s3, 1
	s_clause 0x2
	s_load_b256 s[8:15], s[0:1], 0x8
	s_load_b128 s[24:27], s[0:1], 0x38
	s_load_b256 s[16:23], s[0:1], 0x58
	s_mul_i32 s3, ttmp9, s3
	v_mbcnt_lo_u32_b32 v19, -1, 0
	s_add_co_i32 s4, s4, s3
	s_cmp_eq_u32 s2, 0
	s_load_b64 s[34:35], s[0:1], 0x28
	s_cselect_b32 s2, ttmp9, s4
	s_load_b64 s[4:5], s[0:1], 0x78
	s_wait_xcnt 0x0
	v_cmp_eq_u32_e64 s0, 0, v0
	v_lshl_or_b32 v20, v19, 2, 64
	s_wait_kmcnt 0x0
	s_ashr_i32 s3, s6, 31
	v_cmp_gt_i32_e32 vcc_lo, s6, v0
	s_lshr_b32 s3, s3, 22
	s_lshl_b64 s[14:15], s[14:15], 1
	s_add_co_i32 s3, s6, s3
	s_lshl_b64 s[26:27], s[26:27], 1
	s_and_b32 s30, s3, 0xfffffc00
	s_delay_alu instid0(SALU_CYCLE_1) | instskip(SKIP_3) | instid1(VALU_DEP_2)
	v_dual_mov_b32 v3, 0 :: v_dual_bitop2_b32 v6, s30, v0 bitop3:0x54
	s_ashr_i32 s3, s2, 31
	v_cndmask_b32_e32 v2, 0, v0, vcc_lo
	s_mul_u64 s[34:35], s[34:35], s[2:3]
	v_dual_mov_b32 v1, v3 :: v_dual_ashrrev_i32 v7, 31, v6
	s_mul_u64 s[38:39], s[4:5], s[2:3]
	v_cmp_gt_i32_e64 s2, s6, v6
	v_cmp_gt_i32_e64 s1, s30, v0
	s_delay_alu instid0(VALU_DEP_3)
	v_mul_u64_e32 v[8:9], s[36:37], v[0:1]
	v_mul_u64_e32 v[4:5], s[36:37], v[6:7]
	v_dual_lshrrev_b32 v6, 3, v0 :: v_dual_bitop2_b32 v7, 31, v0 bitop3:0x40
	v_cmp_gt_u32_e64 s3, 32, v0
	v_lshlrev_b32_e32 v2, 1, v2
	s_ashr_i32 s31, s30, 31
	v_lshlrev_b32_e32 v1, 2, v7
	v_cmp_eq_u32_e64 s4, 0, v7
	v_and_b32_e32 v18, 0x7c, v6
	s_lshl_b64 s[36:37], s[36:37], 11
	s_lshl_b64 s[22:23], s[22:23], 2
	s_lshl_b64 s[38:39], s[38:39], 2
	v_lshlrev_b64_e32 v[6:7], 1, v[8:9]
	s_branch .LBB685_4
.LBB685_2:                              ;   in Loop: Header=BB685_4 Depth=1
	s_wait_xcnt 0x0
	s_or_b32 exec_lo, exec_lo, s6
.LBB685_3:                              ;   in Loop: Header=BB685_4 Depth=1
	s_add_co_i32 s28, s28, 0x10000
	s_delay_alu instid0(SALU_CYCLE_1)
	s_cmp_lt_u32 s28, s7
	s_cbranch_scc0 .LBB685_46
.LBB685_4:                              ; =>This Loop Header: Depth=1
                                        ;     Child Loop BB685_28 Depth 2
	s_wait_xcnt 0x1
	s_mul_u64 s[40:41], s[10:11], s[28:29]
	s_wait_xcnt 0x0
	s_mul_u64 s[42:43], s[18:19], s[28:29]
	s_lshl_b64 s[40:41], s[40:41], 2
	s_lshl_b64 s[42:43], s[42:43], 2
	s_add_nc_u64 s[40:41], s[8:9], s[40:41]
	s_add_nc_u64 s[42:43], s[16:17], s[42:43]
	s_clause 0x1
	global_load_b32 v21, v3, s[40:41]
	global_load_b32 v8, v3, s[42:43]
	s_wait_loadcnt 0x1
	v_cmp_eq_f32_e64 s5, 0, v21
	s_wait_loadcnt 0x0
	v_cmp_eq_f32_e32 vcc_lo, 1.0, v8
	v_readfirstlane_b32 s33, v8
	s_and_b32 s6, s5, vcc_lo
	s_delay_alu instid0(SALU_CYCLE_1)
	s_and_b32 vcc_lo, exec_lo, s6
	s_cbranch_vccnz .LBB685_3
; %bb.5:                                ;   in Loop: Header=BB685_4 Depth=1
	v_mov_b64_e32 v[10:11], 0
	v_mov_b64_e32 v[12:13], 0
	v_cmp_neq_f32_e64 s6, 0, v21
	s_and_b32 vcc_lo, exec_lo, s5
	s_cbranch_vccnz .LBB685_7
; %bb.6:                                ;   in Loop: Header=BB685_4 Depth=1
	s_wait_xcnt 0x1
	s_lshl_b64 s[40:41], s[28:29], 3
	s_delay_alu instid0(SALU_CYCLE_1)
	s_add_nc_u64 s[40:41], s[12:13], s[40:41]
	global_load_b64 v[8:9], v3, s[40:41]
	s_wait_loadcnt 0x0
	v_add_nc_u64_e32 v[12:13], s[14:15], v[8:9]
.LBB685_7:                              ;   in Loop: Header=BB685_4 Depth=1
	s_and_not1_b32 vcc_lo, exec_lo, s6
	s_cbranch_vccnz .LBB685_9
; %bb.8:                                ;   in Loop: Header=BB685_4 Depth=1
	s_wait_xcnt 0x0
	s_lshl_b64 s[40:41], s[28:29], 3
	s_delay_alu instid0(SALU_CYCLE_1)
	s_add_nc_u64 s[40:41], s[24:25], s[40:41]
	global_load_b64 v[8:9], v3, s[40:41]
	s_wait_loadcnt 0x0
	v_add_nc_u64_e32 v[10:11], s[26:27], v[8:9]
.LBB685_9:                              ;   in Loop: Header=BB685_4 Depth=1
	s_wait_xcnt 0x0
	s_lshl_b64 s[40:41], s[28:29], 3
	s_and_not1_b32 vcc_lo, exec_lo, s5
	s_add_nc_u64 s[40:41], s[20:21], s[40:41]
	global_load_b64 v[8:9], v3, s[40:41]
	s_wait_loadcnt 0x0
	v_add_nc_u64_e32 v[8:9], s[22:23], v[8:9]
	s_cbranch_vccnz .LBB685_13
; %bb.10:                               ;   in Loop: Header=BB685_4 Depth=1
	s_mov_b32 s6, 0
	s_mov_b32 s5, 0
                                        ; implicit-def: $vgpr14
	s_wait_xcnt 0x0
	s_and_saveexec_b32 s40, s0
	s_cbranch_execz .LBB685_14
; %bb.11:                               ;   in Loop: Header=BB685_4 Depth=1
	s_cmp_eq_f32 s33, 0
	s_cbranch_scc1 .LBB685_15
; %bb.12:                               ;   in Loop: Header=BB685_4 Depth=1
	s_wait_dscnt 0x0
	v_add_nc_u64_e32 v[14:15], s[38:39], v[8:9]
	flat_load_b32 v14, v[14:15]
	s_wait_loadcnt_dscnt 0x0
	s_wait_xcnt 0x0
	v_mul_f32_e32 v14, s33, v14
	s_branch .LBB685_16
.LBB685_13:                             ;   in Loop: Header=BB685_4 Depth=1
	s_mov_b32 s5, 0
                                        ; implicit-def: $vgpr14
	s_cbranch_execnz .LBB685_17
	s_branch .LBB685_38
.LBB685_14:                             ;   in Loop: Header=BB685_4 Depth=1
	s_or_b32 exec_lo, exec_lo, s40
	s_delay_alu instid0(SALU_CYCLE_1)
	s_and_b32 vcc_lo, exec_lo, s6
	s_cbranch_vccnz .LBB685_17
	s_branch .LBB685_38
.LBB685_15:                             ;   in Loop: Header=BB685_4 Depth=1
	v_mov_b32_e32 v14, 0
.LBB685_16:                             ;   in Loop: Header=BB685_4 Depth=1
	s_mov_b32 s5, exec_lo
	s_or_b32 exec_lo, exec_lo, s40
	s_delay_alu instid0(SALU_CYCLE_1)
	s_and_b32 vcc_lo, exec_lo, s6
	s_cbranch_vccz .LBB685_38
.LBB685_17:                             ;   in Loop: Header=BB685_4 Depth=1
	v_add_nc_u64_e32 v[12:13], v[12:13], v[2:3]
	v_mov_b32_e32 v22, 0
	s_delay_alu instid0(VALU_DEP_2)
	v_lshl_add_u64 v[12:13], s[34:35], 1, v[12:13]
	s_wait_xcnt 0x0
	s_and_saveexec_b32 s6, s1
	s_cbranch_execnz .LBB685_26
; %bb.18:                               ;   in Loop: Header=BB685_4 Depth=1
	s_or_b32 exec_lo, exec_lo, s6
	s_and_saveexec_b32 s6, s2
	s_cbranch_execnz .LBB685_41
.LBB685_19:                             ;   in Loop: Header=BB685_4 Depth=1
	s_or_b32 exec_lo, exec_lo, s6
	s_and_saveexec_b32 s6, s3
.LBB685_20:                             ;   in Loop: Header=BB685_4 Depth=1
	ds_store_b32 v1, v3
.LBB685_21:                             ;   in Loop: Header=BB685_4 Depth=1
	s_or_b32 exec_lo, exec_lo, s6
	ds_bpermute_b32 v11, v20, v22
	v_cmp_gt_u32_e32 vcc_lo, 24, v19
	s_wait_dscnt 0x0
	s_barrier_signal -1
	s_barrier_wait -1
	v_cndmask_b32_e64 v10, 0, 8, vcc_lo
	v_cmp_gt_u32_e32 vcc_lo, 28, v19
	s_delay_alu instid0(VALU_DEP_2)
	v_add_lshl_u32 v10, v10, v19, 2
	v_add_f32_e32 v12, v22, v11
	v_cndmask_b32_e64 v11, 0, 4, vcc_lo
	v_cmp_gt_u32_e32 vcc_lo, 30, v19
	ds_bpermute_b32 v13, v10, v12
	v_add_lshl_u32 v11, v11, v19, 2
	s_wait_dscnt 0x0
	v_add_f32_e32 v13, v12, v13
	v_cndmask_b32_e64 v12, 0, 2, vcc_lo
	v_cmp_ne_u32_e32 vcc_lo, 31, v19
	ds_bpermute_b32 v14, v11, v13
	v_add_lshl_u32 v12, v12, v19, 2
	v_add_co_ci_u32_e64 v15, null, 0, v19, vcc_lo
	s_wait_dscnt 0x0
	v_add_f32_e32 v13, v13, v14
	ds_bpermute_b32 v14, v12, v13
	s_wait_dscnt 0x0
	v_dual_add_f32 v14, v13, v14 :: v_dual_lshlrev_b32 v13, 2, v15
	ds_bpermute_b32 v15, v13, v14
	s_and_saveexec_b32 s6, s4
	s_cbranch_execz .LBB685_23
; %bb.22:                               ;   in Loop: Header=BB685_4 Depth=1
	s_wait_dscnt 0x0
	v_add_f32_e32 v14, v14, v15
	ds_store_b32 v18, v14
.LBB685_23:                             ;   in Loop: Header=BB685_4 Depth=1
	s_or_b32 exec_lo, exec_lo, s6
	s_wait_dscnt 0x0
	v_mov_b32_e32 v15, 0
	s_barrier_signal -1
	s_barrier_wait -1
	s_and_saveexec_b32 s6, s3
	s_cbranch_execnz .LBB685_32
; %bb.24:                               ;   in Loop: Header=BB685_4 Depth=1
	s_or_b32 exec_lo, exec_lo, s6
	s_and_saveexec_b32 s6, s3
	s_cbranch_execnz .LBB685_33
.LBB685_25:                             ;   in Loop: Header=BB685_4 Depth=1
	s_or_b32 exec_lo, exec_lo, s6
                                        ; implicit-def: $vgpr14
	s_and_saveexec_b32 s6, s0
	s_cbranch_execnz .LBB685_34
	s_branch .LBB685_37
.LBB685_26:                             ;   in Loop: Header=BB685_4 Depth=1
	s_wait_dscnt 0x0
	v_add_nc_u64_e32 v[14:15], v[10:11], v[6:7]
	v_mov_b64_e32 v[16:17], v[12:13]
	v_dual_mov_b32 v22, 0 :: v_dual_mov_b32 v23, v0
	s_mov_b32 s40, 0
	s_branch .LBB685_28
.LBB685_27:                             ;   in Loop: Header=BB685_28 Depth=2
	s_or_b32 exec_lo, exec_lo, s41
	s_delay_alu instid0(VALU_DEP_1) | instskip(SKIP_3) | instid1(VALU_DEP_4)
	v_and_b32_e32 v24, 0xffff0000, v25
	v_add_nc_u32_e32 v23, 0x400, v23
	v_add_nc_u64_e32 v[16:17], 0x800, v[16:17]
	v_add_nc_u64_e32 v[14:15], s[36:37], v[14:15]
	v_add_f32_e32 v22, v22, v24
	s_delay_alu instid0(VALU_DEP_4) | instskip(SKIP_1) | instid1(SALU_CYCLE_1)
	v_cmp_le_i32_e32 vcc_lo, s30, v23
	s_or_b32 s40, vcc_lo, s40
	s_and_not1_b32 exec_lo, exec_lo, s40
	s_cbranch_execz .LBB685_40
.LBB685_28:                             ;   Parent Loop BB685_4 Depth=1
                                        ; =>  This Inner Loop Header: Depth=2
	flat_load_u16 v24, v[16:17]
	flat_load_u16 v25, v[14:15]
	s_wait_loadcnt_dscnt 0x0
	v_dual_lshlrev_b32 v24, 16, v24 :: v_dual_lshlrev_b32 v25, 16, v25
	s_delay_alu instid0(VALU_DEP_1) | instskip(NEXT) | instid1(VALU_DEP_1)
	v_mul_f32_e32 v24, v25, v24
	v_and_b32_e32 v25, 0x7f800000, v24
	s_delay_alu instid0(VALU_DEP_1) | instskip(SKIP_2) | instid1(SALU_CYCLE_1)
	v_cmp_ne_u32_e32 vcc_lo, 0x7f800000, v25
                                        ; implicit-def: $vgpr25
	s_wait_xcnt 0x0
	s_and_saveexec_b32 s41, vcc_lo
	s_xor_b32 s41, exec_lo, s41
; %bb.29:                               ;   in Loop: Header=BB685_28 Depth=2
	v_bfe_u32 v25, v24, 16, 1
	s_delay_alu instid0(VALU_DEP_1)
	v_add3_u32 v25, v24, v25, 0x7fff
                                        ; implicit-def: $vgpr24
; %bb.30:                               ;   in Loop: Header=BB685_28 Depth=2
	s_and_not1_saveexec_b32 s41, s41
	s_cbranch_execz .LBB685_27
; %bb.31:                               ;   in Loop: Header=BB685_28 Depth=2
	v_and_b32_e32 v25, 0xffff, v24
	v_or_b32_e32 v26, 0x10000, v24
	s_delay_alu instid0(VALU_DEP_2) | instskip(NEXT) | instid1(VALU_DEP_2)
	v_cmp_eq_u32_e32 vcc_lo, 0, v25
	v_cndmask_b32_e32 v25, v26, v24, vcc_lo
	s_branch .LBB685_27
.LBB685_32:                             ;   in Loop: Header=BB685_4 Depth=1
	ds_load_b32 v15, v1
	s_or_b32 exec_lo, exec_lo, s6
	s_and_saveexec_b32 s6, s3
	s_cbranch_execz .LBB685_25
.LBB685_33:                             ;   in Loop: Header=BB685_4 Depth=1
	s_wait_dscnt 0x0
	ds_bpermute_b32 v14, v20, v15
	s_wait_dscnt 0x0
	v_add_f32_e32 v14, v15, v14
	ds_bpermute_b32 v10, v10, v14
	s_wait_dscnt 0x0
	v_add_f32_e32 v10, v14, v10
	;; [unrolled: 3-line block ×5, first 2 shown]
	s_or_b32 exec_lo, exec_lo, s6
                                        ; implicit-def: $vgpr14
	s_and_saveexec_b32 s6, s0
	s_cbranch_execz .LBB685_37
.LBB685_34:                             ;   in Loop: Header=BB685_4 Depth=1
	s_wait_dscnt 0x0
	v_mul_f32_e32 v14, v21, v15
	s_cmp_eq_f32 s33, 0
	s_cbranch_scc1 .LBB685_36
; %bb.35:                               ;   in Loop: Header=BB685_4 Depth=1
	v_add_nc_u64_e32 v[10:11], s[38:39], v[8:9]
	flat_load_b32 v10, v[10:11]
	s_wait_loadcnt_dscnt 0x0
	v_fmac_f32_e32 v14, s33, v10
.LBB685_36:                             ;   in Loop: Header=BB685_4 Depth=1
	s_or_b32 s5, s5, exec_lo
.LBB685_37:                             ;   in Loop: Header=BB685_4 Depth=1
	s_wait_xcnt 0x0
	s_or_b32 exec_lo, exec_lo, s6
.LBB685_38:                             ;   in Loop: Header=BB685_4 Depth=1
	s_wait_xcnt 0x0
	s_and_saveexec_b32 s6, s5
	s_cbranch_execz .LBB685_2
; %bb.39:                               ;   in Loop: Header=BB685_4 Depth=1
	v_add_nc_u64_e32 v[8:9], s[38:39], v[8:9]
	flat_store_b32 v[8:9], v14
	s_branch .LBB685_2
.LBB685_40:                             ;   in Loop: Header=BB685_4 Depth=1
	s_or_b32 exec_lo, exec_lo, s40
	s_delay_alu instid0(SALU_CYCLE_1)
	s_or_b32 exec_lo, exec_lo, s6
	s_and_saveexec_b32 s6, s2
	s_cbranch_execz .LBB685_19
.LBB685_41:                             ;   in Loop: Header=BB685_4 Depth=1
	v_lshl_add_u64 v[12:13], s[30:31], 1, v[12:13]
	v_lshl_add_u64 v[10:11], v[4:5], 1, v[10:11]
	flat_load_u16 v14, v[12:13]
	s_wait_dscnt 0x1
	flat_load_u16 v15, v[10:11]
	s_wait_loadcnt_dscnt 0x0
	s_wait_xcnt 0x0
	v_dual_lshlrev_b32 v10, 16, v14 :: v_dual_lshlrev_b32 v11, 16, v15
	s_delay_alu instid0(VALU_DEP_1) | instskip(NEXT) | instid1(VALU_DEP_1)
	v_mul_f32_e32 v10, v11, v10
	v_and_b32_e32 v11, 0x7f800000, v10
	s_delay_alu instid0(VALU_DEP_1) | instskip(SKIP_1) | instid1(SALU_CYCLE_1)
	v_cmp_ne_u32_e32 vcc_lo, 0x7f800000, v11
                                        ; implicit-def: $vgpr11
	s_and_saveexec_b32 s40, vcc_lo
	s_xor_b32 s40, exec_lo, s40
; %bb.42:                               ;   in Loop: Header=BB685_4 Depth=1
	v_bfe_u32 v11, v10, 16, 1
	s_delay_alu instid0(VALU_DEP_1)
	v_add3_u32 v11, v10, v11, 0x7fff
                                        ; implicit-def: $vgpr10
; %bb.43:                               ;   in Loop: Header=BB685_4 Depth=1
	s_and_not1_saveexec_b32 s40, s40
; %bb.44:                               ;   in Loop: Header=BB685_4 Depth=1
	v_and_b32_e32 v11, 0xffff, v10
	v_or_b32_e32 v12, 0x10000, v10
	s_delay_alu instid0(VALU_DEP_2) | instskip(NEXT) | instid1(VALU_DEP_2)
	v_cmp_eq_u32_e32 vcc_lo, 0, v11
	v_cndmask_b32_e32 v11, v12, v10, vcc_lo
; %bb.45:                               ;   in Loop: Header=BB685_4 Depth=1
	s_or_b32 exec_lo, exec_lo, s40
	s_delay_alu instid0(VALU_DEP_1) | instskip(NEXT) | instid1(VALU_DEP_1)
	v_and_b32_e32 v10, 0xffff0000, v11
	v_add_f32_e32 v22, v22, v10
	s_or_b32 exec_lo, exec_lo, s6
	s_and_saveexec_b32 s6, s3
	s_cbranch_execnz .LBB685_20
	s_branch .LBB685_21
.LBB685_46:
	s_endpgm
	.section	.rodata,"a",@progbits
	.p2align	6, 0x0
	.amdhsa_kernel _ZL32rocblas_gemvt_warp_reduce_kernelILb0ELi1024ElPK16rocblas_bfloat16PKfKPfEviiT3_lPKT2_lT1_lSA_lSB_lS7_lPT4_lSB_li
		.amdhsa_group_segment_fixed_size 128
		.amdhsa_private_segment_fixed_size 0
		.amdhsa_kernarg_size 140
		.amdhsa_user_sgpr_count 2
		.amdhsa_user_sgpr_dispatch_ptr 0
		.amdhsa_user_sgpr_queue_ptr 0
		.amdhsa_user_sgpr_kernarg_segment_ptr 1
		.amdhsa_user_sgpr_dispatch_id 0
		.amdhsa_user_sgpr_kernarg_preload_length 0
		.amdhsa_user_sgpr_kernarg_preload_offset 0
		.amdhsa_user_sgpr_private_segment_size 0
		.amdhsa_wavefront_size32 1
		.amdhsa_uses_dynamic_stack 0
		.amdhsa_enable_private_segment 0
		.amdhsa_system_sgpr_workgroup_id_x 1
		.amdhsa_system_sgpr_workgroup_id_y 0
		.amdhsa_system_sgpr_workgroup_id_z 1
		.amdhsa_system_sgpr_workgroup_info 0
		.amdhsa_system_vgpr_workitem_id 0
		.amdhsa_next_free_vgpr 27
		.amdhsa_next_free_sgpr 44
		.amdhsa_named_barrier_count 0
		.amdhsa_reserve_vcc 1
		.amdhsa_float_round_mode_32 0
		.amdhsa_float_round_mode_16_64 0
		.amdhsa_float_denorm_mode_32 3
		.amdhsa_float_denorm_mode_16_64 3
		.amdhsa_fp16_overflow 0
		.amdhsa_memory_ordered 1
		.amdhsa_forward_progress 1
		.amdhsa_inst_pref_size 14
		.amdhsa_round_robin_scheduling 0
		.amdhsa_exception_fp_ieee_invalid_op 0
		.amdhsa_exception_fp_denorm_src 0
		.amdhsa_exception_fp_ieee_div_zero 0
		.amdhsa_exception_fp_ieee_overflow 0
		.amdhsa_exception_fp_ieee_underflow 0
		.amdhsa_exception_fp_ieee_inexact 0
		.amdhsa_exception_int_div_zero 0
	.end_amdhsa_kernel
	.section	.text._ZL32rocblas_gemvt_warp_reduce_kernelILb0ELi1024ElPK16rocblas_bfloat16PKfKPfEviiT3_lPKT2_lT1_lSA_lSB_lS7_lPT4_lSB_li,"axG",@progbits,_ZL32rocblas_gemvt_warp_reduce_kernelILb0ELi1024ElPK16rocblas_bfloat16PKfKPfEviiT3_lPKT2_lT1_lSA_lSB_lS7_lPT4_lSB_li,comdat
.Lfunc_end685:
	.size	_ZL32rocblas_gemvt_warp_reduce_kernelILb0ELi1024ElPK16rocblas_bfloat16PKfKPfEviiT3_lPKT2_lT1_lSA_lSB_lS7_lPT4_lSB_li, .Lfunc_end685-_ZL32rocblas_gemvt_warp_reduce_kernelILb0ELi1024ElPK16rocblas_bfloat16PKfKPfEviiT3_lPKT2_lT1_lSA_lSB_lS7_lPT4_lSB_li
                                        ; -- End function
	.set _ZL32rocblas_gemvt_warp_reduce_kernelILb0ELi1024ElPK16rocblas_bfloat16PKfKPfEviiT3_lPKT2_lT1_lSA_lSB_lS7_lPT4_lSB_li.num_vgpr, 27
	.set _ZL32rocblas_gemvt_warp_reduce_kernelILb0ELi1024ElPK16rocblas_bfloat16PKfKPfEviiT3_lPKT2_lT1_lSA_lSB_lS7_lPT4_lSB_li.num_agpr, 0
	.set _ZL32rocblas_gemvt_warp_reduce_kernelILb0ELi1024ElPK16rocblas_bfloat16PKfKPfEviiT3_lPKT2_lT1_lSA_lSB_lS7_lPT4_lSB_li.numbered_sgpr, 44
	.set _ZL32rocblas_gemvt_warp_reduce_kernelILb0ELi1024ElPK16rocblas_bfloat16PKfKPfEviiT3_lPKT2_lT1_lSA_lSB_lS7_lPT4_lSB_li.num_named_barrier, 0
	.set _ZL32rocblas_gemvt_warp_reduce_kernelILb0ELi1024ElPK16rocblas_bfloat16PKfKPfEviiT3_lPKT2_lT1_lSA_lSB_lS7_lPT4_lSB_li.private_seg_size, 0
	.set _ZL32rocblas_gemvt_warp_reduce_kernelILb0ELi1024ElPK16rocblas_bfloat16PKfKPfEviiT3_lPKT2_lT1_lSA_lSB_lS7_lPT4_lSB_li.uses_vcc, 1
	.set _ZL32rocblas_gemvt_warp_reduce_kernelILb0ELi1024ElPK16rocblas_bfloat16PKfKPfEviiT3_lPKT2_lT1_lSA_lSB_lS7_lPT4_lSB_li.uses_flat_scratch, 0
	.set _ZL32rocblas_gemvt_warp_reduce_kernelILb0ELi1024ElPK16rocblas_bfloat16PKfKPfEviiT3_lPKT2_lT1_lSA_lSB_lS7_lPT4_lSB_li.has_dyn_sized_stack, 0
	.set _ZL32rocblas_gemvt_warp_reduce_kernelILb0ELi1024ElPK16rocblas_bfloat16PKfKPfEviiT3_lPKT2_lT1_lSA_lSB_lS7_lPT4_lSB_li.has_recursion, 0
	.set _ZL32rocblas_gemvt_warp_reduce_kernelILb0ELi1024ElPK16rocblas_bfloat16PKfKPfEviiT3_lPKT2_lT1_lSA_lSB_lS7_lPT4_lSB_li.has_indirect_call, 0
	.section	.AMDGPU.csdata,"",@progbits
; Kernel info:
; codeLenInByte = 1712
; TotalNumSgprs: 46
; NumVgprs: 27
; ScratchSize: 0
; MemoryBound: 0
; FloatMode: 240
; IeeeMode: 1
; LDSByteSize: 128 bytes/workgroup (compile time only)
; SGPRBlocks: 0
; VGPRBlocks: 1
; NumSGPRsForWavesPerEU: 46
; NumVGPRsForWavesPerEU: 27
; NamedBarCnt: 0
; Occupancy: 16
; WaveLimiterHint : 1
; COMPUTE_PGM_RSRC2:SCRATCH_EN: 0
; COMPUTE_PGM_RSRC2:USER_SGPR: 2
; COMPUTE_PGM_RSRC2:TRAP_HANDLER: 0
; COMPUTE_PGM_RSRC2:TGID_X_EN: 1
; COMPUTE_PGM_RSRC2:TGID_Y_EN: 0
; COMPUTE_PGM_RSRC2:TGID_Z_EN: 1
; COMPUTE_PGM_RSRC2:TIDIG_COMP_CNT: 0
	.section	.text._ZL32rocblas_gemvt_warp_reduce_kernelILb0ELi1024EiPK16rocblas_bfloat16fKPfEviiT3_lPKT2_lT1_lS8_lS9_lS5_lPT4_lS9_li,"axG",@progbits,_ZL32rocblas_gemvt_warp_reduce_kernelILb0ELi1024EiPK16rocblas_bfloat16fKPfEviiT3_lPKT2_lT1_lS8_lS9_lS5_lPT4_lS9_li,comdat
	.globl	_ZL32rocblas_gemvt_warp_reduce_kernelILb0ELi1024EiPK16rocblas_bfloat16fKPfEviiT3_lPKT2_lT1_lS8_lS9_lS5_lPT4_lS9_li ; -- Begin function _ZL32rocblas_gemvt_warp_reduce_kernelILb0ELi1024EiPK16rocblas_bfloat16fKPfEviiT3_lPKT2_lT1_lS8_lS9_lS5_lPT4_lS9_li
	.p2align	8
	.type	_ZL32rocblas_gemvt_warp_reduce_kernelILb0ELi1024EiPK16rocblas_bfloat16fKPfEviiT3_lPKT2_lT1_lS8_lS9_lS5_lPT4_lS9_li,@function
_ZL32rocblas_gemvt_warp_reduce_kernelILb0ELi1024EiPK16rocblas_bfloat16fKPfEviiT3_lPKT2_lT1_lS8_lS9_lS5_lPT4_lS9_li: ; @_ZL32rocblas_gemvt_warp_reduce_kernelILb0ELi1024EiPK16rocblas_bfloat16fKPfEviiT3_lPKT2_lT1_lS8_lS9_lS5_lPT4_lS9_li
; %bb.0:
	s_load_b32 s5, s[0:1], 0x88
	s_bfe_u32 s2, ttmp6, 0x40014
	s_lshr_b32 s3, ttmp7, 16
	s_add_co_i32 s2, s2, 1
	s_bfe_u32 s6, ttmp6, 0x40008
	s_mul_i32 s4, s3, s2
	s_getreg_b32 s2, hwreg(HW_REG_IB_STS2, 6, 4)
	s_add_co_i32 s6, s6, s4
	s_cmp_eq_u32 s2, 0
	s_mov_b32 s7, 0
	s_cselect_b32 s6, s3, s6
	s_wait_kmcnt 0x0
	s_cmp_ge_u32 s6, s5
	s_cbranch_scc1 .LBB686_48
; %bb.1:
	s_clause 0x8
	s_load_b32 s26, s[0:1], 0x8
	s_load_b32 s27, s[0:1], 0x58
	s_load_b128 s[8:11], s[0:1], 0x18
	s_load_b32 s3, s[0:1], 0x28
	s_load_b32 s4, s[0:1], 0x0
	s_load_b128 s[12:15], s[0:1], 0x38
	s_load_b32 s21, s[0:1], 0x48
	s_load_b128 s[16:19], s[0:1], 0x68
	s_load_b32 s22, s[0:1], 0x78
	v_dual_mov_b32 v3, 0 :: v_dual_bitop2_b32 v2, 31, v0 bitop3:0x40
	v_lshrrev_b32_e32 v4, 3, v0
	v_mbcnt_lo_u32_b32 v14, -1, 0
	s_wait_xcnt 0x0
	v_cmp_gt_u32_e64 s1, 32, v0
	v_lshlrev_b32_e32 v15, 2, v2
	v_and_b32_e32 v16, 0x7c, v4
	v_lshl_or_b32 v18, v14, 2, 64
	s_wait_kmcnt 0x0
	s_cmp_eq_f32 s26, 0
	v_mul_lo_u32 v17, v0, s21
	s_cselect_b32 s28, -1, 0
	s_cmp_neq_f32 s27, 1.0
	v_cmp_gt_i32_e32 vcc_lo, s4, v0
	s_cselect_b32 s20, -1, 0
	s_cmp_neq_f32 s26, 0
	s_cselect_b32 s0, -1, 0
	s_delay_alu instid0(SALU_CYCLE_1)
	s_or_b32 s29, s0, s20
	s_cmp_neq_f32 s27, 0
	v_cndmask_b32_e64 v1, 0, 1, s0
	v_cmp_eq_u32_e64 s0, 0, v0
	s_cselect_b32 s30, -1, 0
	s_bfe_u32 s20, ttmp6, 0x4000c
	s_and_b32 s23, ttmp6, 15
	s_add_co_i32 s20, s20, 1
	s_delay_alu instid0(SALU_CYCLE_1) | instskip(NEXT) | instid1(SALU_CYCLE_1)
	s_mul_i32 s20, ttmp9, s20
	s_add_co_i32 s23, s23, s20
	s_cmp_eq_u32 s2, 0
	s_cselect_b32 s23, ttmp9, s23
	s_ashr_i32 s2, s4, 31
	s_mul_i32 s24, s22, s23
	s_lshr_b32 s20, s2, 22
	v_cmp_eq_u32_e64 s2, 0, v2
	s_add_co_i32 s20, s4, s20
	s_mul_i32 s22, s3, s23
	s_and_b32 s20, s20, 0xfffffc00
	s_delay_alu instid0(SALU_CYCLE_1)
	v_dual_cndmask_b32 v2, 0, v0, vcc_lo :: v_dual_bitop2_b32 v5, s20, v0 bitop3:0x54
	v_cmp_gt_i32_e64 s3, s20, v0
	s_ashr_i32 s25, s24, 31
	s_lshl_b32 s31, s21, 10
	s_lshl_b64 s[10:11], s[10:11], 1
	v_mul_lo_u32 v4, s21, v5
	v_lshlrev_b32_e32 v2, 1, v2
	v_cmp_gt_i32_e64 s4, s4, v5
	s_ashr_i32 s23, s22, 31
	s_ashr_i32 s21, s20, 31
	s_lshl_b64 s[14:15], s[14:15], 1
	s_lshl_b64 s[18:19], s[18:19], 2
	;; [unrolled: 1-line block ×3, first 2 shown]
	v_ashrrev_i32_e32 v5, 31, v4
	s_branch .LBB686_4
.LBB686_2:                              ;   in Loop: Header=BB686_4 Depth=1
	s_wait_xcnt 0x0
	s_or_b32 exec_lo, exec_lo, s34
.LBB686_3:                              ;   in Loop: Header=BB686_4 Depth=1
	s_add_co_i32 s6, s6, 0x10000
	s_delay_alu instid0(SALU_CYCLE_1)
	s_cmp_lt_u32 s6, s5
	s_cbranch_scc0 .LBB686_48
.LBB686_4:                              ; =>This Loop Header: Depth=1
                                        ;     Child Loop BB686_30 Depth 2
	s_and_not1_b32 vcc_lo, exec_lo, s29
	s_cbranch_vccnz .LBB686_3
; %bb.5:                                ;   in Loop: Header=BB686_4 Depth=1
	s_and_not1_b32 vcc_lo, exec_lo, s28
	s_cbranch_vccnz .LBB686_7
; %bb.6:                                ;   in Loop: Header=BB686_4 Depth=1
	v_mov_b64_e32 v[8:9], 0
	v_mov_b64_e32 v[10:11], 0
	s_cbranch_execz .LBB686_8
	s_branch .LBB686_9
.LBB686_7:                              ;   in Loop: Header=BB686_4 Depth=1
	v_mov_b64_e32 v[8:9], 0
	v_mov_b64_e32 v[10:11], 0
.LBB686_8:                              ;   in Loop: Header=BB686_4 Depth=1
	s_lshl_b64 s[34:35], s[6:7], 3
	s_delay_alu instid0(SALU_CYCLE_1)
	s_add_nc_u64 s[34:35], s[8:9], s[34:35]
	global_load_b64 v[6:7], v3, s[34:35]
	s_wait_loadcnt 0x0
	v_add_nc_u64_e32 v[10:11], s[10:11], v[6:7]
.LBB686_9:                              ;   in Loop: Header=BB686_4 Depth=1
	v_cmp_ne_u32_e32 vcc_lo, 1, v1
	s_cbranch_vccnz .LBB686_11
; %bb.10:                               ;   in Loop: Header=BB686_4 Depth=1
	s_wait_xcnt 0x0
	s_lshl_b64 s[34:35], s[6:7], 3
	s_delay_alu instid0(SALU_CYCLE_1)
	s_add_nc_u64 s[34:35], s[12:13], s[34:35]
	global_load_b64 v[6:7], v3, s[34:35]
	s_wait_loadcnt 0x0
	v_add_nc_u64_e32 v[8:9], s[14:15], v[6:7]
.LBB686_11:                             ;   in Loop: Header=BB686_4 Depth=1
	s_wait_xcnt 0x0
	s_lshl_b64 s[34:35], s[6:7], 3
	s_and_not1_b32 vcc_lo, exec_lo, s28
	s_add_nc_u64 s[34:35], s[16:17], s[34:35]
	global_load_b64 v[6:7], v3, s[34:35]
	s_wait_loadcnt 0x0
	v_add_nc_u64_e32 v[6:7], s[18:19], v[6:7]
	s_cbranch_vccnz .LBB686_15
; %bb.12:                               ;   in Loop: Header=BB686_4 Depth=1
	s_wait_xcnt 0x0
	s_mov_b32 s34, 0
	s_mov_b32 s33, 0
                                        ; implicit-def: $vgpr12
	s_and_saveexec_b32 s35, s0
	s_cbranch_execz .LBB686_16
; %bb.13:                               ;   in Loop: Header=BB686_4 Depth=1
	s_and_not1_b32 vcc_lo, exec_lo, s30
	s_cbranch_vccnz .LBB686_17
; %bb.14:                               ;   in Loop: Header=BB686_4 Depth=1
	s_wait_dscnt 0x0
	v_add_nc_u64_e32 v[12:13], s[24:25], v[6:7]
	flat_load_b32 v12, v[12:13]
	s_wait_loadcnt_dscnt 0x0
	s_wait_xcnt 0x0
	v_mul_f32_e32 v12, s27, v12
	s_branch .LBB686_18
.LBB686_15:                             ;   in Loop: Header=BB686_4 Depth=1
	s_wait_xcnt 0x0
	s_mov_b32 s33, 0
                                        ; implicit-def: $vgpr12
	s_cbranch_execnz .LBB686_19
	s_branch .LBB686_40
.LBB686_16:                             ;   in Loop: Header=BB686_4 Depth=1
	s_or_b32 exec_lo, exec_lo, s35
	s_delay_alu instid0(SALU_CYCLE_1)
	s_and_b32 vcc_lo, exec_lo, s34
	s_cbranch_vccnz .LBB686_19
	s_branch .LBB686_40
.LBB686_17:                             ;   in Loop: Header=BB686_4 Depth=1
	v_mov_b32_e32 v12, 0
.LBB686_18:                             ;   in Loop: Header=BB686_4 Depth=1
	s_mov_b32 s33, exec_lo
	s_or_b32 exec_lo, exec_lo, s35
	s_delay_alu instid0(SALU_CYCLE_1)
	s_and_b32 vcc_lo, exec_lo, s34
	s_cbranch_vccz .LBB686_40
.LBB686_19:                             ;   in Loop: Header=BB686_4 Depth=1
	v_add_nc_u64_e32 v[10:11], v[10:11], v[2:3]
	v_mov_b32_e32 v19, 0
	s_delay_alu instid0(VALU_DEP_2)
	v_lshl_add_u64 v[10:11], s[22:23], 1, v[10:11]
	s_and_saveexec_b32 s34, s3
	s_cbranch_execnz .LBB686_28
; %bb.20:                               ;   in Loop: Header=BB686_4 Depth=1
	s_or_b32 exec_lo, exec_lo, s34
	s_and_saveexec_b32 s34, s4
	s_cbranch_execnz .LBB686_43
.LBB686_21:                             ;   in Loop: Header=BB686_4 Depth=1
	s_or_b32 exec_lo, exec_lo, s34
	s_and_saveexec_b32 s34, s1
.LBB686_22:                             ;   in Loop: Header=BB686_4 Depth=1
	ds_store_b32 v15, v3
.LBB686_23:                             ;   in Loop: Header=BB686_4 Depth=1
	s_or_b32 exec_lo, exec_lo, s34
	ds_bpermute_b32 v9, v18, v19
	v_cmp_gt_u32_e32 vcc_lo, 24, v14
	s_wait_dscnt 0x0
	s_barrier_signal -1
	s_barrier_wait -1
	v_cndmask_b32_e64 v8, 0, 8, vcc_lo
	v_cmp_gt_u32_e32 vcc_lo, 28, v14
	s_delay_alu instid0(VALU_DEP_2)
	v_add_lshl_u32 v8, v8, v14, 2
	v_add_f32_e32 v10, v19, v9
	v_cndmask_b32_e64 v9, 0, 4, vcc_lo
	v_cmp_gt_u32_e32 vcc_lo, 30, v14
	ds_bpermute_b32 v11, v8, v10
	v_add_lshl_u32 v9, v9, v14, 2
	s_wait_dscnt 0x0
	v_add_f32_e32 v11, v10, v11
	v_cndmask_b32_e64 v10, 0, 2, vcc_lo
	v_cmp_ne_u32_e32 vcc_lo, 31, v14
	ds_bpermute_b32 v12, v9, v11
	v_add_lshl_u32 v10, v10, v14, 2
	v_add_co_ci_u32_e64 v13, null, 0, v14, vcc_lo
	s_wait_dscnt 0x0
	v_add_f32_e32 v11, v11, v12
	ds_bpermute_b32 v12, v10, v11
	s_wait_dscnt 0x0
	v_dual_add_f32 v12, v11, v12 :: v_dual_lshlrev_b32 v11, 2, v13
	ds_bpermute_b32 v13, v11, v12
	s_and_saveexec_b32 s34, s2
	s_cbranch_execz .LBB686_25
; %bb.24:                               ;   in Loop: Header=BB686_4 Depth=1
	s_wait_dscnt 0x0
	v_add_f32_e32 v12, v12, v13
	ds_store_b32 v16, v12
.LBB686_25:                             ;   in Loop: Header=BB686_4 Depth=1
	s_or_b32 exec_lo, exec_lo, s34
	s_wait_dscnt 0x0
	v_mov_b32_e32 v13, 0
	s_barrier_signal -1
	s_barrier_wait -1
	s_and_saveexec_b32 s34, s1
	s_cbranch_execnz .LBB686_34
; %bb.26:                               ;   in Loop: Header=BB686_4 Depth=1
	s_or_b32 exec_lo, exec_lo, s34
	s_and_saveexec_b32 s34, s1
	s_cbranch_execnz .LBB686_35
.LBB686_27:                             ;   in Loop: Header=BB686_4 Depth=1
	s_or_b32 exec_lo, exec_lo, s34
                                        ; implicit-def: $vgpr12
	s_and_saveexec_b32 s34, s0
	s_cbranch_execnz .LBB686_36
	s_branch .LBB686_39
.LBB686_28:                             ;   in Loop: Header=BB686_4 Depth=1
	s_wait_dscnt 0x0
	s_delay_alu instid0(VALU_DEP_1)
	v_mov_b64_e32 v[12:13], v[10:11]
	v_dual_mov_b32 v19, 0 :: v_dual_mov_b32 v20, v0
	v_mov_b32_e32 v21, v17
	s_mov_b32 s35, 0
	s_branch .LBB686_30
.LBB686_29:                             ;   in Loop: Header=BB686_30 Depth=2
	s_or_b32 exec_lo, exec_lo, s36
	s_delay_alu instid0(VALU_DEP_1) | instskip(SKIP_2) | instid1(VALU_DEP_3)
	v_and_b32_e32 v22, 0xffff0000, v22
	v_add_nc_u32_e32 v20, 0x400, v20
	v_add_nc_u64_e32 v[12:13], 0x800, v[12:13]
	v_dual_add_nc_u32 v21, s31, v21 :: v_dual_add_f32 v19, v19, v22
	s_delay_alu instid0(VALU_DEP_3) | instskip(SKIP_1) | instid1(SALU_CYCLE_1)
	v_cmp_le_i32_e32 vcc_lo, s20, v20
	s_or_b32 s35, vcc_lo, s35
	s_and_not1_b32 exec_lo, exec_lo, s35
	s_cbranch_execz .LBB686_42
.LBB686_30:                             ;   Parent Loop BB686_4 Depth=1
                                        ; =>  This Inner Loop Header: Depth=2
	v_readfirstlane_b32 s36, v8
	v_readfirstlane_b32 s37, v9
	flat_load_u16 v22, v[12:13]
	flat_load_u16 v23, v21, s[36:37] scale_offset
	s_wait_loadcnt_dscnt 0x0
	v_dual_lshlrev_b32 v22, 16, v22 :: v_dual_lshlrev_b32 v23, 16, v23
	s_delay_alu instid0(VALU_DEP_1) | instskip(NEXT) | instid1(VALU_DEP_1)
	v_mul_f32_e32 v23, v23, v22
	v_and_b32_e32 v22, 0x7f800000, v23
	s_delay_alu instid0(VALU_DEP_1) | instskip(SKIP_2) | instid1(SALU_CYCLE_1)
	v_cmp_ne_u32_e32 vcc_lo, 0x7f800000, v22
                                        ; implicit-def: $vgpr22
	s_wait_xcnt 0x0
	s_and_saveexec_b32 s36, vcc_lo
	s_xor_b32 s36, exec_lo, s36
; %bb.31:                               ;   in Loop: Header=BB686_30 Depth=2
	v_bfe_u32 v22, v23, 16, 1
	s_delay_alu instid0(VALU_DEP_1)
	v_add3_u32 v22, v23, v22, 0x7fff
                                        ; implicit-def: $vgpr23
; %bb.32:                               ;   in Loop: Header=BB686_30 Depth=2
	s_and_not1_saveexec_b32 s36, s36
	s_cbranch_execz .LBB686_29
; %bb.33:                               ;   in Loop: Header=BB686_30 Depth=2
	v_and_b32_e32 v22, 0xffff, v23
	v_or_b32_e32 v24, 0x10000, v23
	s_delay_alu instid0(VALU_DEP_2) | instskip(NEXT) | instid1(VALU_DEP_2)
	v_cmp_eq_u32_e32 vcc_lo, 0, v22
	v_cndmask_b32_e32 v22, v24, v23, vcc_lo
	s_branch .LBB686_29
.LBB686_34:                             ;   in Loop: Header=BB686_4 Depth=1
	ds_load_b32 v13, v15
	s_or_b32 exec_lo, exec_lo, s34
	s_and_saveexec_b32 s34, s1
	s_cbranch_execz .LBB686_27
.LBB686_35:                             ;   in Loop: Header=BB686_4 Depth=1
	s_wait_dscnt 0x0
	ds_bpermute_b32 v12, v18, v13
	s_wait_dscnt 0x0
	v_add_f32_e32 v12, v13, v12
	ds_bpermute_b32 v8, v8, v12
	s_wait_dscnt 0x0
	v_add_f32_e32 v8, v12, v8
	;; [unrolled: 3-line block ×5, first 2 shown]
	s_or_b32 exec_lo, exec_lo, s34
                                        ; implicit-def: $vgpr12
	s_and_saveexec_b32 s34, s0
	s_cbranch_execz .LBB686_39
.LBB686_36:                             ;   in Loop: Header=BB686_4 Depth=1
	s_wait_dscnt 0x0
	v_mul_f32_e32 v12, s26, v13
	s_and_not1_b32 vcc_lo, exec_lo, s30
	s_cbranch_vccnz .LBB686_38
; %bb.37:                               ;   in Loop: Header=BB686_4 Depth=1
	v_add_nc_u64_e32 v[8:9], s[24:25], v[6:7]
	flat_load_b32 v8, v[8:9]
	s_wait_loadcnt_dscnt 0x0
	v_fmac_f32_e32 v12, s27, v8
.LBB686_38:                             ;   in Loop: Header=BB686_4 Depth=1
	s_or_b32 s33, s33, exec_lo
.LBB686_39:                             ;   in Loop: Header=BB686_4 Depth=1
	s_wait_xcnt 0x0
	s_or_b32 exec_lo, exec_lo, s34
.LBB686_40:                             ;   in Loop: Header=BB686_4 Depth=1
	s_and_saveexec_b32 s34, s33
	s_cbranch_execz .LBB686_2
; %bb.41:                               ;   in Loop: Header=BB686_4 Depth=1
	v_add_nc_u64_e32 v[6:7], s[24:25], v[6:7]
	flat_store_b32 v[6:7], v12
	s_branch .LBB686_2
.LBB686_42:                             ;   in Loop: Header=BB686_4 Depth=1
	s_or_b32 exec_lo, exec_lo, s35
	s_delay_alu instid0(SALU_CYCLE_1)
	s_or_b32 exec_lo, exec_lo, s34
	s_and_saveexec_b32 s34, s4
	s_cbranch_execz .LBB686_21
.LBB686_43:                             ;   in Loop: Header=BB686_4 Depth=1
	v_lshl_add_u64 v[10:11], s[20:21], 1, v[10:11]
	v_lshl_add_u64 v[8:9], v[4:5], 1, v[8:9]
	flat_load_u16 v12, v[10:11]
	s_wait_dscnt 0x1
	flat_load_u16 v13, v[8:9]
	s_wait_loadcnt_dscnt 0x0
	s_wait_xcnt 0x0
	v_dual_lshlrev_b32 v8, 16, v12 :: v_dual_lshlrev_b32 v9, 16, v13
	s_delay_alu instid0(VALU_DEP_1) | instskip(NEXT) | instid1(VALU_DEP_1)
	v_mul_f32_e32 v8, v9, v8
	v_and_b32_e32 v9, 0x7f800000, v8
	s_delay_alu instid0(VALU_DEP_1) | instskip(SKIP_1) | instid1(SALU_CYCLE_1)
	v_cmp_ne_u32_e32 vcc_lo, 0x7f800000, v9
                                        ; implicit-def: $vgpr9
	s_and_saveexec_b32 s35, vcc_lo
	s_xor_b32 s35, exec_lo, s35
; %bb.44:                               ;   in Loop: Header=BB686_4 Depth=1
	v_bfe_u32 v9, v8, 16, 1
	s_delay_alu instid0(VALU_DEP_1)
	v_add3_u32 v9, v8, v9, 0x7fff
                                        ; implicit-def: $vgpr8
; %bb.45:                               ;   in Loop: Header=BB686_4 Depth=1
	s_and_not1_saveexec_b32 s35, s35
; %bb.46:                               ;   in Loop: Header=BB686_4 Depth=1
	v_and_b32_e32 v9, 0xffff, v8
	v_or_b32_e32 v10, 0x10000, v8
	s_delay_alu instid0(VALU_DEP_2) | instskip(NEXT) | instid1(VALU_DEP_2)
	v_cmp_eq_u32_e32 vcc_lo, 0, v9
	v_cndmask_b32_e32 v9, v10, v8, vcc_lo
; %bb.47:                               ;   in Loop: Header=BB686_4 Depth=1
	s_or_b32 exec_lo, exec_lo, s35
	s_delay_alu instid0(VALU_DEP_1) | instskip(NEXT) | instid1(VALU_DEP_1)
	v_and_b32_e32 v8, 0xffff0000, v9
	v_add_f32_e32 v19, v19, v8
	s_or_b32 exec_lo, exec_lo, s34
	s_and_saveexec_b32 s34, s1
	s_cbranch_execnz .LBB686_22
	s_branch .LBB686_23
.LBB686_48:
	s_endpgm
	.section	.rodata,"a",@progbits
	.p2align	6, 0x0
	.amdhsa_kernel _ZL32rocblas_gemvt_warp_reduce_kernelILb0ELi1024EiPK16rocblas_bfloat16fKPfEviiT3_lPKT2_lT1_lS8_lS9_lS5_lPT4_lS9_li
		.amdhsa_group_segment_fixed_size 128
		.amdhsa_private_segment_fixed_size 0
		.amdhsa_kernarg_size 140
		.amdhsa_user_sgpr_count 2
		.amdhsa_user_sgpr_dispatch_ptr 0
		.amdhsa_user_sgpr_queue_ptr 0
		.amdhsa_user_sgpr_kernarg_segment_ptr 1
		.amdhsa_user_sgpr_dispatch_id 0
		.amdhsa_user_sgpr_kernarg_preload_length 0
		.amdhsa_user_sgpr_kernarg_preload_offset 0
		.amdhsa_user_sgpr_private_segment_size 0
		.amdhsa_wavefront_size32 1
		.amdhsa_uses_dynamic_stack 0
		.amdhsa_enable_private_segment 0
		.amdhsa_system_sgpr_workgroup_id_x 1
		.amdhsa_system_sgpr_workgroup_id_y 0
		.amdhsa_system_sgpr_workgroup_id_z 1
		.amdhsa_system_sgpr_workgroup_info 0
		.amdhsa_system_vgpr_workitem_id 0
		.amdhsa_next_free_vgpr 25
		.amdhsa_next_free_sgpr 38
		.amdhsa_named_barrier_count 0
		.amdhsa_reserve_vcc 1
		.amdhsa_float_round_mode_32 0
		.amdhsa_float_round_mode_16_64 0
		.amdhsa_float_denorm_mode_32 3
		.amdhsa_float_denorm_mode_16_64 3
		.amdhsa_fp16_overflow 0
		.amdhsa_memory_ordered 1
		.amdhsa_forward_progress 1
		.amdhsa_inst_pref_size 14
		.amdhsa_round_robin_scheduling 0
		.amdhsa_exception_fp_ieee_invalid_op 0
		.amdhsa_exception_fp_denorm_src 0
		.amdhsa_exception_fp_ieee_div_zero 0
		.amdhsa_exception_fp_ieee_overflow 0
		.amdhsa_exception_fp_ieee_underflow 0
		.amdhsa_exception_fp_ieee_inexact 0
		.amdhsa_exception_int_div_zero 0
	.end_amdhsa_kernel
	.section	.text._ZL32rocblas_gemvt_warp_reduce_kernelILb0ELi1024EiPK16rocblas_bfloat16fKPfEviiT3_lPKT2_lT1_lS8_lS9_lS5_lPT4_lS9_li,"axG",@progbits,_ZL32rocblas_gemvt_warp_reduce_kernelILb0ELi1024EiPK16rocblas_bfloat16fKPfEviiT3_lPKT2_lT1_lS8_lS9_lS5_lPT4_lS9_li,comdat
.Lfunc_end686:
	.size	_ZL32rocblas_gemvt_warp_reduce_kernelILb0ELi1024EiPK16rocblas_bfloat16fKPfEviiT3_lPKT2_lT1_lS8_lS9_lS5_lPT4_lS9_li, .Lfunc_end686-_ZL32rocblas_gemvt_warp_reduce_kernelILb0ELi1024EiPK16rocblas_bfloat16fKPfEviiT3_lPKT2_lT1_lS8_lS9_lS5_lPT4_lS9_li
                                        ; -- End function
	.set _ZL32rocblas_gemvt_warp_reduce_kernelILb0ELi1024EiPK16rocblas_bfloat16fKPfEviiT3_lPKT2_lT1_lS8_lS9_lS5_lPT4_lS9_li.num_vgpr, 25
	.set _ZL32rocblas_gemvt_warp_reduce_kernelILb0ELi1024EiPK16rocblas_bfloat16fKPfEviiT3_lPKT2_lT1_lS8_lS9_lS5_lPT4_lS9_li.num_agpr, 0
	.set _ZL32rocblas_gemvt_warp_reduce_kernelILb0ELi1024EiPK16rocblas_bfloat16fKPfEviiT3_lPKT2_lT1_lS8_lS9_lS5_lPT4_lS9_li.numbered_sgpr, 38
	.set _ZL32rocblas_gemvt_warp_reduce_kernelILb0ELi1024EiPK16rocblas_bfloat16fKPfEviiT3_lPKT2_lT1_lS8_lS9_lS5_lPT4_lS9_li.num_named_barrier, 0
	.set _ZL32rocblas_gemvt_warp_reduce_kernelILb0ELi1024EiPK16rocblas_bfloat16fKPfEviiT3_lPKT2_lT1_lS8_lS9_lS5_lPT4_lS9_li.private_seg_size, 0
	.set _ZL32rocblas_gemvt_warp_reduce_kernelILb0ELi1024EiPK16rocblas_bfloat16fKPfEviiT3_lPKT2_lT1_lS8_lS9_lS5_lPT4_lS9_li.uses_vcc, 1
	.set _ZL32rocblas_gemvt_warp_reduce_kernelILb0ELi1024EiPK16rocblas_bfloat16fKPfEviiT3_lPKT2_lT1_lS8_lS9_lS5_lPT4_lS9_li.uses_flat_scratch, 0
	.set _ZL32rocblas_gemvt_warp_reduce_kernelILb0ELi1024EiPK16rocblas_bfloat16fKPfEviiT3_lPKT2_lT1_lS8_lS9_lS5_lPT4_lS9_li.has_dyn_sized_stack, 0
	.set _ZL32rocblas_gemvt_warp_reduce_kernelILb0ELi1024EiPK16rocblas_bfloat16fKPfEviiT3_lPKT2_lT1_lS8_lS9_lS5_lPT4_lS9_li.has_recursion, 0
	.set _ZL32rocblas_gemvt_warp_reduce_kernelILb0ELi1024EiPK16rocblas_bfloat16fKPfEviiT3_lPKT2_lT1_lS8_lS9_lS5_lPT4_lS9_li.has_indirect_call, 0
	.section	.AMDGPU.csdata,"",@progbits
; Kernel info:
; codeLenInByte = 1696
; TotalNumSgprs: 40
; NumVgprs: 25
; ScratchSize: 0
; MemoryBound: 0
; FloatMode: 240
; IeeeMode: 1
; LDSByteSize: 128 bytes/workgroup (compile time only)
; SGPRBlocks: 0
; VGPRBlocks: 1
; NumSGPRsForWavesPerEU: 40
; NumVGPRsForWavesPerEU: 25
; NamedBarCnt: 0
; Occupancy: 16
; WaveLimiterHint : 1
; COMPUTE_PGM_RSRC2:SCRATCH_EN: 0
; COMPUTE_PGM_RSRC2:USER_SGPR: 2
; COMPUTE_PGM_RSRC2:TRAP_HANDLER: 0
; COMPUTE_PGM_RSRC2:TGID_X_EN: 1
; COMPUTE_PGM_RSRC2:TGID_Y_EN: 0
; COMPUTE_PGM_RSRC2:TGID_Z_EN: 1
; COMPUTE_PGM_RSRC2:TIDIG_COMP_CNT: 0
	.section	.text._ZL32rocblas_gemvt_warp_reduce_kernelILb0ELi1024ElPK16rocblas_bfloat16fKPfEviiT3_lPKT2_lT1_lS8_lS9_lS5_lPT4_lS9_li,"axG",@progbits,_ZL32rocblas_gemvt_warp_reduce_kernelILb0ELi1024ElPK16rocblas_bfloat16fKPfEviiT3_lPKT2_lT1_lS8_lS9_lS5_lPT4_lS9_li,comdat
	.globl	_ZL32rocblas_gemvt_warp_reduce_kernelILb0ELi1024ElPK16rocblas_bfloat16fKPfEviiT3_lPKT2_lT1_lS8_lS9_lS5_lPT4_lS9_li ; -- Begin function _ZL32rocblas_gemvt_warp_reduce_kernelILb0ELi1024ElPK16rocblas_bfloat16fKPfEviiT3_lPKT2_lT1_lS8_lS9_lS5_lPT4_lS9_li
	.p2align	8
	.type	_ZL32rocblas_gemvt_warp_reduce_kernelILb0ELi1024ElPK16rocblas_bfloat16fKPfEviiT3_lPKT2_lT1_lS8_lS9_lS5_lPT4_lS9_li,@function
_ZL32rocblas_gemvt_warp_reduce_kernelILb0ELi1024ElPK16rocblas_bfloat16fKPfEviiT3_lPKT2_lT1_lS8_lS9_lS5_lPT4_lS9_li: ; @_ZL32rocblas_gemvt_warp_reduce_kernelILb0ELi1024ElPK16rocblas_bfloat16fKPfEviiT3_lPKT2_lT1_lS8_lS9_lS5_lPT4_lS9_li
; %bb.0:
	s_load_b32 s5, s[0:1], 0x88
	s_bfe_u32 s2, ttmp6, 0x40014
	s_lshr_b32 s3, ttmp7, 16
	s_add_co_i32 s2, s2, 1
	s_bfe_u32 s6, ttmp6, 0x40008
	s_mul_i32 s4, s3, s2
	s_getreg_b32 s2, hwreg(HW_REG_IB_STS2, 6, 4)
	s_add_co_i32 s6, s6, s4
	s_cmp_eq_u32 s2, 0
	s_mov_b32 s7, 0
	s_cselect_b32 s6, s3, s6
	s_wait_kmcnt 0x0
	s_cmp_ge_u32 s6, s5
	s_cbranch_scc1 .LBB687_48
; %bb.1:
	s_clause 0x7
	s_load_b32 s28, s[0:1], 0x8
	s_load_b32 s29, s[0:1], 0x58
	s_load_b128 s[8:11], s[0:1], 0x18
	s_load_b64 s[22:23], s[0:1], 0x28
	s_load_b32 s4, s[0:1], 0x0
	s_load_b128 s[12:15], s[0:1], 0x68
	s_load_b64 s[24:25], s[0:1], 0x48
	s_load_b64 s[26:27], s[0:1], 0x78
	v_mbcnt_lo_u32_b32 v20, -1, 0
	s_delay_alu instid0(VALU_DEP_1)
	v_lshl_or_b32 v21, v20, 2, 64
	s_wait_kmcnt 0x0
	s_cmp_eq_f32 s28, 0
	s_cselect_b32 s30, -1, 0
	s_cmp_neq_f32 s29, 1.0
	s_cselect_b32 s3, -1, 0
	s_cmp_neq_f32 s28, 0
	s_cselect_b32 s16, -1, 0
	s_delay_alu instid0(SALU_CYCLE_1)
	s_or_b32 s31, s16, s3
	s_cmp_neq_f32 s29, 0
	v_cndmask_b32_e64 v18, 0, 1, s16
	s_cselect_b32 s33, -1, 0
	s_bfe_u32 s3, ttmp6, 0x4000c
	s_and_b32 s16, ttmp6, 15
	s_add_co_i32 s3, s3, 1
	s_delay_alu instid0(SALU_CYCLE_1) | instskip(NEXT) | instid1(SALU_CYCLE_1)
	s_mul_i32 s3, ttmp9, s3
	s_add_co_i32 s16, s16, s3
	s_cmp_eq_u32 s2, 0
	s_cselect_b32 s2, ttmp9, s16
	s_load_b128 s[16:19], s[0:1], 0x38
	s_ashr_i32 s3, s4, 31
	v_cmp_gt_i32_e32 vcc_lo, s4, v0
	s_lshr_b32 s3, s3, 22
	s_wait_xcnt 0x0
	v_cmp_eq_u32_e64 s0, 0, v0
	s_add_co_i32 s3, s4, s3
	s_lshl_b64 s[10:11], s[10:11], 1
	s_and_b32 s20, s3, 0xfffffc00
	s_delay_alu instid0(SALU_CYCLE_1) | instskip(SKIP_3) | instid1(VALU_DEP_2)
	v_dual_mov_b32 v3, 0 :: v_dual_bitop2_b32 v8, s20, v0 bitop3:0x54
	s_ashr_i32 s3, s2, 31
	v_cndmask_b32_e32 v2, 0, v0, vcc_lo
	s_mul_u64 s[26:27], s[26:27], s[2:3]
	v_dual_mov_b32 v1, v3 :: v_dual_ashrrev_i32 v9, 31, v8
	s_mul_u64 s[22:23], s[22:23], s[2:3]
	v_cmp_gt_i32_e64 s2, s4, v8
	v_cmp_gt_i32_e64 s1, s20, v0
	s_delay_alu instid0(VALU_DEP_3)
	v_mul_u64_e32 v[6:7], s[24:25], v[0:1]
	v_mul_u64_e32 v[4:5], s[24:25], v[8:9]
	v_dual_lshrrev_b32 v8, 3, v0 :: v_dual_bitop2_b32 v9, 31, v0 bitop3:0x40
	v_cmp_gt_u32_e64 s3, 32, v0
	v_lshlrev_b32_e32 v2, 1, v2
	s_ashr_i32 s21, s20, 31
	v_lshlrev_b32_e32 v1, 2, v9
	v_cmp_eq_u32_e64 s4, 0, v9
	v_and_b32_e32 v19, 0x7c, v8
	s_lshl_b64 s[24:25], s[24:25], 11
	s_wait_kmcnt 0x0
	s_lshl_b64 s[18:19], s[18:19], 1
	s_lshl_b64 s[14:15], s[14:15], 2
	;; [unrolled: 1-line block ×3, first 2 shown]
	v_lshlrev_b64_e32 v[6:7], 1, v[6:7]
	s_branch .LBB687_4
.LBB687_2:                              ;   in Loop: Header=BB687_4 Depth=1
	s_wait_xcnt 0x0
	s_or_b32 exec_lo, exec_lo, s35
.LBB687_3:                              ;   in Loop: Header=BB687_4 Depth=1
	s_add_co_i32 s6, s6, 0x10000
	s_delay_alu instid0(SALU_CYCLE_1)
	s_cmp_lt_u32 s6, s5
	s_cbranch_scc0 .LBB687_48
.LBB687_4:                              ; =>This Loop Header: Depth=1
                                        ;     Child Loop BB687_30 Depth 2
	s_and_not1_b32 vcc_lo, exec_lo, s31
	s_cbranch_vccnz .LBB687_3
; %bb.5:                                ;   in Loop: Header=BB687_4 Depth=1
	s_and_not1_b32 vcc_lo, exec_lo, s30
	s_cbranch_vccnz .LBB687_7
; %bb.6:                                ;   in Loop: Header=BB687_4 Depth=1
	v_mov_b64_e32 v[10:11], 0
	v_mov_b64_e32 v[12:13], 0
	s_cbranch_execz .LBB687_8
	s_branch .LBB687_9
.LBB687_7:                              ;   in Loop: Header=BB687_4 Depth=1
	v_mov_b64_e32 v[10:11], 0
	v_mov_b64_e32 v[12:13], 0
.LBB687_8:                              ;   in Loop: Header=BB687_4 Depth=1
	s_lshl_b64 s[34:35], s[6:7], 3
	s_delay_alu instid0(SALU_CYCLE_1)
	s_add_nc_u64 s[34:35], s[8:9], s[34:35]
	global_load_b64 v[8:9], v3, s[34:35]
	s_wait_loadcnt 0x0
	v_add_nc_u64_e32 v[12:13], s[10:11], v[8:9]
.LBB687_9:                              ;   in Loop: Header=BB687_4 Depth=1
	v_cmp_ne_u32_e32 vcc_lo, 1, v18
	s_cbranch_vccnz .LBB687_11
; %bb.10:                               ;   in Loop: Header=BB687_4 Depth=1
	s_wait_xcnt 0x0
	s_lshl_b64 s[34:35], s[6:7], 3
	s_delay_alu instid0(SALU_CYCLE_1)
	s_add_nc_u64 s[34:35], s[16:17], s[34:35]
	global_load_b64 v[8:9], v3, s[34:35]
	s_wait_loadcnt 0x0
	v_add_nc_u64_e32 v[10:11], s[18:19], v[8:9]
.LBB687_11:                             ;   in Loop: Header=BB687_4 Depth=1
	s_wait_xcnt 0x0
	s_lshl_b64 s[34:35], s[6:7], 3
	s_and_not1_b32 vcc_lo, exec_lo, s30
	s_add_nc_u64 s[34:35], s[12:13], s[34:35]
	global_load_b64 v[8:9], v3, s[34:35]
	s_wait_loadcnt 0x0
	v_add_nc_u64_e32 v[8:9], s[14:15], v[8:9]
	s_cbranch_vccnz .LBB687_15
; %bb.12:                               ;   in Loop: Header=BB687_4 Depth=1
	s_wait_xcnt 0x0
	s_mov_b32 s35, 0
	s_mov_b32 s34, 0
                                        ; implicit-def: $vgpr14
	s_and_saveexec_b32 s36, s0
	s_cbranch_execz .LBB687_16
; %bb.13:                               ;   in Loop: Header=BB687_4 Depth=1
	s_and_not1_b32 vcc_lo, exec_lo, s33
	s_cbranch_vccnz .LBB687_17
; %bb.14:                               ;   in Loop: Header=BB687_4 Depth=1
	s_wait_dscnt 0x0
	v_add_nc_u64_e32 v[14:15], s[26:27], v[8:9]
	flat_load_b32 v14, v[14:15]
	s_wait_loadcnt_dscnt 0x0
	s_wait_xcnt 0x0
	v_mul_f32_e32 v14, s29, v14
	s_branch .LBB687_18
.LBB687_15:                             ;   in Loop: Header=BB687_4 Depth=1
	s_wait_xcnt 0x0
	s_mov_b32 s34, 0
                                        ; implicit-def: $vgpr14
	s_cbranch_execnz .LBB687_19
	s_branch .LBB687_40
.LBB687_16:                             ;   in Loop: Header=BB687_4 Depth=1
	s_or_b32 exec_lo, exec_lo, s36
	s_delay_alu instid0(SALU_CYCLE_1)
	s_and_b32 vcc_lo, exec_lo, s35
	s_cbranch_vccnz .LBB687_19
	s_branch .LBB687_40
.LBB687_17:                             ;   in Loop: Header=BB687_4 Depth=1
	v_mov_b32_e32 v14, 0
.LBB687_18:                             ;   in Loop: Header=BB687_4 Depth=1
	s_mov_b32 s34, exec_lo
	s_or_b32 exec_lo, exec_lo, s36
	s_delay_alu instid0(SALU_CYCLE_1)
	s_and_b32 vcc_lo, exec_lo, s35
	s_cbranch_vccz .LBB687_40
.LBB687_19:                             ;   in Loop: Header=BB687_4 Depth=1
	v_add_nc_u64_e32 v[12:13], v[12:13], v[2:3]
	v_mov_b32_e32 v22, 0
	s_delay_alu instid0(VALU_DEP_2)
	v_lshl_add_u64 v[12:13], s[22:23], 1, v[12:13]
	s_and_saveexec_b32 s35, s1
	s_cbranch_execnz .LBB687_28
; %bb.20:                               ;   in Loop: Header=BB687_4 Depth=1
	s_or_b32 exec_lo, exec_lo, s35
	s_and_saveexec_b32 s35, s2
	s_cbranch_execnz .LBB687_43
.LBB687_21:                             ;   in Loop: Header=BB687_4 Depth=1
	s_or_b32 exec_lo, exec_lo, s35
	s_and_saveexec_b32 s35, s3
.LBB687_22:                             ;   in Loop: Header=BB687_4 Depth=1
	ds_store_b32 v1, v3
.LBB687_23:                             ;   in Loop: Header=BB687_4 Depth=1
	s_or_b32 exec_lo, exec_lo, s35
	ds_bpermute_b32 v11, v21, v22
	v_cmp_gt_u32_e32 vcc_lo, 24, v20
	s_wait_dscnt 0x0
	s_barrier_signal -1
	s_barrier_wait -1
	v_cndmask_b32_e64 v10, 0, 8, vcc_lo
	v_cmp_gt_u32_e32 vcc_lo, 28, v20
	s_delay_alu instid0(VALU_DEP_2)
	v_add_lshl_u32 v10, v10, v20, 2
	v_add_f32_e32 v12, v22, v11
	v_cndmask_b32_e64 v11, 0, 4, vcc_lo
	v_cmp_gt_u32_e32 vcc_lo, 30, v20
	ds_bpermute_b32 v13, v10, v12
	v_add_lshl_u32 v11, v11, v20, 2
	s_wait_dscnt 0x0
	v_add_f32_e32 v13, v12, v13
	v_cndmask_b32_e64 v12, 0, 2, vcc_lo
	v_cmp_ne_u32_e32 vcc_lo, 31, v20
	ds_bpermute_b32 v14, v11, v13
	v_add_lshl_u32 v12, v12, v20, 2
	v_add_co_ci_u32_e64 v15, null, 0, v20, vcc_lo
	s_wait_dscnt 0x0
	v_add_f32_e32 v13, v13, v14
	ds_bpermute_b32 v14, v12, v13
	s_wait_dscnt 0x0
	v_dual_add_f32 v14, v13, v14 :: v_dual_lshlrev_b32 v13, 2, v15
	ds_bpermute_b32 v15, v13, v14
	s_and_saveexec_b32 s35, s4
	s_cbranch_execz .LBB687_25
; %bb.24:                               ;   in Loop: Header=BB687_4 Depth=1
	s_wait_dscnt 0x0
	v_add_f32_e32 v14, v14, v15
	ds_store_b32 v19, v14
.LBB687_25:                             ;   in Loop: Header=BB687_4 Depth=1
	s_or_b32 exec_lo, exec_lo, s35
	s_wait_dscnt 0x0
	v_mov_b32_e32 v15, 0
	s_barrier_signal -1
	s_barrier_wait -1
	s_and_saveexec_b32 s35, s3
	s_cbranch_execnz .LBB687_34
; %bb.26:                               ;   in Loop: Header=BB687_4 Depth=1
	s_or_b32 exec_lo, exec_lo, s35
	s_and_saveexec_b32 s35, s3
	s_cbranch_execnz .LBB687_35
.LBB687_27:                             ;   in Loop: Header=BB687_4 Depth=1
	s_or_b32 exec_lo, exec_lo, s35
                                        ; implicit-def: $vgpr14
	s_and_saveexec_b32 s35, s0
	s_cbranch_execnz .LBB687_36
	s_branch .LBB687_39
.LBB687_28:                             ;   in Loop: Header=BB687_4 Depth=1
	s_wait_dscnt 0x0
	v_add_nc_u64_e32 v[14:15], v[10:11], v[6:7]
	v_mov_b64_e32 v[16:17], v[12:13]
	v_dual_mov_b32 v22, 0 :: v_dual_mov_b32 v23, v0
	s_mov_b32 s36, 0
	s_branch .LBB687_30
.LBB687_29:                             ;   in Loop: Header=BB687_30 Depth=2
	s_or_b32 exec_lo, exec_lo, s37
	s_delay_alu instid0(VALU_DEP_1) | instskip(SKIP_3) | instid1(VALU_DEP_4)
	v_and_b32_e32 v24, 0xffff0000, v25
	v_add_nc_u32_e32 v23, 0x400, v23
	v_add_nc_u64_e32 v[16:17], 0x800, v[16:17]
	v_add_nc_u64_e32 v[14:15], s[24:25], v[14:15]
	v_add_f32_e32 v22, v22, v24
	s_delay_alu instid0(VALU_DEP_4) | instskip(SKIP_1) | instid1(SALU_CYCLE_1)
	v_cmp_le_i32_e32 vcc_lo, s20, v23
	s_or_b32 s36, vcc_lo, s36
	s_and_not1_b32 exec_lo, exec_lo, s36
	s_cbranch_execz .LBB687_42
.LBB687_30:                             ;   Parent Loop BB687_4 Depth=1
                                        ; =>  This Inner Loop Header: Depth=2
	flat_load_u16 v24, v[16:17]
	flat_load_u16 v25, v[14:15]
	s_wait_loadcnt_dscnt 0x0
	v_dual_lshlrev_b32 v24, 16, v24 :: v_dual_lshlrev_b32 v25, 16, v25
	s_delay_alu instid0(VALU_DEP_1) | instskip(NEXT) | instid1(VALU_DEP_1)
	v_mul_f32_e32 v24, v25, v24
	v_and_b32_e32 v25, 0x7f800000, v24
	s_delay_alu instid0(VALU_DEP_1) | instskip(SKIP_2) | instid1(SALU_CYCLE_1)
	v_cmp_ne_u32_e32 vcc_lo, 0x7f800000, v25
                                        ; implicit-def: $vgpr25
	s_wait_xcnt 0x0
	s_and_saveexec_b32 s37, vcc_lo
	s_xor_b32 s37, exec_lo, s37
; %bb.31:                               ;   in Loop: Header=BB687_30 Depth=2
	v_bfe_u32 v25, v24, 16, 1
	s_delay_alu instid0(VALU_DEP_1)
	v_add3_u32 v25, v24, v25, 0x7fff
                                        ; implicit-def: $vgpr24
; %bb.32:                               ;   in Loop: Header=BB687_30 Depth=2
	s_and_not1_saveexec_b32 s37, s37
	s_cbranch_execz .LBB687_29
; %bb.33:                               ;   in Loop: Header=BB687_30 Depth=2
	v_and_b32_e32 v25, 0xffff, v24
	v_or_b32_e32 v26, 0x10000, v24
	s_delay_alu instid0(VALU_DEP_2) | instskip(NEXT) | instid1(VALU_DEP_2)
	v_cmp_eq_u32_e32 vcc_lo, 0, v25
	v_cndmask_b32_e32 v25, v26, v24, vcc_lo
	s_branch .LBB687_29
.LBB687_34:                             ;   in Loop: Header=BB687_4 Depth=1
	ds_load_b32 v15, v1
	s_or_b32 exec_lo, exec_lo, s35
	s_and_saveexec_b32 s35, s3
	s_cbranch_execz .LBB687_27
.LBB687_35:                             ;   in Loop: Header=BB687_4 Depth=1
	s_wait_dscnt 0x0
	ds_bpermute_b32 v14, v21, v15
	s_wait_dscnt 0x0
	v_add_f32_e32 v14, v15, v14
	ds_bpermute_b32 v10, v10, v14
	s_wait_dscnt 0x0
	v_add_f32_e32 v10, v14, v10
	;; [unrolled: 3-line block ×5, first 2 shown]
	s_or_b32 exec_lo, exec_lo, s35
                                        ; implicit-def: $vgpr14
	s_and_saveexec_b32 s35, s0
	s_cbranch_execz .LBB687_39
.LBB687_36:                             ;   in Loop: Header=BB687_4 Depth=1
	s_wait_dscnt 0x0
	v_mul_f32_e32 v14, s28, v15
	s_and_not1_b32 vcc_lo, exec_lo, s33
	s_cbranch_vccnz .LBB687_38
; %bb.37:                               ;   in Loop: Header=BB687_4 Depth=1
	v_add_nc_u64_e32 v[10:11], s[26:27], v[8:9]
	flat_load_b32 v10, v[10:11]
	s_wait_loadcnt_dscnt 0x0
	v_fmac_f32_e32 v14, s29, v10
.LBB687_38:                             ;   in Loop: Header=BB687_4 Depth=1
	s_or_b32 s34, s34, exec_lo
.LBB687_39:                             ;   in Loop: Header=BB687_4 Depth=1
	s_wait_xcnt 0x0
	s_or_b32 exec_lo, exec_lo, s35
.LBB687_40:                             ;   in Loop: Header=BB687_4 Depth=1
	s_and_saveexec_b32 s35, s34
	s_cbranch_execz .LBB687_2
; %bb.41:                               ;   in Loop: Header=BB687_4 Depth=1
	v_add_nc_u64_e32 v[8:9], s[26:27], v[8:9]
	flat_store_b32 v[8:9], v14
	s_branch .LBB687_2
.LBB687_42:                             ;   in Loop: Header=BB687_4 Depth=1
	s_or_b32 exec_lo, exec_lo, s36
	s_delay_alu instid0(SALU_CYCLE_1)
	s_or_b32 exec_lo, exec_lo, s35
	s_and_saveexec_b32 s35, s2
	s_cbranch_execz .LBB687_21
.LBB687_43:                             ;   in Loop: Header=BB687_4 Depth=1
	v_lshl_add_u64 v[12:13], s[20:21], 1, v[12:13]
	v_lshl_add_u64 v[10:11], v[4:5], 1, v[10:11]
	flat_load_u16 v14, v[12:13]
	s_wait_dscnt 0x1
	flat_load_u16 v15, v[10:11]
	s_wait_loadcnt_dscnt 0x0
	s_wait_xcnt 0x0
	v_dual_lshlrev_b32 v10, 16, v14 :: v_dual_lshlrev_b32 v11, 16, v15
	s_delay_alu instid0(VALU_DEP_1) | instskip(NEXT) | instid1(VALU_DEP_1)
	v_mul_f32_e32 v10, v11, v10
	v_and_b32_e32 v11, 0x7f800000, v10
	s_delay_alu instid0(VALU_DEP_1) | instskip(SKIP_1) | instid1(SALU_CYCLE_1)
	v_cmp_ne_u32_e32 vcc_lo, 0x7f800000, v11
                                        ; implicit-def: $vgpr11
	s_and_saveexec_b32 s36, vcc_lo
	s_xor_b32 s36, exec_lo, s36
; %bb.44:                               ;   in Loop: Header=BB687_4 Depth=1
	v_bfe_u32 v11, v10, 16, 1
	s_delay_alu instid0(VALU_DEP_1)
	v_add3_u32 v11, v10, v11, 0x7fff
                                        ; implicit-def: $vgpr10
; %bb.45:                               ;   in Loop: Header=BB687_4 Depth=1
	s_and_not1_saveexec_b32 s36, s36
; %bb.46:                               ;   in Loop: Header=BB687_4 Depth=1
	v_and_b32_e32 v11, 0xffff, v10
	v_or_b32_e32 v12, 0x10000, v10
	s_delay_alu instid0(VALU_DEP_2) | instskip(NEXT) | instid1(VALU_DEP_2)
	v_cmp_eq_u32_e32 vcc_lo, 0, v11
	v_cndmask_b32_e32 v11, v12, v10, vcc_lo
; %bb.47:                               ;   in Loop: Header=BB687_4 Depth=1
	s_or_b32 exec_lo, exec_lo, s36
	s_delay_alu instid0(VALU_DEP_1) | instskip(NEXT) | instid1(VALU_DEP_1)
	v_and_b32_e32 v10, 0xffff0000, v11
	v_add_f32_e32 v22, v22, v10
	s_or_b32 exec_lo, exec_lo, s35
	s_and_saveexec_b32 s35, s3
	s_cbranch_execnz .LBB687_22
	s_branch .LBB687_23
.LBB687_48:
	s_endpgm
	.section	.rodata,"a",@progbits
	.p2align	6, 0x0
	.amdhsa_kernel _ZL32rocblas_gemvt_warp_reduce_kernelILb0ELi1024ElPK16rocblas_bfloat16fKPfEviiT3_lPKT2_lT1_lS8_lS9_lS5_lPT4_lS9_li
		.amdhsa_group_segment_fixed_size 128
		.amdhsa_private_segment_fixed_size 0
		.amdhsa_kernarg_size 140
		.amdhsa_user_sgpr_count 2
		.amdhsa_user_sgpr_dispatch_ptr 0
		.amdhsa_user_sgpr_queue_ptr 0
		.amdhsa_user_sgpr_kernarg_segment_ptr 1
		.amdhsa_user_sgpr_dispatch_id 0
		.amdhsa_user_sgpr_kernarg_preload_length 0
		.amdhsa_user_sgpr_kernarg_preload_offset 0
		.amdhsa_user_sgpr_private_segment_size 0
		.amdhsa_wavefront_size32 1
		.amdhsa_uses_dynamic_stack 0
		.amdhsa_enable_private_segment 0
		.amdhsa_system_sgpr_workgroup_id_x 1
		.amdhsa_system_sgpr_workgroup_id_y 0
		.amdhsa_system_sgpr_workgroup_id_z 1
		.amdhsa_system_sgpr_workgroup_info 0
		.amdhsa_system_vgpr_workitem_id 0
		.amdhsa_next_free_vgpr 27
		.amdhsa_next_free_sgpr 38
		.amdhsa_named_barrier_count 0
		.amdhsa_reserve_vcc 1
		.amdhsa_float_round_mode_32 0
		.amdhsa_float_round_mode_16_64 0
		.amdhsa_float_denorm_mode_32 3
		.amdhsa_float_denorm_mode_16_64 3
		.amdhsa_fp16_overflow 0
		.amdhsa_memory_ordered 1
		.amdhsa_forward_progress 1
		.amdhsa_inst_pref_size 14
		.amdhsa_round_robin_scheduling 0
		.amdhsa_exception_fp_ieee_invalid_op 0
		.amdhsa_exception_fp_denorm_src 0
		.amdhsa_exception_fp_ieee_div_zero 0
		.amdhsa_exception_fp_ieee_overflow 0
		.amdhsa_exception_fp_ieee_underflow 0
		.amdhsa_exception_fp_ieee_inexact 0
		.amdhsa_exception_int_div_zero 0
	.end_amdhsa_kernel
	.section	.text._ZL32rocblas_gemvt_warp_reduce_kernelILb0ELi1024ElPK16rocblas_bfloat16fKPfEviiT3_lPKT2_lT1_lS8_lS9_lS5_lPT4_lS9_li,"axG",@progbits,_ZL32rocblas_gemvt_warp_reduce_kernelILb0ELi1024ElPK16rocblas_bfloat16fKPfEviiT3_lPKT2_lT1_lS8_lS9_lS5_lPT4_lS9_li,comdat
.Lfunc_end687:
	.size	_ZL32rocblas_gemvt_warp_reduce_kernelILb0ELi1024ElPK16rocblas_bfloat16fKPfEviiT3_lPKT2_lT1_lS8_lS9_lS5_lPT4_lS9_li, .Lfunc_end687-_ZL32rocblas_gemvt_warp_reduce_kernelILb0ELi1024ElPK16rocblas_bfloat16fKPfEviiT3_lPKT2_lT1_lS8_lS9_lS5_lPT4_lS9_li
                                        ; -- End function
	.set _ZL32rocblas_gemvt_warp_reduce_kernelILb0ELi1024ElPK16rocblas_bfloat16fKPfEviiT3_lPKT2_lT1_lS8_lS9_lS5_lPT4_lS9_li.num_vgpr, 27
	.set _ZL32rocblas_gemvt_warp_reduce_kernelILb0ELi1024ElPK16rocblas_bfloat16fKPfEviiT3_lPKT2_lT1_lS8_lS9_lS5_lPT4_lS9_li.num_agpr, 0
	.set _ZL32rocblas_gemvt_warp_reduce_kernelILb0ELi1024ElPK16rocblas_bfloat16fKPfEviiT3_lPKT2_lT1_lS8_lS9_lS5_lPT4_lS9_li.numbered_sgpr, 38
	.set _ZL32rocblas_gemvt_warp_reduce_kernelILb0ELi1024ElPK16rocblas_bfloat16fKPfEviiT3_lPKT2_lT1_lS8_lS9_lS5_lPT4_lS9_li.num_named_barrier, 0
	.set _ZL32rocblas_gemvt_warp_reduce_kernelILb0ELi1024ElPK16rocblas_bfloat16fKPfEviiT3_lPKT2_lT1_lS8_lS9_lS5_lPT4_lS9_li.private_seg_size, 0
	.set _ZL32rocblas_gemvt_warp_reduce_kernelILb0ELi1024ElPK16rocblas_bfloat16fKPfEviiT3_lPKT2_lT1_lS8_lS9_lS5_lPT4_lS9_li.uses_vcc, 1
	.set _ZL32rocblas_gemvt_warp_reduce_kernelILb0ELi1024ElPK16rocblas_bfloat16fKPfEviiT3_lPKT2_lT1_lS8_lS9_lS5_lPT4_lS9_li.uses_flat_scratch, 0
	.set _ZL32rocblas_gemvt_warp_reduce_kernelILb0ELi1024ElPK16rocblas_bfloat16fKPfEviiT3_lPKT2_lT1_lS8_lS9_lS5_lPT4_lS9_li.has_dyn_sized_stack, 0
	.set _ZL32rocblas_gemvt_warp_reduce_kernelILb0ELi1024ElPK16rocblas_bfloat16fKPfEviiT3_lPKT2_lT1_lS8_lS9_lS5_lPT4_lS9_li.has_recursion, 0
	.set _ZL32rocblas_gemvt_warp_reduce_kernelILb0ELi1024ElPK16rocblas_bfloat16fKPfEviiT3_lPKT2_lT1_lS8_lS9_lS5_lPT4_lS9_li.has_indirect_call, 0
	.section	.AMDGPU.csdata,"",@progbits
; Kernel info:
; codeLenInByte = 1692
; TotalNumSgprs: 40
; NumVgprs: 27
; ScratchSize: 0
; MemoryBound: 0
; FloatMode: 240
; IeeeMode: 1
; LDSByteSize: 128 bytes/workgroup (compile time only)
; SGPRBlocks: 0
; VGPRBlocks: 1
; NumSGPRsForWavesPerEU: 40
; NumVGPRsForWavesPerEU: 27
; NamedBarCnt: 0
; Occupancy: 16
; WaveLimiterHint : 1
; COMPUTE_PGM_RSRC2:SCRATCH_EN: 0
; COMPUTE_PGM_RSRC2:USER_SGPR: 2
; COMPUTE_PGM_RSRC2:TRAP_HANDLER: 0
; COMPUTE_PGM_RSRC2:TGID_X_EN: 1
; COMPUTE_PGM_RSRC2:TGID_Y_EN: 0
; COMPUTE_PGM_RSRC2:TGID_Z_EN: 1
; COMPUTE_PGM_RSRC2:TIDIG_COMP_CNT: 0
	.section	.text._ZL22rocblas_gemvtsm_kernelILb1ELi256EPK16rocblas_bfloat16PKfKPfEviiT2_lPKT1_lilSA_lilS7_lPT3_lil,"axG",@progbits,_ZL22rocblas_gemvtsm_kernelILb1ELi256EPK16rocblas_bfloat16PKfKPfEviiT2_lPKT1_lilSA_lilS7_lPT3_lil,comdat
	.globl	_ZL22rocblas_gemvtsm_kernelILb1ELi256EPK16rocblas_bfloat16PKfKPfEviiT2_lPKT1_lilSA_lilS7_lPT3_lil ; -- Begin function _ZL22rocblas_gemvtsm_kernelILb1ELi256EPK16rocblas_bfloat16PKfKPfEviiT2_lPKT1_lilSA_lilS7_lPT3_lil
	.p2align	8
	.type	_ZL22rocblas_gemvtsm_kernelILb1ELi256EPK16rocblas_bfloat16PKfKPfEviiT2_lPKT1_lilSA_lilS7_lPT3_lil,@function
_ZL22rocblas_gemvtsm_kernelILb1ELi256EPK16rocblas_bfloat16PKfKPfEviiT2_lPKT1_lilSA_lilS7_lPT3_lil: ; @_ZL22rocblas_gemvtsm_kernelILb1ELi256EPK16rocblas_bfloat16PKfKPfEviiT2_lPKT1_lilSA_lilS7_lPT3_lil
; %bb.0:
	s_clause 0x1
	s_load_b256 s[12:19], s[0:1], 0x8
	s_load_b256 s[4:11], s[0:1], 0x58
	s_bfe_u32 s2, ttmp6, 0x4000c
	s_and_b32 s3, ttmp6, 15
	s_add_co_i32 s2, s2, 1
	s_getreg_b32 s20, hwreg(HW_REG_IB_STS2, 6, 4)
	s_mul_i32 s2, ttmp9, s2
	s_delay_alu instid0(SALU_CYCLE_1)
	s_add_co_i32 s2, s3, s2
	s_cmp_eq_u32 s20, 0
	s_mov_b32 s3, 0
	s_cselect_b32 s2, ttmp9, s2
	s_wait_kmcnt 0x0
	s_mul_u64 s[14:15], s[14:15], s[2:3]
	s_mul_u64 s[6:7], s[6:7], s[2:3]
	s_lshl_b64 s[14:15], s[14:15], 2
	s_lshl_b64 s[6:7], s[6:7], 2
	s_add_nc_u64 s[12:13], s[12:13], s[14:15]
	s_add_nc_u64 s[4:5], s[4:5], s[6:7]
	s_load_b32 s21, s[12:13], 0x0
	s_load_b32 s20, s[4:5], 0x0
	s_wait_kmcnt 0x0
	s_cmp_eq_f32 s21, 0
	s_cselect_b32 s4, -1, 0
	s_cmp_eq_f32 s20, 1.0
	s_cselect_b32 s5, -1, 0
	s_delay_alu instid0(SALU_CYCLE_1) | instskip(NEXT) | instid1(SALU_CYCLE_1)
	s_and_b32 s4, s4, s5
	s_and_b32 vcc_lo, exec_lo, s4
	s_cbranch_vccnz .LBB688_62
; %bb.1:
	s_cmp_neq_f32 s21, 0
	s_mov_b64 s[12:13], 0
	s_mov_b64 s[6:7], 0
	s_cselect_b32 s4, -1, 0
	s_cmp_eq_f32 s21, 0
	s_cselect_b32 s5, -1, 0
	s_delay_alu instid0(SALU_CYCLE_1)
	s_and_b32 vcc_lo, exec_lo, s5
	s_cbranch_vccnz .LBB688_3
; %bb.2:
	s_lshl_b64 s[6:7], s[2:3], 3
	s_lshl_b64 s[14:15], s[18:19], 1
	s_add_nc_u64 s[6:7], s[16:17], s[6:7]
	s_load_b64 s[6:7], s[6:7], 0x0
	s_wait_kmcnt 0x0
	s_add_nc_u64 s[6:7], s[6:7], s[14:15]
.LBB688_3:
	s_and_not1_b32 vcc_lo, exec_lo, s4
	s_cbranch_vccnz .LBB688_5
; %bb.4:
	s_load_b128 s[12:15], s[0:1], 0x38
	s_lshl_b64 s[16:17], s[2:3], 3
	s_wait_kmcnt 0x0
	s_add_nc_u64 s[12:13], s[12:13], s[16:17]
	s_lshl_b64 s[14:15], s[14:15], 1
	s_load_b64 s[12:13], s[12:13], 0x0
	s_wait_kmcnt 0x0
	s_add_nc_u64 s[12:13], s[12:13], s[14:15]
.LBB688_5:
	s_lshl_b64 s[2:3], s[2:3], 3
	s_and_not1_b32 vcc_lo, exec_lo, s5
	s_add_nc_u64 s[14:15], s[8:9], s[2:3]
	s_clause 0x1
	s_load_b64 s[2:3], s[0:1], 0x0
	s_load_b32 s4, s[0:1], 0x78
	s_load_b64 s[8:9], s[14:15], 0x0
	s_mov_b32 s5, -1
	s_cbranch_vccnz .LBB688_20
; %bb.6:
	s_wait_kmcnt 0x0
	s_cmp_gt_i32 s3, 0
	s_cselect_b32 s16, -1, 0
	s_cmp_neq_f32 s20, 0
	v_cndmask_b32_e64 v1, 0, 1, s16
	s_delay_alu instid0(VALU_DEP_1)
	v_cmp_ne_u32_e32 vcc_lo, 1, v1
	s_cbranch_scc1 .LBB688_13
; %bb.7:
	s_and_b32 vcc_lo, exec_lo, vcc_lo
	s_cbranch_vccnz .LBB688_12
; %bb.8:
	v_mov_b32_e32 v1, 0
	s_ashr_i32 s5, s4, 31
	s_lshl_b64 s[14:15], s[10:11], 2
	s_delay_alu instid0(SALU_CYCLE_1) | instskip(NEXT) | instid1(VALU_DEP_1)
	s_add_nc_u64 s[14:15], s[8:9], s[14:15]
	v_mul_u64_e32 v[2:3], s[4:5], v[0:1]
	s_delay_alu instid0(VALU_DEP_1)
	v_lshl_add_u64 v[2:3], v[2:3], 2, s[14:15]
	s_lshl_b64 s[14:15], s[4:5], 10
	s_mov_b32 s5, 0
	s_branch .LBB688_10
.LBB688_9:                              ;   in Loop: Header=BB688_10 Depth=1
	s_wait_xcnt 0x0
	s_or_b32 exec_lo, exec_lo, s17
	v_add_nc_u64_e32 v[2:3], s[14:15], v[2:3]
	s_addk_co_i32 s5, 0x100
	s_delay_alu instid0(SALU_CYCLE_1)
	s_cmp_ge_i32 s5, s3
	s_cbranch_scc1 .LBB688_12
.LBB688_10:                             ; =>This Inner Loop Header: Depth=1
	v_add_nc_u32_e32 v4, s5, v0
	s_mov_b32 s17, exec_lo
	s_delay_alu instid0(VALU_DEP_1)
	v_cmpx_gt_i32_e64 s3, v4
	s_cbranch_execz .LBB688_9
; %bb.11:                               ;   in Loop: Header=BB688_10 Depth=1
	flat_store_b32 v[2:3], v1
	s_branch .LBB688_9
.LBB688_12:
	s_mov_b32 s5, 0
.LBB688_13:
	s_delay_alu instid0(SALU_CYCLE_1)
	s_and_not1_b32 vcc_lo, exec_lo, s5
	s_cbranch_vccnz .LBB688_19
; %bb.14:
	s_and_not1_b32 vcc_lo, exec_lo, s16
	s_cbranch_vccnz .LBB688_19
; %bb.15:
	v_mov_b32_e32 v1, 0
	s_ashr_i32 s5, s4, 31
	s_lshl_b64 s[14:15], s[10:11], 2
	s_delay_alu instid0(SALU_CYCLE_1) | instskip(NEXT) | instid1(VALU_DEP_1)
	s_add_nc_u64 s[14:15], s[8:9], s[14:15]
	v_mul_u64_e32 v[2:3], s[4:5], v[0:1]
	s_delay_alu instid0(VALU_DEP_1)
	v_lshl_add_u64 v[2:3], v[2:3], 2, s[14:15]
	s_lshl_b64 s[14:15], s[4:5], 10
	s_mov_b32 s5, 0
	s_branch .LBB688_17
.LBB688_16:                             ;   in Loop: Header=BB688_17 Depth=1
	s_wait_xcnt 0x0
	s_or_b32 exec_lo, exec_lo, s16
	v_add_nc_u64_e32 v[2:3], s[14:15], v[2:3]
	s_addk_co_i32 s5, 0x100
	s_delay_alu instid0(SALU_CYCLE_1)
	s_cmp_ge_i32 s5, s3
	s_cbranch_scc1 .LBB688_19
.LBB688_17:                             ; =>This Inner Loop Header: Depth=1
	v_add_nc_u32_e32 v1, s5, v0
	s_mov_b32 s16, exec_lo
	s_delay_alu instid0(VALU_DEP_1)
	v_cmpx_gt_i32_e64 s3, v1
	s_cbranch_execz .LBB688_16
; %bb.18:                               ;   in Loop: Header=BB688_17 Depth=1
	flat_load_b32 v1, v[2:3]
	s_wait_loadcnt_dscnt 0x0
	v_mul_f32_e32 v1, s20, v1
	flat_store_b32 v[2:3], v1
	s_branch .LBB688_16
.LBB688_19:
	s_mov_b32 s5, 0
.LBB688_20:
	s_delay_alu instid0(SALU_CYCLE_1)
	s_and_not1_b32 vcc_lo, exec_lo, s5
	s_cbranch_vccnz .LBB688_62
; %bb.21:
	s_mov_b32 s5, exec_lo
	s_wait_kmcnt 0x0
	v_cmpx_gt_i32_e64 s2, v0
	s_cbranch_execz .LBB688_27
; %bb.22:
	s_load_b32 s14, s[0:1], 0x48
	v_mov_b32_e32 v1, 0
	s_wait_kmcnt 0x0
	s_ashr_i32 s15, s14, 31
	s_delay_alu instid0(VALU_DEP_1) | instid1(SALU_CYCLE_1)
	v_mul_u64_e32 v[2:3], s[14:15], v[0:1]
	s_delay_alu instid0(VALU_DEP_1) | instskip(SKIP_3) | instid1(VALU_DEP_1)
	v_lshl_add_u64 v[2:3], v[2:3], 1, s[12:13]
	flat_load_u16 v1, v[2:3]
	s_wait_loadcnt_dscnt 0x0
	v_lshlrev_b32_e32 v1, 16, v1
	v_mul_f32_e32 v1, s21, v1
	s_wait_xcnt 0x0
	s_delay_alu instid0(VALU_DEP_1) | instskip(NEXT) | instid1(VALU_DEP_1)
	v_and_b32_e32 v2, 0x7f800000, v1
	v_cmp_ne_u32_e32 vcc_lo, 0x7f800000, v2
                                        ; implicit-def: $vgpr2
	s_and_saveexec_b32 s12, vcc_lo
	s_delay_alu instid0(SALU_CYCLE_1)
	s_xor_b32 s12, exec_lo, s12
; %bb.23:
	v_bfe_u32 v2, v1, 16, 1
	s_delay_alu instid0(VALU_DEP_1)
	v_add3_u32 v2, v1, v2, 0x7fff
                                        ; implicit-def: $vgpr1
; %bb.24:
	s_and_not1_saveexec_b32 s12, s12
; %bb.25:
	v_and_b32_e32 v2, 0xffff, v1
	v_or_b32_e32 v3, 0x10000, v1
	s_delay_alu instid0(VALU_DEP_2) | instskip(NEXT) | instid1(VALU_DEP_2)
	v_cmp_eq_u32_e32 vcc_lo, 0, v2
	v_cndmask_b32_e32 v2, v3, v1, vcc_lo
; %bb.26:
	s_or_b32 exec_lo, exec_lo, s12
	s_delay_alu instid0(VALU_DEP_1)
	v_and_b32_e32 v1, 0xffff0000, v2
	v_lshlrev_b32_e32 v2, 2, v0
	ds_store_b32 v2, v1
.LBB688_27:
	s_or_b32 exec_lo, exec_lo, s5
	s_cmp_lt_i32 s3, 1
	s_wait_storecnt_dscnt 0x0
	s_barrier_signal -1
	s_barrier_wait -1
	s_cbranch_scc1 .LBB688_62
; %bb.28:
	s_load_b32 s16, s[0:1], 0x28
	v_mov_b32_e32 v3, 0
	s_wait_xcnt 0x0
	s_lshl_b64 s[0:1], s[10:11], 2
	s_ashr_i32 s5, s4, 31
	s_add_nc_u64 s[0:1], s[8:9], s[0:1]
	s_mov_b32 s15, 0
	v_mov_b32_e32 v1, v3
	s_wait_kmcnt 0x0
	s_ashr_i32 s17, s16, 31
	s_cmp_neq_f32 s20, 0
	s_delay_alu instid0(VALU_DEP_1)
	v_mul_u64_e32 v[4:5], s[16:17], v[0:1]
	s_cselect_b32 s10, -1, 0
	s_cmp_gt_i32 s2, 0
	s_cselect_b32 s11, -1, 0
	s_and_b32 s12, s2, 3
	s_cmp_gt_u32 s2, 3
	s_cselect_b32 s13, -1, 0
	s_and_b32 s2, s2, 0x7ffffffc
	s_cmp_lg_u32 s12, 0
	s_cselect_b32 s14, -1, 0
	s_lshl_b64 s[8:9], s[16:17], 9
	s_delay_alu instid0(VALU_DEP_1) | instskip(SKIP_1) | instid1(VALU_DEP_1)
	v_lshl_add_u64 v[4:5], v[4:5], 1, s[6:7]
	s_mov_b32 s7, 0
	v_add_nc_u64_e32 v[6:7], 4, v[4:5]
	s_branch .LBB688_31
.LBB688_29:                             ;   in Loop: Header=BB688_31 Depth=1
	flat_store_b32 v[8:9], v1
.LBB688_30:                             ;   in Loop: Header=BB688_31 Depth=1
	s_wait_xcnt 0x0
	s_or_b32 exec_lo, exec_lo, s16
	v_add_nc_u64_e32 v[6:7], s[8:9], v[6:7]
	v_add_nc_u64_e32 v[4:5], s[8:9], v[4:5]
	s_addk_co_i32 s15, 0x100
	s_delay_alu instid0(SALU_CYCLE_1)
	s_cmp_ge_i32 s15, s3
	s_cbranch_scc1 .LBB688_62
.LBB688_31:                             ; =>This Loop Header: Depth=1
                                        ;     Child Loop BB688_38 Depth 2
                                        ;     Child Loop BB688_58 Depth 2
	v_add_nc_u32_e32 v2, s15, v0
	s_mov_b32 s16, exec_lo
	s_delay_alu instid0(VALU_DEP_1)
	v_cmpx_gt_i32_e64 s3, v2
	s_cbranch_execz .LBB688_30
; %bb.32:                               ;   in Loop: Header=BB688_31 Depth=1
	v_mul_u64_e32 v[8:9], s[4:5], v[2:3]
	s_and_not1_b32 vcc_lo, exec_lo, s10
	s_delay_alu instid0(VALU_DEP_1)
	v_lshl_add_u64 v[8:9], v[8:9], 2, s[0:1]
	s_cbranch_vccnz .LBB688_34
; %bb.33:                               ;   in Loop: Header=BB688_31 Depth=1
	flat_load_b32 v1, v[8:9]
	s_wait_loadcnt_dscnt 0x0
	v_mul_f32_e32 v1, s20, v1
	s_and_not1_b32 vcc_lo, exec_lo, s11
	s_cbranch_vccz .LBB688_35
	s_branch .LBB688_29
.LBB688_34:                             ;   in Loop: Header=BB688_31 Depth=1
	v_mov_b32_e32 v1, 0
	s_and_not1_b32 vcc_lo, exec_lo, s11
	s_cbranch_vccnz .LBB688_29
.LBB688_35:                             ;   in Loop: Header=BB688_31 Depth=1
	s_and_not1_b32 vcc_lo, exec_lo, s13
	s_mov_b32 s17, 0
	s_cbranch_vccnz .LBB688_55
; %bb.36:                               ;   in Loop: Header=BB688_31 Depth=1
	v_mov_b64_e32 v[10:11], v[6:7]
	s_mov_b32 s6, 0
	s_branch .LBB688_38
.LBB688_37:                             ;   in Loop: Header=BB688_38 Depth=2
	s_or_b32 exec_lo, exec_lo, s18
	v_and_b32_e32 v2, 0xffff0000, v2
	v_and_b32_e32 v12, 0xffff0000, v12
	v_add_nc_u64_e32 v[10:11], 8, v[10:11]
	s_add_co_i32 s17, s17, 4
	s_add_co_i32 s6, s6, 16
	v_add_f32_e32 v1, v1, v2
	v_and_b32_e32 v2, 0xffff0000, v13
	s_cmp_eq_u32 s2, s17
	s_delay_alu instid0(VALU_DEP_2) | instskip(SKIP_1) | instid1(VALU_DEP_2)
	v_add_f32_e32 v1, v1, v12
	v_and_b32_e32 v12, 0xffff0000, v14
	v_add_f32_e32 v1, v1, v2
	s_delay_alu instid0(VALU_DEP_1)
	v_add_f32_e32 v1, v1, v12
	s_cbranch_scc1 .LBB688_54
.LBB688_38:                             ;   Parent Loop BB688_31 Depth=1
                                        ; =>  This Inner Loop Header: Depth=2
	flat_load_u16 v2, v[10:11] offset:-4
	s_wait_loadcnt_dscnt 0x0
	v_dual_mov_b32 v12, s6 :: v_dual_lshlrev_b32 v2, 16, v2
	ds_load_b32 v12, v12
	s_wait_dscnt 0x0
	v_mul_f32_e32 v12, v12, v2
	s_delay_alu instid0(VALU_DEP_1) | instskip(NEXT) | instid1(VALU_DEP_1)
	v_and_b32_e32 v2, 0x7f800000, v12
	v_cmp_ne_u32_e32 vcc_lo, 0x7f800000, v2
                                        ; implicit-def: $vgpr2
	s_wait_xcnt 0x0
	s_and_saveexec_b32 s18, vcc_lo
	s_delay_alu instid0(SALU_CYCLE_1)
	s_xor_b32 s18, exec_lo, s18
; %bb.39:                               ;   in Loop: Header=BB688_38 Depth=2
	v_bfe_u32 v2, v12, 16, 1
	s_delay_alu instid0(VALU_DEP_1)
	v_add3_u32 v2, v12, v2, 0x7fff
                                        ; implicit-def: $vgpr12
; %bb.40:                               ;   in Loop: Header=BB688_38 Depth=2
	s_and_not1_saveexec_b32 s18, s18
; %bb.41:                               ;   in Loop: Header=BB688_38 Depth=2
	v_and_b32_e32 v2, 0xffff, v12
	v_or_b32_e32 v13, 0x10000, v12
	s_delay_alu instid0(VALU_DEP_2) | instskip(NEXT) | instid1(VALU_DEP_2)
	v_cmp_eq_u32_e32 vcc_lo, 0, v2
	v_cndmask_b32_e32 v2, v13, v12, vcc_lo
; %bb.42:                               ;   in Loop: Header=BB688_38 Depth=2
	s_or_b32 exec_lo, exec_lo, s18
	flat_load_u16 v12, v[10:11] offset:-2
	s_wait_loadcnt_dscnt 0x0
	v_dual_mov_b32 v13, s6 :: v_dual_lshlrev_b32 v12, 16, v12
	ds_load_b32 v13, v13 offset:4
	s_wait_dscnt 0x0
	v_mul_f32_e32 v13, v13, v12
	s_delay_alu instid0(VALU_DEP_1) | instskip(NEXT) | instid1(VALU_DEP_1)
	v_and_b32_e32 v12, 0x7f800000, v13
	v_cmp_ne_u32_e32 vcc_lo, 0x7f800000, v12
                                        ; implicit-def: $vgpr12
	s_wait_xcnt 0x0
	s_and_saveexec_b32 s18, vcc_lo
	s_delay_alu instid0(SALU_CYCLE_1)
	s_xor_b32 s18, exec_lo, s18
; %bb.43:                               ;   in Loop: Header=BB688_38 Depth=2
	v_bfe_u32 v12, v13, 16, 1
	s_delay_alu instid0(VALU_DEP_1)
	v_add3_u32 v12, v13, v12, 0x7fff
                                        ; implicit-def: $vgpr13
; %bb.44:                               ;   in Loop: Header=BB688_38 Depth=2
	s_and_not1_saveexec_b32 s18, s18
; %bb.45:                               ;   in Loop: Header=BB688_38 Depth=2
	v_and_b32_e32 v12, 0xffff, v13
	v_or_b32_e32 v14, 0x10000, v13
	s_delay_alu instid0(VALU_DEP_2) | instskip(NEXT) | instid1(VALU_DEP_2)
	v_cmp_eq_u32_e32 vcc_lo, 0, v12
	v_cndmask_b32_e32 v12, v14, v13, vcc_lo
; %bb.46:                               ;   in Loop: Header=BB688_38 Depth=2
	s_or_b32 exec_lo, exec_lo, s18
	flat_load_u16 v13, v[10:11]
	s_wait_loadcnt_dscnt 0x0
	v_dual_mov_b32 v14, s6 :: v_dual_lshlrev_b32 v13, 16, v13
	ds_load_b32 v14, v14 offset:8
	s_wait_dscnt 0x0
	v_mul_f32_e32 v14, v14, v13
	s_delay_alu instid0(VALU_DEP_1) | instskip(NEXT) | instid1(VALU_DEP_1)
	v_and_b32_e32 v13, 0x7f800000, v14
	v_cmp_ne_u32_e32 vcc_lo, 0x7f800000, v13
                                        ; implicit-def: $vgpr13
	s_wait_xcnt 0x0
	s_and_saveexec_b32 s18, vcc_lo
	s_delay_alu instid0(SALU_CYCLE_1)
	s_xor_b32 s18, exec_lo, s18
; %bb.47:                               ;   in Loop: Header=BB688_38 Depth=2
	v_bfe_u32 v13, v14, 16, 1
	s_delay_alu instid0(VALU_DEP_1)
	v_add3_u32 v13, v14, v13, 0x7fff
                                        ; implicit-def: $vgpr14
; %bb.48:                               ;   in Loop: Header=BB688_38 Depth=2
	s_and_not1_saveexec_b32 s18, s18
; %bb.49:                               ;   in Loop: Header=BB688_38 Depth=2
	v_and_b32_e32 v13, 0xffff, v14
	v_or_b32_e32 v15, 0x10000, v14
	s_delay_alu instid0(VALU_DEP_2) | instskip(NEXT) | instid1(VALU_DEP_2)
	v_cmp_eq_u32_e32 vcc_lo, 0, v13
	v_cndmask_b32_e32 v13, v15, v14, vcc_lo
; %bb.50:                               ;   in Loop: Header=BB688_38 Depth=2
	s_or_b32 exec_lo, exec_lo, s18
	flat_load_u16 v14, v[10:11] offset:2
	s_wait_loadcnt_dscnt 0x0
	v_dual_mov_b32 v15, s6 :: v_dual_lshlrev_b32 v14, 16, v14
	ds_load_b32 v15, v15 offset:12
	s_wait_dscnt 0x0
	v_mul_f32_e32 v15, v15, v14
	s_delay_alu instid0(VALU_DEP_1) | instskip(NEXT) | instid1(VALU_DEP_1)
	v_and_b32_e32 v14, 0x7f800000, v15
	v_cmp_ne_u32_e32 vcc_lo, 0x7f800000, v14
                                        ; implicit-def: $vgpr14
	s_wait_xcnt 0x0
	s_and_saveexec_b32 s18, vcc_lo
	s_delay_alu instid0(SALU_CYCLE_1)
	s_xor_b32 s18, exec_lo, s18
; %bb.51:                               ;   in Loop: Header=BB688_38 Depth=2
	v_bfe_u32 v14, v15, 16, 1
	s_delay_alu instid0(VALU_DEP_1)
	v_add3_u32 v14, v15, v14, 0x7fff
                                        ; implicit-def: $vgpr15
; %bb.52:                               ;   in Loop: Header=BB688_38 Depth=2
	s_and_not1_saveexec_b32 s18, s18
	s_cbranch_execz .LBB688_37
; %bb.53:                               ;   in Loop: Header=BB688_38 Depth=2
	v_and_b32_e32 v14, 0xffff, v15
	v_or_b32_e32 v16, 0x10000, v15
	s_delay_alu instid0(VALU_DEP_2) | instskip(NEXT) | instid1(VALU_DEP_2)
	v_cmp_eq_u32_e32 vcc_lo, 0, v14
	v_cndmask_b32_e32 v14, v16, v15, vcc_lo
	s_branch .LBB688_37
.LBB688_54:                             ;   in Loop: Header=BB688_31 Depth=1
	s_mov_b32 s17, s2
.LBB688_55:                             ;   in Loop: Header=BB688_31 Depth=1
	s_and_not1_b32 vcc_lo, exec_lo, s14
	s_cbranch_vccnz .LBB688_29
; %bb.56:                               ;   in Loop: Header=BB688_31 Depth=1
	s_lshl_b32 s6, s17, 1
	s_delay_alu instid0(SALU_CYCLE_1)
	v_add_nc_u64_e32 v[10:11], s[6:7], v[4:5]
	s_lshl_b32 s6, s17, 2
	s_mov_b32 s17, s12
	s_branch .LBB688_58
.LBB688_57:                             ;   in Loop: Header=BB688_58 Depth=2
	s_or_b32 exec_lo, exec_lo, s18
	s_delay_alu instid0(VALU_DEP_1)
	v_and_b32_e32 v2, 0xffff0000, v12
	v_add_nc_u64_e32 v[10:11], 2, v[10:11]
	s_add_co_i32 s17, s17, -1
	s_add_co_i32 s6, s6, 4
	s_cmp_lg_u32 s17, 0
	v_add_f32_e32 v1, v1, v2
	s_cbranch_scc0 .LBB688_29
.LBB688_58:                             ;   Parent Loop BB688_31 Depth=1
                                        ; =>  This Inner Loop Header: Depth=2
	flat_load_u16 v2, v[10:11]
	s_wait_loadcnt_dscnt 0x0
	v_dual_mov_b32 v12, s6 :: v_dual_lshlrev_b32 v2, 16, v2
	ds_load_b32 v12, v12
	s_wait_dscnt 0x0
	v_mul_f32_e32 v2, v12, v2
	s_delay_alu instid0(VALU_DEP_1) | instskip(NEXT) | instid1(VALU_DEP_1)
	v_and_b32_e32 v12, 0x7f800000, v2
	v_cmp_ne_u32_e32 vcc_lo, 0x7f800000, v12
                                        ; implicit-def: $vgpr12
	s_wait_xcnt 0x0
	s_and_saveexec_b32 s18, vcc_lo
	s_delay_alu instid0(SALU_CYCLE_1)
	s_xor_b32 s18, exec_lo, s18
; %bb.59:                               ;   in Loop: Header=BB688_58 Depth=2
	v_bfe_u32 v12, v2, 16, 1
	s_delay_alu instid0(VALU_DEP_1)
	v_add3_u32 v12, v2, v12, 0x7fff
                                        ; implicit-def: $vgpr2
; %bb.60:                               ;   in Loop: Header=BB688_58 Depth=2
	s_and_not1_saveexec_b32 s18, s18
	s_cbranch_execz .LBB688_57
; %bb.61:                               ;   in Loop: Header=BB688_58 Depth=2
	v_and_b32_e32 v12, 0xffff, v2
	v_or_b32_e32 v13, 0x10000, v2
	s_delay_alu instid0(VALU_DEP_2) | instskip(NEXT) | instid1(VALU_DEP_2)
	v_cmp_eq_u32_e32 vcc_lo, 0, v12
	v_cndmask_b32_e32 v12, v13, v2, vcc_lo
	s_branch .LBB688_57
.LBB688_62:
	s_endpgm
	.section	.rodata,"a",@progbits
	.p2align	6, 0x0
	.amdhsa_kernel _ZL22rocblas_gemvtsm_kernelILb1ELi256EPK16rocblas_bfloat16PKfKPfEviiT2_lPKT1_lilSA_lilS7_lPT3_lil
		.amdhsa_group_segment_fixed_size 256
		.amdhsa_private_segment_fixed_size 0
		.amdhsa_kernarg_size 136
		.amdhsa_user_sgpr_count 2
		.amdhsa_user_sgpr_dispatch_ptr 0
		.amdhsa_user_sgpr_queue_ptr 0
		.amdhsa_user_sgpr_kernarg_segment_ptr 1
		.amdhsa_user_sgpr_dispatch_id 0
		.amdhsa_user_sgpr_kernarg_preload_length 0
		.amdhsa_user_sgpr_kernarg_preload_offset 0
		.amdhsa_user_sgpr_private_segment_size 0
		.amdhsa_wavefront_size32 1
		.amdhsa_uses_dynamic_stack 0
		.amdhsa_enable_private_segment 0
		.amdhsa_system_sgpr_workgroup_id_x 1
		.amdhsa_system_sgpr_workgroup_id_y 0
		.amdhsa_system_sgpr_workgroup_id_z 0
		.amdhsa_system_sgpr_workgroup_info 0
		.amdhsa_system_vgpr_workitem_id 0
		.amdhsa_next_free_vgpr 17
		.amdhsa_next_free_sgpr 22
		.amdhsa_named_barrier_count 0
		.amdhsa_reserve_vcc 1
		.amdhsa_float_round_mode_32 0
		.amdhsa_float_round_mode_16_64 0
		.amdhsa_float_denorm_mode_32 3
		.amdhsa_float_denorm_mode_16_64 3
		.amdhsa_fp16_overflow 0
		.amdhsa_memory_ordered 1
		.amdhsa_forward_progress 1
		.amdhsa_inst_pref_size 16
		.amdhsa_round_robin_scheduling 0
		.amdhsa_exception_fp_ieee_invalid_op 0
		.amdhsa_exception_fp_denorm_src 0
		.amdhsa_exception_fp_ieee_div_zero 0
		.amdhsa_exception_fp_ieee_overflow 0
		.amdhsa_exception_fp_ieee_underflow 0
		.amdhsa_exception_fp_ieee_inexact 0
		.amdhsa_exception_int_div_zero 0
	.end_amdhsa_kernel
	.section	.text._ZL22rocblas_gemvtsm_kernelILb1ELi256EPK16rocblas_bfloat16PKfKPfEviiT2_lPKT1_lilSA_lilS7_lPT3_lil,"axG",@progbits,_ZL22rocblas_gemvtsm_kernelILb1ELi256EPK16rocblas_bfloat16PKfKPfEviiT2_lPKT1_lilSA_lilS7_lPT3_lil,comdat
.Lfunc_end688:
	.size	_ZL22rocblas_gemvtsm_kernelILb1ELi256EPK16rocblas_bfloat16PKfKPfEviiT2_lPKT1_lilSA_lilS7_lPT3_lil, .Lfunc_end688-_ZL22rocblas_gemvtsm_kernelILb1ELi256EPK16rocblas_bfloat16PKfKPfEviiT2_lPKT1_lilSA_lilS7_lPT3_lil
                                        ; -- End function
	.set _ZL22rocblas_gemvtsm_kernelILb1ELi256EPK16rocblas_bfloat16PKfKPfEviiT2_lPKT1_lilSA_lilS7_lPT3_lil.num_vgpr, 17
	.set _ZL22rocblas_gemvtsm_kernelILb1ELi256EPK16rocblas_bfloat16PKfKPfEviiT2_lPKT1_lilSA_lilS7_lPT3_lil.num_agpr, 0
	.set _ZL22rocblas_gemvtsm_kernelILb1ELi256EPK16rocblas_bfloat16PKfKPfEviiT2_lPKT1_lilSA_lilS7_lPT3_lil.numbered_sgpr, 22
	.set _ZL22rocblas_gemvtsm_kernelILb1ELi256EPK16rocblas_bfloat16PKfKPfEviiT2_lPKT1_lilSA_lilS7_lPT3_lil.num_named_barrier, 0
	.set _ZL22rocblas_gemvtsm_kernelILb1ELi256EPK16rocblas_bfloat16PKfKPfEviiT2_lPKT1_lilSA_lilS7_lPT3_lil.private_seg_size, 0
	.set _ZL22rocblas_gemvtsm_kernelILb1ELi256EPK16rocblas_bfloat16PKfKPfEviiT2_lPKT1_lilSA_lilS7_lPT3_lil.uses_vcc, 1
	.set _ZL22rocblas_gemvtsm_kernelILb1ELi256EPK16rocblas_bfloat16PKfKPfEviiT2_lPKT1_lilSA_lilS7_lPT3_lil.uses_flat_scratch, 0
	.set _ZL22rocblas_gemvtsm_kernelILb1ELi256EPK16rocblas_bfloat16PKfKPfEviiT2_lPKT1_lilSA_lilS7_lPT3_lil.has_dyn_sized_stack, 0
	.set _ZL22rocblas_gemvtsm_kernelILb1ELi256EPK16rocblas_bfloat16PKfKPfEviiT2_lPKT1_lilSA_lilS7_lPT3_lil.has_recursion, 0
	.set _ZL22rocblas_gemvtsm_kernelILb1ELi256EPK16rocblas_bfloat16PKfKPfEviiT2_lPKT1_lilSA_lilS7_lPT3_lil.has_indirect_call, 0
	.section	.AMDGPU.csdata,"",@progbits
; Kernel info:
; codeLenInByte = 2008
; TotalNumSgprs: 24
; NumVgprs: 17
; ScratchSize: 0
; MemoryBound: 0
; FloatMode: 240
; IeeeMode: 1
; LDSByteSize: 256 bytes/workgroup (compile time only)
; SGPRBlocks: 0
; VGPRBlocks: 1
; NumSGPRsForWavesPerEU: 24
; NumVGPRsForWavesPerEU: 17
; NamedBarCnt: 0
; Occupancy: 16
; WaveLimiterHint : 1
; COMPUTE_PGM_RSRC2:SCRATCH_EN: 0
; COMPUTE_PGM_RSRC2:USER_SGPR: 2
; COMPUTE_PGM_RSRC2:TRAP_HANDLER: 0
; COMPUTE_PGM_RSRC2:TGID_X_EN: 1
; COMPUTE_PGM_RSRC2:TGID_Y_EN: 0
; COMPUTE_PGM_RSRC2:TGID_Z_EN: 0
; COMPUTE_PGM_RSRC2:TIDIG_COMP_CNT: 0
	.section	.text._ZL22rocblas_gemvtsm_kernelILb1ELi256EPK16rocblas_bfloat16fKPfEviiT2_lPKT1_lilS8_lilS5_lPT3_lil,"axG",@progbits,_ZL22rocblas_gemvtsm_kernelILb1ELi256EPK16rocblas_bfloat16fKPfEviiT2_lPKT1_lilS8_lilS5_lPT3_lil,comdat
	.globl	_ZL22rocblas_gemvtsm_kernelILb1ELi256EPK16rocblas_bfloat16fKPfEviiT2_lPKT1_lilS8_lilS5_lPT3_lil ; -- Begin function _ZL22rocblas_gemvtsm_kernelILb1ELi256EPK16rocblas_bfloat16fKPfEviiT2_lPKT1_lilS8_lilS5_lPT3_lil
	.p2align	8
	.type	_ZL22rocblas_gemvtsm_kernelILb1ELi256EPK16rocblas_bfloat16fKPfEviiT2_lPKT1_lilS8_lilS5_lPT3_lil,@function
_ZL22rocblas_gemvtsm_kernelILb1ELi256EPK16rocblas_bfloat16fKPfEviiT2_lPKT1_lilS8_lilS5_lPT3_lil: ; @_ZL22rocblas_gemvtsm_kernelILb1ELi256EPK16rocblas_bfloat16fKPfEviiT2_lPKT1_lilS8_lilS5_lPT3_lil
; %bb.0:
	s_clause 0x1
	s_load_b96 s[8:10], s[0:1], 0x0
	s_load_b32 s11, s[0:1], 0x58
	s_mov_b32 s5, 0
	s_wait_kmcnt 0x0
	s_cmp_eq_f32 s10, 0
	s_cselect_b32 s2, -1, 0
	s_cmp_eq_f32 s11, 1.0
	s_cselect_b32 s3, -1, 0
	s_delay_alu instid0(SALU_CYCLE_1) | instskip(NEXT) | instid1(SALU_CYCLE_1)
	s_and_b32 s2, s2, s3
	s_and_b32 vcc_lo, exec_lo, s2
	s_cbranch_vccnz .LBB689_64
; %bb.1:
	s_bfe_u32 s2, ttmp6, 0x4000c
	s_and_b32 s3, ttmp6, 15
	s_add_co_i32 s2, s2, 1
	s_getreg_b32 s4, hwreg(HW_REG_IB_STS2, 6, 4)
	s_mul_i32 s2, ttmp9, s2
	s_delay_alu instid0(SALU_CYCLE_1)
	s_add_co_i32 s3, s3, s2
	s_cmp_eq_u32 s4, 0
	s_cselect_b32 s4, ttmp9, s3
	s_cmp_neq_f32 s10, 0
	s_cselect_b32 s6, -1, 0
	s_cmp_eq_f32 s10, 0
	s_cselect_b32 s16, -1, 0
	s_and_b32 vcc_lo, exec_lo, s6
	s_cbranch_vccnz .LBB689_3
; %bb.2:
	s_mov_b32 s3, 0
	s_mov_b32 s2, s4
	;; [unrolled: 1-line block ×3, first 2 shown]
	s_mov_b64 s[14:15], 0
	s_and_not1_b32 vcc_lo, exec_lo, s7
	s_mov_b64 s[12:13], 0
	s_cbranch_vccz .LBB689_4
	s_branch .LBB689_5
.LBB689_3:
	s_mov_b64 s[2:3], s[4:5]
	s_mov_b64 s[14:15], 0
	;; [unrolled: 1-line block ×3, first 2 shown]
.LBB689_4:
	s_load_b128 s[20:23], s[0:1], 0x18
	s_lshl_b64 s[4:5], s[4:5], 3
	s_wait_kmcnt 0x0
	s_add_nc_u64 s[4:5], s[20:21], s[4:5]
	s_lshl_b64 s[12:13], s[22:23], 1
	s_load_b64 s[4:5], s[4:5], 0x0
	s_wait_kmcnt 0x0
	s_add_nc_u64 s[12:13], s[4:5], s[12:13]
.LBB689_5:
	s_and_not1_b32 vcc_lo, exec_lo, s6
	s_cbranch_vccnz .LBB689_7
; %bb.6:
	s_load_b128 s[4:7], s[0:1], 0x38
	s_lshl_b64 s[14:15], s[2:3], 3
	s_wait_kmcnt 0x0
	s_add_nc_u64 s[4:5], s[4:5], s[14:15]
	s_lshl_b64 s[6:7], s[6:7], 1
	s_load_b64 s[4:5], s[4:5], 0x0
	s_wait_kmcnt 0x0
	s_add_nc_u64 s[14:15], s[4:5], s[6:7]
.LBB689_7:
	s_load_b128 s[4:7], s[0:1], 0x68
	s_lshl_b64 s[18:19], s[2:3], 3
	s_load_b32 s2, s[0:1], 0x78
	s_and_not1_b32 vcc_lo, exec_lo, s16
	s_mov_b32 s3, -1
	s_wait_kmcnt 0x0
	s_add_nc_u64 s[4:5], s[4:5], s[18:19]
	s_load_b64 s[4:5], s[4:5], 0x0
	s_cbranch_vccnz .LBB689_22
; %bb.8:
	s_cmp_gt_i32 s9, 0
	s_cselect_b32 s18, -1, 0
	s_cmp_neq_f32 s11, 0
	v_cndmask_b32_e64 v1, 0, 1, s18
	s_delay_alu instid0(VALU_DEP_1)
	v_cmp_ne_u32_e32 vcc_lo, 1, v1
	s_cbranch_scc1 .LBB689_15
; %bb.9:
	s_and_b32 vcc_lo, exec_lo, vcc_lo
	s_cbranch_vccnz .LBB689_14
; %bb.10:
	v_mov_b32_e32 v1, 0
	s_ashr_i32 s3, s2, 31
	s_lshl_b64 s[16:17], s[6:7], 2
	s_wait_kmcnt 0x0
	s_add_nc_u64 s[16:17], s[4:5], s[16:17]
	v_mul_u64_e32 v[2:3], s[2:3], v[0:1]
	s_delay_alu instid0(VALU_DEP_1)
	v_lshl_add_u64 v[2:3], v[2:3], 2, s[16:17]
	s_lshl_b64 s[16:17], s[2:3], 10
	s_mov_b32 s3, 0
	s_branch .LBB689_12
.LBB689_11:                             ;   in Loop: Header=BB689_12 Depth=1
	s_wait_xcnt 0x0
	s_or_b32 exec_lo, exec_lo, s19
	v_add_nc_u64_e32 v[2:3], s[16:17], v[2:3]
	s_addk_co_i32 s3, 0x100
	s_delay_alu instid0(SALU_CYCLE_1)
	s_cmp_ge_i32 s3, s9
	s_cbranch_scc1 .LBB689_14
.LBB689_12:                             ; =>This Inner Loop Header: Depth=1
	v_add_nc_u32_e32 v4, s3, v0
	s_mov_b32 s19, exec_lo
	s_delay_alu instid0(VALU_DEP_1)
	v_cmpx_gt_i32_e64 s9, v4
	s_cbranch_execz .LBB689_11
; %bb.13:                               ;   in Loop: Header=BB689_12 Depth=1
	flat_store_b32 v[2:3], v1
	s_branch .LBB689_11
.LBB689_14:
	s_mov_b32 s3, 0
.LBB689_15:
	s_delay_alu instid0(SALU_CYCLE_1)
	s_and_not1_b32 vcc_lo, exec_lo, s3
	s_cbranch_vccnz .LBB689_21
; %bb.16:
	s_and_not1_b32 vcc_lo, exec_lo, s18
	s_cbranch_vccnz .LBB689_21
; %bb.17:
	v_mov_b32_e32 v1, 0
	s_ashr_i32 s3, s2, 31
	s_lshl_b64 s[16:17], s[6:7], 2
	s_wait_kmcnt 0x0
	s_add_nc_u64 s[16:17], s[4:5], s[16:17]
	v_mul_u64_e32 v[2:3], s[2:3], v[0:1]
	s_delay_alu instid0(VALU_DEP_1)
	v_lshl_add_u64 v[2:3], v[2:3], 2, s[16:17]
	s_lshl_b64 s[16:17], s[2:3], 10
	s_mov_b32 s3, 0
	s_branch .LBB689_19
.LBB689_18:                             ;   in Loop: Header=BB689_19 Depth=1
	s_wait_xcnt 0x0
	s_or_b32 exec_lo, exec_lo, s18
	v_add_nc_u64_e32 v[2:3], s[16:17], v[2:3]
	s_addk_co_i32 s3, 0x100
	s_delay_alu instid0(SALU_CYCLE_1)
	s_cmp_ge_i32 s3, s9
	s_cbranch_scc1 .LBB689_21
.LBB689_19:                             ; =>This Inner Loop Header: Depth=1
	v_add_nc_u32_e32 v1, s3, v0
	s_mov_b32 s18, exec_lo
	s_delay_alu instid0(VALU_DEP_1)
	v_cmpx_gt_i32_e64 s9, v1
	s_cbranch_execz .LBB689_18
; %bb.20:                               ;   in Loop: Header=BB689_19 Depth=1
	flat_load_b32 v1, v[2:3]
	s_wait_loadcnt_dscnt 0x0
	v_mul_f32_e32 v1, s11, v1
	flat_store_b32 v[2:3], v1
	s_branch .LBB689_18
.LBB689_21:
	s_mov_b32 s3, 0
.LBB689_22:
	s_delay_alu instid0(SALU_CYCLE_1)
	s_and_not1_b32 vcc_lo, exec_lo, s3
	s_cbranch_vccnz .LBB689_64
; %bb.23:
	s_mov_b32 s3, exec_lo
	v_cmpx_gt_i32_e64 s8, v0
	s_cbranch_execz .LBB689_29
; %bb.24:
	s_load_b32 s16, s[0:1], 0x48
	v_mov_b32_e32 v1, 0
	s_wait_kmcnt 0x0
	s_ashr_i32 s17, s16, 31
	s_delay_alu instid0(VALU_DEP_1) | instid1(SALU_CYCLE_1)
	v_mul_u64_e32 v[2:3], s[16:17], v[0:1]
	s_delay_alu instid0(VALU_DEP_1) | instskip(SKIP_3) | instid1(VALU_DEP_1)
	v_lshl_add_u64 v[2:3], v[2:3], 1, s[14:15]
	flat_load_u16 v1, v[2:3]
	s_wait_loadcnt_dscnt 0x0
	v_lshlrev_b32_e32 v1, 16, v1
	v_mul_f32_e32 v1, s10, v1
	s_wait_xcnt 0x0
	s_delay_alu instid0(VALU_DEP_1) | instskip(NEXT) | instid1(VALU_DEP_1)
	v_and_b32_e32 v2, 0x7f800000, v1
	v_cmp_ne_u32_e32 vcc_lo, 0x7f800000, v2
                                        ; implicit-def: $vgpr2
	s_and_saveexec_b32 s10, vcc_lo
	s_delay_alu instid0(SALU_CYCLE_1)
	s_xor_b32 s10, exec_lo, s10
; %bb.25:
	v_bfe_u32 v2, v1, 16, 1
	s_delay_alu instid0(VALU_DEP_1)
	v_add3_u32 v2, v1, v2, 0x7fff
                                        ; implicit-def: $vgpr1
; %bb.26:
	s_and_not1_saveexec_b32 s10, s10
; %bb.27:
	v_and_b32_e32 v2, 0xffff, v1
	v_or_b32_e32 v3, 0x10000, v1
	s_delay_alu instid0(VALU_DEP_2) | instskip(NEXT) | instid1(VALU_DEP_2)
	v_cmp_eq_u32_e32 vcc_lo, 0, v2
	v_cndmask_b32_e32 v2, v3, v1, vcc_lo
; %bb.28:
	s_or_b32 exec_lo, exec_lo, s10
	s_delay_alu instid0(VALU_DEP_1)
	v_and_b32_e32 v1, 0xffff0000, v2
	v_lshlrev_b32_e32 v2, 2, v0
	ds_store_b32 v2, v1
.LBB689_29:
	s_or_b32 exec_lo, exec_lo, s3
	s_cmp_lt_i32 s9, 1
	s_wait_storecnt_dscnt 0x0
	s_barrier_signal -1
	s_barrier_wait -1
	s_cbranch_scc1 .LBB689_64
; %bb.30:
	s_load_b32 s16, s[0:1], 0x28
	v_mov_b32_e32 v3, 0
	s_wait_xcnt 0x0
	s_lshl_b64 s[0:1], s[6:7], 2
	s_ashr_i32 s3, s2, 31
	s_wait_kmcnt 0x0
	s_add_nc_u64 s[0:1], s[4:5], s[0:1]
	s_mov_b32 s5, 0
	v_mov_b32_e32 v1, v3
	s_ashr_i32 s17, s16, 31
	s_cmp_neq_f32 s11, 0
	s_delay_alu instid0(VALU_DEP_1)
	v_mul_u64_e32 v[4:5], s[16:17], v[0:1]
	s_cselect_b32 s10, -1, 0
	s_cmp_gt_i32 s8, 0
	s_cselect_b32 s14, -1, 0
	s_and_b32 s15, s8, 3
	s_cmp_gt_u32 s8, 3
	s_delay_alu instid0(VALU_DEP_1)
	v_lshl_add_u64 v[4:5], v[4:5], 1, s[12:13]
	s_cselect_b32 s12, -1, 0
	s_and_b32 s8, s8, 0x7ffffffc
	s_cmp_lg_u32 s15, 0
	s_cselect_b32 s13, -1, 0
	v_add_nc_u64_e32 v[6:7], 4, v[4:5]
	s_lshl_b64 s[6:7], s[16:17], 9
	s_mov_b32 s16, 0
	s_branch .LBB689_33
.LBB689_31:                             ;   in Loop: Header=BB689_33 Depth=1
	flat_store_b32 v[8:9], v1
.LBB689_32:                             ;   in Loop: Header=BB689_33 Depth=1
	s_wait_xcnt 0x0
	s_or_b32 exec_lo, exec_lo, s17
	v_add_nc_u64_e32 v[6:7], s[6:7], v[6:7]
	v_add_nc_u64_e32 v[4:5], s[6:7], v[4:5]
	s_addk_co_i32 s16, 0x100
	s_delay_alu instid0(SALU_CYCLE_1)
	s_cmp_ge_i32 s16, s9
	s_cbranch_scc1 .LBB689_64
.LBB689_33:                             ; =>This Loop Header: Depth=1
                                        ;     Child Loop BB689_40 Depth 2
                                        ;     Child Loop BB689_60 Depth 2
	v_add_nc_u32_e32 v2, s16, v0
	s_mov_b32 s17, exec_lo
	s_delay_alu instid0(VALU_DEP_1)
	v_cmpx_gt_i32_e64 s9, v2
	s_cbranch_execz .LBB689_32
; %bb.34:                               ;   in Loop: Header=BB689_33 Depth=1
	v_mul_u64_e32 v[8:9], s[2:3], v[2:3]
	s_and_not1_b32 vcc_lo, exec_lo, s10
	s_delay_alu instid0(VALU_DEP_1)
	v_lshl_add_u64 v[8:9], v[8:9], 2, s[0:1]
	s_cbranch_vccnz .LBB689_36
; %bb.35:                               ;   in Loop: Header=BB689_33 Depth=1
	flat_load_b32 v1, v[8:9]
	s_wait_loadcnt_dscnt 0x0
	v_mul_f32_e32 v1, s11, v1
	s_and_not1_b32 vcc_lo, exec_lo, s14
	s_cbranch_vccz .LBB689_37
	s_branch .LBB689_31
.LBB689_36:                             ;   in Loop: Header=BB689_33 Depth=1
	v_mov_b32_e32 v1, 0
	s_and_not1_b32 vcc_lo, exec_lo, s14
	s_cbranch_vccnz .LBB689_31
.LBB689_37:                             ;   in Loop: Header=BB689_33 Depth=1
	s_and_not1_b32 vcc_lo, exec_lo, s12
	s_mov_b32 s18, 0
	s_cbranch_vccnz .LBB689_57
; %bb.38:                               ;   in Loop: Header=BB689_33 Depth=1
	v_mov_b64_e32 v[10:11], v[6:7]
	s_mov_b32 s4, 0
	s_branch .LBB689_40
.LBB689_39:                             ;   in Loop: Header=BB689_40 Depth=2
	s_or_b32 exec_lo, exec_lo, s19
	v_and_b32_e32 v2, 0xffff0000, v2
	v_and_b32_e32 v12, 0xffff0000, v12
	v_add_nc_u64_e32 v[10:11], 8, v[10:11]
	s_add_co_i32 s18, s18, 4
	s_add_co_i32 s4, s4, 16
	v_add_f32_e32 v1, v1, v2
	v_and_b32_e32 v2, 0xffff0000, v13
	s_cmp_eq_u32 s8, s18
	s_delay_alu instid0(VALU_DEP_2) | instskip(SKIP_1) | instid1(VALU_DEP_2)
	v_add_f32_e32 v1, v1, v12
	v_and_b32_e32 v12, 0xffff0000, v14
	v_add_f32_e32 v1, v1, v2
	s_delay_alu instid0(VALU_DEP_1)
	v_add_f32_e32 v1, v1, v12
	s_cbranch_scc1 .LBB689_56
.LBB689_40:                             ;   Parent Loop BB689_33 Depth=1
                                        ; =>  This Inner Loop Header: Depth=2
	flat_load_u16 v2, v[10:11] offset:-4
	s_wait_loadcnt_dscnt 0x0
	v_dual_mov_b32 v12, s4 :: v_dual_lshlrev_b32 v2, 16, v2
	ds_load_b32 v12, v12
	s_wait_dscnt 0x0
	v_mul_f32_e32 v12, v12, v2
	s_delay_alu instid0(VALU_DEP_1) | instskip(NEXT) | instid1(VALU_DEP_1)
	v_and_b32_e32 v2, 0x7f800000, v12
	v_cmp_ne_u32_e32 vcc_lo, 0x7f800000, v2
                                        ; implicit-def: $vgpr2
	s_wait_xcnt 0x0
	s_and_saveexec_b32 s19, vcc_lo
	s_delay_alu instid0(SALU_CYCLE_1)
	s_xor_b32 s19, exec_lo, s19
; %bb.41:                               ;   in Loop: Header=BB689_40 Depth=2
	v_bfe_u32 v2, v12, 16, 1
	s_delay_alu instid0(VALU_DEP_1)
	v_add3_u32 v2, v12, v2, 0x7fff
                                        ; implicit-def: $vgpr12
; %bb.42:                               ;   in Loop: Header=BB689_40 Depth=2
	s_and_not1_saveexec_b32 s19, s19
; %bb.43:                               ;   in Loop: Header=BB689_40 Depth=2
	v_and_b32_e32 v2, 0xffff, v12
	v_or_b32_e32 v13, 0x10000, v12
	s_delay_alu instid0(VALU_DEP_2) | instskip(NEXT) | instid1(VALU_DEP_2)
	v_cmp_eq_u32_e32 vcc_lo, 0, v2
	v_cndmask_b32_e32 v2, v13, v12, vcc_lo
; %bb.44:                               ;   in Loop: Header=BB689_40 Depth=2
	s_or_b32 exec_lo, exec_lo, s19
	flat_load_u16 v12, v[10:11] offset:-2
	s_wait_loadcnt_dscnt 0x0
	v_dual_mov_b32 v13, s4 :: v_dual_lshlrev_b32 v12, 16, v12
	ds_load_b32 v13, v13 offset:4
	s_wait_dscnt 0x0
	v_mul_f32_e32 v13, v13, v12
	s_delay_alu instid0(VALU_DEP_1) | instskip(NEXT) | instid1(VALU_DEP_1)
	v_and_b32_e32 v12, 0x7f800000, v13
	v_cmp_ne_u32_e32 vcc_lo, 0x7f800000, v12
                                        ; implicit-def: $vgpr12
	s_wait_xcnt 0x0
	s_and_saveexec_b32 s19, vcc_lo
	s_delay_alu instid0(SALU_CYCLE_1)
	s_xor_b32 s19, exec_lo, s19
; %bb.45:                               ;   in Loop: Header=BB689_40 Depth=2
	v_bfe_u32 v12, v13, 16, 1
	s_delay_alu instid0(VALU_DEP_1)
	v_add3_u32 v12, v13, v12, 0x7fff
                                        ; implicit-def: $vgpr13
; %bb.46:                               ;   in Loop: Header=BB689_40 Depth=2
	s_and_not1_saveexec_b32 s19, s19
; %bb.47:                               ;   in Loop: Header=BB689_40 Depth=2
	v_and_b32_e32 v12, 0xffff, v13
	v_or_b32_e32 v14, 0x10000, v13
	s_delay_alu instid0(VALU_DEP_2) | instskip(NEXT) | instid1(VALU_DEP_2)
	v_cmp_eq_u32_e32 vcc_lo, 0, v12
	v_cndmask_b32_e32 v12, v14, v13, vcc_lo
; %bb.48:                               ;   in Loop: Header=BB689_40 Depth=2
	s_or_b32 exec_lo, exec_lo, s19
	flat_load_u16 v13, v[10:11]
	s_wait_loadcnt_dscnt 0x0
	v_dual_mov_b32 v14, s4 :: v_dual_lshlrev_b32 v13, 16, v13
	ds_load_b32 v14, v14 offset:8
	s_wait_dscnt 0x0
	v_mul_f32_e32 v14, v14, v13
	s_delay_alu instid0(VALU_DEP_1) | instskip(NEXT) | instid1(VALU_DEP_1)
	v_and_b32_e32 v13, 0x7f800000, v14
	v_cmp_ne_u32_e32 vcc_lo, 0x7f800000, v13
                                        ; implicit-def: $vgpr13
	s_wait_xcnt 0x0
	s_and_saveexec_b32 s19, vcc_lo
	s_delay_alu instid0(SALU_CYCLE_1)
	s_xor_b32 s19, exec_lo, s19
; %bb.49:                               ;   in Loop: Header=BB689_40 Depth=2
	v_bfe_u32 v13, v14, 16, 1
	s_delay_alu instid0(VALU_DEP_1)
	v_add3_u32 v13, v14, v13, 0x7fff
                                        ; implicit-def: $vgpr14
; %bb.50:                               ;   in Loop: Header=BB689_40 Depth=2
	s_and_not1_saveexec_b32 s19, s19
; %bb.51:                               ;   in Loop: Header=BB689_40 Depth=2
	v_and_b32_e32 v13, 0xffff, v14
	v_or_b32_e32 v15, 0x10000, v14
	s_delay_alu instid0(VALU_DEP_2) | instskip(NEXT) | instid1(VALU_DEP_2)
	v_cmp_eq_u32_e32 vcc_lo, 0, v13
	v_cndmask_b32_e32 v13, v15, v14, vcc_lo
; %bb.52:                               ;   in Loop: Header=BB689_40 Depth=2
	s_or_b32 exec_lo, exec_lo, s19
	flat_load_u16 v14, v[10:11] offset:2
	s_wait_loadcnt_dscnt 0x0
	v_dual_mov_b32 v15, s4 :: v_dual_lshlrev_b32 v14, 16, v14
	ds_load_b32 v15, v15 offset:12
	s_wait_dscnt 0x0
	v_mul_f32_e32 v15, v15, v14
	s_delay_alu instid0(VALU_DEP_1) | instskip(NEXT) | instid1(VALU_DEP_1)
	v_and_b32_e32 v14, 0x7f800000, v15
	v_cmp_ne_u32_e32 vcc_lo, 0x7f800000, v14
                                        ; implicit-def: $vgpr14
	s_wait_xcnt 0x0
	s_and_saveexec_b32 s19, vcc_lo
	s_delay_alu instid0(SALU_CYCLE_1)
	s_xor_b32 s19, exec_lo, s19
; %bb.53:                               ;   in Loop: Header=BB689_40 Depth=2
	v_bfe_u32 v14, v15, 16, 1
	s_delay_alu instid0(VALU_DEP_1)
	v_add3_u32 v14, v15, v14, 0x7fff
                                        ; implicit-def: $vgpr15
; %bb.54:                               ;   in Loop: Header=BB689_40 Depth=2
	s_and_not1_saveexec_b32 s19, s19
	s_cbranch_execz .LBB689_39
; %bb.55:                               ;   in Loop: Header=BB689_40 Depth=2
	v_and_b32_e32 v14, 0xffff, v15
	v_or_b32_e32 v16, 0x10000, v15
	s_delay_alu instid0(VALU_DEP_2) | instskip(NEXT) | instid1(VALU_DEP_2)
	v_cmp_eq_u32_e32 vcc_lo, 0, v14
	v_cndmask_b32_e32 v14, v16, v15, vcc_lo
	s_branch .LBB689_39
.LBB689_56:                             ;   in Loop: Header=BB689_33 Depth=1
	s_mov_b32 s18, s8
.LBB689_57:                             ;   in Loop: Header=BB689_33 Depth=1
	s_and_not1_b32 vcc_lo, exec_lo, s13
	s_cbranch_vccnz .LBB689_31
; %bb.58:                               ;   in Loop: Header=BB689_33 Depth=1
	s_lshl_b32 s4, s18, 1
	s_delay_alu instid0(SALU_CYCLE_1)
	v_add_nc_u64_e32 v[10:11], s[4:5], v[4:5]
	s_lshl_b32 s4, s18, 2
	s_mov_b32 s18, s15
	s_branch .LBB689_60
.LBB689_59:                             ;   in Loop: Header=BB689_60 Depth=2
	s_or_b32 exec_lo, exec_lo, s19
	s_delay_alu instid0(VALU_DEP_1)
	v_and_b32_e32 v2, 0xffff0000, v12
	v_add_nc_u64_e32 v[10:11], 2, v[10:11]
	s_add_co_i32 s18, s18, -1
	s_add_co_i32 s4, s4, 4
	s_cmp_lg_u32 s18, 0
	v_add_f32_e32 v1, v1, v2
	s_cbranch_scc0 .LBB689_31
.LBB689_60:                             ;   Parent Loop BB689_33 Depth=1
                                        ; =>  This Inner Loop Header: Depth=2
	flat_load_u16 v2, v[10:11]
	s_wait_loadcnt_dscnt 0x0
	v_dual_mov_b32 v12, s4 :: v_dual_lshlrev_b32 v2, 16, v2
	ds_load_b32 v12, v12
	s_wait_dscnt 0x0
	v_mul_f32_e32 v2, v12, v2
	s_delay_alu instid0(VALU_DEP_1) | instskip(NEXT) | instid1(VALU_DEP_1)
	v_and_b32_e32 v12, 0x7f800000, v2
	v_cmp_ne_u32_e32 vcc_lo, 0x7f800000, v12
                                        ; implicit-def: $vgpr12
	s_wait_xcnt 0x0
	s_and_saveexec_b32 s19, vcc_lo
	s_delay_alu instid0(SALU_CYCLE_1)
	s_xor_b32 s19, exec_lo, s19
; %bb.61:                               ;   in Loop: Header=BB689_60 Depth=2
	v_bfe_u32 v12, v2, 16, 1
	s_delay_alu instid0(VALU_DEP_1)
	v_add3_u32 v12, v2, v12, 0x7fff
                                        ; implicit-def: $vgpr2
; %bb.62:                               ;   in Loop: Header=BB689_60 Depth=2
	s_and_not1_saveexec_b32 s19, s19
	s_cbranch_execz .LBB689_59
; %bb.63:                               ;   in Loop: Header=BB689_60 Depth=2
	v_and_b32_e32 v12, 0xffff, v2
	v_or_b32_e32 v13, 0x10000, v2
	s_delay_alu instid0(VALU_DEP_2) | instskip(NEXT) | instid1(VALU_DEP_2)
	v_cmp_eq_u32_e32 vcc_lo, 0, v12
	v_cndmask_b32_e32 v12, v13, v2, vcc_lo
	s_branch .LBB689_59
.LBB689_64:
	s_endpgm
	.section	.rodata,"a",@progbits
	.p2align	6, 0x0
	.amdhsa_kernel _ZL22rocblas_gemvtsm_kernelILb1ELi256EPK16rocblas_bfloat16fKPfEviiT2_lPKT1_lilS8_lilS5_lPT3_lil
		.amdhsa_group_segment_fixed_size 256
		.amdhsa_private_segment_fixed_size 0
		.amdhsa_kernarg_size 136
		.amdhsa_user_sgpr_count 2
		.amdhsa_user_sgpr_dispatch_ptr 0
		.amdhsa_user_sgpr_queue_ptr 0
		.amdhsa_user_sgpr_kernarg_segment_ptr 1
		.amdhsa_user_sgpr_dispatch_id 0
		.amdhsa_user_sgpr_kernarg_preload_length 0
		.amdhsa_user_sgpr_kernarg_preload_offset 0
		.amdhsa_user_sgpr_private_segment_size 0
		.amdhsa_wavefront_size32 1
		.amdhsa_uses_dynamic_stack 0
		.amdhsa_enable_private_segment 0
		.amdhsa_system_sgpr_workgroup_id_x 1
		.amdhsa_system_sgpr_workgroup_id_y 0
		.amdhsa_system_sgpr_workgroup_id_z 0
		.amdhsa_system_sgpr_workgroup_info 0
		.amdhsa_system_vgpr_workitem_id 0
		.amdhsa_next_free_vgpr 17
		.amdhsa_next_free_sgpr 24
		.amdhsa_named_barrier_count 0
		.amdhsa_reserve_vcc 1
		.amdhsa_float_round_mode_32 0
		.amdhsa_float_round_mode_16_64 0
		.amdhsa_float_denorm_mode_32 3
		.amdhsa_float_denorm_mode_16_64 3
		.amdhsa_fp16_overflow 0
		.amdhsa_memory_ordered 1
		.amdhsa_forward_progress 1
		.amdhsa_inst_pref_size 16
		.amdhsa_round_robin_scheduling 0
		.amdhsa_exception_fp_ieee_invalid_op 0
		.amdhsa_exception_fp_denorm_src 0
		.amdhsa_exception_fp_ieee_div_zero 0
		.amdhsa_exception_fp_ieee_overflow 0
		.amdhsa_exception_fp_ieee_underflow 0
		.amdhsa_exception_fp_ieee_inexact 0
		.amdhsa_exception_int_div_zero 0
	.end_amdhsa_kernel
	.section	.text._ZL22rocblas_gemvtsm_kernelILb1ELi256EPK16rocblas_bfloat16fKPfEviiT2_lPKT1_lilS8_lilS5_lPT3_lil,"axG",@progbits,_ZL22rocblas_gemvtsm_kernelILb1ELi256EPK16rocblas_bfloat16fKPfEviiT2_lPKT1_lilS8_lilS5_lPT3_lil,comdat
.Lfunc_end689:
	.size	_ZL22rocblas_gemvtsm_kernelILb1ELi256EPK16rocblas_bfloat16fKPfEviiT2_lPKT1_lilS8_lilS5_lPT3_lil, .Lfunc_end689-_ZL22rocblas_gemvtsm_kernelILb1ELi256EPK16rocblas_bfloat16fKPfEviiT2_lPKT1_lilS8_lilS5_lPT3_lil
                                        ; -- End function
	.set _ZL22rocblas_gemvtsm_kernelILb1ELi256EPK16rocblas_bfloat16fKPfEviiT2_lPKT1_lilS8_lilS5_lPT3_lil.num_vgpr, 17
	.set _ZL22rocblas_gemvtsm_kernelILb1ELi256EPK16rocblas_bfloat16fKPfEviiT2_lPKT1_lilS8_lilS5_lPT3_lil.num_agpr, 0
	.set _ZL22rocblas_gemvtsm_kernelILb1ELi256EPK16rocblas_bfloat16fKPfEviiT2_lPKT1_lilS8_lilS5_lPT3_lil.numbered_sgpr, 24
	.set _ZL22rocblas_gemvtsm_kernelILb1ELi256EPK16rocblas_bfloat16fKPfEviiT2_lPKT1_lilS8_lilS5_lPT3_lil.num_named_barrier, 0
	.set _ZL22rocblas_gemvtsm_kernelILb1ELi256EPK16rocblas_bfloat16fKPfEviiT2_lPKT1_lilS8_lilS5_lPT3_lil.private_seg_size, 0
	.set _ZL22rocblas_gemvtsm_kernelILb1ELi256EPK16rocblas_bfloat16fKPfEviiT2_lPKT1_lilS8_lilS5_lPT3_lil.uses_vcc, 1
	.set _ZL22rocblas_gemvtsm_kernelILb1ELi256EPK16rocblas_bfloat16fKPfEviiT2_lPKT1_lilS8_lilS5_lPT3_lil.uses_flat_scratch, 0
	.set _ZL22rocblas_gemvtsm_kernelILb1ELi256EPK16rocblas_bfloat16fKPfEviiT2_lPKT1_lilS8_lilS5_lPT3_lil.has_dyn_sized_stack, 0
	.set _ZL22rocblas_gemvtsm_kernelILb1ELi256EPK16rocblas_bfloat16fKPfEviiT2_lPKT1_lilS8_lilS5_lPT3_lil.has_recursion, 0
	.set _ZL22rocblas_gemvtsm_kernelILb1ELi256EPK16rocblas_bfloat16fKPfEviiT2_lPKT1_lilS8_lilS5_lPT3_lil.has_indirect_call, 0
	.section	.AMDGPU.csdata,"",@progbits
; Kernel info:
; codeLenInByte = 2000
; TotalNumSgprs: 26
; NumVgprs: 17
; ScratchSize: 0
; MemoryBound: 0
; FloatMode: 240
; IeeeMode: 1
; LDSByteSize: 256 bytes/workgroup (compile time only)
; SGPRBlocks: 0
; VGPRBlocks: 1
; NumSGPRsForWavesPerEU: 26
; NumVGPRsForWavesPerEU: 17
; NamedBarCnt: 0
; Occupancy: 16
; WaveLimiterHint : 1
; COMPUTE_PGM_RSRC2:SCRATCH_EN: 0
; COMPUTE_PGM_RSRC2:USER_SGPR: 2
; COMPUTE_PGM_RSRC2:TRAP_HANDLER: 0
; COMPUTE_PGM_RSRC2:TGID_X_EN: 1
; COMPUTE_PGM_RSRC2:TGID_Y_EN: 0
; COMPUTE_PGM_RSRC2:TGID_Z_EN: 0
; COMPUTE_PGM_RSRC2:TIDIG_COMP_CNT: 0
	.section	.text._ZL20rocblas_gemvt_kernelILb1ELi256EPK16rocblas_bfloat16PKfKPfEviiT2_lPKT1_lilSA_lilS7_lPT3_lili,"axG",@progbits,_ZL20rocblas_gemvt_kernelILb1ELi256EPK16rocblas_bfloat16PKfKPfEviiT2_lPKT1_lilSA_lilS7_lPT3_lili,comdat
	.globl	_ZL20rocblas_gemvt_kernelILb1ELi256EPK16rocblas_bfloat16PKfKPfEviiT2_lPKT1_lilSA_lilS7_lPT3_lili ; -- Begin function _ZL20rocblas_gemvt_kernelILb1ELi256EPK16rocblas_bfloat16PKfKPfEviiT2_lPKT1_lilSA_lilS7_lPT3_lili
	.p2align	8
	.type	_ZL20rocblas_gemvt_kernelILb1ELi256EPK16rocblas_bfloat16PKfKPfEviiT2_lPKT1_lilSA_lilS7_lPT3_lili,@function
_ZL20rocblas_gemvt_kernelILb1ELi256EPK16rocblas_bfloat16PKfKPfEviiT2_lPKT1_lilSA_lilS7_lPT3_lili: ; @_ZL20rocblas_gemvt_kernelILb1ELi256EPK16rocblas_bfloat16PKfKPfEviiT2_lPKT1_lilSA_lilS7_lPT3_lili
; %bb.0:
	s_load_b32 s11, s[0:1], 0x88
	s_bfe_u32 s2, ttmp6, 0x40014
	s_lshr_b32 s3, ttmp7, 16
	s_add_co_i32 s2, s2, 1
	s_bfe_u32 s5, ttmp6, 0x40008
	s_mul_i32 s4, s3, s2
	s_getreg_b32 s2, hwreg(HW_REG_IB_STS2, 6, 4)
	s_add_co_i32 s5, s5, s4
	s_cmp_eq_u32 s2, 0
	s_mov_b32 s35, 0
	s_cselect_b32 s34, s3, s5
	s_wait_kmcnt 0x0
	s_cmp_ge_u32 s34, s11
	s_cbranch_scc1 .LBB690_53
; %bb.1:
	s_clause 0x3
	s_load_b32 s4, s[0:1], 0x28
	s_load_b32 s40, s[0:1], 0x48
	;; [unrolled: 1-line block ×4, first 2 shown]
	s_bfe_u32 s3, ttmp6, 0x4000c
	s_and_b32 s5, ttmp6, 15
	s_add_co_i32 s3, s3, 1
	s_load_b128 s[28:31], s[0:1], 0x38
	s_mul_i32 s3, ttmp9, s3
	s_clause 0x1
	s_load_b256 s[12:19], s[0:1], 0x8
	s_load_b256 s[20:27], s[0:1], 0x58
	s_add_co_i32 s3, s5, s3
	s_wait_xcnt 0x0
	v_cmp_eq_u32_e64 s0, 0, v0
	v_lshlrev_b32_e32 v16, 2, v0
	s_wait_kmcnt 0x0
	s_ashr_i32 s5, s4, 31
	s_ashr_i32 s41, s40, 31
	;; [unrolled: 1-line block ×3, first 2 shown]
	s_cmp_eq_u32 s2, 0
	v_cmp_gt_i32_e32 vcc_lo, s8, v0
	s_cselect_b32 s2, ttmp9, s3
	s_ashr_i32 s3, s8, 31
	s_delay_alu instid0(SALU_CYCLE_1) | instskip(SKIP_2) | instid1(SALU_CYCLE_1)
	s_lshr_b32 s3, s3, 24
	v_cndmask_b32_e32 v8, 0, v0, vcc_lo
	s_add_co_i32 s3, s8, s3
	s_and_b32 s36, s3, 0xffffff00
	s_delay_alu instid0(SALU_CYCLE_1) | instskip(SKIP_3) | instid1(VALU_DEP_1)
	v_dual_mov_b32 v1, 0 :: v_dual_bitop2_b32 v4, s36, v0 bitop3:0x54
	s_ashr_i32 s3, s2, 31
	s_cmp_gt_i32 s8, 0xff
	s_mul_u64 s[42:43], s[6:7], s[2:3]
	v_mul_u64_e32 v[6:7], s[40:41], v[0:1]
	v_ashrrev_i32_e32 v5, 31, v4
	v_cmp_gt_i32_e64 s1, s8, v4
	s_mul_u64 s[38:39], s[4:5], s[2:3]
	v_cmp_gt_u32_e64 s2, 0x80, v0
	v_cmp_gt_u32_e64 s3, 64, v0
	v_mul_u64_e32 v[2:3], s[40:41], v[4:5]
	v_cmp_gt_u32_e64 s4, 32, v0
	v_cmp_gt_u32_e64 s5, 16, v0
	;; [unrolled: 1-line block ×5, first 2 shown]
	v_lshlrev_b32_e32 v0, 1, v8
	s_cselect_b32 s33, -1, 0
	s_ashr_i32 s37, s36, 31
	s_lshl_b64 s[40:41], s[40:41], 9
	s_lshl_b64 s[18:19], s[18:19], 1
	;; [unrolled: 1-line block ×5, first 2 shown]
	v_lshlrev_b64_e32 v[4:5], 1, v[6:7]
	s_branch .LBB690_4
.LBB690_2:                              ;   in Loop: Header=BB690_4 Depth=1
	s_wait_xcnt 0x0
	s_or_b32 exec_lo, exec_lo, s10
.LBB690_3:                              ;   in Loop: Header=BB690_4 Depth=1
	s_add_co_i32 s34, s34, 0x10000
	s_delay_alu instid0(SALU_CYCLE_1)
	s_cmp_lt_u32 s34, s11
	s_cbranch_scc0 .LBB690_53
.LBB690_4:                              ; =>This Loop Header: Depth=1
                                        ;     Child Loop BB690_20 Depth 2
	s_mul_u64 s[44:45], s[14:15], s[34:35]
	s_wait_xcnt 0x0
	s_mul_u64 s[46:47], s[22:23], s[34:35]
	s_lshl_b64 s[44:45], s[44:45], 2
	s_lshl_b64 s[46:47], s[46:47], 2
	s_add_nc_u64 s[44:45], s[12:13], s[44:45]
	s_add_nc_u64 s[46:47], s[20:21], s[46:47]
	s_clause 0x1
	global_load_b32 v17, v1, s[44:45]
	global_load_b32 v6, v1, s[46:47]
	s_wait_loadcnt 0x1
	v_cmp_eq_f32_e64 s9, 0, v17
	s_wait_loadcnt 0x0
	v_cmp_eq_f32_e32 vcc_lo, 1.0, v6
	s_wait_xcnt 0x1
	v_readfirstlane_b32 s44, v6
	s_and_b32 s10, s9, vcc_lo
	s_delay_alu instid0(SALU_CYCLE_1)
	s_and_b32 vcc_lo, exec_lo, s10
	s_cbranch_vccnz .LBB690_3
; %bb.5:                                ;   in Loop: Header=BB690_4 Depth=1
	v_mov_b64_e32 v[8:9], 0
	v_mov_b64_e32 v[10:11], 0
	v_cmp_neq_f32_e64 s10, 0, v17
	s_and_b32 vcc_lo, exec_lo, s9
	s_cbranch_vccnz .LBB690_7
; %bb.6:                                ;   in Loop: Header=BB690_4 Depth=1
	s_wait_xcnt 0x0
	s_lshl_b64 s[46:47], s[34:35], 3
	s_delay_alu instid0(SALU_CYCLE_1)
	s_add_nc_u64 s[46:47], s[16:17], s[46:47]
	global_load_b64 v[6:7], v1, s[46:47]
	s_wait_loadcnt 0x0
	v_add_nc_u64_e32 v[10:11], s[18:19], v[6:7]
.LBB690_7:                              ;   in Loop: Header=BB690_4 Depth=1
	s_and_not1_b32 vcc_lo, exec_lo, s10
	s_cbranch_vccnz .LBB690_9
; %bb.8:                                ;   in Loop: Header=BB690_4 Depth=1
	s_wait_xcnt 0x0
	s_lshl_b64 s[46:47], s[34:35], 3
	s_delay_alu instid0(SALU_CYCLE_1)
	s_add_nc_u64 s[46:47], s[28:29], s[46:47]
	global_load_b64 v[6:7], v1, s[46:47]
	s_wait_loadcnt 0x0
	v_add_nc_u64_e32 v[8:9], s[30:31], v[6:7]
.LBB690_9:                              ;   in Loop: Header=BB690_4 Depth=1
	s_wait_xcnt 0x0
	s_lshl_b64 s[46:47], s[34:35], 3
	s_and_not1_b32 vcc_lo, exec_lo, s9
	s_add_nc_u64 s[46:47], s[24:25], s[46:47]
	global_load_b64 v[6:7], v1, s[46:47]
	s_wait_loadcnt 0x0
	v_add_nc_u64_e32 v[6:7], s[26:27], v[6:7]
	s_cbranch_vccnz .LBB690_13
; %bb.10:                               ;   in Loop: Header=BB690_4 Depth=1
	s_mov_b32 s10, 0
	s_mov_b32 s9, 0
                                        ; implicit-def: $vgpr12
	s_wait_xcnt 0x0
	s_and_saveexec_b32 s45, s0
	s_cbranch_execz .LBB690_14
; %bb.11:                               ;   in Loop: Header=BB690_4 Depth=1
	s_cmp_eq_f32 s44, 0
	s_cbranch_scc1 .LBB690_15
; %bb.12:                               ;   in Loop: Header=BB690_4 Depth=1
	v_add_nc_u64_e32 v[12:13], s[42:43], v[6:7]
	flat_load_b32 v12, v[12:13]
	s_wait_loadcnt_dscnt 0x0
	s_wait_xcnt 0x0
	v_mul_f32_e32 v12, s44, v12
	s_branch .LBB690_16
.LBB690_13:                             ;   in Loop: Header=BB690_4 Depth=1
	s_mov_b32 s9, 0
                                        ; implicit-def: $vgpr12
	s_cbranch_execnz .LBB690_17
	s_branch .LBB690_51
.LBB690_14:                             ;   in Loop: Header=BB690_4 Depth=1
	s_or_b32 exec_lo, exec_lo, s45
	s_delay_alu instid0(SALU_CYCLE_1)
	s_and_b32 vcc_lo, exec_lo, s10
	s_cbranch_vccnz .LBB690_17
	s_branch .LBB690_51
.LBB690_15:                             ;   in Loop: Header=BB690_4 Depth=1
	v_mov_b32_e32 v12, 0
.LBB690_16:                             ;   in Loop: Header=BB690_4 Depth=1
	s_mov_b32 s9, exec_lo
	s_or_b32 exec_lo, exec_lo, s45
	s_delay_alu instid0(SALU_CYCLE_1)
	s_and_b32 vcc_lo, exec_lo, s10
	s_cbranch_vccz .LBB690_51
.LBB690_17:                             ;   in Loop: Header=BB690_4 Depth=1
	v_add_nc_u64_e32 v[10:11], v[10:11], v[0:1]
	v_mov_b32_e32 v18, 0
	s_and_not1_b32 vcc_lo, exec_lo, s33
	s_delay_alu instid0(VALU_DEP_2)
	v_lshl_add_u64 v[10:11], s[38:39], 1, v[10:11]
	s_cbranch_vccnz .LBB690_24
; %bb.18:                               ;   in Loop: Header=BB690_4 Depth=1
	v_add_nc_u64_e32 v[12:13], v[8:9], v[4:5]
	s_delay_alu instid0(VALU_DEP_2)
	v_mov_b64_e32 v[14:15], v[10:11]
	v_mov_b32_e32 v18, 0
	s_mov_b32 s10, 0
	s_branch .LBB690_20
.LBB690_19:                             ;   in Loop: Header=BB690_20 Depth=2
	s_or_b32 exec_lo, exec_lo, s45
	s_delay_alu instid0(VALU_DEP_1) | instskip(SKIP_3) | instid1(SALU_CYCLE_1)
	v_and_b32_e32 v19, 0xffff0000, v20
	v_add_nc_u64_e32 v[12:13], s[40:41], v[12:13]
	v_add_nc_u64_e32 v[14:15], 0x200, v[14:15]
	s_addk_co_i32 s10, 0x100
	s_cmp_ge_i32 s10, s36
	v_add_f32_e32 v18, v18, v19
	s_cbranch_scc1 .LBB690_24
.LBB690_20:                             ;   Parent Loop BB690_4 Depth=1
                                        ; =>  This Inner Loop Header: Depth=2
	flat_load_u16 v19, v[14:15]
	flat_load_u16 v20, v[12:13]
	s_wait_loadcnt_dscnt 0x0
	v_dual_lshlrev_b32 v19, 16, v19 :: v_dual_lshlrev_b32 v20, 16, v20
	s_delay_alu instid0(VALU_DEP_1) | instskip(NEXT) | instid1(VALU_DEP_1)
	v_mul_f32_e32 v19, v20, v19
	v_and_b32_e32 v20, 0x7f800000, v19
	s_delay_alu instid0(VALU_DEP_1) | instskip(SKIP_2) | instid1(SALU_CYCLE_1)
	v_cmp_ne_u32_e32 vcc_lo, 0x7f800000, v20
                                        ; implicit-def: $vgpr20
	s_wait_xcnt 0x0
	s_and_saveexec_b32 s45, vcc_lo
	s_xor_b32 s45, exec_lo, s45
; %bb.21:                               ;   in Loop: Header=BB690_20 Depth=2
	v_bfe_u32 v20, v19, 16, 1
	s_delay_alu instid0(VALU_DEP_1)
	v_add3_u32 v20, v19, v20, 0x7fff
                                        ; implicit-def: $vgpr19
; %bb.22:                               ;   in Loop: Header=BB690_20 Depth=2
	s_and_not1_saveexec_b32 s45, s45
	s_cbranch_execz .LBB690_19
; %bb.23:                               ;   in Loop: Header=BB690_20 Depth=2
	v_and_b32_e32 v20, 0xffff, v19
	v_or_b32_e32 v21, 0x10000, v19
	s_delay_alu instid0(VALU_DEP_2) | instskip(NEXT) | instid1(VALU_DEP_2)
	v_cmp_eq_u32_e32 vcc_lo, 0, v20
	v_cndmask_b32_e32 v20, v21, v19, vcc_lo
	s_branch .LBB690_19
.LBB690_24:                             ;   in Loop: Header=BB690_4 Depth=1
	s_wait_xcnt 0x0
	s_and_saveexec_b32 s10, s1
	s_cbranch_execz .LBB690_30
; %bb.25:                               ;   in Loop: Header=BB690_4 Depth=1
	v_lshl_add_u64 v[10:11], s[36:37], 1, v[10:11]
	v_lshl_add_u64 v[8:9], v[2:3], 1, v[8:9]
	flat_load_u16 v12, v[10:11]
	flat_load_u16 v13, v[8:9]
	s_wait_loadcnt_dscnt 0x0
	s_wait_xcnt 0x0
	v_dual_lshlrev_b32 v8, 16, v12 :: v_dual_lshlrev_b32 v9, 16, v13
	s_delay_alu instid0(VALU_DEP_1) | instskip(NEXT) | instid1(VALU_DEP_1)
	v_mul_f32_e32 v8, v9, v8
	v_and_b32_e32 v9, 0x7f800000, v8
	s_delay_alu instid0(VALU_DEP_1) | instskip(SKIP_1) | instid1(SALU_CYCLE_1)
	v_cmp_ne_u32_e32 vcc_lo, 0x7f800000, v9
                                        ; implicit-def: $vgpr9
	s_and_saveexec_b32 s45, vcc_lo
	s_xor_b32 s45, exec_lo, s45
; %bb.26:                               ;   in Loop: Header=BB690_4 Depth=1
	v_bfe_u32 v9, v8, 16, 1
	s_delay_alu instid0(VALU_DEP_1)
	v_add3_u32 v9, v8, v9, 0x7fff
                                        ; implicit-def: $vgpr8
; %bb.27:                               ;   in Loop: Header=BB690_4 Depth=1
	s_and_not1_saveexec_b32 s45, s45
; %bb.28:                               ;   in Loop: Header=BB690_4 Depth=1
	v_and_b32_e32 v9, 0xffff, v8
	v_or_b32_e32 v10, 0x10000, v8
	s_delay_alu instid0(VALU_DEP_2) | instskip(NEXT) | instid1(VALU_DEP_2)
	v_cmp_eq_u32_e32 vcc_lo, 0, v9
	v_cndmask_b32_e32 v9, v10, v8, vcc_lo
; %bb.29:                               ;   in Loop: Header=BB690_4 Depth=1
	s_or_b32 exec_lo, exec_lo, s45
	s_delay_alu instid0(VALU_DEP_1) | instskip(NEXT) | instid1(VALU_DEP_1)
	v_and_b32_e32 v8, 0xffff0000, v9
	v_add_f32_e32 v18, v18, v8
.LBB690_30:                             ;   in Loop: Header=BB690_4 Depth=1
	s_or_b32 exec_lo, exec_lo, s10
	ds_store_b32 v16, v18
	s_wait_dscnt 0x0
	s_barrier_signal -1
	s_barrier_wait -1
	s_and_saveexec_b32 s10, s2
	s_cbranch_execz .LBB690_32
; %bb.31:                               ;   in Loop: Header=BB690_4 Depth=1
	ds_load_2addr_stride64_b32 v[8:9], v16 offset1:2
	s_wait_dscnt 0x0
	v_add_f32_e32 v8, v9, v8
	ds_store_b32 v16, v8
.LBB690_32:                             ;   in Loop: Header=BB690_4 Depth=1
	s_or_b32 exec_lo, exec_lo, s10
	s_wait_dscnt 0x0
	s_barrier_signal -1
	s_barrier_wait -1
	s_and_saveexec_b32 s10, s3
	s_cbranch_execz .LBB690_34
; %bb.33:                               ;   in Loop: Header=BB690_4 Depth=1
	ds_load_2addr_stride64_b32 v[8:9], v16 offset1:1
	s_wait_dscnt 0x0
	v_add_f32_e32 v8, v9, v8
	ds_store_b32 v16, v8
.LBB690_34:                             ;   in Loop: Header=BB690_4 Depth=1
	s_or_b32 exec_lo, exec_lo, s10
	s_wait_dscnt 0x0
	s_barrier_signal -1
	s_barrier_wait -1
	s_and_saveexec_b32 s10, s4
	s_cbranch_execz .LBB690_36
; %bb.35:                               ;   in Loop: Header=BB690_4 Depth=1
	ds_load_2addr_b32 v[8:9], v16 offset1:32
	s_wait_dscnt 0x0
	v_add_f32_e32 v8, v9, v8
	ds_store_b32 v16, v8
.LBB690_36:                             ;   in Loop: Header=BB690_4 Depth=1
	s_or_b32 exec_lo, exec_lo, s10
	s_wait_dscnt 0x0
	s_barrier_signal -1
	s_barrier_wait -1
	s_and_saveexec_b32 s10, s5
	s_cbranch_execz .LBB690_38
; %bb.37:                               ;   in Loop: Header=BB690_4 Depth=1
	ds_load_2addr_b32 v[8:9], v16 offset1:16
	s_wait_dscnt 0x0
	v_add_f32_e32 v8, v9, v8
	ds_store_b32 v16, v8
.LBB690_38:                             ;   in Loop: Header=BB690_4 Depth=1
	;; [unrolled: 12-line block ×5, first 2 shown]
	s_or_b32 exec_lo, exec_lo, s10
	s_wait_dscnt 0x0
	s_barrier_signal -1
	s_barrier_wait -1
	s_and_saveexec_b32 s10, s0
	s_cbranch_execz .LBB690_46
; %bb.45:                               ;   in Loop: Header=BB690_4 Depth=1
	ds_load_b64 v[8:9], v1
	s_wait_dscnt 0x0
	v_add_f32_e32 v8, v9, v8
	ds_store_b32 v1, v8
.LBB690_46:                             ;   in Loop: Header=BB690_4 Depth=1
	s_or_b32 exec_lo, exec_lo, s10
	s_wait_dscnt 0x0
	s_barrier_signal -1
	s_barrier_wait -1
                                        ; implicit-def: $vgpr12
	s_and_saveexec_b32 s10, s0
	s_cbranch_execz .LBB690_50
; %bb.47:                               ;   in Loop: Header=BB690_4 Depth=1
	ds_load_b32 v8, v1
	s_cmp_eq_f32 s44, 0
	s_wait_dscnt 0x0
	v_mul_f32_e32 v12, v17, v8
	s_cbranch_scc1 .LBB690_49
; %bb.48:                               ;   in Loop: Header=BB690_4 Depth=1
	v_add_nc_u64_e32 v[8:9], s[42:43], v[6:7]
	flat_load_b32 v8, v[8:9]
	s_wait_loadcnt_dscnt 0x0
	v_fmac_f32_e32 v12, s44, v8
.LBB690_49:                             ;   in Loop: Header=BB690_4 Depth=1
	s_or_b32 s9, s9, exec_lo
.LBB690_50:                             ;   in Loop: Header=BB690_4 Depth=1
	s_wait_xcnt 0x0
	s_or_b32 exec_lo, exec_lo, s10
.LBB690_51:                             ;   in Loop: Header=BB690_4 Depth=1
	s_wait_xcnt 0x0
	s_and_saveexec_b32 s10, s9
	s_cbranch_execz .LBB690_2
; %bb.52:                               ;   in Loop: Header=BB690_4 Depth=1
	v_add_nc_u64_e32 v[6:7], s[42:43], v[6:7]
	flat_store_b32 v[6:7], v12
	s_branch .LBB690_2
.LBB690_53:
	s_endpgm
	.section	.rodata,"a",@progbits
	.p2align	6, 0x0
	.amdhsa_kernel _ZL20rocblas_gemvt_kernelILb1ELi256EPK16rocblas_bfloat16PKfKPfEviiT2_lPKT1_lilSA_lilS7_lPT3_lili
		.amdhsa_group_segment_fixed_size 1024
		.amdhsa_private_segment_fixed_size 0
		.amdhsa_kernarg_size 140
		.amdhsa_user_sgpr_count 2
		.amdhsa_user_sgpr_dispatch_ptr 0
		.amdhsa_user_sgpr_queue_ptr 0
		.amdhsa_user_sgpr_kernarg_segment_ptr 1
		.amdhsa_user_sgpr_dispatch_id 0
		.amdhsa_user_sgpr_kernarg_preload_length 0
		.amdhsa_user_sgpr_kernarg_preload_offset 0
		.amdhsa_user_sgpr_private_segment_size 0
		.amdhsa_wavefront_size32 1
		.amdhsa_uses_dynamic_stack 0
		.amdhsa_enable_private_segment 0
		.amdhsa_system_sgpr_workgroup_id_x 1
		.amdhsa_system_sgpr_workgroup_id_y 0
		.amdhsa_system_sgpr_workgroup_id_z 1
		.amdhsa_system_sgpr_workgroup_info 0
		.amdhsa_system_vgpr_workitem_id 0
		.amdhsa_next_free_vgpr 22
		.amdhsa_next_free_sgpr 48
		.amdhsa_named_barrier_count 0
		.amdhsa_reserve_vcc 1
		.amdhsa_float_round_mode_32 0
		.amdhsa_float_round_mode_16_64 0
		.amdhsa_float_denorm_mode_32 3
		.amdhsa_float_denorm_mode_16_64 3
		.amdhsa_fp16_overflow 0
		.amdhsa_memory_ordered 1
		.amdhsa_forward_progress 1
		.amdhsa_inst_pref_size 14
		.amdhsa_round_robin_scheduling 0
		.amdhsa_exception_fp_ieee_invalid_op 0
		.amdhsa_exception_fp_denorm_src 0
		.amdhsa_exception_fp_ieee_div_zero 0
		.amdhsa_exception_fp_ieee_overflow 0
		.amdhsa_exception_fp_ieee_underflow 0
		.amdhsa_exception_fp_ieee_inexact 0
		.amdhsa_exception_int_div_zero 0
	.end_amdhsa_kernel
	.section	.text._ZL20rocblas_gemvt_kernelILb1ELi256EPK16rocblas_bfloat16PKfKPfEviiT2_lPKT1_lilSA_lilS7_lPT3_lili,"axG",@progbits,_ZL20rocblas_gemvt_kernelILb1ELi256EPK16rocblas_bfloat16PKfKPfEviiT2_lPKT1_lilSA_lilS7_lPT3_lili,comdat
.Lfunc_end690:
	.size	_ZL20rocblas_gemvt_kernelILb1ELi256EPK16rocblas_bfloat16PKfKPfEviiT2_lPKT1_lilSA_lilS7_lPT3_lili, .Lfunc_end690-_ZL20rocblas_gemvt_kernelILb1ELi256EPK16rocblas_bfloat16PKfKPfEviiT2_lPKT1_lilSA_lilS7_lPT3_lili
                                        ; -- End function
	.set _ZL20rocblas_gemvt_kernelILb1ELi256EPK16rocblas_bfloat16PKfKPfEviiT2_lPKT1_lilSA_lilS7_lPT3_lili.num_vgpr, 22
	.set _ZL20rocblas_gemvt_kernelILb1ELi256EPK16rocblas_bfloat16PKfKPfEviiT2_lPKT1_lilSA_lilS7_lPT3_lili.num_agpr, 0
	.set _ZL20rocblas_gemvt_kernelILb1ELi256EPK16rocblas_bfloat16PKfKPfEviiT2_lPKT1_lilSA_lilS7_lPT3_lili.numbered_sgpr, 48
	.set _ZL20rocblas_gemvt_kernelILb1ELi256EPK16rocblas_bfloat16PKfKPfEviiT2_lPKT1_lilSA_lilS7_lPT3_lili.num_named_barrier, 0
	.set _ZL20rocblas_gemvt_kernelILb1ELi256EPK16rocblas_bfloat16PKfKPfEviiT2_lPKT1_lilSA_lilS7_lPT3_lili.private_seg_size, 0
	.set _ZL20rocblas_gemvt_kernelILb1ELi256EPK16rocblas_bfloat16PKfKPfEviiT2_lPKT1_lilSA_lilS7_lPT3_lili.uses_vcc, 1
	.set _ZL20rocblas_gemvt_kernelILb1ELi256EPK16rocblas_bfloat16PKfKPfEviiT2_lPKT1_lilSA_lilS7_lPT3_lili.uses_flat_scratch, 0
	.set _ZL20rocblas_gemvt_kernelILb1ELi256EPK16rocblas_bfloat16PKfKPfEviiT2_lPKT1_lilSA_lilS7_lPT3_lili.has_dyn_sized_stack, 0
	.set _ZL20rocblas_gemvt_kernelILb1ELi256EPK16rocblas_bfloat16PKfKPfEviiT2_lPKT1_lilSA_lilS7_lPT3_lili.has_recursion, 0
	.set _ZL20rocblas_gemvt_kernelILb1ELi256EPK16rocblas_bfloat16PKfKPfEviiT2_lPKT1_lilSA_lilS7_lPT3_lili.has_indirect_call, 0
	.section	.AMDGPU.csdata,"",@progbits
; Kernel info:
; codeLenInByte = 1708
; TotalNumSgprs: 50
; NumVgprs: 22
; ScratchSize: 0
; MemoryBound: 0
; FloatMode: 240
; IeeeMode: 1
; LDSByteSize: 1024 bytes/workgroup (compile time only)
; SGPRBlocks: 0
; VGPRBlocks: 1
; NumSGPRsForWavesPerEU: 50
; NumVGPRsForWavesPerEU: 22
; NamedBarCnt: 0
; Occupancy: 16
; WaveLimiterHint : 1
; COMPUTE_PGM_RSRC2:SCRATCH_EN: 0
; COMPUTE_PGM_RSRC2:USER_SGPR: 2
; COMPUTE_PGM_RSRC2:TRAP_HANDLER: 0
; COMPUTE_PGM_RSRC2:TGID_X_EN: 1
; COMPUTE_PGM_RSRC2:TGID_Y_EN: 0
; COMPUTE_PGM_RSRC2:TGID_Z_EN: 1
; COMPUTE_PGM_RSRC2:TIDIG_COMP_CNT: 0
	.section	.text._ZL20rocblas_gemvt_kernelILb1ELi256EPK16rocblas_bfloat16fKPfEviiT2_lPKT1_lilS8_lilS5_lPT3_lili,"axG",@progbits,_ZL20rocblas_gemvt_kernelILb1ELi256EPK16rocblas_bfloat16fKPfEviiT2_lPKT1_lilS8_lilS5_lPT3_lili,comdat
	.globl	_ZL20rocblas_gemvt_kernelILb1ELi256EPK16rocblas_bfloat16fKPfEviiT2_lPKT1_lilS8_lilS5_lPT3_lili ; -- Begin function _ZL20rocblas_gemvt_kernelILb1ELi256EPK16rocblas_bfloat16fKPfEviiT2_lPKT1_lilS8_lilS5_lPT3_lili
	.p2align	8
	.type	_ZL20rocblas_gemvt_kernelILb1ELi256EPK16rocblas_bfloat16fKPfEviiT2_lPKT1_lilS8_lilS5_lPT3_lili,@function
_ZL20rocblas_gemvt_kernelILb1ELi256EPK16rocblas_bfloat16fKPfEviiT2_lPKT1_lilS8_lilS5_lPT3_lili: ; @_ZL20rocblas_gemvt_kernelILb1ELi256EPK16rocblas_bfloat16fKPfEviiT2_lPKT1_lilS8_lilS5_lPT3_lili
; %bb.0:
	s_load_b32 s9, s[0:1], 0x88
	s_bfe_u32 s2, ttmp6, 0x40014
	s_lshr_b32 s3, ttmp7, 16
	s_add_co_i32 s2, s2, 1
	s_bfe_u32 s5, ttmp6, 0x40008
	s_mul_i32 s2, s3, s2
	s_getreg_b32 s4, hwreg(HW_REG_IB_STS2, 6, 4)
	s_add_co_i32 s5, s5, s2
	s_cmp_eq_u32 s4, 0
	s_mov_b32 s11, 0
	s_cselect_b32 s10, s3, s5
	s_wait_kmcnt 0x0
	s_cmp_ge_u32 s10, s9
	s_cbranch_scc1 .LBB691_55
; %bb.1:
	s_clause 0x7
	s_load_b32 s2, s[0:1], 0x28
	s_load_b32 s28, s[0:1], 0x48
	s_load_b32 s6, s[0:1], 0x78
	s_load_b32 s33, s[0:1], 0x8
	s_load_b32 s34, s[0:1], 0x58
	s_load_b128 s[12:15], s[0:1], 0x18
	s_load_b32 s8, s[0:1], 0x0
	s_load_b128 s[20:23], s[0:1], 0x68
	v_lshlrev_b32_e32 v17, 2, v0
	s_wait_kmcnt 0x0
	s_ashr_i32 s3, s2, 31
	s_ashr_i32 s29, s28, 31
	;; [unrolled: 1-line block ×3, first 2 shown]
	s_cmp_eq_f32 s33, 0
	s_cselect_b32 s35, -1, 0
	s_cmp_neq_f32 s34, 1.0
	s_cselect_b32 s5, -1, 0
	s_cmp_neq_f32 s33, 0
	s_cselect_b32 s16, -1, 0
	s_delay_alu instid0(SALU_CYCLE_1)
	s_or_b32 s36, s16, s5
	s_cmp_neq_f32 s34, 0
	v_cndmask_b32_e64 v16, 0, 1, s16
	s_cselect_b32 s37, -1, 0
	s_bfe_u32 s5, ttmp6, 0x4000c
	s_and_b32 s16, ttmp6, 15
	s_add_co_i32 s5, s5, 1
	s_delay_alu instid0(SALU_CYCLE_1) | instskip(NEXT) | instid1(SALU_CYCLE_1)
	s_mul_i32 s5, ttmp9, s5
	s_add_co_i32 s16, s16, s5
	s_cmp_eq_u32 s4, 0
	s_cselect_b32 s4, ttmp9, s16
	s_load_b128 s[16:19], s[0:1], 0x38
	s_ashr_i32 s5, s8, 31
	v_cmp_gt_i32_e32 vcc_lo, s8, v0
	s_lshr_b32 s5, s5, 24
	s_wait_xcnt 0x0
	v_cmp_eq_u32_e64 s0, 0, v0
	s_add_co_i32 s5, s8, s5
	s_delay_alu instid0(SALU_CYCLE_1) | instskip(NEXT) | instid1(SALU_CYCLE_1)
	s_and_b32 s24, s5, 0xffffff00
	v_dual_mov_b32 v1, 0 :: v_dual_bitop2_b32 v6, s24, v0 bitop3:0x54
	v_cndmask_b32_e32 v8, 0, v0, vcc_lo
	s_ashr_i32 s5, s4, 31
	s_cmp_gt_i32 s8, 0xff
	s_delay_alu instid0(VALU_DEP_2)
	v_mul_u64_e32 v[4:5], s[28:29], v[0:1]
	v_ashrrev_i32_e32 v7, 31, v6
	s_mul_u64 s[30:31], s[6:7], s[4:5]
	s_mul_u64 s[26:27], s[2:3], s[4:5]
	v_cmp_gt_i32_e64 s1, s8, v6
	v_cmp_gt_u32_e64 s2, 0x80, v0
	v_mul_u64_e32 v[2:3], s[28:29], v[6:7]
	v_cmp_gt_u32_e64 s3, 64, v0
	v_cmp_gt_u32_e64 s4, 32, v0
	;; [unrolled: 1-line block ×6, first 2 shown]
	v_lshlrev_b32_e32 v0, 1, v8
	s_cselect_b32 s38, -1, 0
	s_ashr_i32 s25, s24, 31
	s_lshl_b64 s[28:29], s[28:29], 9
	s_lshl_b64 s[14:15], s[14:15], 1
	s_wait_kmcnt 0x0
	s_lshl_b64 s[18:19], s[18:19], 1
	s_lshl_b64 s[22:23], s[22:23], 2
	;; [unrolled: 1-line block ×3, first 2 shown]
	v_lshlrev_b64_e32 v[4:5], 1, v[4:5]
	s_branch .LBB691_4
.LBB691_2:                              ;   in Loop: Header=BB691_4 Depth=1
	s_wait_xcnt 0x0
	s_or_b32 exec_lo, exec_lo, s40
.LBB691_3:                              ;   in Loop: Header=BB691_4 Depth=1
	s_add_co_i32 s10, s10, 0x10000
	s_delay_alu instid0(SALU_CYCLE_1)
	s_cmp_lt_u32 s10, s9
	s_cbranch_scc0 .LBB691_55
.LBB691_4:                              ; =>This Loop Header: Depth=1
                                        ;     Child Loop BB691_22 Depth 2
	s_and_not1_b32 vcc_lo, exec_lo, s36
	s_cbranch_vccnz .LBB691_3
; %bb.5:                                ;   in Loop: Header=BB691_4 Depth=1
	s_and_not1_b32 vcc_lo, exec_lo, s35
	s_cbranch_vccnz .LBB691_7
; %bb.6:                                ;   in Loop: Header=BB691_4 Depth=1
	v_mov_b64_e32 v[8:9], 0
	v_mov_b64_e32 v[10:11], 0
	s_cbranch_execz .LBB691_8
	s_branch .LBB691_9
.LBB691_7:                              ;   in Loop: Header=BB691_4 Depth=1
	v_mov_b64_e32 v[8:9], 0
	v_mov_b64_e32 v[10:11], 0
.LBB691_8:                              ;   in Loop: Header=BB691_4 Depth=1
	s_lshl_b64 s[40:41], s[10:11], 3
	s_delay_alu instid0(SALU_CYCLE_1)
	s_add_nc_u64 s[40:41], s[12:13], s[40:41]
	global_load_b64 v[6:7], v1, s[40:41]
	s_wait_loadcnt 0x0
	v_add_nc_u64_e32 v[10:11], s[14:15], v[6:7]
.LBB691_9:                              ;   in Loop: Header=BB691_4 Depth=1
	v_cmp_ne_u32_e32 vcc_lo, 1, v16
	s_cbranch_vccnz .LBB691_11
; %bb.10:                               ;   in Loop: Header=BB691_4 Depth=1
	s_wait_xcnt 0x0
	s_lshl_b64 s[40:41], s[10:11], 3
	s_delay_alu instid0(SALU_CYCLE_1)
	s_add_nc_u64 s[40:41], s[16:17], s[40:41]
	global_load_b64 v[6:7], v1, s[40:41]
	s_wait_loadcnt 0x0
	v_add_nc_u64_e32 v[8:9], s[18:19], v[6:7]
.LBB691_11:                             ;   in Loop: Header=BB691_4 Depth=1
	s_wait_xcnt 0x0
	s_lshl_b64 s[40:41], s[10:11], 3
	s_and_not1_b32 vcc_lo, exec_lo, s35
	s_add_nc_u64 s[40:41], s[20:21], s[40:41]
	global_load_b64 v[6:7], v1, s[40:41]
	s_wait_loadcnt 0x0
	v_add_nc_u64_e32 v[6:7], s[22:23], v[6:7]
	s_cbranch_vccnz .LBB691_15
; %bb.12:                               ;   in Loop: Header=BB691_4 Depth=1
	s_wait_xcnt 0x0
	s_mov_b32 s40, 0
	s_mov_b32 s39, 0
                                        ; implicit-def: $vgpr12
	s_and_saveexec_b32 s41, s0
	s_cbranch_execz .LBB691_16
; %bb.13:                               ;   in Loop: Header=BB691_4 Depth=1
	s_and_not1_b32 vcc_lo, exec_lo, s37
	s_cbranch_vccnz .LBB691_17
; %bb.14:                               ;   in Loop: Header=BB691_4 Depth=1
	v_add_nc_u64_e32 v[12:13], s[30:31], v[6:7]
	flat_load_b32 v12, v[12:13]
	s_wait_loadcnt_dscnt 0x0
	s_wait_xcnt 0x0
	v_mul_f32_e32 v12, s34, v12
	s_branch .LBB691_18
.LBB691_15:                             ;   in Loop: Header=BB691_4 Depth=1
	s_wait_xcnt 0x0
	s_mov_b32 s39, 0
                                        ; implicit-def: $vgpr12
	s_cbranch_execnz .LBB691_19
	s_branch .LBB691_53
.LBB691_16:                             ;   in Loop: Header=BB691_4 Depth=1
	s_or_b32 exec_lo, exec_lo, s41
	s_delay_alu instid0(SALU_CYCLE_1)
	s_and_b32 vcc_lo, exec_lo, s40
	s_cbranch_vccnz .LBB691_19
	s_branch .LBB691_53
.LBB691_17:                             ;   in Loop: Header=BB691_4 Depth=1
	v_mov_b32_e32 v12, 0
.LBB691_18:                             ;   in Loop: Header=BB691_4 Depth=1
	s_mov_b32 s39, exec_lo
	s_or_b32 exec_lo, exec_lo, s41
	s_delay_alu instid0(SALU_CYCLE_1)
	s_and_b32 vcc_lo, exec_lo, s40
	s_cbranch_vccz .LBB691_53
.LBB691_19:                             ;   in Loop: Header=BB691_4 Depth=1
	v_add_nc_u64_e32 v[10:11], v[10:11], v[0:1]
	v_mov_b32_e32 v18, 0
	s_and_not1_b32 vcc_lo, exec_lo, s38
	s_delay_alu instid0(VALU_DEP_2)
	v_lshl_add_u64 v[10:11], s[26:27], 1, v[10:11]
	s_cbranch_vccnz .LBB691_26
; %bb.20:                               ;   in Loop: Header=BB691_4 Depth=1
	v_add_nc_u64_e32 v[12:13], v[8:9], v[4:5]
	s_delay_alu instid0(VALU_DEP_2)
	v_mov_b64_e32 v[14:15], v[10:11]
	v_mov_b32_e32 v18, 0
	s_mov_b32 s40, 0
	s_branch .LBB691_22
.LBB691_21:                             ;   in Loop: Header=BB691_22 Depth=2
	s_or_b32 exec_lo, exec_lo, s41
	s_delay_alu instid0(VALU_DEP_1) | instskip(SKIP_3) | instid1(SALU_CYCLE_1)
	v_and_b32_e32 v19, 0xffff0000, v20
	v_add_nc_u64_e32 v[12:13], s[28:29], v[12:13]
	v_add_nc_u64_e32 v[14:15], 0x200, v[14:15]
	s_addk_co_i32 s40, 0x100
	s_cmp_ge_i32 s40, s24
	v_add_f32_e32 v18, v18, v19
	s_cbranch_scc1 .LBB691_26
.LBB691_22:                             ;   Parent Loop BB691_4 Depth=1
                                        ; =>  This Inner Loop Header: Depth=2
	flat_load_u16 v19, v[14:15]
	flat_load_u16 v20, v[12:13]
	s_wait_loadcnt_dscnt 0x0
	v_dual_lshlrev_b32 v19, 16, v19 :: v_dual_lshlrev_b32 v20, 16, v20
	s_delay_alu instid0(VALU_DEP_1) | instskip(NEXT) | instid1(VALU_DEP_1)
	v_mul_f32_e32 v19, v20, v19
	v_and_b32_e32 v20, 0x7f800000, v19
	s_delay_alu instid0(VALU_DEP_1) | instskip(SKIP_2) | instid1(SALU_CYCLE_1)
	v_cmp_ne_u32_e32 vcc_lo, 0x7f800000, v20
                                        ; implicit-def: $vgpr20
	s_wait_xcnt 0x0
	s_and_saveexec_b32 s41, vcc_lo
	s_xor_b32 s41, exec_lo, s41
; %bb.23:                               ;   in Loop: Header=BB691_22 Depth=2
	v_bfe_u32 v20, v19, 16, 1
	s_delay_alu instid0(VALU_DEP_1)
	v_add3_u32 v20, v19, v20, 0x7fff
                                        ; implicit-def: $vgpr19
; %bb.24:                               ;   in Loop: Header=BB691_22 Depth=2
	s_and_not1_saveexec_b32 s41, s41
	s_cbranch_execz .LBB691_21
; %bb.25:                               ;   in Loop: Header=BB691_22 Depth=2
	v_and_b32_e32 v20, 0xffff, v19
	v_or_b32_e32 v21, 0x10000, v19
	s_delay_alu instid0(VALU_DEP_2) | instskip(NEXT) | instid1(VALU_DEP_2)
	v_cmp_eq_u32_e32 vcc_lo, 0, v20
	v_cndmask_b32_e32 v20, v21, v19, vcc_lo
	s_branch .LBB691_21
.LBB691_26:                             ;   in Loop: Header=BB691_4 Depth=1
	s_and_saveexec_b32 s40, s1
	s_cbranch_execz .LBB691_32
; %bb.27:                               ;   in Loop: Header=BB691_4 Depth=1
	s_delay_alu instid0(VALU_DEP_1)
	v_lshl_add_u64 v[10:11], s[24:25], 1, v[10:11]
	v_lshl_add_u64 v[8:9], v[2:3], 1, v[8:9]
	flat_load_u16 v12, v[10:11]
	flat_load_u16 v13, v[8:9]
	s_wait_loadcnt_dscnt 0x0
	s_wait_xcnt 0x0
	v_dual_lshlrev_b32 v8, 16, v12 :: v_dual_lshlrev_b32 v9, 16, v13
	s_delay_alu instid0(VALU_DEP_1) | instskip(NEXT) | instid1(VALU_DEP_1)
	v_mul_f32_e32 v8, v9, v8
	v_and_b32_e32 v9, 0x7f800000, v8
	s_delay_alu instid0(VALU_DEP_1) | instskip(SKIP_1) | instid1(SALU_CYCLE_1)
	v_cmp_ne_u32_e32 vcc_lo, 0x7f800000, v9
                                        ; implicit-def: $vgpr9
	s_and_saveexec_b32 s41, vcc_lo
	s_xor_b32 s41, exec_lo, s41
; %bb.28:                               ;   in Loop: Header=BB691_4 Depth=1
	v_bfe_u32 v9, v8, 16, 1
	s_delay_alu instid0(VALU_DEP_1)
	v_add3_u32 v9, v8, v9, 0x7fff
                                        ; implicit-def: $vgpr8
; %bb.29:                               ;   in Loop: Header=BB691_4 Depth=1
	s_and_not1_saveexec_b32 s41, s41
; %bb.30:                               ;   in Loop: Header=BB691_4 Depth=1
	v_and_b32_e32 v9, 0xffff, v8
	v_or_b32_e32 v10, 0x10000, v8
	s_delay_alu instid0(VALU_DEP_2) | instskip(NEXT) | instid1(VALU_DEP_2)
	v_cmp_eq_u32_e32 vcc_lo, 0, v9
	v_cndmask_b32_e32 v9, v10, v8, vcc_lo
; %bb.31:                               ;   in Loop: Header=BB691_4 Depth=1
	s_or_b32 exec_lo, exec_lo, s41
	s_delay_alu instid0(VALU_DEP_1) | instskip(NEXT) | instid1(VALU_DEP_1)
	v_and_b32_e32 v8, 0xffff0000, v9
	v_add_f32_e32 v18, v18, v8
.LBB691_32:                             ;   in Loop: Header=BB691_4 Depth=1
	s_or_b32 exec_lo, exec_lo, s40
	ds_store_b32 v17, v18
	s_wait_dscnt 0x0
	s_barrier_signal -1
	s_barrier_wait -1
	s_and_saveexec_b32 s40, s2
	s_cbranch_execz .LBB691_34
; %bb.33:                               ;   in Loop: Header=BB691_4 Depth=1
	ds_load_2addr_stride64_b32 v[8:9], v17 offset1:2
	s_wait_dscnt 0x0
	v_add_f32_e32 v8, v9, v8
	ds_store_b32 v17, v8
.LBB691_34:                             ;   in Loop: Header=BB691_4 Depth=1
	s_or_b32 exec_lo, exec_lo, s40
	s_wait_dscnt 0x0
	s_barrier_signal -1
	s_barrier_wait -1
	s_and_saveexec_b32 s40, s3
	s_cbranch_execz .LBB691_36
; %bb.35:                               ;   in Loop: Header=BB691_4 Depth=1
	ds_load_2addr_stride64_b32 v[8:9], v17 offset1:1
	s_wait_dscnt 0x0
	v_add_f32_e32 v8, v9, v8
	ds_store_b32 v17, v8
.LBB691_36:                             ;   in Loop: Header=BB691_4 Depth=1
	s_or_b32 exec_lo, exec_lo, s40
	s_wait_dscnt 0x0
	s_barrier_signal -1
	s_barrier_wait -1
	s_and_saveexec_b32 s40, s4
	s_cbranch_execz .LBB691_38
; %bb.37:                               ;   in Loop: Header=BB691_4 Depth=1
	ds_load_2addr_b32 v[8:9], v17 offset1:32
	s_wait_dscnt 0x0
	v_add_f32_e32 v8, v9, v8
	ds_store_b32 v17, v8
.LBB691_38:                             ;   in Loop: Header=BB691_4 Depth=1
	s_or_b32 exec_lo, exec_lo, s40
	s_wait_dscnt 0x0
	s_barrier_signal -1
	s_barrier_wait -1
	s_and_saveexec_b32 s40, s5
	s_cbranch_execz .LBB691_40
; %bb.39:                               ;   in Loop: Header=BB691_4 Depth=1
	ds_load_2addr_b32 v[8:9], v17 offset1:16
	s_wait_dscnt 0x0
	v_add_f32_e32 v8, v9, v8
	ds_store_b32 v17, v8
.LBB691_40:                             ;   in Loop: Header=BB691_4 Depth=1
	;; [unrolled: 12-line block ×5, first 2 shown]
	s_or_b32 exec_lo, exec_lo, s40
	s_wait_dscnt 0x0
	s_barrier_signal -1
	s_barrier_wait -1
	s_and_saveexec_b32 s40, s0
	s_cbranch_execz .LBB691_48
; %bb.47:                               ;   in Loop: Header=BB691_4 Depth=1
	ds_load_b64 v[8:9], v1
	s_wait_dscnt 0x0
	v_add_f32_e32 v8, v9, v8
	ds_store_b32 v1, v8
.LBB691_48:                             ;   in Loop: Header=BB691_4 Depth=1
	s_or_b32 exec_lo, exec_lo, s40
	s_wait_dscnt 0x0
	s_barrier_signal -1
	s_barrier_wait -1
                                        ; implicit-def: $vgpr12
	s_and_saveexec_b32 s40, s0
	s_cbranch_execz .LBB691_52
; %bb.49:                               ;   in Loop: Header=BB691_4 Depth=1
	ds_load_b32 v8, v1
	s_and_not1_b32 vcc_lo, exec_lo, s37
	s_wait_dscnt 0x0
	v_mul_f32_e32 v12, s33, v8
	s_cbranch_vccnz .LBB691_51
; %bb.50:                               ;   in Loop: Header=BB691_4 Depth=1
	v_add_nc_u64_e32 v[8:9], s[30:31], v[6:7]
	flat_load_b32 v8, v[8:9]
	s_wait_loadcnt_dscnt 0x0
	v_fmac_f32_e32 v12, s34, v8
.LBB691_51:                             ;   in Loop: Header=BB691_4 Depth=1
	s_or_b32 s39, s39, exec_lo
.LBB691_52:                             ;   in Loop: Header=BB691_4 Depth=1
	s_wait_xcnt 0x0
	s_or_b32 exec_lo, exec_lo, s40
.LBB691_53:                             ;   in Loop: Header=BB691_4 Depth=1
	s_and_saveexec_b32 s40, s39
	s_cbranch_execz .LBB691_2
; %bb.54:                               ;   in Loop: Header=BB691_4 Depth=1
	v_add_nc_u64_e32 v[6:7], s[30:31], v[6:7]
	flat_store_b32 v[6:7], v12
	s_branch .LBB691_2
.LBB691_55:
	s_endpgm
	.section	.rodata,"a",@progbits
	.p2align	6, 0x0
	.amdhsa_kernel _ZL20rocblas_gemvt_kernelILb1ELi256EPK16rocblas_bfloat16fKPfEviiT2_lPKT1_lilS8_lilS5_lPT3_lili
		.amdhsa_group_segment_fixed_size 1024
		.amdhsa_private_segment_fixed_size 0
		.amdhsa_kernarg_size 140
		.amdhsa_user_sgpr_count 2
		.amdhsa_user_sgpr_dispatch_ptr 0
		.amdhsa_user_sgpr_queue_ptr 0
		.amdhsa_user_sgpr_kernarg_segment_ptr 1
		.amdhsa_user_sgpr_dispatch_id 0
		.amdhsa_user_sgpr_kernarg_preload_length 0
		.amdhsa_user_sgpr_kernarg_preload_offset 0
		.amdhsa_user_sgpr_private_segment_size 0
		.amdhsa_wavefront_size32 1
		.amdhsa_uses_dynamic_stack 0
		.amdhsa_enable_private_segment 0
		.amdhsa_system_sgpr_workgroup_id_x 1
		.amdhsa_system_sgpr_workgroup_id_y 0
		.amdhsa_system_sgpr_workgroup_id_z 1
		.amdhsa_system_sgpr_workgroup_info 0
		.amdhsa_system_vgpr_workitem_id 0
		.amdhsa_next_free_vgpr 22
		.amdhsa_next_free_sgpr 42
		.amdhsa_named_barrier_count 0
		.amdhsa_reserve_vcc 1
		.amdhsa_float_round_mode_32 0
		.amdhsa_float_round_mode_16_64 0
		.amdhsa_float_denorm_mode_32 3
		.amdhsa_float_denorm_mode_16_64 3
		.amdhsa_fp16_overflow 0
		.amdhsa_memory_ordered 1
		.amdhsa_forward_progress 1
		.amdhsa_inst_pref_size 14
		.amdhsa_round_robin_scheduling 0
		.amdhsa_exception_fp_ieee_invalid_op 0
		.amdhsa_exception_fp_denorm_src 0
		.amdhsa_exception_fp_ieee_div_zero 0
		.amdhsa_exception_fp_ieee_overflow 0
		.amdhsa_exception_fp_ieee_underflow 0
		.amdhsa_exception_fp_ieee_inexact 0
		.amdhsa_exception_int_div_zero 0
	.end_amdhsa_kernel
	.section	.text._ZL20rocblas_gemvt_kernelILb1ELi256EPK16rocblas_bfloat16fKPfEviiT2_lPKT1_lilS8_lilS5_lPT3_lili,"axG",@progbits,_ZL20rocblas_gemvt_kernelILb1ELi256EPK16rocblas_bfloat16fKPfEviiT2_lPKT1_lilS8_lilS5_lPT3_lili,comdat
.Lfunc_end691:
	.size	_ZL20rocblas_gemvt_kernelILb1ELi256EPK16rocblas_bfloat16fKPfEviiT2_lPKT1_lilS8_lilS5_lPT3_lili, .Lfunc_end691-_ZL20rocblas_gemvt_kernelILb1ELi256EPK16rocblas_bfloat16fKPfEviiT2_lPKT1_lilS8_lilS5_lPT3_lili
                                        ; -- End function
	.set _ZL20rocblas_gemvt_kernelILb1ELi256EPK16rocblas_bfloat16fKPfEviiT2_lPKT1_lilS8_lilS5_lPT3_lili.num_vgpr, 22
	.set _ZL20rocblas_gemvt_kernelILb1ELi256EPK16rocblas_bfloat16fKPfEviiT2_lPKT1_lilS8_lilS5_lPT3_lili.num_agpr, 0
	.set _ZL20rocblas_gemvt_kernelILb1ELi256EPK16rocblas_bfloat16fKPfEviiT2_lPKT1_lilS8_lilS5_lPT3_lili.numbered_sgpr, 42
	.set _ZL20rocblas_gemvt_kernelILb1ELi256EPK16rocblas_bfloat16fKPfEviiT2_lPKT1_lilS8_lilS5_lPT3_lili.num_named_barrier, 0
	.set _ZL20rocblas_gemvt_kernelILb1ELi256EPK16rocblas_bfloat16fKPfEviiT2_lPKT1_lilS8_lilS5_lPT3_lili.private_seg_size, 0
	.set _ZL20rocblas_gemvt_kernelILb1ELi256EPK16rocblas_bfloat16fKPfEviiT2_lPKT1_lilS8_lilS5_lPT3_lili.uses_vcc, 1
	.set _ZL20rocblas_gemvt_kernelILb1ELi256EPK16rocblas_bfloat16fKPfEviiT2_lPKT1_lilS8_lilS5_lPT3_lili.uses_flat_scratch, 0
	.set _ZL20rocblas_gemvt_kernelILb1ELi256EPK16rocblas_bfloat16fKPfEviiT2_lPKT1_lilS8_lilS5_lPT3_lili.has_dyn_sized_stack, 0
	.set _ZL20rocblas_gemvt_kernelILb1ELi256EPK16rocblas_bfloat16fKPfEviiT2_lPKT1_lilS8_lilS5_lPT3_lili.has_recursion, 0
	.set _ZL20rocblas_gemvt_kernelILb1ELi256EPK16rocblas_bfloat16fKPfEviiT2_lPKT1_lilS8_lilS5_lPT3_lili.has_indirect_call, 0
	.section	.AMDGPU.csdata,"",@progbits
; Kernel info:
; codeLenInByte = 1688
; TotalNumSgprs: 44
; NumVgprs: 22
; ScratchSize: 0
; MemoryBound: 0
; FloatMode: 240
; IeeeMode: 1
; LDSByteSize: 1024 bytes/workgroup (compile time only)
; SGPRBlocks: 0
; VGPRBlocks: 1
; NumSGPRsForWavesPerEU: 44
; NumVGPRsForWavesPerEU: 22
; NamedBarCnt: 0
; Occupancy: 16
; WaveLimiterHint : 1
; COMPUTE_PGM_RSRC2:SCRATCH_EN: 0
; COMPUTE_PGM_RSRC2:USER_SGPR: 2
; COMPUTE_PGM_RSRC2:TRAP_HANDLER: 0
; COMPUTE_PGM_RSRC2:TGID_X_EN: 1
; COMPUTE_PGM_RSRC2:TGID_Y_EN: 0
; COMPUTE_PGM_RSRC2:TGID_Z_EN: 1
; COMPUTE_PGM_RSRC2:TIDIG_COMP_CNT: 0
	.section	.text._ZL32rocblas_gemvt_warp_reduce_kernelILb1ELi1024EiPK16rocblas_bfloat16PKfKPfEviiT3_lPKT2_lT1_lSA_lSB_lS7_lPT4_lSB_li,"axG",@progbits,_ZL32rocblas_gemvt_warp_reduce_kernelILb1ELi1024EiPK16rocblas_bfloat16PKfKPfEviiT3_lPKT2_lT1_lSA_lSB_lS7_lPT4_lSB_li,comdat
	.globl	_ZL32rocblas_gemvt_warp_reduce_kernelILb1ELi1024EiPK16rocblas_bfloat16PKfKPfEviiT3_lPKT2_lT1_lSA_lSB_lS7_lPT4_lSB_li ; -- Begin function _ZL32rocblas_gemvt_warp_reduce_kernelILb1ELi1024EiPK16rocblas_bfloat16PKfKPfEviiT3_lPKT2_lT1_lSA_lSB_lS7_lPT4_lSB_li
	.p2align	8
	.type	_ZL32rocblas_gemvt_warp_reduce_kernelILb1ELi1024EiPK16rocblas_bfloat16PKfKPfEviiT3_lPKT2_lT1_lSA_lSB_lS7_lPT4_lSB_li,@function
_ZL32rocblas_gemvt_warp_reduce_kernelILb1ELi1024EiPK16rocblas_bfloat16PKfKPfEviiT3_lPKT2_lT1_lSA_lSB_lS7_lPT4_lSB_li: ; @_ZL32rocblas_gemvt_warp_reduce_kernelILb1ELi1024EiPK16rocblas_bfloat16PKfKPfEviiT3_lPKT2_lT1_lSA_lSB_lS7_lPT4_lSB_li
; %bb.0:
	s_load_b32 s7, s[0:1], 0x88
	s_bfe_u32 s2, ttmp6, 0x40014
	s_lshr_b32 s3, ttmp7, 16
	s_add_co_i32 s2, s2, 1
	s_bfe_u32 s5, ttmp6, 0x40008
	s_mul_i32 s4, s3, s2
	s_getreg_b32 s2, hwreg(HW_REG_IB_STS2, 6, 4)
	s_add_co_i32 s5, s5, s4
	s_cmp_eq_u32 s2, 0
	s_mov_b32 s29, 0
	s_cselect_b32 s28, s3, s5
	s_wait_kmcnt 0x0
	s_cmp_ge_u32 s28, s7
	s_cbranch_scc1 .LBB692_46
; %bb.1:
	s_clause 0x6
	s_load_b32 s4, s[0:1], 0x0
	s_load_b256 s[8:15], s[0:1], 0x8
	s_load_b32 s3, s[0:1], 0x28
	s_load_b128 s[24:27], s[0:1], 0x38
	s_load_b32 s5, s[0:1], 0x48
	s_load_b256 s[16:23], s[0:1], 0x58
	s_load_b32 s6, s[0:1], 0x78
	s_wait_xcnt 0x0
	s_bfe_u32 s1, ttmp6, 0x4000c
	s_and_b32 s30, ttmp6, 15
	s_add_co_i32 s1, s1, 1
	v_dual_mov_b32 v3, 0 :: v_dual_bitop2_b32 v2, 31, v0 bitop3:0x40
	s_mul_i32 s1, ttmp9, s1
	v_lshrrev_b32_e32 v4, 3, v0
	s_add_co_i32 s30, s30, s1
	s_cmp_eq_u32 s2, 0
	v_lshlrev_b32_e32 v14, 2, v2
	s_cselect_b32 s31, ttmp9, s30
	v_and_b32_e32 v15, 0x7c, v4
	v_mbcnt_lo_u32_b32 v1, -1, 0
	s_wait_kmcnt 0x0
	s_ashr_i32 s2, s4, 31
	v_cmp_gt_i32_e32 vcc_lo, s4, v0
	s_lshr_b32 s2, s2, 22
	v_cmp_eq_u32_e64 s0, 0, v0
	s_add_co_i32 s2, s4, s2
	v_mul_lo_u32 v16, v0, s5
	s_and_b32 s30, s2, 0xfffffc00
	v_cmp_eq_u32_e64 s2, 0, v2
	v_dual_cndmask_b32 v2, 0, v0, vcc_lo :: v_dual_bitop2_b32 v5, s30, v0 bitop3:0x54
	s_mul_i32 s36, s6, s31
	v_cmp_gt_u32_e64 s1, 32, v0
	s_mul_i32 s34, s3, s31
	v_mul_lo_u32 v4, s5, v5
	v_lshlrev_b32_e32 v2, 1, v2
	v_cmp_gt_i32_e64 s3, s30, v0
	v_cmp_gt_i32_e64 s4, s4, v5
	v_lshl_or_b32 v17, v1, 2, 64
	s_ashr_i32 s37, s36, 31
	s_lshl_b32 s33, s5, 10
	s_lshl_b64 s[14:15], s[14:15], 1
	s_ashr_i32 s35, s34, 31
	s_ashr_i32 s31, s30, 31
	s_lshl_b64 s[26:27], s[26:27], 1
	v_ashrrev_i32_e32 v5, 31, v4
	s_lshl_b64 s[22:23], s[22:23], 2
	s_lshl_b64 s[36:37], s[36:37], 2
	s_branch .LBB692_4
.LBB692_2:                              ;   in Loop: Header=BB692_4 Depth=1
	s_wait_xcnt 0x0
	s_or_b32 exec_lo, exec_lo, s6
.LBB692_3:                              ;   in Loop: Header=BB692_4 Depth=1
	s_add_co_i32 s28, s28, 0x10000
	s_delay_alu instid0(SALU_CYCLE_1)
	s_cmp_lt_u32 s28, s7
	s_cbranch_scc0 .LBB692_46
.LBB692_4:                              ; =>This Loop Header: Depth=1
                                        ;     Child Loop BB692_28 Depth 2
	s_mul_u64 s[38:39], s[10:11], s[28:29]
	s_wait_xcnt 0x0
	s_mul_u64 s[40:41], s[18:19], s[28:29]
	s_lshl_b64 s[38:39], s[38:39], 2
	s_lshl_b64 s[40:41], s[40:41], 2
	s_add_nc_u64 s[38:39], s[8:9], s[38:39]
	s_add_nc_u64 s[40:41], s[16:17], s[40:41]
	s_clause 0x1
	global_load_b32 v18, v3, s[38:39]
	global_load_b32 v6, v3, s[40:41]
	s_wait_loadcnt 0x1
	v_cmp_eq_f32_e64 s5, 0, v18
	s_wait_loadcnt 0x0
	v_cmp_eq_f32_e32 vcc_lo, 1.0, v6
	s_wait_xcnt 0x1
	v_readfirstlane_b32 s38, v6
	s_and_b32 s6, s5, vcc_lo
	s_delay_alu instid0(SALU_CYCLE_1)
	s_and_b32 vcc_lo, exec_lo, s6
	s_cbranch_vccnz .LBB692_3
; %bb.5:                                ;   in Loop: Header=BB692_4 Depth=1
	v_mov_b64_e32 v[8:9], 0
	v_mov_b64_e32 v[10:11], 0
	v_cmp_neq_f32_e64 s6, 0, v18
	s_and_b32 vcc_lo, exec_lo, s5
	s_cbranch_vccnz .LBB692_7
; %bb.6:                                ;   in Loop: Header=BB692_4 Depth=1
	s_wait_xcnt 0x0
	s_lshl_b64 s[40:41], s[28:29], 3
	s_delay_alu instid0(SALU_CYCLE_1)
	s_add_nc_u64 s[40:41], s[12:13], s[40:41]
	global_load_b64 v[6:7], v3, s[40:41]
	s_wait_loadcnt 0x0
	v_add_nc_u64_e32 v[10:11], s[14:15], v[6:7]
.LBB692_7:                              ;   in Loop: Header=BB692_4 Depth=1
	s_and_not1_b32 vcc_lo, exec_lo, s6
	s_cbranch_vccnz .LBB692_9
; %bb.8:                                ;   in Loop: Header=BB692_4 Depth=1
	s_wait_xcnt 0x0
	s_lshl_b64 s[40:41], s[28:29], 3
	s_delay_alu instid0(SALU_CYCLE_1)
	s_add_nc_u64 s[40:41], s[24:25], s[40:41]
	global_load_b64 v[6:7], v3, s[40:41]
	s_wait_loadcnt 0x0
	v_add_nc_u64_e32 v[8:9], s[26:27], v[6:7]
.LBB692_9:                              ;   in Loop: Header=BB692_4 Depth=1
	s_wait_xcnt 0x0
	s_lshl_b64 s[40:41], s[28:29], 3
	s_and_not1_b32 vcc_lo, exec_lo, s5
	s_add_nc_u64 s[40:41], s[20:21], s[40:41]
	global_load_b64 v[6:7], v3, s[40:41]
	s_wait_loadcnt 0x0
	v_add_nc_u64_e32 v[6:7], s[22:23], v[6:7]
	s_cbranch_vccnz .LBB692_13
; %bb.10:                               ;   in Loop: Header=BB692_4 Depth=1
	s_mov_b32 s6, 0
	s_mov_b32 s5, 0
                                        ; implicit-def: $vgpr12
	s_wait_xcnt 0x0
	s_and_saveexec_b32 s39, s0
	s_cbranch_execz .LBB692_14
; %bb.11:                               ;   in Loop: Header=BB692_4 Depth=1
	s_cmp_eq_f32 s38, 0
	s_cbranch_scc1 .LBB692_15
; %bb.12:                               ;   in Loop: Header=BB692_4 Depth=1
	s_wait_dscnt 0x0
	v_add_nc_u64_e32 v[12:13], s[36:37], v[6:7]
	flat_load_b32 v12, v[12:13]
	s_wait_loadcnt_dscnt 0x0
	s_wait_xcnt 0x0
	v_mul_f32_e32 v12, s38, v12
	s_branch .LBB692_16
.LBB692_13:                             ;   in Loop: Header=BB692_4 Depth=1
	s_mov_b32 s5, 0
                                        ; implicit-def: $vgpr12
	s_cbranch_execnz .LBB692_17
	s_branch .LBB692_38
.LBB692_14:                             ;   in Loop: Header=BB692_4 Depth=1
	s_or_b32 exec_lo, exec_lo, s39
	s_delay_alu instid0(SALU_CYCLE_1)
	s_and_b32 vcc_lo, exec_lo, s6
	s_cbranch_vccnz .LBB692_17
	s_branch .LBB692_38
.LBB692_15:                             ;   in Loop: Header=BB692_4 Depth=1
	v_mov_b32_e32 v12, 0
.LBB692_16:                             ;   in Loop: Header=BB692_4 Depth=1
	s_mov_b32 s5, exec_lo
	s_or_b32 exec_lo, exec_lo, s39
	s_delay_alu instid0(SALU_CYCLE_1)
	s_and_b32 vcc_lo, exec_lo, s6
	s_cbranch_vccz .LBB692_38
.LBB692_17:                             ;   in Loop: Header=BB692_4 Depth=1
	v_add_nc_u64_e32 v[10:11], v[10:11], v[2:3]
	v_mov_b32_e32 v19, 0
	s_delay_alu instid0(VALU_DEP_2)
	v_lshl_add_u64 v[10:11], s[34:35], 1, v[10:11]
	s_wait_xcnt 0x0
	s_and_saveexec_b32 s6, s3
	s_cbranch_execnz .LBB692_26
; %bb.18:                               ;   in Loop: Header=BB692_4 Depth=1
	s_or_b32 exec_lo, exec_lo, s6
	s_and_saveexec_b32 s6, s4
	s_cbranch_execnz .LBB692_41
.LBB692_19:                             ;   in Loop: Header=BB692_4 Depth=1
	s_or_b32 exec_lo, exec_lo, s6
	s_and_saveexec_b32 s6, s1
.LBB692_20:                             ;   in Loop: Header=BB692_4 Depth=1
	ds_store_b32 v14, v3
.LBB692_21:                             ;   in Loop: Header=BB692_4 Depth=1
	s_or_b32 exec_lo, exec_lo, s6
	ds_bpermute_b32 v9, v17, v19
	v_cmp_gt_u32_e32 vcc_lo, 24, v1
	s_wait_dscnt 0x0
	s_barrier_signal -1
	s_barrier_wait -1
	v_cndmask_b32_e64 v8, 0, 8, vcc_lo
	v_cmp_gt_u32_e32 vcc_lo, 28, v1
	s_delay_alu instid0(VALU_DEP_2)
	v_add_lshl_u32 v8, v8, v1, 2
	v_add_f32_e32 v10, v19, v9
	v_cndmask_b32_e64 v9, 0, 4, vcc_lo
	v_cmp_gt_u32_e32 vcc_lo, 30, v1
	ds_bpermute_b32 v11, v8, v10
	v_add_lshl_u32 v9, v9, v1, 2
	s_wait_dscnt 0x0
	v_add_f32_e32 v11, v10, v11
	v_cndmask_b32_e64 v10, 0, 2, vcc_lo
	v_cmp_ne_u32_e32 vcc_lo, 31, v1
	ds_bpermute_b32 v12, v9, v11
	v_add_lshl_u32 v10, v10, v1, 2
	v_add_co_ci_u32_e64 v13, null, 0, v1, vcc_lo
	s_wait_dscnt 0x0
	v_add_f32_e32 v11, v11, v12
	ds_bpermute_b32 v12, v10, v11
	s_wait_dscnt 0x0
	v_dual_add_f32 v12, v11, v12 :: v_dual_lshlrev_b32 v11, 2, v13
	ds_bpermute_b32 v13, v11, v12
	s_and_saveexec_b32 s6, s2
	s_cbranch_execz .LBB692_23
; %bb.22:                               ;   in Loop: Header=BB692_4 Depth=1
	s_wait_dscnt 0x0
	v_add_f32_e32 v12, v12, v13
	ds_store_b32 v15, v12
.LBB692_23:                             ;   in Loop: Header=BB692_4 Depth=1
	s_or_b32 exec_lo, exec_lo, s6
	s_wait_dscnt 0x0
	v_mov_b32_e32 v13, 0
	s_barrier_signal -1
	s_barrier_wait -1
	s_and_saveexec_b32 s6, s1
	s_cbranch_execnz .LBB692_32
; %bb.24:                               ;   in Loop: Header=BB692_4 Depth=1
	s_or_b32 exec_lo, exec_lo, s6
	s_and_saveexec_b32 s6, s1
	s_cbranch_execnz .LBB692_33
.LBB692_25:                             ;   in Loop: Header=BB692_4 Depth=1
	s_or_b32 exec_lo, exec_lo, s6
                                        ; implicit-def: $vgpr12
	s_and_saveexec_b32 s6, s0
	s_cbranch_execnz .LBB692_34
	s_branch .LBB692_37
.LBB692_26:                             ;   in Loop: Header=BB692_4 Depth=1
	s_wait_dscnt 0x0
	v_mov_b64_e32 v[12:13], v[10:11]
	v_dual_mov_b32 v19, 0 :: v_dual_mov_b32 v20, v0
	v_mov_b32_e32 v21, v16
	s_mov_b32 s39, 0
	s_branch .LBB692_28
.LBB692_27:                             ;   in Loop: Header=BB692_28 Depth=2
	s_or_b32 exec_lo, exec_lo, s40
	s_delay_alu instid0(VALU_DEP_1) | instskip(SKIP_2) | instid1(VALU_DEP_3)
	v_and_b32_e32 v22, 0xffff0000, v22
	v_add_nc_u32_e32 v20, 0x400, v20
	v_add_nc_u64_e32 v[12:13], 0x800, v[12:13]
	v_dual_add_nc_u32 v21, s33, v21 :: v_dual_add_f32 v19, v19, v22
	s_delay_alu instid0(VALU_DEP_3) | instskip(SKIP_1) | instid1(SALU_CYCLE_1)
	v_cmp_le_i32_e32 vcc_lo, s30, v20
	s_or_b32 s39, vcc_lo, s39
	s_and_not1_b32 exec_lo, exec_lo, s39
	s_cbranch_execz .LBB692_40
.LBB692_28:                             ;   Parent Loop BB692_4 Depth=1
                                        ; =>  This Inner Loop Header: Depth=2
	v_readfirstlane_b32 s40, v8
	v_readfirstlane_b32 s41, v9
	flat_load_u16 v22, v[12:13]
	flat_load_u16 v23, v21, s[40:41] scale_offset
	s_wait_loadcnt_dscnt 0x0
	v_dual_lshlrev_b32 v22, 16, v22 :: v_dual_lshlrev_b32 v23, 16, v23
	s_delay_alu instid0(VALU_DEP_1) | instskip(NEXT) | instid1(VALU_DEP_1)
	v_mul_f32_e32 v23, v23, v22
	v_and_b32_e32 v22, 0x7f800000, v23
	s_delay_alu instid0(VALU_DEP_1) | instskip(SKIP_2) | instid1(SALU_CYCLE_1)
	v_cmp_ne_u32_e32 vcc_lo, 0x7f800000, v22
                                        ; implicit-def: $vgpr22
	s_wait_xcnt 0x0
	s_and_saveexec_b32 s40, vcc_lo
	s_xor_b32 s40, exec_lo, s40
; %bb.29:                               ;   in Loop: Header=BB692_28 Depth=2
	v_bfe_u32 v22, v23, 16, 1
	s_delay_alu instid0(VALU_DEP_1)
	v_add3_u32 v22, v23, v22, 0x7fff
                                        ; implicit-def: $vgpr23
; %bb.30:                               ;   in Loop: Header=BB692_28 Depth=2
	s_and_not1_saveexec_b32 s40, s40
	s_cbranch_execz .LBB692_27
; %bb.31:                               ;   in Loop: Header=BB692_28 Depth=2
	v_and_b32_e32 v22, 0xffff, v23
	v_or_b32_e32 v24, 0x10000, v23
	s_delay_alu instid0(VALU_DEP_2) | instskip(NEXT) | instid1(VALU_DEP_2)
	v_cmp_eq_u32_e32 vcc_lo, 0, v22
	v_cndmask_b32_e32 v22, v24, v23, vcc_lo
	s_branch .LBB692_27
.LBB692_32:                             ;   in Loop: Header=BB692_4 Depth=1
	ds_load_b32 v13, v14
	s_or_b32 exec_lo, exec_lo, s6
	s_and_saveexec_b32 s6, s1
	s_cbranch_execz .LBB692_25
.LBB692_33:                             ;   in Loop: Header=BB692_4 Depth=1
	s_wait_dscnt 0x0
	ds_bpermute_b32 v12, v17, v13
	s_wait_dscnt 0x0
	v_add_f32_e32 v12, v13, v12
	ds_bpermute_b32 v8, v8, v12
	s_wait_dscnt 0x0
	v_add_f32_e32 v8, v12, v8
	ds_bpermute_b32 v9, v9, v8
	s_wait_dscnt 0x0
	v_add_f32_e32 v8, v8, v9
	ds_bpermute_b32 v9, v10, v8
	s_wait_dscnt 0x0
	v_add_f32_e32 v8, v8, v9
	ds_bpermute_b32 v9, v11, v8
	s_wait_dscnt 0x0
	v_add_f32_e32 v13, v8, v9
	s_or_b32 exec_lo, exec_lo, s6
                                        ; implicit-def: $vgpr12
	s_and_saveexec_b32 s6, s0
	s_cbranch_execz .LBB692_37
.LBB692_34:                             ;   in Loop: Header=BB692_4 Depth=1
	s_wait_dscnt 0x0
	v_mul_f32_e32 v12, v18, v13
	s_cmp_eq_f32 s38, 0
	s_cbranch_scc1 .LBB692_36
; %bb.35:                               ;   in Loop: Header=BB692_4 Depth=1
	v_add_nc_u64_e32 v[8:9], s[36:37], v[6:7]
	flat_load_b32 v8, v[8:9]
	s_wait_loadcnt_dscnt 0x0
	v_fmac_f32_e32 v12, s38, v8
.LBB692_36:                             ;   in Loop: Header=BB692_4 Depth=1
	s_or_b32 s5, s5, exec_lo
.LBB692_37:                             ;   in Loop: Header=BB692_4 Depth=1
	s_wait_xcnt 0x0
	s_or_b32 exec_lo, exec_lo, s6
.LBB692_38:                             ;   in Loop: Header=BB692_4 Depth=1
	s_wait_xcnt 0x0
	s_and_saveexec_b32 s6, s5
	s_cbranch_execz .LBB692_2
; %bb.39:                               ;   in Loop: Header=BB692_4 Depth=1
	v_add_nc_u64_e32 v[6:7], s[36:37], v[6:7]
	flat_store_b32 v[6:7], v12
	s_branch .LBB692_2
.LBB692_40:                             ;   in Loop: Header=BB692_4 Depth=1
	s_or_b32 exec_lo, exec_lo, s39
	s_delay_alu instid0(SALU_CYCLE_1)
	s_or_b32 exec_lo, exec_lo, s6
	s_and_saveexec_b32 s6, s4
	s_cbranch_execz .LBB692_19
.LBB692_41:                             ;   in Loop: Header=BB692_4 Depth=1
	v_lshl_add_u64 v[10:11], s[30:31], 1, v[10:11]
	v_lshl_add_u64 v[8:9], v[4:5], 1, v[8:9]
	flat_load_u16 v12, v[10:11]
	s_wait_dscnt 0x1
	flat_load_u16 v13, v[8:9]
	s_wait_loadcnt_dscnt 0x0
	s_wait_xcnt 0x0
	v_dual_lshlrev_b32 v8, 16, v12 :: v_dual_lshlrev_b32 v9, 16, v13
	s_delay_alu instid0(VALU_DEP_1) | instskip(NEXT) | instid1(VALU_DEP_1)
	v_mul_f32_e32 v8, v9, v8
	v_and_b32_e32 v9, 0x7f800000, v8
	s_delay_alu instid0(VALU_DEP_1) | instskip(SKIP_1) | instid1(SALU_CYCLE_1)
	v_cmp_ne_u32_e32 vcc_lo, 0x7f800000, v9
                                        ; implicit-def: $vgpr9
	s_and_saveexec_b32 s39, vcc_lo
	s_xor_b32 s39, exec_lo, s39
; %bb.42:                               ;   in Loop: Header=BB692_4 Depth=1
	v_bfe_u32 v9, v8, 16, 1
	s_delay_alu instid0(VALU_DEP_1)
	v_add3_u32 v9, v8, v9, 0x7fff
                                        ; implicit-def: $vgpr8
; %bb.43:                               ;   in Loop: Header=BB692_4 Depth=1
	s_and_not1_saveexec_b32 s39, s39
; %bb.44:                               ;   in Loop: Header=BB692_4 Depth=1
	v_and_b32_e32 v9, 0xffff, v8
	v_or_b32_e32 v10, 0x10000, v8
	s_delay_alu instid0(VALU_DEP_2) | instskip(NEXT) | instid1(VALU_DEP_2)
	v_cmp_eq_u32_e32 vcc_lo, 0, v9
	v_cndmask_b32_e32 v9, v10, v8, vcc_lo
; %bb.45:                               ;   in Loop: Header=BB692_4 Depth=1
	s_or_b32 exec_lo, exec_lo, s39
	s_delay_alu instid0(VALU_DEP_1) | instskip(NEXT) | instid1(VALU_DEP_1)
	v_and_b32_e32 v8, 0xffff0000, v9
	v_add_f32_e32 v19, v19, v8
	s_or_b32 exec_lo, exec_lo, s6
	s_and_saveexec_b32 s6, s1
	s_cbranch_execnz .LBB692_20
	s_branch .LBB692_21
.LBB692_46:
	s_endpgm
	.section	.rodata,"a",@progbits
	.p2align	6, 0x0
	.amdhsa_kernel _ZL32rocblas_gemvt_warp_reduce_kernelILb1ELi1024EiPK16rocblas_bfloat16PKfKPfEviiT3_lPKT2_lT1_lSA_lSB_lS7_lPT4_lSB_li
		.amdhsa_group_segment_fixed_size 128
		.amdhsa_private_segment_fixed_size 0
		.amdhsa_kernarg_size 140
		.amdhsa_user_sgpr_count 2
		.amdhsa_user_sgpr_dispatch_ptr 0
		.amdhsa_user_sgpr_queue_ptr 0
		.amdhsa_user_sgpr_kernarg_segment_ptr 1
		.amdhsa_user_sgpr_dispatch_id 0
		.amdhsa_user_sgpr_kernarg_preload_length 0
		.amdhsa_user_sgpr_kernarg_preload_offset 0
		.amdhsa_user_sgpr_private_segment_size 0
		.amdhsa_wavefront_size32 1
		.amdhsa_uses_dynamic_stack 0
		.amdhsa_enable_private_segment 0
		.amdhsa_system_sgpr_workgroup_id_x 1
		.amdhsa_system_sgpr_workgroup_id_y 0
		.amdhsa_system_sgpr_workgroup_id_z 1
		.amdhsa_system_sgpr_workgroup_info 0
		.amdhsa_system_vgpr_workitem_id 0
		.amdhsa_next_free_vgpr 25
		.amdhsa_next_free_sgpr 42
		.amdhsa_named_barrier_count 0
		.amdhsa_reserve_vcc 1
		.amdhsa_float_round_mode_32 0
		.amdhsa_float_round_mode_16_64 0
		.amdhsa_float_denorm_mode_32 3
		.amdhsa_float_denorm_mode_16_64 3
		.amdhsa_fp16_overflow 0
		.amdhsa_memory_ordered 1
		.amdhsa_forward_progress 1
		.amdhsa_inst_pref_size 14
		.amdhsa_round_robin_scheduling 0
		.amdhsa_exception_fp_ieee_invalid_op 0
		.amdhsa_exception_fp_denorm_src 0
		.amdhsa_exception_fp_ieee_div_zero 0
		.amdhsa_exception_fp_ieee_overflow 0
		.amdhsa_exception_fp_ieee_underflow 0
		.amdhsa_exception_fp_ieee_inexact 0
		.amdhsa_exception_int_div_zero 0
	.end_amdhsa_kernel
	.section	.text._ZL32rocblas_gemvt_warp_reduce_kernelILb1ELi1024EiPK16rocblas_bfloat16PKfKPfEviiT3_lPKT2_lT1_lSA_lSB_lS7_lPT4_lSB_li,"axG",@progbits,_ZL32rocblas_gemvt_warp_reduce_kernelILb1ELi1024EiPK16rocblas_bfloat16PKfKPfEviiT3_lPKT2_lT1_lSA_lSB_lS7_lPT4_lSB_li,comdat
.Lfunc_end692:
	.size	_ZL32rocblas_gemvt_warp_reduce_kernelILb1ELi1024EiPK16rocblas_bfloat16PKfKPfEviiT3_lPKT2_lT1_lSA_lSB_lS7_lPT4_lSB_li, .Lfunc_end692-_ZL32rocblas_gemvt_warp_reduce_kernelILb1ELi1024EiPK16rocblas_bfloat16PKfKPfEviiT3_lPKT2_lT1_lSA_lSB_lS7_lPT4_lSB_li
                                        ; -- End function
	.set _ZL32rocblas_gemvt_warp_reduce_kernelILb1ELi1024EiPK16rocblas_bfloat16PKfKPfEviiT3_lPKT2_lT1_lSA_lSB_lS7_lPT4_lSB_li.num_vgpr, 25
	.set _ZL32rocblas_gemvt_warp_reduce_kernelILb1ELi1024EiPK16rocblas_bfloat16PKfKPfEviiT3_lPKT2_lT1_lSA_lSB_lS7_lPT4_lSB_li.num_agpr, 0
	.set _ZL32rocblas_gemvt_warp_reduce_kernelILb1ELi1024EiPK16rocblas_bfloat16PKfKPfEviiT3_lPKT2_lT1_lSA_lSB_lS7_lPT4_lSB_li.numbered_sgpr, 42
	.set _ZL32rocblas_gemvt_warp_reduce_kernelILb1ELi1024EiPK16rocblas_bfloat16PKfKPfEviiT3_lPKT2_lT1_lSA_lSB_lS7_lPT4_lSB_li.num_named_barrier, 0
	.set _ZL32rocblas_gemvt_warp_reduce_kernelILb1ELi1024EiPK16rocblas_bfloat16PKfKPfEviiT3_lPKT2_lT1_lSA_lSB_lS7_lPT4_lSB_li.private_seg_size, 0
	.set _ZL32rocblas_gemvt_warp_reduce_kernelILb1ELi1024EiPK16rocblas_bfloat16PKfKPfEviiT3_lPKT2_lT1_lSA_lSB_lS7_lPT4_lSB_li.uses_vcc, 1
	.set _ZL32rocblas_gemvt_warp_reduce_kernelILb1ELi1024EiPK16rocblas_bfloat16PKfKPfEviiT3_lPKT2_lT1_lSA_lSB_lS7_lPT4_lSB_li.uses_flat_scratch, 0
	.set _ZL32rocblas_gemvt_warp_reduce_kernelILb1ELi1024EiPK16rocblas_bfloat16PKfKPfEviiT3_lPKT2_lT1_lSA_lSB_lS7_lPT4_lSB_li.has_dyn_sized_stack, 0
	.set _ZL32rocblas_gemvt_warp_reduce_kernelILb1ELi1024EiPK16rocblas_bfloat16PKfKPfEviiT3_lPKT2_lT1_lSA_lSB_lS7_lPT4_lSB_li.has_recursion, 0
	.set _ZL32rocblas_gemvt_warp_reduce_kernelILb1ELi1024EiPK16rocblas_bfloat16PKfKPfEviiT3_lPKT2_lT1_lSA_lSB_lS7_lPT4_lSB_li.has_indirect_call, 0
	.section	.AMDGPU.csdata,"",@progbits
; Kernel info:
; codeLenInByte = 1712
; TotalNumSgprs: 44
; NumVgprs: 25
; ScratchSize: 0
; MemoryBound: 0
; FloatMode: 240
; IeeeMode: 1
; LDSByteSize: 128 bytes/workgroup (compile time only)
; SGPRBlocks: 0
; VGPRBlocks: 1
; NumSGPRsForWavesPerEU: 44
; NumVGPRsForWavesPerEU: 25
; NamedBarCnt: 0
; Occupancy: 16
; WaveLimiterHint : 1
; COMPUTE_PGM_RSRC2:SCRATCH_EN: 0
; COMPUTE_PGM_RSRC2:USER_SGPR: 2
; COMPUTE_PGM_RSRC2:TRAP_HANDLER: 0
; COMPUTE_PGM_RSRC2:TGID_X_EN: 1
; COMPUTE_PGM_RSRC2:TGID_Y_EN: 0
; COMPUTE_PGM_RSRC2:TGID_Z_EN: 1
; COMPUTE_PGM_RSRC2:TIDIG_COMP_CNT: 0
	.section	.text._ZL32rocblas_gemvt_warp_reduce_kernelILb1ELi1024ElPK16rocblas_bfloat16PKfKPfEviiT3_lPKT2_lT1_lSA_lSB_lS7_lPT4_lSB_li,"axG",@progbits,_ZL32rocblas_gemvt_warp_reduce_kernelILb1ELi1024ElPK16rocblas_bfloat16PKfKPfEviiT3_lPKT2_lT1_lSA_lSB_lS7_lPT4_lSB_li,comdat
	.globl	_ZL32rocblas_gemvt_warp_reduce_kernelILb1ELi1024ElPK16rocblas_bfloat16PKfKPfEviiT3_lPKT2_lT1_lSA_lSB_lS7_lPT4_lSB_li ; -- Begin function _ZL32rocblas_gemvt_warp_reduce_kernelILb1ELi1024ElPK16rocblas_bfloat16PKfKPfEviiT3_lPKT2_lT1_lSA_lSB_lS7_lPT4_lSB_li
	.p2align	8
	.type	_ZL32rocblas_gemvt_warp_reduce_kernelILb1ELi1024ElPK16rocblas_bfloat16PKfKPfEviiT3_lPKT2_lT1_lSA_lSB_lS7_lPT4_lSB_li,@function
_ZL32rocblas_gemvt_warp_reduce_kernelILb1ELi1024ElPK16rocblas_bfloat16PKfKPfEviiT3_lPKT2_lT1_lSA_lSB_lS7_lPT4_lSB_li: ; @_ZL32rocblas_gemvt_warp_reduce_kernelILb1ELi1024ElPK16rocblas_bfloat16PKfKPfEviiT3_lPKT2_lT1_lSA_lSB_lS7_lPT4_lSB_li
; %bb.0:
	s_load_b32 s7, s[0:1], 0x88
	s_bfe_u32 s2, ttmp6, 0x40014
	s_lshr_b32 s3, ttmp7, 16
	s_add_co_i32 s2, s2, 1
	s_bfe_u32 s5, ttmp6, 0x40008
	s_mul_i32 s4, s3, s2
	s_getreg_b32 s2, hwreg(HW_REG_IB_STS2, 6, 4)
	s_add_co_i32 s5, s5, s4
	s_cmp_eq_u32 s2, 0
	s_mov_b32 s29, 0
	s_cselect_b32 s28, s3, s5
	s_wait_kmcnt 0x0
	s_cmp_ge_u32 s28, s7
	s_cbranch_scc1 .LBB693_46
; %bb.1:
	s_clause 0x1
	s_load_b32 s6, s[0:1], 0x0
	s_load_b64 s[36:37], s[0:1], 0x48
	s_bfe_u32 s3, ttmp6, 0x4000c
	s_and_b32 s4, ttmp6, 15
	s_add_co_i32 s3, s3, 1
	s_clause 0x2
	s_load_b256 s[8:15], s[0:1], 0x8
	s_load_b128 s[24:27], s[0:1], 0x38
	s_load_b256 s[16:23], s[0:1], 0x58
	s_mul_i32 s3, ttmp9, s3
	v_mbcnt_lo_u32_b32 v19, -1, 0
	s_add_co_i32 s4, s4, s3
	s_cmp_eq_u32 s2, 0
	s_load_b64 s[34:35], s[0:1], 0x28
	s_cselect_b32 s2, ttmp9, s4
	s_load_b64 s[4:5], s[0:1], 0x78
	s_wait_xcnt 0x0
	v_cmp_eq_u32_e64 s0, 0, v0
	v_lshl_or_b32 v20, v19, 2, 64
	s_wait_kmcnt 0x0
	s_ashr_i32 s3, s6, 31
	v_cmp_gt_i32_e32 vcc_lo, s6, v0
	s_lshr_b32 s3, s3, 22
	s_lshl_b64 s[14:15], s[14:15], 1
	s_add_co_i32 s3, s6, s3
	s_lshl_b64 s[26:27], s[26:27], 1
	s_and_b32 s30, s3, 0xfffffc00
	s_delay_alu instid0(SALU_CYCLE_1) | instskip(SKIP_3) | instid1(VALU_DEP_2)
	v_dual_mov_b32 v3, 0 :: v_dual_bitop2_b32 v6, s30, v0 bitop3:0x54
	s_ashr_i32 s3, s2, 31
	v_cndmask_b32_e32 v2, 0, v0, vcc_lo
	s_mul_u64 s[34:35], s[34:35], s[2:3]
	v_dual_mov_b32 v1, v3 :: v_dual_ashrrev_i32 v7, 31, v6
	s_mul_u64 s[38:39], s[4:5], s[2:3]
	v_cmp_gt_i32_e64 s2, s6, v6
	v_cmp_gt_i32_e64 s1, s30, v0
	s_delay_alu instid0(VALU_DEP_3)
	v_mul_u64_e32 v[8:9], s[36:37], v[0:1]
	v_mul_u64_e32 v[4:5], s[36:37], v[6:7]
	v_dual_lshrrev_b32 v6, 3, v0 :: v_dual_bitop2_b32 v7, 31, v0 bitop3:0x40
	v_cmp_gt_u32_e64 s3, 32, v0
	v_lshlrev_b32_e32 v2, 1, v2
	s_ashr_i32 s31, s30, 31
	v_lshlrev_b32_e32 v1, 2, v7
	v_cmp_eq_u32_e64 s4, 0, v7
	v_and_b32_e32 v18, 0x7c, v6
	s_lshl_b64 s[36:37], s[36:37], 11
	s_lshl_b64 s[22:23], s[22:23], 2
	;; [unrolled: 1-line block ×3, first 2 shown]
	v_lshlrev_b64_e32 v[6:7], 1, v[8:9]
	s_branch .LBB693_4
.LBB693_2:                              ;   in Loop: Header=BB693_4 Depth=1
	s_wait_xcnt 0x0
	s_or_b32 exec_lo, exec_lo, s6
.LBB693_3:                              ;   in Loop: Header=BB693_4 Depth=1
	s_add_co_i32 s28, s28, 0x10000
	s_delay_alu instid0(SALU_CYCLE_1)
	s_cmp_lt_u32 s28, s7
	s_cbranch_scc0 .LBB693_46
.LBB693_4:                              ; =>This Loop Header: Depth=1
                                        ;     Child Loop BB693_28 Depth 2
	s_wait_xcnt 0x1
	s_mul_u64 s[40:41], s[10:11], s[28:29]
	s_wait_xcnt 0x0
	s_mul_u64 s[42:43], s[18:19], s[28:29]
	s_lshl_b64 s[40:41], s[40:41], 2
	s_lshl_b64 s[42:43], s[42:43], 2
	s_add_nc_u64 s[40:41], s[8:9], s[40:41]
	s_add_nc_u64 s[42:43], s[16:17], s[42:43]
	s_clause 0x1
	global_load_b32 v21, v3, s[40:41]
	global_load_b32 v8, v3, s[42:43]
	s_wait_loadcnt 0x1
	v_cmp_eq_f32_e64 s5, 0, v21
	s_wait_loadcnt 0x0
	v_cmp_eq_f32_e32 vcc_lo, 1.0, v8
	v_readfirstlane_b32 s33, v8
	s_and_b32 s6, s5, vcc_lo
	s_delay_alu instid0(SALU_CYCLE_1)
	s_and_b32 vcc_lo, exec_lo, s6
	s_cbranch_vccnz .LBB693_3
; %bb.5:                                ;   in Loop: Header=BB693_4 Depth=1
	v_mov_b64_e32 v[10:11], 0
	v_mov_b64_e32 v[12:13], 0
	v_cmp_neq_f32_e64 s6, 0, v21
	s_and_b32 vcc_lo, exec_lo, s5
	s_cbranch_vccnz .LBB693_7
; %bb.6:                                ;   in Loop: Header=BB693_4 Depth=1
	s_wait_xcnt 0x1
	s_lshl_b64 s[40:41], s[28:29], 3
	s_delay_alu instid0(SALU_CYCLE_1)
	s_add_nc_u64 s[40:41], s[12:13], s[40:41]
	global_load_b64 v[8:9], v3, s[40:41]
	s_wait_loadcnt 0x0
	v_add_nc_u64_e32 v[12:13], s[14:15], v[8:9]
.LBB693_7:                              ;   in Loop: Header=BB693_4 Depth=1
	s_and_not1_b32 vcc_lo, exec_lo, s6
	s_cbranch_vccnz .LBB693_9
; %bb.8:                                ;   in Loop: Header=BB693_4 Depth=1
	s_wait_xcnt 0x0
	s_lshl_b64 s[40:41], s[28:29], 3
	s_delay_alu instid0(SALU_CYCLE_1)
	s_add_nc_u64 s[40:41], s[24:25], s[40:41]
	global_load_b64 v[8:9], v3, s[40:41]
	s_wait_loadcnt 0x0
	v_add_nc_u64_e32 v[10:11], s[26:27], v[8:9]
.LBB693_9:                              ;   in Loop: Header=BB693_4 Depth=1
	s_wait_xcnt 0x0
	s_lshl_b64 s[40:41], s[28:29], 3
	s_and_not1_b32 vcc_lo, exec_lo, s5
	s_add_nc_u64 s[40:41], s[20:21], s[40:41]
	global_load_b64 v[8:9], v3, s[40:41]
	s_wait_loadcnt 0x0
	v_add_nc_u64_e32 v[8:9], s[22:23], v[8:9]
	s_cbranch_vccnz .LBB693_13
; %bb.10:                               ;   in Loop: Header=BB693_4 Depth=1
	s_mov_b32 s6, 0
	s_mov_b32 s5, 0
                                        ; implicit-def: $vgpr14
	s_wait_xcnt 0x0
	s_and_saveexec_b32 s40, s0
	s_cbranch_execz .LBB693_14
; %bb.11:                               ;   in Loop: Header=BB693_4 Depth=1
	s_cmp_eq_f32 s33, 0
	s_cbranch_scc1 .LBB693_15
; %bb.12:                               ;   in Loop: Header=BB693_4 Depth=1
	s_wait_dscnt 0x0
	v_add_nc_u64_e32 v[14:15], s[38:39], v[8:9]
	flat_load_b32 v14, v[14:15]
	s_wait_loadcnt_dscnt 0x0
	s_wait_xcnt 0x0
	v_mul_f32_e32 v14, s33, v14
	s_branch .LBB693_16
.LBB693_13:                             ;   in Loop: Header=BB693_4 Depth=1
	s_mov_b32 s5, 0
                                        ; implicit-def: $vgpr14
	s_cbranch_execnz .LBB693_17
	s_branch .LBB693_38
.LBB693_14:                             ;   in Loop: Header=BB693_4 Depth=1
	s_or_b32 exec_lo, exec_lo, s40
	s_delay_alu instid0(SALU_CYCLE_1)
	s_and_b32 vcc_lo, exec_lo, s6
	s_cbranch_vccnz .LBB693_17
	s_branch .LBB693_38
.LBB693_15:                             ;   in Loop: Header=BB693_4 Depth=1
	v_mov_b32_e32 v14, 0
.LBB693_16:                             ;   in Loop: Header=BB693_4 Depth=1
	s_mov_b32 s5, exec_lo
	s_or_b32 exec_lo, exec_lo, s40
	s_delay_alu instid0(SALU_CYCLE_1)
	s_and_b32 vcc_lo, exec_lo, s6
	s_cbranch_vccz .LBB693_38
.LBB693_17:                             ;   in Loop: Header=BB693_4 Depth=1
	v_add_nc_u64_e32 v[12:13], v[12:13], v[2:3]
	v_mov_b32_e32 v22, 0
	s_delay_alu instid0(VALU_DEP_2)
	v_lshl_add_u64 v[12:13], s[34:35], 1, v[12:13]
	s_wait_xcnt 0x0
	s_and_saveexec_b32 s6, s1
	s_cbranch_execnz .LBB693_26
; %bb.18:                               ;   in Loop: Header=BB693_4 Depth=1
	s_or_b32 exec_lo, exec_lo, s6
	s_and_saveexec_b32 s6, s2
	s_cbranch_execnz .LBB693_41
.LBB693_19:                             ;   in Loop: Header=BB693_4 Depth=1
	s_or_b32 exec_lo, exec_lo, s6
	s_and_saveexec_b32 s6, s3
.LBB693_20:                             ;   in Loop: Header=BB693_4 Depth=1
	ds_store_b32 v1, v3
.LBB693_21:                             ;   in Loop: Header=BB693_4 Depth=1
	s_or_b32 exec_lo, exec_lo, s6
	ds_bpermute_b32 v11, v20, v22
	v_cmp_gt_u32_e32 vcc_lo, 24, v19
	s_wait_dscnt 0x0
	s_barrier_signal -1
	s_barrier_wait -1
	v_cndmask_b32_e64 v10, 0, 8, vcc_lo
	v_cmp_gt_u32_e32 vcc_lo, 28, v19
	s_delay_alu instid0(VALU_DEP_2)
	v_add_lshl_u32 v10, v10, v19, 2
	v_add_f32_e32 v12, v22, v11
	v_cndmask_b32_e64 v11, 0, 4, vcc_lo
	v_cmp_gt_u32_e32 vcc_lo, 30, v19
	ds_bpermute_b32 v13, v10, v12
	v_add_lshl_u32 v11, v11, v19, 2
	s_wait_dscnt 0x0
	v_add_f32_e32 v13, v12, v13
	v_cndmask_b32_e64 v12, 0, 2, vcc_lo
	v_cmp_ne_u32_e32 vcc_lo, 31, v19
	ds_bpermute_b32 v14, v11, v13
	v_add_lshl_u32 v12, v12, v19, 2
	v_add_co_ci_u32_e64 v15, null, 0, v19, vcc_lo
	s_wait_dscnt 0x0
	v_add_f32_e32 v13, v13, v14
	ds_bpermute_b32 v14, v12, v13
	s_wait_dscnt 0x0
	v_dual_add_f32 v14, v13, v14 :: v_dual_lshlrev_b32 v13, 2, v15
	ds_bpermute_b32 v15, v13, v14
	s_and_saveexec_b32 s6, s4
	s_cbranch_execz .LBB693_23
; %bb.22:                               ;   in Loop: Header=BB693_4 Depth=1
	s_wait_dscnt 0x0
	v_add_f32_e32 v14, v14, v15
	ds_store_b32 v18, v14
.LBB693_23:                             ;   in Loop: Header=BB693_4 Depth=1
	s_or_b32 exec_lo, exec_lo, s6
	s_wait_dscnt 0x0
	v_mov_b32_e32 v15, 0
	s_barrier_signal -1
	s_barrier_wait -1
	s_and_saveexec_b32 s6, s3
	s_cbranch_execnz .LBB693_32
; %bb.24:                               ;   in Loop: Header=BB693_4 Depth=1
	s_or_b32 exec_lo, exec_lo, s6
	s_and_saveexec_b32 s6, s3
	s_cbranch_execnz .LBB693_33
.LBB693_25:                             ;   in Loop: Header=BB693_4 Depth=1
	s_or_b32 exec_lo, exec_lo, s6
                                        ; implicit-def: $vgpr14
	s_and_saveexec_b32 s6, s0
	s_cbranch_execnz .LBB693_34
	s_branch .LBB693_37
.LBB693_26:                             ;   in Loop: Header=BB693_4 Depth=1
	s_wait_dscnt 0x0
	v_add_nc_u64_e32 v[14:15], v[10:11], v[6:7]
	v_mov_b64_e32 v[16:17], v[12:13]
	v_dual_mov_b32 v22, 0 :: v_dual_mov_b32 v23, v0
	s_mov_b32 s40, 0
	s_branch .LBB693_28
.LBB693_27:                             ;   in Loop: Header=BB693_28 Depth=2
	s_or_b32 exec_lo, exec_lo, s41
	s_delay_alu instid0(VALU_DEP_1) | instskip(SKIP_3) | instid1(VALU_DEP_4)
	v_and_b32_e32 v24, 0xffff0000, v25
	v_add_nc_u32_e32 v23, 0x400, v23
	v_add_nc_u64_e32 v[16:17], 0x800, v[16:17]
	v_add_nc_u64_e32 v[14:15], s[36:37], v[14:15]
	v_add_f32_e32 v22, v22, v24
	s_delay_alu instid0(VALU_DEP_4) | instskip(SKIP_1) | instid1(SALU_CYCLE_1)
	v_cmp_le_i32_e32 vcc_lo, s30, v23
	s_or_b32 s40, vcc_lo, s40
	s_and_not1_b32 exec_lo, exec_lo, s40
	s_cbranch_execz .LBB693_40
.LBB693_28:                             ;   Parent Loop BB693_4 Depth=1
                                        ; =>  This Inner Loop Header: Depth=2
	flat_load_u16 v24, v[16:17]
	flat_load_u16 v25, v[14:15]
	s_wait_loadcnt_dscnt 0x0
	v_dual_lshlrev_b32 v24, 16, v24 :: v_dual_lshlrev_b32 v25, 16, v25
	s_delay_alu instid0(VALU_DEP_1) | instskip(NEXT) | instid1(VALU_DEP_1)
	v_mul_f32_e32 v24, v25, v24
	v_and_b32_e32 v25, 0x7f800000, v24
	s_delay_alu instid0(VALU_DEP_1) | instskip(SKIP_2) | instid1(SALU_CYCLE_1)
	v_cmp_ne_u32_e32 vcc_lo, 0x7f800000, v25
                                        ; implicit-def: $vgpr25
	s_wait_xcnt 0x0
	s_and_saveexec_b32 s41, vcc_lo
	s_xor_b32 s41, exec_lo, s41
; %bb.29:                               ;   in Loop: Header=BB693_28 Depth=2
	v_bfe_u32 v25, v24, 16, 1
	s_delay_alu instid0(VALU_DEP_1)
	v_add3_u32 v25, v24, v25, 0x7fff
                                        ; implicit-def: $vgpr24
; %bb.30:                               ;   in Loop: Header=BB693_28 Depth=2
	s_and_not1_saveexec_b32 s41, s41
	s_cbranch_execz .LBB693_27
; %bb.31:                               ;   in Loop: Header=BB693_28 Depth=2
	v_and_b32_e32 v25, 0xffff, v24
	v_or_b32_e32 v26, 0x10000, v24
	s_delay_alu instid0(VALU_DEP_2) | instskip(NEXT) | instid1(VALU_DEP_2)
	v_cmp_eq_u32_e32 vcc_lo, 0, v25
	v_cndmask_b32_e32 v25, v26, v24, vcc_lo
	s_branch .LBB693_27
.LBB693_32:                             ;   in Loop: Header=BB693_4 Depth=1
	ds_load_b32 v15, v1
	s_or_b32 exec_lo, exec_lo, s6
	s_and_saveexec_b32 s6, s3
	s_cbranch_execz .LBB693_25
.LBB693_33:                             ;   in Loop: Header=BB693_4 Depth=1
	s_wait_dscnt 0x0
	ds_bpermute_b32 v14, v20, v15
	s_wait_dscnt 0x0
	v_add_f32_e32 v14, v15, v14
	ds_bpermute_b32 v10, v10, v14
	s_wait_dscnt 0x0
	v_add_f32_e32 v10, v14, v10
	;; [unrolled: 3-line block ×5, first 2 shown]
	s_or_b32 exec_lo, exec_lo, s6
                                        ; implicit-def: $vgpr14
	s_and_saveexec_b32 s6, s0
	s_cbranch_execz .LBB693_37
.LBB693_34:                             ;   in Loop: Header=BB693_4 Depth=1
	s_wait_dscnt 0x0
	v_mul_f32_e32 v14, v21, v15
	s_cmp_eq_f32 s33, 0
	s_cbranch_scc1 .LBB693_36
; %bb.35:                               ;   in Loop: Header=BB693_4 Depth=1
	v_add_nc_u64_e32 v[10:11], s[38:39], v[8:9]
	flat_load_b32 v10, v[10:11]
	s_wait_loadcnt_dscnt 0x0
	v_fmac_f32_e32 v14, s33, v10
.LBB693_36:                             ;   in Loop: Header=BB693_4 Depth=1
	s_or_b32 s5, s5, exec_lo
.LBB693_37:                             ;   in Loop: Header=BB693_4 Depth=1
	s_wait_xcnt 0x0
	s_or_b32 exec_lo, exec_lo, s6
.LBB693_38:                             ;   in Loop: Header=BB693_4 Depth=1
	s_wait_xcnt 0x0
	s_and_saveexec_b32 s6, s5
	s_cbranch_execz .LBB693_2
; %bb.39:                               ;   in Loop: Header=BB693_4 Depth=1
	v_add_nc_u64_e32 v[8:9], s[38:39], v[8:9]
	flat_store_b32 v[8:9], v14
	s_branch .LBB693_2
.LBB693_40:                             ;   in Loop: Header=BB693_4 Depth=1
	s_or_b32 exec_lo, exec_lo, s40
	s_delay_alu instid0(SALU_CYCLE_1)
	s_or_b32 exec_lo, exec_lo, s6
	s_and_saveexec_b32 s6, s2
	s_cbranch_execz .LBB693_19
.LBB693_41:                             ;   in Loop: Header=BB693_4 Depth=1
	v_lshl_add_u64 v[12:13], s[30:31], 1, v[12:13]
	v_lshl_add_u64 v[10:11], v[4:5], 1, v[10:11]
	flat_load_u16 v14, v[12:13]
	s_wait_dscnt 0x1
	flat_load_u16 v15, v[10:11]
	s_wait_loadcnt_dscnt 0x0
	s_wait_xcnt 0x0
	v_dual_lshlrev_b32 v10, 16, v14 :: v_dual_lshlrev_b32 v11, 16, v15
	s_delay_alu instid0(VALU_DEP_1) | instskip(NEXT) | instid1(VALU_DEP_1)
	v_mul_f32_e32 v10, v11, v10
	v_and_b32_e32 v11, 0x7f800000, v10
	s_delay_alu instid0(VALU_DEP_1) | instskip(SKIP_1) | instid1(SALU_CYCLE_1)
	v_cmp_ne_u32_e32 vcc_lo, 0x7f800000, v11
                                        ; implicit-def: $vgpr11
	s_and_saveexec_b32 s40, vcc_lo
	s_xor_b32 s40, exec_lo, s40
; %bb.42:                               ;   in Loop: Header=BB693_4 Depth=1
	v_bfe_u32 v11, v10, 16, 1
	s_delay_alu instid0(VALU_DEP_1)
	v_add3_u32 v11, v10, v11, 0x7fff
                                        ; implicit-def: $vgpr10
; %bb.43:                               ;   in Loop: Header=BB693_4 Depth=1
	s_and_not1_saveexec_b32 s40, s40
; %bb.44:                               ;   in Loop: Header=BB693_4 Depth=1
	v_and_b32_e32 v11, 0xffff, v10
	v_or_b32_e32 v12, 0x10000, v10
	s_delay_alu instid0(VALU_DEP_2) | instskip(NEXT) | instid1(VALU_DEP_2)
	v_cmp_eq_u32_e32 vcc_lo, 0, v11
	v_cndmask_b32_e32 v11, v12, v10, vcc_lo
; %bb.45:                               ;   in Loop: Header=BB693_4 Depth=1
	s_or_b32 exec_lo, exec_lo, s40
	s_delay_alu instid0(VALU_DEP_1) | instskip(NEXT) | instid1(VALU_DEP_1)
	v_and_b32_e32 v10, 0xffff0000, v11
	v_add_f32_e32 v22, v22, v10
	s_or_b32 exec_lo, exec_lo, s6
	s_and_saveexec_b32 s6, s3
	s_cbranch_execnz .LBB693_20
	s_branch .LBB693_21
.LBB693_46:
	s_endpgm
	.section	.rodata,"a",@progbits
	.p2align	6, 0x0
	.amdhsa_kernel _ZL32rocblas_gemvt_warp_reduce_kernelILb1ELi1024ElPK16rocblas_bfloat16PKfKPfEviiT3_lPKT2_lT1_lSA_lSB_lS7_lPT4_lSB_li
		.amdhsa_group_segment_fixed_size 128
		.amdhsa_private_segment_fixed_size 0
		.amdhsa_kernarg_size 140
		.amdhsa_user_sgpr_count 2
		.amdhsa_user_sgpr_dispatch_ptr 0
		.amdhsa_user_sgpr_queue_ptr 0
		.amdhsa_user_sgpr_kernarg_segment_ptr 1
		.amdhsa_user_sgpr_dispatch_id 0
		.amdhsa_user_sgpr_kernarg_preload_length 0
		.amdhsa_user_sgpr_kernarg_preload_offset 0
		.amdhsa_user_sgpr_private_segment_size 0
		.amdhsa_wavefront_size32 1
		.amdhsa_uses_dynamic_stack 0
		.amdhsa_enable_private_segment 0
		.amdhsa_system_sgpr_workgroup_id_x 1
		.amdhsa_system_sgpr_workgroup_id_y 0
		.amdhsa_system_sgpr_workgroup_id_z 1
		.amdhsa_system_sgpr_workgroup_info 0
		.amdhsa_system_vgpr_workitem_id 0
		.amdhsa_next_free_vgpr 27
		.amdhsa_next_free_sgpr 44
		.amdhsa_named_barrier_count 0
		.amdhsa_reserve_vcc 1
		.amdhsa_float_round_mode_32 0
		.amdhsa_float_round_mode_16_64 0
		.amdhsa_float_denorm_mode_32 3
		.amdhsa_float_denorm_mode_16_64 3
		.amdhsa_fp16_overflow 0
		.amdhsa_memory_ordered 1
		.amdhsa_forward_progress 1
		.amdhsa_inst_pref_size 14
		.amdhsa_round_robin_scheduling 0
		.amdhsa_exception_fp_ieee_invalid_op 0
		.amdhsa_exception_fp_denorm_src 0
		.amdhsa_exception_fp_ieee_div_zero 0
		.amdhsa_exception_fp_ieee_overflow 0
		.amdhsa_exception_fp_ieee_underflow 0
		.amdhsa_exception_fp_ieee_inexact 0
		.amdhsa_exception_int_div_zero 0
	.end_amdhsa_kernel
	.section	.text._ZL32rocblas_gemvt_warp_reduce_kernelILb1ELi1024ElPK16rocblas_bfloat16PKfKPfEviiT3_lPKT2_lT1_lSA_lSB_lS7_lPT4_lSB_li,"axG",@progbits,_ZL32rocblas_gemvt_warp_reduce_kernelILb1ELi1024ElPK16rocblas_bfloat16PKfKPfEviiT3_lPKT2_lT1_lSA_lSB_lS7_lPT4_lSB_li,comdat
.Lfunc_end693:
	.size	_ZL32rocblas_gemvt_warp_reduce_kernelILb1ELi1024ElPK16rocblas_bfloat16PKfKPfEviiT3_lPKT2_lT1_lSA_lSB_lS7_lPT4_lSB_li, .Lfunc_end693-_ZL32rocblas_gemvt_warp_reduce_kernelILb1ELi1024ElPK16rocblas_bfloat16PKfKPfEviiT3_lPKT2_lT1_lSA_lSB_lS7_lPT4_lSB_li
                                        ; -- End function
	.set _ZL32rocblas_gemvt_warp_reduce_kernelILb1ELi1024ElPK16rocblas_bfloat16PKfKPfEviiT3_lPKT2_lT1_lSA_lSB_lS7_lPT4_lSB_li.num_vgpr, 27
	.set _ZL32rocblas_gemvt_warp_reduce_kernelILb1ELi1024ElPK16rocblas_bfloat16PKfKPfEviiT3_lPKT2_lT1_lSA_lSB_lS7_lPT4_lSB_li.num_agpr, 0
	.set _ZL32rocblas_gemvt_warp_reduce_kernelILb1ELi1024ElPK16rocblas_bfloat16PKfKPfEviiT3_lPKT2_lT1_lSA_lSB_lS7_lPT4_lSB_li.numbered_sgpr, 44
	.set _ZL32rocblas_gemvt_warp_reduce_kernelILb1ELi1024ElPK16rocblas_bfloat16PKfKPfEviiT3_lPKT2_lT1_lSA_lSB_lS7_lPT4_lSB_li.num_named_barrier, 0
	.set _ZL32rocblas_gemvt_warp_reduce_kernelILb1ELi1024ElPK16rocblas_bfloat16PKfKPfEviiT3_lPKT2_lT1_lSA_lSB_lS7_lPT4_lSB_li.private_seg_size, 0
	.set _ZL32rocblas_gemvt_warp_reduce_kernelILb1ELi1024ElPK16rocblas_bfloat16PKfKPfEviiT3_lPKT2_lT1_lSA_lSB_lS7_lPT4_lSB_li.uses_vcc, 1
	.set _ZL32rocblas_gemvt_warp_reduce_kernelILb1ELi1024ElPK16rocblas_bfloat16PKfKPfEviiT3_lPKT2_lT1_lSA_lSB_lS7_lPT4_lSB_li.uses_flat_scratch, 0
	.set _ZL32rocblas_gemvt_warp_reduce_kernelILb1ELi1024ElPK16rocblas_bfloat16PKfKPfEviiT3_lPKT2_lT1_lSA_lSB_lS7_lPT4_lSB_li.has_dyn_sized_stack, 0
	.set _ZL32rocblas_gemvt_warp_reduce_kernelILb1ELi1024ElPK16rocblas_bfloat16PKfKPfEviiT3_lPKT2_lT1_lSA_lSB_lS7_lPT4_lSB_li.has_recursion, 0
	.set _ZL32rocblas_gemvt_warp_reduce_kernelILb1ELi1024ElPK16rocblas_bfloat16PKfKPfEviiT3_lPKT2_lT1_lSA_lSB_lS7_lPT4_lSB_li.has_indirect_call, 0
	.section	.AMDGPU.csdata,"",@progbits
; Kernel info:
; codeLenInByte = 1712
; TotalNumSgprs: 46
; NumVgprs: 27
; ScratchSize: 0
; MemoryBound: 0
; FloatMode: 240
; IeeeMode: 1
; LDSByteSize: 128 bytes/workgroup (compile time only)
; SGPRBlocks: 0
; VGPRBlocks: 1
; NumSGPRsForWavesPerEU: 46
; NumVGPRsForWavesPerEU: 27
; NamedBarCnt: 0
; Occupancy: 16
; WaveLimiterHint : 1
; COMPUTE_PGM_RSRC2:SCRATCH_EN: 0
; COMPUTE_PGM_RSRC2:USER_SGPR: 2
; COMPUTE_PGM_RSRC2:TRAP_HANDLER: 0
; COMPUTE_PGM_RSRC2:TGID_X_EN: 1
; COMPUTE_PGM_RSRC2:TGID_Y_EN: 0
; COMPUTE_PGM_RSRC2:TGID_Z_EN: 1
; COMPUTE_PGM_RSRC2:TIDIG_COMP_CNT: 0
	.section	.text._ZL32rocblas_gemvt_warp_reduce_kernelILb1ELi1024EiPK16rocblas_bfloat16fKPfEviiT3_lPKT2_lT1_lS8_lS9_lS5_lPT4_lS9_li,"axG",@progbits,_ZL32rocblas_gemvt_warp_reduce_kernelILb1ELi1024EiPK16rocblas_bfloat16fKPfEviiT3_lPKT2_lT1_lS8_lS9_lS5_lPT4_lS9_li,comdat
	.globl	_ZL32rocblas_gemvt_warp_reduce_kernelILb1ELi1024EiPK16rocblas_bfloat16fKPfEviiT3_lPKT2_lT1_lS8_lS9_lS5_lPT4_lS9_li ; -- Begin function _ZL32rocblas_gemvt_warp_reduce_kernelILb1ELi1024EiPK16rocblas_bfloat16fKPfEviiT3_lPKT2_lT1_lS8_lS9_lS5_lPT4_lS9_li
	.p2align	8
	.type	_ZL32rocblas_gemvt_warp_reduce_kernelILb1ELi1024EiPK16rocblas_bfloat16fKPfEviiT3_lPKT2_lT1_lS8_lS9_lS5_lPT4_lS9_li,@function
_ZL32rocblas_gemvt_warp_reduce_kernelILb1ELi1024EiPK16rocblas_bfloat16fKPfEviiT3_lPKT2_lT1_lS8_lS9_lS5_lPT4_lS9_li: ; @_ZL32rocblas_gemvt_warp_reduce_kernelILb1ELi1024EiPK16rocblas_bfloat16fKPfEviiT3_lPKT2_lT1_lS8_lS9_lS5_lPT4_lS9_li
; %bb.0:
	s_load_b32 s5, s[0:1], 0x88
	s_bfe_u32 s2, ttmp6, 0x40014
	s_lshr_b32 s3, ttmp7, 16
	s_add_co_i32 s2, s2, 1
	s_bfe_u32 s6, ttmp6, 0x40008
	s_mul_i32 s4, s3, s2
	s_getreg_b32 s2, hwreg(HW_REG_IB_STS2, 6, 4)
	s_add_co_i32 s6, s6, s4
	s_cmp_eq_u32 s2, 0
	s_mov_b32 s7, 0
	s_cselect_b32 s6, s3, s6
	s_wait_kmcnt 0x0
	s_cmp_ge_u32 s6, s5
	s_cbranch_scc1 .LBB694_48
; %bb.1:
	s_clause 0x8
	s_load_b32 s26, s[0:1], 0x8
	s_load_b32 s27, s[0:1], 0x58
	s_load_b128 s[8:11], s[0:1], 0x18
	s_load_b32 s3, s[0:1], 0x28
	s_load_b32 s4, s[0:1], 0x0
	s_load_b128 s[12:15], s[0:1], 0x38
	s_load_b32 s21, s[0:1], 0x48
	s_load_b128 s[16:19], s[0:1], 0x68
	s_load_b32 s22, s[0:1], 0x78
	v_dual_mov_b32 v3, 0 :: v_dual_bitop2_b32 v2, 31, v0 bitop3:0x40
	v_lshrrev_b32_e32 v4, 3, v0
	v_mbcnt_lo_u32_b32 v14, -1, 0
	s_wait_xcnt 0x0
	v_cmp_gt_u32_e64 s1, 32, v0
	v_lshlrev_b32_e32 v15, 2, v2
	v_and_b32_e32 v16, 0x7c, v4
	v_lshl_or_b32 v18, v14, 2, 64
	s_wait_kmcnt 0x0
	s_cmp_eq_f32 s26, 0
	v_mul_lo_u32 v17, v0, s21
	s_cselect_b32 s28, -1, 0
	s_cmp_neq_f32 s27, 1.0
	v_cmp_gt_i32_e32 vcc_lo, s4, v0
	s_cselect_b32 s20, -1, 0
	s_cmp_neq_f32 s26, 0
	s_cselect_b32 s0, -1, 0
	s_delay_alu instid0(SALU_CYCLE_1)
	s_or_b32 s29, s0, s20
	s_cmp_neq_f32 s27, 0
	v_cndmask_b32_e64 v1, 0, 1, s0
	v_cmp_eq_u32_e64 s0, 0, v0
	s_cselect_b32 s30, -1, 0
	s_bfe_u32 s20, ttmp6, 0x4000c
	s_and_b32 s23, ttmp6, 15
	s_add_co_i32 s20, s20, 1
	s_delay_alu instid0(SALU_CYCLE_1) | instskip(NEXT) | instid1(SALU_CYCLE_1)
	s_mul_i32 s20, ttmp9, s20
	s_add_co_i32 s23, s23, s20
	s_cmp_eq_u32 s2, 0
	s_cselect_b32 s23, ttmp9, s23
	s_ashr_i32 s2, s4, 31
	s_mul_i32 s24, s22, s23
	s_lshr_b32 s20, s2, 22
	v_cmp_eq_u32_e64 s2, 0, v2
	s_add_co_i32 s20, s4, s20
	s_mul_i32 s22, s3, s23
	s_and_b32 s20, s20, 0xfffffc00
	s_delay_alu instid0(SALU_CYCLE_1)
	v_dual_cndmask_b32 v2, 0, v0, vcc_lo :: v_dual_bitop2_b32 v5, s20, v0 bitop3:0x54
	v_cmp_gt_i32_e64 s3, s20, v0
	s_ashr_i32 s25, s24, 31
	s_lshl_b32 s31, s21, 10
	s_lshl_b64 s[10:11], s[10:11], 1
	v_mul_lo_u32 v4, s21, v5
	v_lshlrev_b32_e32 v2, 1, v2
	v_cmp_gt_i32_e64 s4, s4, v5
	s_ashr_i32 s23, s22, 31
	s_ashr_i32 s21, s20, 31
	s_lshl_b64 s[14:15], s[14:15], 1
	s_lshl_b64 s[18:19], s[18:19], 2
	;; [unrolled: 1-line block ×3, first 2 shown]
	v_ashrrev_i32_e32 v5, 31, v4
	s_branch .LBB694_4
.LBB694_2:                              ;   in Loop: Header=BB694_4 Depth=1
	s_wait_xcnt 0x0
	s_or_b32 exec_lo, exec_lo, s34
.LBB694_3:                              ;   in Loop: Header=BB694_4 Depth=1
	s_add_co_i32 s6, s6, 0x10000
	s_delay_alu instid0(SALU_CYCLE_1)
	s_cmp_lt_u32 s6, s5
	s_cbranch_scc0 .LBB694_48
.LBB694_4:                              ; =>This Loop Header: Depth=1
                                        ;     Child Loop BB694_30 Depth 2
	s_and_not1_b32 vcc_lo, exec_lo, s29
	s_cbranch_vccnz .LBB694_3
; %bb.5:                                ;   in Loop: Header=BB694_4 Depth=1
	s_and_not1_b32 vcc_lo, exec_lo, s28
	s_cbranch_vccnz .LBB694_7
; %bb.6:                                ;   in Loop: Header=BB694_4 Depth=1
	v_mov_b64_e32 v[8:9], 0
	v_mov_b64_e32 v[10:11], 0
	s_cbranch_execz .LBB694_8
	s_branch .LBB694_9
.LBB694_7:                              ;   in Loop: Header=BB694_4 Depth=1
	v_mov_b64_e32 v[8:9], 0
	v_mov_b64_e32 v[10:11], 0
.LBB694_8:                              ;   in Loop: Header=BB694_4 Depth=1
	s_lshl_b64 s[34:35], s[6:7], 3
	s_delay_alu instid0(SALU_CYCLE_1)
	s_add_nc_u64 s[34:35], s[8:9], s[34:35]
	global_load_b64 v[6:7], v3, s[34:35]
	s_wait_loadcnt 0x0
	v_add_nc_u64_e32 v[10:11], s[10:11], v[6:7]
.LBB694_9:                              ;   in Loop: Header=BB694_4 Depth=1
	v_cmp_ne_u32_e32 vcc_lo, 1, v1
	s_cbranch_vccnz .LBB694_11
; %bb.10:                               ;   in Loop: Header=BB694_4 Depth=1
	s_wait_xcnt 0x0
	s_lshl_b64 s[34:35], s[6:7], 3
	s_delay_alu instid0(SALU_CYCLE_1)
	s_add_nc_u64 s[34:35], s[12:13], s[34:35]
	global_load_b64 v[6:7], v3, s[34:35]
	s_wait_loadcnt 0x0
	v_add_nc_u64_e32 v[8:9], s[14:15], v[6:7]
.LBB694_11:                             ;   in Loop: Header=BB694_4 Depth=1
	s_wait_xcnt 0x0
	s_lshl_b64 s[34:35], s[6:7], 3
	s_and_not1_b32 vcc_lo, exec_lo, s28
	s_add_nc_u64 s[34:35], s[16:17], s[34:35]
	global_load_b64 v[6:7], v3, s[34:35]
	s_wait_loadcnt 0x0
	v_add_nc_u64_e32 v[6:7], s[18:19], v[6:7]
	s_cbranch_vccnz .LBB694_15
; %bb.12:                               ;   in Loop: Header=BB694_4 Depth=1
	s_wait_xcnt 0x0
	s_mov_b32 s34, 0
	s_mov_b32 s33, 0
                                        ; implicit-def: $vgpr12
	s_and_saveexec_b32 s35, s0
	s_cbranch_execz .LBB694_16
; %bb.13:                               ;   in Loop: Header=BB694_4 Depth=1
	s_and_not1_b32 vcc_lo, exec_lo, s30
	s_cbranch_vccnz .LBB694_17
; %bb.14:                               ;   in Loop: Header=BB694_4 Depth=1
	s_wait_dscnt 0x0
	v_add_nc_u64_e32 v[12:13], s[24:25], v[6:7]
	flat_load_b32 v12, v[12:13]
	s_wait_loadcnt_dscnt 0x0
	s_wait_xcnt 0x0
	v_mul_f32_e32 v12, s27, v12
	s_branch .LBB694_18
.LBB694_15:                             ;   in Loop: Header=BB694_4 Depth=1
	s_wait_xcnt 0x0
	s_mov_b32 s33, 0
                                        ; implicit-def: $vgpr12
	s_cbranch_execnz .LBB694_19
	s_branch .LBB694_40
.LBB694_16:                             ;   in Loop: Header=BB694_4 Depth=1
	s_or_b32 exec_lo, exec_lo, s35
	s_delay_alu instid0(SALU_CYCLE_1)
	s_and_b32 vcc_lo, exec_lo, s34
	s_cbranch_vccnz .LBB694_19
	s_branch .LBB694_40
.LBB694_17:                             ;   in Loop: Header=BB694_4 Depth=1
	v_mov_b32_e32 v12, 0
.LBB694_18:                             ;   in Loop: Header=BB694_4 Depth=1
	s_mov_b32 s33, exec_lo
	s_or_b32 exec_lo, exec_lo, s35
	s_delay_alu instid0(SALU_CYCLE_1)
	s_and_b32 vcc_lo, exec_lo, s34
	s_cbranch_vccz .LBB694_40
.LBB694_19:                             ;   in Loop: Header=BB694_4 Depth=1
	v_add_nc_u64_e32 v[10:11], v[10:11], v[2:3]
	v_mov_b32_e32 v19, 0
	s_delay_alu instid0(VALU_DEP_2)
	v_lshl_add_u64 v[10:11], s[22:23], 1, v[10:11]
	s_and_saveexec_b32 s34, s3
	s_cbranch_execnz .LBB694_28
; %bb.20:                               ;   in Loop: Header=BB694_4 Depth=1
	s_or_b32 exec_lo, exec_lo, s34
	s_and_saveexec_b32 s34, s4
	s_cbranch_execnz .LBB694_43
.LBB694_21:                             ;   in Loop: Header=BB694_4 Depth=1
	s_or_b32 exec_lo, exec_lo, s34
	s_and_saveexec_b32 s34, s1
.LBB694_22:                             ;   in Loop: Header=BB694_4 Depth=1
	ds_store_b32 v15, v3
.LBB694_23:                             ;   in Loop: Header=BB694_4 Depth=1
	s_or_b32 exec_lo, exec_lo, s34
	ds_bpermute_b32 v9, v18, v19
	v_cmp_gt_u32_e32 vcc_lo, 24, v14
	s_wait_dscnt 0x0
	s_barrier_signal -1
	s_barrier_wait -1
	v_cndmask_b32_e64 v8, 0, 8, vcc_lo
	v_cmp_gt_u32_e32 vcc_lo, 28, v14
	s_delay_alu instid0(VALU_DEP_2)
	v_add_lshl_u32 v8, v8, v14, 2
	v_add_f32_e32 v10, v19, v9
	v_cndmask_b32_e64 v9, 0, 4, vcc_lo
	v_cmp_gt_u32_e32 vcc_lo, 30, v14
	ds_bpermute_b32 v11, v8, v10
	v_add_lshl_u32 v9, v9, v14, 2
	s_wait_dscnt 0x0
	v_add_f32_e32 v11, v10, v11
	v_cndmask_b32_e64 v10, 0, 2, vcc_lo
	v_cmp_ne_u32_e32 vcc_lo, 31, v14
	ds_bpermute_b32 v12, v9, v11
	v_add_lshl_u32 v10, v10, v14, 2
	v_add_co_ci_u32_e64 v13, null, 0, v14, vcc_lo
	s_wait_dscnt 0x0
	v_add_f32_e32 v11, v11, v12
	ds_bpermute_b32 v12, v10, v11
	s_wait_dscnt 0x0
	v_dual_add_f32 v12, v11, v12 :: v_dual_lshlrev_b32 v11, 2, v13
	ds_bpermute_b32 v13, v11, v12
	s_and_saveexec_b32 s34, s2
	s_cbranch_execz .LBB694_25
; %bb.24:                               ;   in Loop: Header=BB694_4 Depth=1
	s_wait_dscnt 0x0
	v_add_f32_e32 v12, v12, v13
	ds_store_b32 v16, v12
.LBB694_25:                             ;   in Loop: Header=BB694_4 Depth=1
	s_or_b32 exec_lo, exec_lo, s34
	s_wait_dscnt 0x0
	v_mov_b32_e32 v13, 0
	s_barrier_signal -1
	s_barrier_wait -1
	s_and_saveexec_b32 s34, s1
	s_cbranch_execnz .LBB694_34
; %bb.26:                               ;   in Loop: Header=BB694_4 Depth=1
	s_or_b32 exec_lo, exec_lo, s34
	s_and_saveexec_b32 s34, s1
	s_cbranch_execnz .LBB694_35
.LBB694_27:                             ;   in Loop: Header=BB694_4 Depth=1
	s_or_b32 exec_lo, exec_lo, s34
                                        ; implicit-def: $vgpr12
	s_and_saveexec_b32 s34, s0
	s_cbranch_execnz .LBB694_36
	s_branch .LBB694_39
.LBB694_28:                             ;   in Loop: Header=BB694_4 Depth=1
	s_wait_dscnt 0x0
	s_delay_alu instid0(VALU_DEP_1)
	v_mov_b64_e32 v[12:13], v[10:11]
	v_dual_mov_b32 v19, 0 :: v_dual_mov_b32 v20, v0
	v_mov_b32_e32 v21, v17
	s_mov_b32 s35, 0
	s_branch .LBB694_30
.LBB694_29:                             ;   in Loop: Header=BB694_30 Depth=2
	s_or_b32 exec_lo, exec_lo, s36
	s_delay_alu instid0(VALU_DEP_1) | instskip(SKIP_2) | instid1(VALU_DEP_3)
	v_and_b32_e32 v22, 0xffff0000, v22
	v_add_nc_u32_e32 v20, 0x400, v20
	v_add_nc_u64_e32 v[12:13], 0x800, v[12:13]
	v_dual_add_nc_u32 v21, s31, v21 :: v_dual_add_f32 v19, v19, v22
	s_delay_alu instid0(VALU_DEP_3) | instskip(SKIP_1) | instid1(SALU_CYCLE_1)
	v_cmp_le_i32_e32 vcc_lo, s20, v20
	s_or_b32 s35, vcc_lo, s35
	s_and_not1_b32 exec_lo, exec_lo, s35
	s_cbranch_execz .LBB694_42
.LBB694_30:                             ;   Parent Loop BB694_4 Depth=1
                                        ; =>  This Inner Loop Header: Depth=2
	v_readfirstlane_b32 s36, v8
	v_readfirstlane_b32 s37, v9
	flat_load_u16 v22, v[12:13]
	flat_load_u16 v23, v21, s[36:37] scale_offset
	s_wait_loadcnt_dscnt 0x0
	v_dual_lshlrev_b32 v22, 16, v22 :: v_dual_lshlrev_b32 v23, 16, v23
	s_delay_alu instid0(VALU_DEP_1) | instskip(NEXT) | instid1(VALU_DEP_1)
	v_mul_f32_e32 v23, v23, v22
	v_and_b32_e32 v22, 0x7f800000, v23
	s_delay_alu instid0(VALU_DEP_1) | instskip(SKIP_2) | instid1(SALU_CYCLE_1)
	v_cmp_ne_u32_e32 vcc_lo, 0x7f800000, v22
                                        ; implicit-def: $vgpr22
	s_wait_xcnt 0x0
	s_and_saveexec_b32 s36, vcc_lo
	s_xor_b32 s36, exec_lo, s36
; %bb.31:                               ;   in Loop: Header=BB694_30 Depth=2
	v_bfe_u32 v22, v23, 16, 1
	s_delay_alu instid0(VALU_DEP_1)
	v_add3_u32 v22, v23, v22, 0x7fff
                                        ; implicit-def: $vgpr23
; %bb.32:                               ;   in Loop: Header=BB694_30 Depth=2
	s_and_not1_saveexec_b32 s36, s36
	s_cbranch_execz .LBB694_29
; %bb.33:                               ;   in Loop: Header=BB694_30 Depth=2
	v_and_b32_e32 v22, 0xffff, v23
	v_or_b32_e32 v24, 0x10000, v23
	s_delay_alu instid0(VALU_DEP_2) | instskip(NEXT) | instid1(VALU_DEP_2)
	v_cmp_eq_u32_e32 vcc_lo, 0, v22
	v_cndmask_b32_e32 v22, v24, v23, vcc_lo
	s_branch .LBB694_29
.LBB694_34:                             ;   in Loop: Header=BB694_4 Depth=1
	ds_load_b32 v13, v15
	s_or_b32 exec_lo, exec_lo, s34
	s_and_saveexec_b32 s34, s1
	s_cbranch_execz .LBB694_27
.LBB694_35:                             ;   in Loop: Header=BB694_4 Depth=1
	s_wait_dscnt 0x0
	ds_bpermute_b32 v12, v18, v13
	s_wait_dscnt 0x0
	v_add_f32_e32 v12, v13, v12
	ds_bpermute_b32 v8, v8, v12
	s_wait_dscnt 0x0
	v_add_f32_e32 v8, v12, v8
	;; [unrolled: 3-line block ×5, first 2 shown]
	s_or_b32 exec_lo, exec_lo, s34
                                        ; implicit-def: $vgpr12
	s_and_saveexec_b32 s34, s0
	s_cbranch_execz .LBB694_39
.LBB694_36:                             ;   in Loop: Header=BB694_4 Depth=1
	s_wait_dscnt 0x0
	v_mul_f32_e32 v12, s26, v13
	s_and_not1_b32 vcc_lo, exec_lo, s30
	s_cbranch_vccnz .LBB694_38
; %bb.37:                               ;   in Loop: Header=BB694_4 Depth=1
	v_add_nc_u64_e32 v[8:9], s[24:25], v[6:7]
	flat_load_b32 v8, v[8:9]
	s_wait_loadcnt_dscnt 0x0
	v_fmac_f32_e32 v12, s27, v8
.LBB694_38:                             ;   in Loop: Header=BB694_4 Depth=1
	s_or_b32 s33, s33, exec_lo
.LBB694_39:                             ;   in Loop: Header=BB694_4 Depth=1
	s_wait_xcnt 0x0
	s_or_b32 exec_lo, exec_lo, s34
.LBB694_40:                             ;   in Loop: Header=BB694_4 Depth=1
	s_and_saveexec_b32 s34, s33
	s_cbranch_execz .LBB694_2
; %bb.41:                               ;   in Loop: Header=BB694_4 Depth=1
	v_add_nc_u64_e32 v[6:7], s[24:25], v[6:7]
	flat_store_b32 v[6:7], v12
	s_branch .LBB694_2
.LBB694_42:                             ;   in Loop: Header=BB694_4 Depth=1
	s_or_b32 exec_lo, exec_lo, s35
	s_delay_alu instid0(SALU_CYCLE_1)
	s_or_b32 exec_lo, exec_lo, s34
	s_and_saveexec_b32 s34, s4
	s_cbranch_execz .LBB694_21
.LBB694_43:                             ;   in Loop: Header=BB694_4 Depth=1
	v_lshl_add_u64 v[10:11], s[20:21], 1, v[10:11]
	v_lshl_add_u64 v[8:9], v[4:5], 1, v[8:9]
	flat_load_u16 v12, v[10:11]
	s_wait_dscnt 0x1
	flat_load_u16 v13, v[8:9]
	s_wait_loadcnt_dscnt 0x0
	s_wait_xcnt 0x0
	v_dual_lshlrev_b32 v8, 16, v12 :: v_dual_lshlrev_b32 v9, 16, v13
	s_delay_alu instid0(VALU_DEP_1) | instskip(NEXT) | instid1(VALU_DEP_1)
	v_mul_f32_e32 v8, v9, v8
	v_and_b32_e32 v9, 0x7f800000, v8
	s_delay_alu instid0(VALU_DEP_1) | instskip(SKIP_1) | instid1(SALU_CYCLE_1)
	v_cmp_ne_u32_e32 vcc_lo, 0x7f800000, v9
                                        ; implicit-def: $vgpr9
	s_and_saveexec_b32 s35, vcc_lo
	s_xor_b32 s35, exec_lo, s35
; %bb.44:                               ;   in Loop: Header=BB694_4 Depth=1
	v_bfe_u32 v9, v8, 16, 1
	s_delay_alu instid0(VALU_DEP_1)
	v_add3_u32 v9, v8, v9, 0x7fff
                                        ; implicit-def: $vgpr8
; %bb.45:                               ;   in Loop: Header=BB694_4 Depth=1
	s_and_not1_saveexec_b32 s35, s35
; %bb.46:                               ;   in Loop: Header=BB694_4 Depth=1
	v_and_b32_e32 v9, 0xffff, v8
	v_or_b32_e32 v10, 0x10000, v8
	s_delay_alu instid0(VALU_DEP_2) | instskip(NEXT) | instid1(VALU_DEP_2)
	v_cmp_eq_u32_e32 vcc_lo, 0, v9
	v_cndmask_b32_e32 v9, v10, v8, vcc_lo
; %bb.47:                               ;   in Loop: Header=BB694_4 Depth=1
	s_or_b32 exec_lo, exec_lo, s35
	s_delay_alu instid0(VALU_DEP_1) | instskip(NEXT) | instid1(VALU_DEP_1)
	v_and_b32_e32 v8, 0xffff0000, v9
	v_add_f32_e32 v19, v19, v8
	s_or_b32 exec_lo, exec_lo, s34
	s_and_saveexec_b32 s34, s1
	s_cbranch_execnz .LBB694_22
	s_branch .LBB694_23
.LBB694_48:
	s_endpgm
	.section	.rodata,"a",@progbits
	.p2align	6, 0x0
	.amdhsa_kernel _ZL32rocblas_gemvt_warp_reduce_kernelILb1ELi1024EiPK16rocblas_bfloat16fKPfEviiT3_lPKT2_lT1_lS8_lS9_lS5_lPT4_lS9_li
		.amdhsa_group_segment_fixed_size 128
		.amdhsa_private_segment_fixed_size 0
		.amdhsa_kernarg_size 140
		.amdhsa_user_sgpr_count 2
		.amdhsa_user_sgpr_dispatch_ptr 0
		.amdhsa_user_sgpr_queue_ptr 0
		.amdhsa_user_sgpr_kernarg_segment_ptr 1
		.amdhsa_user_sgpr_dispatch_id 0
		.amdhsa_user_sgpr_kernarg_preload_length 0
		.amdhsa_user_sgpr_kernarg_preload_offset 0
		.amdhsa_user_sgpr_private_segment_size 0
		.amdhsa_wavefront_size32 1
		.amdhsa_uses_dynamic_stack 0
		.amdhsa_enable_private_segment 0
		.amdhsa_system_sgpr_workgroup_id_x 1
		.amdhsa_system_sgpr_workgroup_id_y 0
		.amdhsa_system_sgpr_workgroup_id_z 1
		.amdhsa_system_sgpr_workgroup_info 0
		.amdhsa_system_vgpr_workitem_id 0
		.amdhsa_next_free_vgpr 25
		.amdhsa_next_free_sgpr 38
		.amdhsa_named_barrier_count 0
		.amdhsa_reserve_vcc 1
		.amdhsa_float_round_mode_32 0
		.amdhsa_float_round_mode_16_64 0
		.amdhsa_float_denorm_mode_32 3
		.amdhsa_float_denorm_mode_16_64 3
		.amdhsa_fp16_overflow 0
		.amdhsa_memory_ordered 1
		.amdhsa_forward_progress 1
		.amdhsa_inst_pref_size 14
		.amdhsa_round_robin_scheduling 0
		.amdhsa_exception_fp_ieee_invalid_op 0
		.amdhsa_exception_fp_denorm_src 0
		.amdhsa_exception_fp_ieee_div_zero 0
		.amdhsa_exception_fp_ieee_overflow 0
		.amdhsa_exception_fp_ieee_underflow 0
		.amdhsa_exception_fp_ieee_inexact 0
		.amdhsa_exception_int_div_zero 0
	.end_amdhsa_kernel
	.section	.text._ZL32rocblas_gemvt_warp_reduce_kernelILb1ELi1024EiPK16rocblas_bfloat16fKPfEviiT3_lPKT2_lT1_lS8_lS9_lS5_lPT4_lS9_li,"axG",@progbits,_ZL32rocblas_gemvt_warp_reduce_kernelILb1ELi1024EiPK16rocblas_bfloat16fKPfEviiT3_lPKT2_lT1_lS8_lS9_lS5_lPT4_lS9_li,comdat
.Lfunc_end694:
	.size	_ZL32rocblas_gemvt_warp_reduce_kernelILb1ELi1024EiPK16rocblas_bfloat16fKPfEviiT3_lPKT2_lT1_lS8_lS9_lS5_lPT4_lS9_li, .Lfunc_end694-_ZL32rocblas_gemvt_warp_reduce_kernelILb1ELi1024EiPK16rocblas_bfloat16fKPfEviiT3_lPKT2_lT1_lS8_lS9_lS5_lPT4_lS9_li
                                        ; -- End function
	.set _ZL32rocblas_gemvt_warp_reduce_kernelILb1ELi1024EiPK16rocblas_bfloat16fKPfEviiT3_lPKT2_lT1_lS8_lS9_lS5_lPT4_lS9_li.num_vgpr, 25
	.set _ZL32rocblas_gemvt_warp_reduce_kernelILb1ELi1024EiPK16rocblas_bfloat16fKPfEviiT3_lPKT2_lT1_lS8_lS9_lS5_lPT4_lS9_li.num_agpr, 0
	.set _ZL32rocblas_gemvt_warp_reduce_kernelILb1ELi1024EiPK16rocblas_bfloat16fKPfEviiT3_lPKT2_lT1_lS8_lS9_lS5_lPT4_lS9_li.numbered_sgpr, 38
	.set _ZL32rocblas_gemvt_warp_reduce_kernelILb1ELi1024EiPK16rocblas_bfloat16fKPfEviiT3_lPKT2_lT1_lS8_lS9_lS5_lPT4_lS9_li.num_named_barrier, 0
	.set _ZL32rocblas_gemvt_warp_reduce_kernelILb1ELi1024EiPK16rocblas_bfloat16fKPfEviiT3_lPKT2_lT1_lS8_lS9_lS5_lPT4_lS9_li.private_seg_size, 0
	.set _ZL32rocblas_gemvt_warp_reduce_kernelILb1ELi1024EiPK16rocblas_bfloat16fKPfEviiT3_lPKT2_lT1_lS8_lS9_lS5_lPT4_lS9_li.uses_vcc, 1
	.set _ZL32rocblas_gemvt_warp_reduce_kernelILb1ELi1024EiPK16rocblas_bfloat16fKPfEviiT3_lPKT2_lT1_lS8_lS9_lS5_lPT4_lS9_li.uses_flat_scratch, 0
	.set _ZL32rocblas_gemvt_warp_reduce_kernelILb1ELi1024EiPK16rocblas_bfloat16fKPfEviiT3_lPKT2_lT1_lS8_lS9_lS5_lPT4_lS9_li.has_dyn_sized_stack, 0
	.set _ZL32rocblas_gemvt_warp_reduce_kernelILb1ELi1024EiPK16rocblas_bfloat16fKPfEviiT3_lPKT2_lT1_lS8_lS9_lS5_lPT4_lS9_li.has_recursion, 0
	.set _ZL32rocblas_gemvt_warp_reduce_kernelILb1ELi1024EiPK16rocblas_bfloat16fKPfEviiT3_lPKT2_lT1_lS8_lS9_lS5_lPT4_lS9_li.has_indirect_call, 0
	.section	.AMDGPU.csdata,"",@progbits
; Kernel info:
; codeLenInByte = 1696
; TotalNumSgprs: 40
; NumVgprs: 25
; ScratchSize: 0
; MemoryBound: 0
; FloatMode: 240
; IeeeMode: 1
; LDSByteSize: 128 bytes/workgroup (compile time only)
; SGPRBlocks: 0
; VGPRBlocks: 1
; NumSGPRsForWavesPerEU: 40
; NumVGPRsForWavesPerEU: 25
; NamedBarCnt: 0
; Occupancy: 16
; WaveLimiterHint : 1
; COMPUTE_PGM_RSRC2:SCRATCH_EN: 0
; COMPUTE_PGM_RSRC2:USER_SGPR: 2
; COMPUTE_PGM_RSRC2:TRAP_HANDLER: 0
; COMPUTE_PGM_RSRC2:TGID_X_EN: 1
; COMPUTE_PGM_RSRC2:TGID_Y_EN: 0
; COMPUTE_PGM_RSRC2:TGID_Z_EN: 1
; COMPUTE_PGM_RSRC2:TIDIG_COMP_CNT: 0
	.section	.text._ZL32rocblas_gemvt_warp_reduce_kernelILb1ELi1024ElPK16rocblas_bfloat16fKPfEviiT3_lPKT2_lT1_lS8_lS9_lS5_lPT4_lS9_li,"axG",@progbits,_ZL32rocblas_gemvt_warp_reduce_kernelILb1ELi1024ElPK16rocblas_bfloat16fKPfEviiT3_lPKT2_lT1_lS8_lS9_lS5_lPT4_lS9_li,comdat
	.globl	_ZL32rocblas_gemvt_warp_reduce_kernelILb1ELi1024ElPK16rocblas_bfloat16fKPfEviiT3_lPKT2_lT1_lS8_lS9_lS5_lPT4_lS9_li ; -- Begin function _ZL32rocblas_gemvt_warp_reduce_kernelILb1ELi1024ElPK16rocblas_bfloat16fKPfEviiT3_lPKT2_lT1_lS8_lS9_lS5_lPT4_lS9_li
	.p2align	8
	.type	_ZL32rocblas_gemvt_warp_reduce_kernelILb1ELi1024ElPK16rocblas_bfloat16fKPfEviiT3_lPKT2_lT1_lS8_lS9_lS5_lPT4_lS9_li,@function
_ZL32rocblas_gemvt_warp_reduce_kernelILb1ELi1024ElPK16rocblas_bfloat16fKPfEviiT3_lPKT2_lT1_lS8_lS9_lS5_lPT4_lS9_li: ; @_ZL32rocblas_gemvt_warp_reduce_kernelILb1ELi1024ElPK16rocblas_bfloat16fKPfEviiT3_lPKT2_lT1_lS8_lS9_lS5_lPT4_lS9_li
; %bb.0:
	s_load_b32 s5, s[0:1], 0x88
	s_bfe_u32 s2, ttmp6, 0x40014
	s_lshr_b32 s3, ttmp7, 16
	s_add_co_i32 s2, s2, 1
	s_bfe_u32 s6, ttmp6, 0x40008
	s_mul_i32 s4, s3, s2
	s_getreg_b32 s2, hwreg(HW_REG_IB_STS2, 6, 4)
	s_add_co_i32 s6, s6, s4
	s_cmp_eq_u32 s2, 0
	s_mov_b32 s7, 0
	s_cselect_b32 s6, s3, s6
	s_wait_kmcnt 0x0
	s_cmp_ge_u32 s6, s5
	s_cbranch_scc1 .LBB695_48
; %bb.1:
	s_clause 0x7
	s_load_b32 s28, s[0:1], 0x8
	s_load_b32 s29, s[0:1], 0x58
	s_load_b128 s[8:11], s[0:1], 0x18
	s_load_b64 s[22:23], s[0:1], 0x28
	s_load_b32 s4, s[0:1], 0x0
	s_load_b128 s[12:15], s[0:1], 0x68
	s_load_b64 s[24:25], s[0:1], 0x48
	s_load_b64 s[26:27], s[0:1], 0x78
	v_mbcnt_lo_u32_b32 v20, -1, 0
	s_delay_alu instid0(VALU_DEP_1)
	v_lshl_or_b32 v21, v20, 2, 64
	s_wait_kmcnt 0x0
	s_cmp_eq_f32 s28, 0
	s_cselect_b32 s30, -1, 0
	s_cmp_neq_f32 s29, 1.0
	s_cselect_b32 s3, -1, 0
	s_cmp_neq_f32 s28, 0
	s_cselect_b32 s16, -1, 0
	s_delay_alu instid0(SALU_CYCLE_1)
	s_or_b32 s31, s16, s3
	s_cmp_neq_f32 s29, 0
	v_cndmask_b32_e64 v18, 0, 1, s16
	s_cselect_b32 s33, -1, 0
	s_bfe_u32 s3, ttmp6, 0x4000c
	s_and_b32 s16, ttmp6, 15
	s_add_co_i32 s3, s3, 1
	s_delay_alu instid0(SALU_CYCLE_1) | instskip(NEXT) | instid1(SALU_CYCLE_1)
	s_mul_i32 s3, ttmp9, s3
	s_add_co_i32 s16, s16, s3
	s_cmp_eq_u32 s2, 0
	s_cselect_b32 s2, ttmp9, s16
	s_load_b128 s[16:19], s[0:1], 0x38
	s_ashr_i32 s3, s4, 31
	v_cmp_gt_i32_e32 vcc_lo, s4, v0
	s_lshr_b32 s3, s3, 22
	s_wait_xcnt 0x0
	v_cmp_eq_u32_e64 s0, 0, v0
	s_add_co_i32 s3, s4, s3
	s_lshl_b64 s[10:11], s[10:11], 1
	s_and_b32 s20, s3, 0xfffffc00
	s_delay_alu instid0(SALU_CYCLE_1) | instskip(SKIP_3) | instid1(VALU_DEP_2)
	v_dual_mov_b32 v3, 0 :: v_dual_bitop2_b32 v8, s20, v0 bitop3:0x54
	s_ashr_i32 s3, s2, 31
	v_cndmask_b32_e32 v2, 0, v0, vcc_lo
	s_mul_u64 s[26:27], s[26:27], s[2:3]
	v_dual_mov_b32 v1, v3 :: v_dual_ashrrev_i32 v9, 31, v8
	s_mul_u64 s[22:23], s[22:23], s[2:3]
	v_cmp_gt_i32_e64 s2, s4, v8
	v_cmp_gt_i32_e64 s1, s20, v0
	s_delay_alu instid0(VALU_DEP_3)
	v_mul_u64_e32 v[6:7], s[24:25], v[0:1]
	v_mul_u64_e32 v[4:5], s[24:25], v[8:9]
	v_dual_lshrrev_b32 v8, 3, v0 :: v_dual_bitop2_b32 v9, 31, v0 bitop3:0x40
	v_cmp_gt_u32_e64 s3, 32, v0
	v_lshlrev_b32_e32 v2, 1, v2
	s_ashr_i32 s21, s20, 31
	v_lshlrev_b32_e32 v1, 2, v9
	v_cmp_eq_u32_e64 s4, 0, v9
	v_and_b32_e32 v19, 0x7c, v8
	s_lshl_b64 s[24:25], s[24:25], 11
	s_wait_kmcnt 0x0
	s_lshl_b64 s[18:19], s[18:19], 1
	s_lshl_b64 s[14:15], s[14:15], 2
	s_lshl_b64 s[26:27], s[26:27], 2
	v_lshlrev_b64_e32 v[6:7], 1, v[6:7]
	s_branch .LBB695_4
.LBB695_2:                              ;   in Loop: Header=BB695_4 Depth=1
	s_wait_xcnt 0x0
	s_or_b32 exec_lo, exec_lo, s35
.LBB695_3:                              ;   in Loop: Header=BB695_4 Depth=1
	s_add_co_i32 s6, s6, 0x10000
	s_delay_alu instid0(SALU_CYCLE_1)
	s_cmp_lt_u32 s6, s5
	s_cbranch_scc0 .LBB695_48
.LBB695_4:                              ; =>This Loop Header: Depth=1
                                        ;     Child Loop BB695_30 Depth 2
	s_and_not1_b32 vcc_lo, exec_lo, s31
	s_cbranch_vccnz .LBB695_3
; %bb.5:                                ;   in Loop: Header=BB695_4 Depth=1
	s_and_not1_b32 vcc_lo, exec_lo, s30
	s_cbranch_vccnz .LBB695_7
; %bb.6:                                ;   in Loop: Header=BB695_4 Depth=1
	v_mov_b64_e32 v[10:11], 0
	v_mov_b64_e32 v[12:13], 0
	s_cbranch_execz .LBB695_8
	s_branch .LBB695_9
.LBB695_7:                              ;   in Loop: Header=BB695_4 Depth=1
	v_mov_b64_e32 v[10:11], 0
	v_mov_b64_e32 v[12:13], 0
.LBB695_8:                              ;   in Loop: Header=BB695_4 Depth=1
	s_lshl_b64 s[34:35], s[6:7], 3
	s_delay_alu instid0(SALU_CYCLE_1)
	s_add_nc_u64 s[34:35], s[8:9], s[34:35]
	global_load_b64 v[8:9], v3, s[34:35]
	s_wait_loadcnt 0x0
	v_add_nc_u64_e32 v[12:13], s[10:11], v[8:9]
.LBB695_9:                              ;   in Loop: Header=BB695_4 Depth=1
	v_cmp_ne_u32_e32 vcc_lo, 1, v18
	s_cbranch_vccnz .LBB695_11
; %bb.10:                               ;   in Loop: Header=BB695_4 Depth=1
	s_wait_xcnt 0x0
	s_lshl_b64 s[34:35], s[6:7], 3
	s_delay_alu instid0(SALU_CYCLE_1)
	s_add_nc_u64 s[34:35], s[16:17], s[34:35]
	global_load_b64 v[8:9], v3, s[34:35]
	s_wait_loadcnt 0x0
	v_add_nc_u64_e32 v[10:11], s[18:19], v[8:9]
.LBB695_11:                             ;   in Loop: Header=BB695_4 Depth=1
	s_wait_xcnt 0x0
	s_lshl_b64 s[34:35], s[6:7], 3
	s_and_not1_b32 vcc_lo, exec_lo, s30
	s_add_nc_u64 s[34:35], s[12:13], s[34:35]
	global_load_b64 v[8:9], v3, s[34:35]
	s_wait_loadcnt 0x0
	v_add_nc_u64_e32 v[8:9], s[14:15], v[8:9]
	s_cbranch_vccnz .LBB695_15
; %bb.12:                               ;   in Loop: Header=BB695_4 Depth=1
	s_wait_xcnt 0x0
	s_mov_b32 s35, 0
	s_mov_b32 s34, 0
                                        ; implicit-def: $vgpr14
	s_and_saveexec_b32 s36, s0
	s_cbranch_execz .LBB695_16
; %bb.13:                               ;   in Loop: Header=BB695_4 Depth=1
	s_and_not1_b32 vcc_lo, exec_lo, s33
	s_cbranch_vccnz .LBB695_17
; %bb.14:                               ;   in Loop: Header=BB695_4 Depth=1
	s_wait_dscnt 0x0
	v_add_nc_u64_e32 v[14:15], s[26:27], v[8:9]
	flat_load_b32 v14, v[14:15]
	s_wait_loadcnt_dscnt 0x0
	s_wait_xcnt 0x0
	v_mul_f32_e32 v14, s29, v14
	s_branch .LBB695_18
.LBB695_15:                             ;   in Loop: Header=BB695_4 Depth=1
	s_wait_xcnt 0x0
	s_mov_b32 s34, 0
                                        ; implicit-def: $vgpr14
	s_cbranch_execnz .LBB695_19
	s_branch .LBB695_40
.LBB695_16:                             ;   in Loop: Header=BB695_4 Depth=1
	s_or_b32 exec_lo, exec_lo, s36
	s_delay_alu instid0(SALU_CYCLE_1)
	s_and_b32 vcc_lo, exec_lo, s35
	s_cbranch_vccnz .LBB695_19
	s_branch .LBB695_40
.LBB695_17:                             ;   in Loop: Header=BB695_4 Depth=1
	v_mov_b32_e32 v14, 0
.LBB695_18:                             ;   in Loop: Header=BB695_4 Depth=1
	s_mov_b32 s34, exec_lo
	s_or_b32 exec_lo, exec_lo, s36
	s_delay_alu instid0(SALU_CYCLE_1)
	s_and_b32 vcc_lo, exec_lo, s35
	s_cbranch_vccz .LBB695_40
.LBB695_19:                             ;   in Loop: Header=BB695_4 Depth=1
	v_add_nc_u64_e32 v[12:13], v[12:13], v[2:3]
	v_mov_b32_e32 v22, 0
	s_delay_alu instid0(VALU_DEP_2)
	v_lshl_add_u64 v[12:13], s[22:23], 1, v[12:13]
	s_and_saveexec_b32 s35, s1
	s_cbranch_execnz .LBB695_28
; %bb.20:                               ;   in Loop: Header=BB695_4 Depth=1
	s_or_b32 exec_lo, exec_lo, s35
	s_and_saveexec_b32 s35, s2
	s_cbranch_execnz .LBB695_43
.LBB695_21:                             ;   in Loop: Header=BB695_4 Depth=1
	s_or_b32 exec_lo, exec_lo, s35
	s_and_saveexec_b32 s35, s3
.LBB695_22:                             ;   in Loop: Header=BB695_4 Depth=1
	ds_store_b32 v1, v3
.LBB695_23:                             ;   in Loop: Header=BB695_4 Depth=1
	s_or_b32 exec_lo, exec_lo, s35
	ds_bpermute_b32 v11, v21, v22
	v_cmp_gt_u32_e32 vcc_lo, 24, v20
	s_wait_dscnt 0x0
	s_barrier_signal -1
	s_barrier_wait -1
	v_cndmask_b32_e64 v10, 0, 8, vcc_lo
	v_cmp_gt_u32_e32 vcc_lo, 28, v20
	s_delay_alu instid0(VALU_DEP_2)
	v_add_lshl_u32 v10, v10, v20, 2
	v_add_f32_e32 v12, v22, v11
	v_cndmask_b32_e64 v11, 0, 4, vcc_lo
	v_cmp_gt_u32_e32 vcc_lo, 30, v20
	ds_bpermute_b32 v13, v10, v12
	v_add_lshl_u32 v11, v11, v20, 2
	s_wait_dscnt 0x0
	v_add_f32_e32 v13, v12, v13
	v_cndmask_b32_e64 v12, 0, 2, vcc_lo
	v_cmp_ne_u32_e32 vcc_lo, 31, v20
	ds_bpermute_b32 v14, v11, v13
	v_add_lshl_u32 v12, v12, v20, 2
	v_add_co_ci_u32_e64 v15, null, 0, v20, vcc_lo
	s_wait_dscnt 0x0
	v_add_f32_e32 v13, v13, v14
	ds_bpermute_b32 v14, v12, v13
	s_wait_dscnt 0x0
	v_dual_add_f32 v14, v13, v14 :: v_dual_lshlrev_b32 v13, 2, v15
	ds_bpermute_b32 v15, v13, v14
	s_and_saveexec_b32 s35, s4
	s_cbranch_execz .LBB695_25
; %bb.24:                               ;   in Loop: Header=BB695_4 Depth=1
	s_wait_dscnt 0x0
	v_add_f32_e32 v14, v14, v15
	ds_store_b32 v19, v14
.LBB695_25:                             ;   in Loop: Header=BB695_4 Depth=1
	s_or_b32 exec_lo, exec_lo, s35
	s_wait_dscnt 0x0
	v_mov_b32_e32 v15, 0
	s_barrier_signal -1
	s_barrier_wait -1
	s_and_saveexec_b32 s35, s3
	s_cbranch_execnz .LBB695_34
; %bb.26:                               ;   in Loop: Header=BB695_4 Depth=1
	s_or_b32 exec_lo, exec_lo, s35
	s_and_saveexec_b32 s35, s3
	s_cbranch_execnz .LBB695_35
.LBB695_27:                             ;   in Loop: Header=BB695_4 Depth=1
	s_or_b32 exec_lo, exec_lo, s35
                                        ; implicit-def: $vgpr14
	s_and_saveexec_b32 s35, s0
	s_cbranch_execnz .LBB695_36
	s_branch .LBB695_39
.LBB695_28:                             ;   in Loop: Header=BB695_4 Depth=1
	s_wait_dscnt 0x0
	v_add_nc_u64_e32 v[14:15], v[10:11], v[6:7]
	v_mov_b64_e32 v[16:17], v[12:13]
	v_dual_mov_b32 v22, 0 :: v_dual_mov_b32 v23, v0
	s_mov_b32 s36, 0
	s_branch .LBB695_30
.LBB695_29:                             ;   in Loop: Header=BB695_30 Depth=2
	s_or_b32 exec_lo, exec_lo, s37
	s_delay_alu instid0(VALU_DEP_1) | instskip(SKIP_3) | instid1(VALU_DEP_4)
	v_and_b32_e32 v24, 0xffff0000, v25
	v_add_nc_u32_e32 v23, 0x400, v23
	v_add_nc_u64_e32 v[16:17], 0x800, v[16:17]
	v_add_nc_u64_e32 v[14:15], s[24:25], v[14:15]
	v_add_f32_e32 v22, v22, v24
	s_delay_alu instid0(VALU_DEP_4) | instskip(SKIP_1) | instid1(SALU_CYCLE_1)
	v_cmp_le_i32_e32 vcc_lo, s20, v23
	s_or_b32 s36, vcc_lo, s36
	s_and_not1_b32 exec_lo, exec_lo, s36
	s_cbranch_execz .LBB695_42
.LBB695_30:                             ;   Parent Loop BB695_4 Depth=1
                                        ; =>  This Inner Loop Header: Depth=2
	flat_load_u16 v24, v[16:17]
	flat_load_u16 v25, v[14:15]
	s_wait_loadcnt_dscnt 0x0
	v_dual_lshlrev_b32 v24, 16, v24 :: v_dual_lshlrev_b32 v25, 16, v25
	s_delay_alu instid0(VALU_DEP_1) | instskip(NEXT) | instid1(VALU_DEP_1)
	v_mul_f32_e32 v24, v25, v24
	v_and_b32_e32 v25, 0x7f800000, v24
	s_delay_alu instid0(VALU_DEP_1) | instskip(SKIP_2) | instid1(SALU_CYCLE_1)
	v_cmp_ne_u32_e32 vcc_lo, 0x7f800000, v25
                                        ; implicit-def: $vgpr25
	s_wait_xcnt 0x0
	s_and_saveexec_b32 s37, vcc_lo
	s_xor_b32 s37, exec_lo, s37
; %bb.31:                               ;   in Loop: Header=BB695_30 Depth=2
	v_bfe_u32 v25, v24, 16, 1
	s_delay_alu instid0(VALU_DEP_1)
	v_add3_u32 v25, v24, v25, 0x7fff
                                        ; implicit-def: $vgpr24
; %bb.32:                               ;   in Loop: Header=BB695_30 Depth=2
	s_and_not1_saveexec_b32 s37, s37
	s_cbranch_execz .LBB695_29
; %bb.33:                               ;   in Loop: Header=BB695_30 Depth=2
	v_and_b32_e32 v25, 0xffff, v24
	v_or_b32_e32 v26, 0x10000, v24
	s_delay_alu instid0(VALU_DEP_2) | instskip(NEXT) | instid1(VALU_DEP_2)
	v_cmp_eq_u32_e32 vcc_lo, 0, v25
	v_cndmask_b32_e32 v25, v26, v24, vcc_lo
	s_branch .LBB695_29
.LBB695_34:                             ;   in Loop: Header=BB695_4 Depth=1
	ds_load_b32 v15, v1
	s_or_b32 exec_lo, exec_lo, s35
	s_and_saveexec_b32 s35, s3
	s_cbranch_execz .LBB695_27
.LBB695_35:                             ;   in Loop: Header=BB695_4 Depth=1
	s_wait_dscnt 0x0
	ds_bpermute_b32 v14, v21, v15
	s_wait_dscnt 0x0
	v_add_f32_e32 v14, v15, v14
	ds_bpermute_b32 v10, v10, v14
	s_wait_dscnt 0x0
	v_add_f32_e32 v10, v14, v10
	;; [unrolled: 3-line block ×5, first 2 shown]
	s_or_b32 exec_lo, exec_lo, s35
                                        ; implicit-def: $vgpr14
	s_and_saveexec_b32 s35, s0
	s_cbranch_execz .LBB695_39
.LBB695_36:                             ;   in Loop: Header=BB695_4 Depth=1
	s_wait_dscnt 0x0
	v_mul_f32_e32 v14, s28, v15
	s_and_not1_b32 vcc_lo, exec_lo, s33
	s_cbranch_vccnz .LBB695_38
; %bb.37:                               ;   in Loop: Header=BB695_4 Depth=1
	v_add_nc_u64_e32 v[10:11], s[26:27], v[8:9]
	flat_load_b32 v10, v[10:11]
	s_wait_loadcnt_dscnt 0x0
	v_fmac_f32_e32 v14, s29, v10
.LBB695_38:                             ;   in Loop: Header=BB695_4 Depth=1
	s_or_b32 s34, s34, exec_lo
.LBB695_39:                             ;   in Loop: Header=BB695_4 Depth=1
	s_wait_xcnt 0x0
	s_or_b32 exec_lo, exec_lo, s35
.LBB695_40:                             ;   in Loop: Header=BB695_4 Depth=1
	s_and_saveexec_b32 s35, s34
	s_cbranch_execz .LBB695_2
; %bb.41:                               ;   in Loop: Header=BB695_4 Depth=1
	v_add_nc_u64_e32 v[8:9], s[26:27], v[8:9]
	flat_store_b32 v[8:9], v14
	s_branch .LBB695_2
.LBB695_42:                             ;   in Loop: Header=BB695_4 Depth=1
	s_or_b32 exec_lo, exec_lo, s36
	s_delay_alu instid0(SALU_CYCLE_1)
	s_or_b32 exec_lo, exec_lo, s35
	s_and_saveexec_b32 s35, s2
	s_cbranch_execz .LBB695_21
.LBB695_43:                             ;   in Loop: Header=BB695_4 Depth=1
	v_lshl_add_u64 v[12:13], s[20:21], 1, v[12:13]
	v_lshl_add_u64 v[10:11], v[4:5], 1, v[10:11]
	flat_load_u16 v14, v[12:13]
	s_wait_dscnt 0x1
	flat_load_u16 v15, v[10:11]
	s_wait_loadcnt_dscnt 0x0
	s_wait_xcnt 0x0
	v_dual_lshlrev_b32 v10, 16, v14 :: v_dual_lshlrev_b32 v11, 16, v15
	s_delay_alu instid0(VALU_DEP_1) | instskip(NEXT) | instid1(VALU_DEP_1)
	v_mul_f32_e32 v10, v11, v10
	v_and_b32_e32 v11, 0x7f800000, v10
	s_delay_alu instid0(VALU_DEP_1) | instskip(SKIP_1) | instid1(SALU_CYCLE_1)
	v_cmp_ne_u32_e32 vcc_lo, 0x7f800000, v11
                                        ; implicit-def: $vgpr11
	s_and_saveexec_b32 s36, vcc_lo
	s_xor_b32 s36, exec_lo, s36
; %bb.44:                               ;   in Loop: Header=BB695_4 Depth=1
	v_bfe_u32 v11, v10, 16, 1
	s_delay_alu instid0(VALU_DEP_1)
	v_add3_u32 v11, v10, v11, 0x7fff
                                        ; implicit-def: $vgpr10
; %bb.45:                               ;   in Loop: Header=BB695_4 Depth=1
	s_and_not1_saveexec_b32 s36, s36
; %bb.46:                               ;   in Loop: Header=BB695_4 Depth=1
	v_and_b32_e32 v11, 0xffff, v10
	v_or_b32_e32 v12, 0x10000, v10
	s_delay_alu instid0(VALU_DEP_2) | instskip(NEXT) | instid1(VALU_DEP_2)
	v_cmp_eq_u32_e32 vcc_lo, 0, v11
	v_cndmask_b32_e32 v11, v12, v10, vcc_lo
; %bb.47:                               ;   in Loop: Header=BB695_4 Depth=1
	s_or_b32 exec_lo, exec_lo, s36
	s_delay_alu instid0(VALU_DEP_1) | instskip(NEXT) | instid1(VALU_DEP_1)
	v_and_b32_e32 v10, 0xffff0000, v11
	v_add_f32_e32 v22, v22, v10
	s_or_b32 exec_lo, exec_lo, s35
	s_and_saveexec_b32 s35, s3
	s_cbranch_execnz .LBB695_22
	s_branch .LBB695_23
.LBB695_48:
	s_endpgm
	.section	.rodata,"a",@progbits
	.p2align	6, 0x0
	.amdhsa_kernel _ZL32rocblas_gemvt_warp_reduce_kernelILb1ELi1024ElPK16rocblas_bfloat16fKPfEviiT3_lPKT2_lT1_lS8_lS9_lS5_lPT4_lS9_li
		.amdhsa_group_segment_fixed_size 128
		.amdhsa_private_segment_fixed_size 0
		.amdhsa_kernarg_size 140
		.amdhsa_user_sgpr_count 2
		.amdhsa_user_sgpr_dispatch_ptr 0
		.amdhsa_user_sgpr_queue_ptr 0
		.amdhsa_user_sgpr_kernarg_segment_ptr 1
		.amdhsa_user_sgpr_dispatch_id 0
		.amdhsa_user_sgpr_kernarg_preload_length 0
		.amdhsa_user_sgpr_kernarg_preload_offset 0
		.amdhsa_user_sgpr_private_segment_size 0
		.amdhsa_wavefront_size32 1
		.amdhsa_uses_dynamic_stack 0
		.amdhsa_enable_private_segment 0
		.amdhsa_system_sgpr_workgroup_id_x 1
		.amdhsa_system_sgpr_workgroup_id_y 0
		.amdhsa_system_sgpr_workgroup_id_z 1
		.amdhsa_system_sgpr_workgroup_info 0
		.amdhsa_system_vgpr_workitem_id 0
		.amdhsa_next_free_vgpr 27
		.amdhsa_next_free_sgpr 38
		.amdhsa_named_barrier_count 0
		.amdhsa_reserve_vcc 1
		.amdhsa_float_round_mode_32 0
		.amdhsa_float_round_mode_16_64 0
		.amdhsa_float_denorm_mode_32 3
		.amdhsa_float_denorm_mode_16_64 3
		.amdhsa_fp16_overflow 0
		.amdhsa_memory_ordered 1
		.amdhsa_forward_progress 1
		.amdhsa_inst_pref_size 14
		.amdhsa_round_robin_scheduling 0
		.amdhsa_exception_fp_ieee_invalid_op 0
		.amdhsa_exception_fp_denorm_src 0
		.amdhsa_exception_fp_ieee_div_zero 0
		.amdhsa_exception_fp_ieee_overflow 0
		.amdhsa_exception_fp_ieee_underflow 0
		.amdhsa_exception_fp_ieee_inexact 0
		.amdhsa_exception_int_div_zero 0
	.end_amdhsa_kernel
	.section	.text._ZL32rocblas_gemvt_warp_reduce_kernelILb1ELi1024ElPK16rocblas_bfloat16fKPfEviiT3_lPKT2_lT1_lS8_lS9_lS5_lPT4_lS9_li,"axG",@progbits,_ZL32rocblas_gemvt_warp_reduce_kernelILb1ELi1024ElPK16rocblas_bfloat16fKPfEviiT3_lPKT2_lT1_lS8_lS9_lS5_lPT4_lS9_li,comdat
.Lfunc_end695:
	.size	_ZL32rocblas_gemvt_warp_reduce_kernelILb1ELi1024ElPK16rocblas_bfloat16fKPfEviiT3_lPKT2_lT1_lS8_lS9_lS5_lPT4_lS9_li, .Lfunc_end695-_ZL32rocblas_gemvt_warp_reduce_kernelILb1ELi1024ElPK16rocblas_bfloat16fKPfEviiT3_lPKT2_lT1_lS8_lS9_lS5_lPT4_lS9_li
                                        ; -- End function
	.set _ZL32rocblas_gemvt_warp_reduce_kernelILb1ELi1024ElPK16rocblas_bfloat16fKPfEviiT3_lPKT2_lT1_lS8_lS9_lS5_lPT4_lS9_li.num_vgpr, 27
	.set _ZL32rocblas_gemvt_warp_reduce_kernelILb1ELi1024ElPK16rocblas_bfloat16fKPfEviiT3_lPKT2_lT1_lS8_lS9_lS5_lPT4_lS9_li.num_agpr, 0
	.set _ZL32rocblas_gemvt_warp_reduce_kernelILb1ELi1024ElPK16rocblas_bfloat16fKPfEviiT3_lPKT2_lT1_lS8_lS9_lS5_lPT4_lS9_li.numbered_sgpr, 38
	.set _ZL32rocblas_gemvt_warp_reduce_kernelILb1ELi1024ElPK16rocblas_bfloat16fKPfEviiT3_lPKT2_lT1_lS8_lS9_lS5_lPT4_lS9_li.num_named_barrier, 0
	.set _ZL32rocblas_gemvt_warp_reduce_kernelILb1ELi1024ElPK16rocblas_bfloat16fKPfEviiT3_lPKT2_lT1_lS8_lS9_lS5_lPT4_lS9_li.private_seg_size, 0
	.set _ZL32rocblas_gemvt_warp_reduce_kernelILb1ELi1024ElPK16rocblas_bfloat16fKPfEviiT3_lPKT2_lT1_lS8_lS9_lS5_lPT4_lS9_li.uses_vcc, 1
	.set _ZL32rocblas_gemvt_warp_reduce_kernelILb1ELi1024ElPK16rocblas_bfloat16fKPfEviiT3_lPKT2_lT1_lS8_lS9_lS5_lPT4_lS9_li.uses_flat_scratch, 0
	.set _ZL32rocblas_gemvt_warp_reduce_kernelILb1ELi1024ElPK16rocblas_bfloat16fKPfEviiT3_lPKT2_lT1_lS8_lS9_lS5_lPT4_lS9_li.has_dyn_sized_stack, 0
	.set _ZL32rocblas_gemvt_warp_reduce_kernelILb1ELi1024ElPK16rocblas_bfloat16fKPfEviiT3_lPKT2_lT1_lS8_lS9_lS5_lPT4_lS9_li.has_recursion, 0
	.set _ZL32rocblas_gemvt_warp_reduce_kernelILb1ELi1024ElPK16rocblas_bfloat16fKPfEviiT3_lPKT2_lT1_lS8_lS9_lS5_lPT4_lS9_li.has_indirect_call, 0
	.section	.AMDGPU.csdata,"",@progbits
; Kernel info:
; codeLenInByte = 1692
; TotalNumSgprs: 40
; NumVgprs: 27
; ScratchSize: 0
; MemoryBound: 0
; FloatMode: 240
; IeeeMode: 1
; LDSByteSize: 128 bytes/workgroup (compile time only)
; SGPRBlocks: 0
; VGPRBlocks: 1
; NumSGPRsForWavesPerEU: 40
; NumVGPRsForWavesPerEU: 27
; NamedBarCnt: 0
; Occupancy: 16
; WaveLimiterHint : 1
; COMPUTE_PGM_RSRC2:SCRATCH_EN: 0
; COMPUTE_PGM_RSRC2:USER_SGPR: 2
; COMPUTE_PGM_RSRC2:TRAP_HANDLER: 0
; COMPUTE_PGM_RSRC2:TGID_X_EN: 1
; COMPUTE_PGM_RSRC2:TGID_Y_EN: 0
; COMPUTE_PGM_RSRC2:TGID_Z_EN: 1
; COMPUTE_PGM_RSRC2:TIDIG_COMP_CNT: 0
	.section	.AMDGPU.gpr_maximums,"",@progbits
	.set amdgpu.max_num_vgpr, 0
	.set amdgpu.max_num_agpr, 0
	.set amdgpu.max_num_sgpr, 0
	.section	.AMDGPU.csdata,"",@progbits
	.type	__hip_cuid_1e4837779263da65,@object ; @__hip_cuid_1e4837779263da65
	.section	.bss,"aw",@nobits
	.globl	__hip_cuid_1e4837779263da65
__hip_cuid_1e4837779263da65:
	.byte	0                               ; 0x0
	.size	__hip_cuid_1e4837779263da65, 1

	.ident	"AMD clang version 22.0.0git (https://github.com/RadeonOpenCompute/llvm-project roc-7.2.4 26084 f58b06dce1f9c15707c5f808fd002e18c2accf7e)"
	.section	".note.GNU-stack","",@progbits
	.addrsig
	.addrsig_sym __hip_cuid_1e4837779263da65
	.amdgpu_metadata
---
amdhsa.kernels:
  - .args:
      - .offset:         0
        .size:           4
        .value_kind:     by_value
      - .offset:         4
        .size:           4
        .value_kind:     by_value
      - .address_space:  global
        .offset:         8
        .size:           8
        .value_kind:     global_buffer
      - .offset:         16
        .size:           8
        .value_kind:     by_value
      - .address_space:  global
        .offset:         24
        .size:           8
        .value_kind:     global_buffer
      - .offset:         32
        .size:           8
        .value_kind:     by_value
      - .offset:         40
        .size:           4
        .value_kind:     by_value
      - .offset:         48
        .size:           8
        .value_kind:     by_value
      - .address_space:  global
        .offset:         56
        .size:           8
        .value_kind:     global_buffer
      - .offset:         64
        .size:           8
        .value_kind:     by_value
      - .offset:         72
        .size:           4
        .value_kind:     by_value
      - .offset:         80
        .size:           8
        .value_kind:     by_value
      - .address_space:  global
        .offset:         88
        .size:           8
        .value_kind:     global_buffer
      - .offset:         96
        .size:           8
        .value_kind:     by_value
      - .address_space:  global
        .offset:         104
        .size:           8
        .value_kind:     global_buffer
      - .offset:         112
        .size:           8
        .value_kind:     by_value
      - .offset:         120
        .size:           4
        .value_kind:     by_value
      - .offset:         128
        .size:           8
        .value_kind:     by_value
      - .offset:         136
        .size:           4
        .value_kind:     by_value
    .group_segment_fixed_size: 0
    .kernarg_segment_align: 8
    .kernarg_segment_size: 140
    .language:       OpenCL C
    .language_version:
      - 2
      - 0
    .max_flat_workgroup_size: 768
    .name:           _ZL34rocblas_gemvn_sm_mn_batched_kernelILi32ELi24EfPKffEviiT2_lPKT1_lilS5_lilS2_lPT3_lili
    .private_segment_fixed_size: 0
    .sgpr_count:     0
    .sgpr_spill_count: 0
    .symbol:         _ZL34rocblas_gemvn_sm_mn_batched_kernelILi32ELi24EfPKffEviiT2_lPKT1_lilS5_lilS2_lPT3_lili.kd
    .uniform_work_group_size: 1
    .uses_dynamic_stack: false
    .vgpr_count:     0
    .vgpr_spill_count: 0
    .wavefront_size: 32
  - .args:
      - .offset:         0
        .size:           4
        .value_kind:     by_value
      - .offset:         4
        .size:           4
        .value_kind:     by_value
      - .offset:         8
        .size:           4
        .value_kind:     by_value
      - .offset:         16
        .size:           8
        .value_kind:     by_value
      - .address_space:  global
        .offset:         24
        .size:           8
        .value_kind:     global_buffer
      - .offset:         32
        .size:           8
        .value_kind:     by_value
      - .offset:         40
        .size:           4
        .value_kind:     by_value
      - .offset:         48
        .size:           8
        .value_kind:     by_value
      - .address_space:  global
        .offset:         56
        .size:           8
        .value_kind:     global_buffer
      - .offset:         64
        .size:           8
        .value_kind:     by_value
      - .offset:         72
        .size:           4
        .value_kind:     by_value
      - .offset:         80
        .size:           8
        .value_kind:     by_value
      - .offset:         88
        .size:           4
        .value_kind:     by_value
      - .offset:         96
        .size:           8
        .value_kind:     by_value
      - .address_space:  global
        .offset:         104
        .size:           8
        .value_kind:     global_buffer
      - .offset:         112
        .size:           8
        .value_kind:     by_value
      - .offset:         120
        .size:           4
        .value_kind:     by_value
      - .offset:         128
        .size:           8
        .value_kind:     by_value
      - .offset:         136
        .size:           4
        .value_kind:     by_value
    .group_segment_fixed_size: 0
    .kernarg_segment_align: 8
    .kernarg_segment_size: 140
    .language:       OpenCL C
    .language_version:
      - 2
      - 0
    .max_flat_workgroup_size: 768
    .name:           _ZL34rocblas_gemvn_sm_mn_batched_kernelILi32ELi24EfffEviiT2_lPKT1_lilS3_lilS0_lPT3_lili
    .private_segment_fixed_size: 0
    .sgpr_count:     0
    .sgpr_spill_count: 0
    .symbol:         _ZL34rocblas_gemvn_sm_mn_batched_kernelILi32ELi24EfffEviiT2_lPKT1_lilS3_lilS0_lPT3_lili.kd
    .uniform_work_group_size: 1
    .uses_dynamic_stack: false
    .vgpr_count:     0
    .vgpr_spill_count: 0
    .wavefront_size: 32
  - .args:
      - .offset:         0
        .size:           4
        .value_kind:     by_value
      - .offset:         4
        .size:           4
        .value_kind:     by_value
      - .address_space:  global
        .offset:         8
        .size:           8
        .value_kind:     global_buffer
      - .offset:         16
        .size:           8
        .value_kind:     by_value
      - .address_space:  global
        .offset:         24
        .size:           8
        .value_kind:     global_buffer
      - .offset:         32
        .size:           8
        .value_kind:     by_value
      - .offset:         40
        .size:           4
        .value_kind:     by_value
      - .offset:         48
        .size:           8
        .value_kind:     by_value
      - .address_space:  global
        .offset:         56
        .size:           8
        .value_kind:     global_buffer
      - .offset:         64
        .size:           8
        .value_kind:     by_value
      - .offset:         72
        .size:           4
        .value_kind:     by_value
      - .offset:         80
        .size:           8
        .value_kind:     by_value
      - .address_space:  global
        .offset:         88
        .size:           8
        .value_kind:     global_buffer
      - .offset:         96
        .size:           8
        .value_kind:     by_value
      - .address_space:  global
        .offset:         104
        .size:           8
        .value_kind:     global_buffer
      - .offset:         112
        .size:           8
        .value_kind:     by_value
      - .offset:         120
        .size:           4
        .value_kind:     by_value
      - .offset:         128
        .size:           8
        .value_kind:     by_value
      - .offset:         136
        .size:           4
        .value_kind:     by_value
      - .offset:         144
        .size:           4
        .value_kind:     hidden_block_count_x
      - .offset:         148
        .size:           4
        .value_kind:     hidden_block_count_y
      - .offset:         152
        .size:           4
        .value_kind:     hidden_block_count_z
      - .offset:         156
        .size:           2
        .value_kind:     hidden_group_size_x
      - .offset:         158
        .size:           2
        .value_kind:     hidden_group_size_y
      - .offset:         160
        .size:           2
        .value_kind:     hidden_group_size_z
      - .offset:         162
        .size:           2
        .value_kind:     hidden_remainder_x
      - .offset:         164
        .size:           2
        .value_kind:     hidden_remainder_y
      - .offset:         166
        .size:           2
        .value_kind:     hidden_remainder_z
      - .offset:         184
        .size:           8
        .value_kind:     hidden_global_offset_x
      - .offset:         192
        .size:           8
        .value_kind:     hidden_global_offset_y
      - .offset:         200
        .size:           8
        .value_kind:     hidden_global_offset_z
      - .offset:         208
        .size:           2
        .value_kind:     hidden_grid_dims
    .group_segment_fixed_size: 4096
    .kernarg_segment_align: 8
    .kernarg_segment_size: 400
    .language:       OpenCL C
    .language_version:
      - 2
      - 0
    .max_flat_workgroup_size: 256
    .name:           _ZL20rocblas_gemvn_kernelILi64ELi4EifPKffEviiT3_lPKT2_lT1_lS5_lS6_lS2_lPT4_lS6_li
    .private_segment_fixed_size: 0
    .sgpr_count:     57
    .sgpr_spill_count: 0
    .symbol:         _ZL20rocblas_gemvn_kernelILi64ELi4EifPKffEviiT3_lPKT2_lT1_lS5_lS6_lS2_lPT4_lS6_li.kd
    .uniform_work_group_size: 1
    .uses_dynamic_stack: false
    .vgpr_count:     51
    .vgpr_spill_count: 0
    .wavefront_size: 32
  - .args:
      - .offset:         0
        .size:           4
        .value_kind:     by_value
      - .offset:         4
        .size:           4
        .value_kind:     by_value
      - .address_space:  global
        .offset:         8
        .size:           8
        .value_kind:     global_buffer
      - .offset:         16
        .size:           8
        .value_kind:     by_value
      - .address_space:  global
        .offset:         24
        .size:           8
        .value_kind:     global_buffer
      - .offset:         32
        .size:           8
        .value_kind:     by_value
      - .offset:         40
        .size:           8
        .value_kind:     by_value
      - .offset:         48
        .size:           8
        .value_kind:     by_value
      - .address_space:  global
        .offset:         56
        .size:           8
        .value_kind:     global_buffer
      - .offset:         64
        .size:           8
        .value_kind:     by_value
      - .offset:         72
        .size:           8
        .value_kind:     by_value
      - .offset:         80
        .size:           8
        .value_kind:     by_value
      - .address_space:  global
        .offset:         88
        .size:           8
        .value_kind:     global_buffer
      - .offset:         96
        .size:           8
        .value_kind:     by_value
      - .address_space:  global
        .offset:         104
        .size:           8
        .value_kind:     global_buffer
      - .offset:         112
        .size:           8
        .value_kind:     by_value
      - .offset:         120
        .size:           8
        .value_kind:     by_value
      - .offset:         128
        .size:           8
        .value_kind:     by_value
      - .offset:         136
        .size:           4
        .value_kind:     by_value
      - .offset:         144
        .size:           4
        .value_kind:     hidden_block_count_x
      - .offset:         148
        .size:           4
        .value_kind:     hidden_block_count_y
      - .offset:         152
        .size:           4
        .value_kind:     hidden_block_count_z
      - .offset:         156
        .size:           2
        .value_kind:     hidden_group_size_x
      - .offset:         158
        .size:           2
        .value_kind:     hidden_group_size_y
      - .offset:         160
        .size:           2
        .value_kind:     hidden_group_size_z
      - .offset:         162
        .size:           2
        .value_kind:     hidden_remainder_x
      - .offset:         164
        .size:           2
        .value_kind:     hidden_remainder_y
      - .offset:         166
        .size:           2
        .value_kind:     hidden_remainder_z
      - .offset:         184
        .size:           8
        .value_kind:     hidden_global_offset_x
      - .offset:         192
        .size:           8
        .value_kind:     hidden_global_offset_y
      - .offset:         200
        .size:           8
        .value_kind:     hidden_global_offset_z
      - .offset:         208
        .size:           2
        .value_kind:     hidden_grid_dims
    .group_segment_fixed_size: 4096
    .kernarg_segment_align: 8
    .kernarg_segment_size: 400
    .language:       OpenCL C
    .language_version:
      - 2
      - 0
    .max_flat_workgroup_size: 256
    .name:           _ZL20rocblas_gemvn_kernelILi64ELi4ElfPKffEviiT3_lPKT2_lT1_lS5_lS6_lS2_lPT4_lS6_li
    .private_segment_fixed_size: 0
    .sgpr_count:     62
    .sgpr_spill_count: 0
    .symbol:         _ZL20rocblas_gemvn_kernelILi64ELi4ElfPKffEviiT3_lPKT2_lT1_lS5_lS6_lS2_lPT4_lS6_li.kd
    .uniform_work_group_size: 1
    .uses_dynamic_stack: false
    .vgpr_count:     72
    .vgpr_spill_count: 0
    .wavefront_size: 32
  - .args:
      - .offset:         0
        .size:           4
        .value_kind:     by_value
      - .offset:         4
        .size:           4
        .value_kind:     by_value
      - .offset:         8
        .size:           4
        .value_kind:     by_value
      - .offset:         16
        .size:           8
        .value_kind:     by_value
      - .address_space:  global
        .offset:         24
        .size:           8
        .value_kind:     global_buffer
      - .offset:         32
        .size:           8
        .value_kind:     by_value
      - .offset:         40
        .size:           4
        .value_kind:     by_value
      - .offset:         48
        .size:           8
        .value_kind:     by_value
      - .address_space:  global
        .offset:         56
        .size:           8
        .value_kind:     global_buffer
      - .offset:         64
        .size:           8
        .value_kind:     by_value
      - .offset:         72
        .size:           4
        .value_kind:     by_value
      - .offset:         80
        .size:           8
        .value_kind:     by_value
      - .offset:         88
        .size:           4
        .value_kind:     by_value
      - .offset:         96
        .size:           8
        .value_kind:     by_value
      - .address_space:  global
        .offset:         104
        .size:           8
        .value_kind:     global_buffer
      - .offset:         112
        .size:           8
        .value_kind:     by_value
      - .offset:         120
        .size:           4
        .value_kind:     by_value
      - .offset:         128
        .size:           8
        .value_kind:     by_value
      - .offset:         136
        .size:           4
        .value_kind:     by_value
      - .offset:         144
        .size:           4
        .value_kind:     hidden_block_count_x
      - .offset:         148
        .size:           4
        .value_kind:     hidden_block_count_y
      - .offset:         152
        .size:           4
        .value_kind:     hidden_block_count_z
      - .offset:         156
        .size:           2
        .value_kind:     hidden_group_size_x
      - .offset:         158
        .size:           2
        .value_kind:     hidden_group_size_y
      - .offset:         160
        .size:           2
        .value_kind:     hidden_group_size_z
      - .offset:         162
        .size:           2
        .value_kind:     hidden_remainder_x
      - .offset:         164
        .size:           2
        .value_kind:     hidden_remainder_y
      - .offset:         166
        .size:           2
        .value_kind:     hidden_remainder_z
      - .offset:         184
        .size:           8
        .value_kind:     hidden_global_offset_x
      - .offset:         192
        .size:           8
        .value_kind:     hidden_global_offset_y
      - .offset:         200
        .size:           8
        .value_kind:     hidden_global_offset_z
      - .offset:         208
        .size:           2
        .value_kind:     hidden_grid_dims
    .group_segment_fixed_size: 4096
    .kernarg_segment_align: 8
    .kernarg_segment_size: 400
    .language:       OpenCL C
    .language_version:
      - 2
      - 0
    .max_flat_workgroup_size: 256
    .name:           _ZL20rocblas_gemvn_kernelILi64ELi4EifffEviiT3_lPKT2_lT1_lS3_lS4_lS0_lPT4_lS4_li
    .private_segment_fixed_size: 0
    .sgpr_count:     53
    .sgpr_spill_count: 0
    .symbol:         _ZL20rocblas_gemvn_kernelILi64ELi4EifffEviiT3_lPKT2_lT1_lS3_lS4_lS0_lPT4_lS4_li.kd
    .uniform_work_group_size: 1
    .uses_dynamic_stack: false
    .vgpr_count:     54
    .vgpr_spill_count: 0
    .wavefront_size: 32
  - .args:
      - .offset:         0
        .size:           4
        .value_kind:     by_value
      - .offset:         4
        .size:           4
        .value_kind:     by_value
      - .offset:         8
        .size:           4
        .value_kind:     by_value
      - .offset:         16
        .size:           8
        .value_kind:     by_value
      - .address_space:  global
        .offset:         24
        .size:           8
        .value_kind:     global_buffer
      - .offset:         32
        .size:           8
        .value_kind:     by_value
      - .offset:         40
        .size:           8
        .value_kind:     by_value
      - .offset:         48
        .size:           8
        .value_kind:     by_value
      - .address_space:  global
        .offset:         56
        .size:           8
        .value_kind:     global_buffer
      - .offset:         64
        .size:           8
        .value_kind:     by_value
      - .offset:         72
        .size:           8
        .value_kind:     by_value
      - .offset:         80
        .size:           8
        .value_kind:     by_value
      - .offset:         88
        .size:           4
        .value_kind:     by_value
      - .offset:         96
        .size:           8
        .value_kind:     by_value
      - .address_space:  global
        .offset:         104
        .size:           8
        .value_kind:     global_buffer
      - .offset:         112
        .size:           8
        .value_kind:     by_value
      - .offset:         120
        .size:           8
        .value_kind:     by_value
      - .offset:         128
        .size:           8
        .value_kind:     by_value
      - .offset:         136
        .size:           4
        .value_kind:     by_value
      - .offset:         144
        .size:           4
        .value_kind:     hidden_block_count_x
      - .offset:         148
        .size:           4
        .value_kind:     hidden_block_count_y
      - .offset:         152
        .size:           4
        .value_kind:     hidden_block_count_z
      - .offset:         156
        .size:           2
        .value_kind:     hidden_group_size_x
      - .offset:         158
        .size:           2
        .value_kind:     hidden_group_size_y
      - .offset:         160
        .size:           2
        .value_kind:     hidden_group_size_z
      - .offset:         162
        .size:           2
        .value_kind:     hidden_remainder_x
      - .offset:         164
        .size:           2
        .value_kind:     hidden_remainder_y
      - .offset:         166
        .size:           2
        .value_kind:     hidden_remainder_z
      - .offset:         184
        .size:           8
        .value_kind:     hidden_global_offset_x
      - .offset:         192
        .size:           8
        .value_kind:     hidden_global_offset_y
      - .offset:         200
        .size:           8
        .value_kind:     hidden_global_offset_z
      - .offset:         208
        .size:           2
        .value_kind:     hidden_grid_dims
    .group_segment_fixed_size: 4096
    .kernarg_segment_align: 8
    .kernarg_segment_size: 400
    .language:       OpenCL C
    .language_version:
      - 2
      - 0
    .max_flat_workgroup_size: 256
    .name:           _ZL20rocblas_gemvn_kernelILi64ELi4ElfffEviiT3_lPKT2_lT1_lS3_lS4_lS0_lPT4_lS4_li
    .private_segment_fixed_size: 0
    .sgpr_count:     58
    .sgpr_spill_count: 0
    .symbol:         _ZL20rocblas_gemvn_kernelILi64ELi4ElfffEviiT3_lPKT2_lT1_lS3_lS4_lS0_lPT4_lS4_li.kd
    .uniform_work_group_size: 1
    .uses_dynamic_stack: false
    .vgpr_count:     71
    .vgpr_spill_count: 0
    .wavefront_size: 32
  - .args:
      - .offset:         0
        .size:           4
        .value_kind:     by_value
      - .address_space:  global
        .offset:         8
        .size:           8
        .value_kind:     global_buffer
      - .offset:         16
        .size:           8
        .value_kind:     by_value
      - .address_space:  global
        .offset:         24
        .size:           8
        .value_kind:     global_buffer
      - .offset:         32
        .size:           8
        .value_kind:     by_value
      - .offset:         40
        .size:           4
        .value_kind:     by_value
      - .offset:         48
        .size:           8
        .value_kind:     by_value
      - .offset:         56
        .size:           4
        .value_kind:     by_value
      - .offset:         64
        .size:           4
        .value_kind:     hidden_block_count_x
      - .offset:         68
        .size:           4
        .value_kind:     hidden_block_count_y
      - .offset:         72
        .size:           4
        .value_kind:     hidden_block_count_z
      - .offset:         76
        .size:           2
        .value_kind:     hidden_group_size_x
      - .offset:         78
        .size:           2
        .value_kind:     hidden_group_size_y
      - .offset:         80
        .size:           2
        .value_kind:     hidden_group_size_z
      - .offset:         82
        .size:           2
        .value_kind:     hidden_remainder_x
      - .offset:         84
        .size:           2
        .value_kind:     hidden_remainder_y
      - .offset:         86
        .size:           2
        .value_kind:     hidden_remainder_z
      - .offset:         104
        .size:           8
        .value_kind:     hidden_global_offset_x
      - .offset:         112
        .size:           8
        .value_kind:     hidden_global_offset_y
      - .offset:         120
        .size:           8
        .value_kind:     hidden_global_offset_z
      - .offset:         128
        .size:           2
        .value_kind:     hidden_grid_dims
    .group_segment_fixed_size: 0
    .kernarg_segment_align: 8
    .kernarg_segment_size: 320
    .language:       OpenCL C
    .language_version:
      - 2
      - 0
    .max_flat_workgroup_size: 256
    .name:           _ZL24rocblas_gemv_scal_kernelILi256EPKfPfEviT0_lT1_lili
    .private_segment_fixed_size: 0
    .sgpr_count:     24
    .sgpr_spill_count: 0
    .symbol:         _ZL24rocblas_gemv_scal_kernelILi256EPKfPfEviT0_lT1_lili.kd
    .uniform_work_group_size: 1
    .uses_dynamic_stack: false
    .vgpr_count:     6
    .vgpr_spill_count: 0
    .wavefront_size: 32
  - .args:
      - .offset:         0
        .size:           4
        .value_kind:     by_value
      - .offset:         4
        .size:           4
        .value_kind:     by_value
      - .offset:         8
        .size:           8
        .value_kind:     by_value
      - .address_space:  global
        .offset:         16
        .size:           8
        .value_kind:     global_buffer
      - .offset:         24
        .size:           8
        .value_kind:     by_value
      - .offset:         32
        .size:           4
        .value_kind:     by_value
      - .offset:         40
        .size:           8
        .value_kind:     by_value
      - .offset:         48
        .size:           4
        .value_kind:     by_value
      - .offset:         56
        .size:           4
        .value_kind:     hidden_block_count_x
      - .offset:         60
        .size:           4
        .value_kind:     hidden_block_count_y
      - .offset:         64
        .size:           4
        .value_kind:     hidden_block_count_z
      - .offset:         68
        .size:           2
        .value_kind:     hidden_group_size_x
      - .offset:         70
        .size:           2
        .value_kind:     hidden_group_size_y
      - .offset:         72
        .size:           2
        .value_kind:     hidden_group_size_z
      - .offset:         74
        .size:           2
        .value_kind:     hidden_remainder_x
      - .offset:         76
        .size:           2
        .value_kind:     hidden_remainder_y
      - .offset:         78
        .size:           2
        .value_kind:     hidden_remainder_z
      - .offset:         96
        .size:           8
        .value_kind:     hidden_global_offset_x
      - .offset:         104
        .size:           8
        .value_kind:     hidden_global_offset_y
      - .offset:         112
        .size:           8
        .value_kind:     hidden_global_offset_z
      - .offset:         120
        .size:           2
        .value_kind:     hidden_grid_dims
    .group_segment_fixed_size: 0
    .kernarg_segment_align: 8
    .kernarg_segment_size: 312
    .language:       OpenCL C
    .language_version:
      - 2
      - 0
    .max_flat_workgroup_size: 256
    .name:           _ZL24rocblas_gemv_scal_kernelILi256EfPfEviT0_lT1_lili
    .private_segment_fixed_size: 0
    .sgpr_count:     26
    .sgpr_spill_count: 0
    .symbol:         _ZL24rocblas_gemv_scal_kernelILi256EfPfEviT0_lT1_lili.kd
    .uniform_work_group_size: 1
    .uses_dynamic_stack: false
    .vgpr_count:     6
    .vgpr_spill_count: 0
    .wavefront_size: 32
  - .args:
      - .offset:         0
        .size:           4
        .value_kind:     by_value
      - .offset:         4
        .size:           4
        .value_kind:     by_value
      - .address_space:  global
        .offset:         8
        .size:           8
        .value_kind:     global_buffer
      - .offset:         16
        .size:           8
        .value_kind:     by_value
      - .address_space:  global
        .offset:         24
        .size:           8
        .value_kind:     global_buffer
      - .offset:         32
        .size:           8
        .value_kind:     by_value
      - .offset:         40
        .size:           4
        .value_kind:     by_value
      - .offset:         48
        .size:           8
        .value_kind:     by_value
      - .address_space:  global
        .offset:         56
        .size:           8
        .value_kind:     global_buffer
      - .offset:         64
        .size:           8
        .value_kind:     by_value
      - .offset:         72
        .size:           4
        .value_kind:     by_value
      - .offset:         80
        .size:           8
        .value_kind:     by_value
      - .address_space:  global
        .offset:         88
        .size:           8
        .value_kind:     global_buffer
      - .offset:         96
        .size:           8
        .value_kind:     by_value
      - .offset:         104
        .size:           4
        .value_kind:     by_value
      - .offset:         112
        .size:           8
        .value_kind:     by_value
      - .offset:         120
        .size:           4
        .value_kind:     by_value
      - .offset:         128
        .size:           4
        .value_kind:     hidden_block_count_x
      - .offset:         132
        .size:           4
        .value_kind:     hidden_block_count_y
      - .offset:         136
        .size:           4
        .value_kind:     hidden_block_count_z
      - .offset:         140
        .size:           2
        .value_kind:     hidden_group_size_x
      - .offset:         142
        .size:           2
        .value_kind:     hidden_group_size_y
      - .offset:         144
        .size:           2
        .value_kind:     hidden_group_size_z
      - .offset:         146
        .size:           2
        .value_kind:     hidden_remainder_x
      - .offset:         148
        .size:           2
        .value_kind:     hidden_remainder_y
      - .offset:         150
        .size:           2
        .value_kind:     hidden_remainder_z
      - .offset:         168
        .size:           8
        .value_kind:     hidden_global_offset_x
      - .offset:         176
        .size:           8
        .value_kind:     hidden_global_offset_y
      - .offset:         184
        .size:           8
        .value_kind:     hidden_global_offset_z
      - .offset:         192
        .size:           2
        .value_kind:     hidden_grid_dims
    .group_segment_fixed_size: 8192
    .kernarg_segment_align: 8
    .kernarg_segment_size: 384
    .language:       OpenCL C
    .language_version:
      - 2
      - 0
    .max_flat_workgroup_size: 1024
    .name:           _ZL36rocblas_gemvn_double_buffered_kernelILi128ELi8ELi8EfPKffEviiT3_lPKT2_lilS5_lilPT4_lili
    .private_segment_fixed_size: 0
    .sgpr_count:     54
    .sgpr_spill_count: 0
    .symbol:         _ZL36rocblas_gemvn_double_buffered_kernelILi128ELi8ELi8EfPKffEviiT3_lPKT2_lilS5_lilPT4_lili.kd
    .uniform_work_group_size: 1
    .uses_dynamic_stack: false
    .vgpr_count:     82
    .vgpr_spill_count: 0
    .wavefront_size: 32
  - .args:
      - .offset:         0
        .size:           4
        .value_kind:     by_value
      - .offset:         4
        .size:           4
        .value_kind:     by_value
      - .offset:         8
        .size:           4
        .value_kind:     by_value
      - .offset:         16
        .size:           8
        .value_kind:     by_value
      - .address_space:  global
        .offset:         24
        .size:           8
        .value_kind:     global_buffer
      - .offset:         32
        .size:           8
        .value_kind:     by_value
      - .offset:         40
        .size:           4
        .value_kind:     by_value
      - .offset:         48
        .size:           8
        .value_kind:     by_value
      - .address_space:  global
        .offset:         56
        .size:           8
        .value_kind:     global_buffer
      - .offset:         64
        .size:           8
        .value_kind:     by_value
      - .offset:         72
        .size:           4
        .value_kind:     by_value
      - .offset:         80
        .size:           8
        .value_kind:     by_value
      - .address_space:  global
        .offset:         88
        .size:           8
        .value_kind:     global_buffer
      - .offset:         96
        .size:           8
        .value_kind:     by_value
      - .offset:         104
        .size:           4
        .value_kind:     by_value
      - .offset:         112
        .size:           8
        .value_kind:     by_value
      - .offset:         120
        .size:           4
        .value_kind:     by_value
      - .offset:         128
        .size:           4
        .value_kind:     hidden_block_count_x
      - .offset:         132
        .size:           4
        .value_kind:     hidden_block_count_y
      - .offset:         136
        .size:           4
        .value_kind:     hidden_block_count_z
      - .offset:         140
        .size:           2
        .value_kind:     hidden_group_size_x
      - .offset:         142
        .size:           2
        .value_kind:     hidden_group_size_y
      - .offset:         144
        .size:           2
        .value_kind:     hidden_group_size_z
      - .offset:         146
        .size:           2
        .value_kind:     hidden_remainder_x
      - .offset:         148
        .size:           2
        .value_kind:     hidden_remainder_y
      - .offset:         150
        .size:           2
        .value_kind:     hidden_remainder_z
      - .offset:         168
        .size:           8
        .value_kind:     hidden_global_offset_x
      - .offset:         176
        .size:           8
        .value_kind:     hidden_global_offset_y
      - .offset:         184
        .size:           8
        .value_kind:     hidden_global_offset_z
      - .offset:         192
        .size:           2
        .value_kind:     hidden_grid_dims
    .group_segment_fixed_size: 8192
    .kernarg_segment_align: 8
    .kernarg_segment_size: 384
    .language:       OpenCL C
    .language_version:
      - 2
      - 0
    .max_flat_workgroup_size: 1024
    .name:           _ZL36rocblas_gemvn_double_buffered_kernelILi128ELi8ELi8EfffEviiT3_lPKT2_lilS3_lilPT4_lili
    .private_segment_fixed_size: 0
    .sgpr_count:     52
    .sgpr_spill_count: 0
    .symbol:         _ZL36rocblas_gemvn_double_buffered_kernelILi128ELi8ELi8EfffEviiT3_lPKT2_lilS3_lilPT4_lili.kd
    .uniform_work_group_size: 1
    .uses_dynamic_stack: false
    .vgpr_count:     82
    .vgpr_spill_count: 0
    .wavefront_size: 32
  - .args:
      - .offset:         0
        .size:           4
        .value_kind:     by_value
      - .offset:         4
        .size:           4
        .value_kind:     by_value
      - .address_space:  global
        .offset:         8
        .size:           8
        .value_kind:     global_buffer
      - .offset:         16
        .size:           8
        .value_kind:     by_value
      - .address_space:  global
        .offset:         24
        .size:           8
        .value_kind:     global_buffer
      - .offset:         32
        .size:           8
        .value_kind:     by_value
      - .offset:         40
        .size:           4
        .value_kind:     by_value
      - .offset:         48
        .size:           8
        .value_kind:     by_value
      - .address_space:  global
        .offset:         56
        .size:           8
        .value_kind:     global_buffer
      - .offset:         64
        .size:           8
        .value_kind:     by_value
      - .offset:         72
        .size:           4
        .value_kind:     by_value
      - .offset:         80
        .size:           8
        .value_kind:     by_value
      - .address_space:  global
        .offset:         88
        .size:           8
        .value_kind:     global_buffer
      - .offset:         96
        .size:           8
        .value_kind:     by_value
      - .address_space:  global
        .offset:         104
        .size:           8
        .value_kind:     global_buffer
      - .offset:         112
        .size:           8
        .value_kind:     by_value
      - .offset:         120
        .size:           4
        .value_kind:     by_value
      - .offset:         128
        .size:           8
        .value_kind:     by_value
      - .offset:         136
        .size:           4
        .value_kind:     by_value
      - .offset:         144
        .size:           4
        .value_kind:     hidden_block_count_x
      - .offset:         148
        .size:           4
        .value_kind:     hidden_block_count_y
      - .offset:         152
        .size:           4
        .value_kind:     hidden_block_count_z
      - .offset:         156
        .size:           2
        .value_kind:     hidden_group_size_x
      - .offset:         158
        .size:           2
        .value_kind:     hidden_group_size_y
      - .offset:         160
        .size:           2
        .value_kind:     hidden_group_size_z
      - .offset:         162
        .size:           2
        .value_kind:     hidden_remainder_x
      - .offset:         164
        .size:           2
        .value_kind:     hidden_remainder_y
      - .offset:         166
        .size:           2
        .value_kind:     hidden_remainder_z
      - .offset:         184
        .size:           8
        .value_kind:     hidden_global_offset_x
      - .offset:         192
        .size:           8
        .value_kind:     hidden_global_offset_y
      - .offset:         200
        .size:           8
        .value_kind:     hidden_global_offset_z
      - .offset:         208
        .size:           2
        .value_kind:     hidden_grid_dims
    .group_segment_fixed_size: 8192
    .kernarg_segment_align: 8
    .kernarg_segment_size: 400
    .language:       OpenCL C
    .language_version:
      - 2
      - 0
    .max_flat_workgroup_size: 512
    .name:           _ZL20rocblas_gemvn_kernelILi32ELi16EifPKffEviiT3_lPKT2_lT1_lS5_lS6_lS2_lPT4_lS6_li
    .private_segment_fixed_size: 0
    .sgpr_count:     57
    .sgpr_spill_count: 0
    .symbol:         _ZL20rocblas_gemvn_kernelILi32ELi16EifPKffEviiT3_lPKT2_lT1_lS5_lS6_lS2_lPT4_lS6_li.kd
    .uniform_work_group_size: 1
    .uses_dynamic_stack: false
    .vgpr_count:     51
    .vgpr_spill_count: 0
    .wavefront_size: 32
  - .args:
      - .offset:         0
        .size:           4
        .value_kind:     by_value
      - .offset:         4
        .size:           4
        .value_kind:     by_value
      - .address_space:  global
        .offset:         8
        .size:           8
        .value_kind:     global_buffer
      - .offset:         16
        .size:           8
        .value_kind:     by_value
      - .address_space:  global
        .offset:         24
        .size:           8
        .value_kind:     global_buffer
      - .offset:         32
        .size:           8
        .value_kind:     by_value
      - .offset:         40
        .size:           8
        .value_kind:     by_value
      - .offset:         48
        .size:           8
        .value_kind:     by_value
      - .address_space:  global
        .offset:         56
        .size:           8
        .value_kind:     global_buffer
      - .offset:         64
        .size:           8
        .value_kind:     by_value
      - .offset:         72
        .size:           8
        .value_kind:     by_value
      - .offset:         80
        .size:           8
        .value_kind:     by_value
      - .address_space:  global
        .offset:         88
        .size:           8
        .value_kind:     global_buffer
      - .offset:         96
        .size:           8
        .value_kind:     by_value
      - .address_space:  global
        .offset:         104
        .size:           8
        .value_kind:     global_buffer
      - .offset:         112
        .size:           8
        .value_kind:     by_value
      - .offset:         120
        .size:           8
        .value_kind:     by_value
      - .offset:         128
        .size:           8
        .value_kind:     by_value
      - .offset:         136
        .size:           4
        .value_kind:     by_value
      - .offset:         144
        .size:           4
        .value_kind:     hidden_block_count_x
      - .offset:         148
        .size:           4
        .value_kind:     hidden_block_count_y
      - .offset:         152
        .size:           4
        .value_kind:     hidden_block_count_z
      - .offset:         156
        .size:           2
        .value_kind:     hidden_group_size_x
      - .offset:         158
        .size:           2
        .value_kind:     hidden_group_size_y
      - .offset:         160
        .size:           2
        .value_kind:     hidden_group_size_z
      - .offset:         162
        .size:           2
        .value_kind:     hidden_remainder_x
      - .offset:         164
        .size:           2
        .value_kind:     hidden_remainder_y
      - .offset:         166
        .size:           2
        .value_kind:     hidden_remainder_z
      - .offset:         184
        .size:           8
        .value_kind:     hidden_global_offset_x
      - .offset:         192
        .size:           8
        .value_kind:     hidden_global_offset_y
      - .offset:         200
        .size:           8
        .value_kind:     hidden_global_offset_z
      - .offset:         208
        .size:           2
        .value_kind:     hidden_grid_dims
    .group_segment_fixed_size: 8192
    .kernarg_segment_align: 8
    .kernarg_segment_size: 400
    .language:       OpenCL C
    .language_version:
      - 2
      - 0
    .max_flat_workgroup_size: 512
    .name:           _ZL20rocblas_gemvn_kernelILi32ELi16ElfPKffEviiT3_lPKT2_lT1_lS5_lS6_lS2_lPT4_lS6_li
    .private_segment_fixed_size: 0
    .sgpr_count:     62
    .sgpr_spill_count: 0
    .symbol:         _ZL20rocblas_gemvn_kernelILi32ELi16ElfPKffEviiT3_lPKT2_lT1_lS5_lS6_lS2_lPT4_lS6_li.kd
    .uniform_work_group_size: 1
    .uses_dynamic_stack: false
    .vgpr_count:     72
    .vgpr_spill_count: 0
    .wavefront_size: 32
  - .args:
      - .offset:         0
        .size:           4
        .value_kind:     by_value
      - .offset:         4
        .size:           4
        .value_kind:     by_value
      - .offset:         8
        .size:           4
        .value_kind:     by_value
      - .offset:         16
        .size:           8
        .value_kind:     by_value
      - .address_space:  global
        .offset:         24
        .size:           8
        .value_kind:     global_buffer
      - .offset:         32
        .size:           8
        .value_kind:     by_value
      - .offset:         40
        .size:           4
        .value_kind:     by_value
      - .offset:         48
        .size:           8
        .value_kind:     by_value
      - .address_space:  global
        .offset:         56
        .size:           8
        .value_kind:     global_buffer
      - .offset:         64
        .size:           8
        .value_kind:     by_value
      - .offset:         72
        .size:           4
        .value_kind:     by_value
      - .offset:         80
        .size:           8
        .value_kind:     by_value
      - .offset:         88
        .size:           4
        .value_kind:     by_value
      - .offset:         96
        .size:           8
        .value_kind:     by_value
      - .address_space:  global
        .offset:         104
        .size:           8
        .value_kind:     global_buffer
      - .offset:         112
        .size:           8
        .value_kind:     by_value
      - .offset:         120
        .size:           4
        .value_kind:     by_value
      - .offset:         128
        .size:           8
        .value_kind:     by_value
      - .offset:         136
        .size:           4
        .value_kind:     by_value
      - .offset:         144
        .size:           4
        .value_kind:     hidden_block_count_x
      - .offset:         148
        .size:           4
        .value_kind:     hidden_block_count_y
      - .offset:         152
        .size:           4
        .value_kind:     hidden_block_count_z
      - .offset:         156
        .size:           2
        .value_kind:     hidden_group_size_x
      - .offset:         158
        .size:           2
        .value_kind:     hidden_group_size_y
      - .offset:         160
        .size:           2
        .value_kind:     hidden_group_size_z
      - .offset:         162
        .size:           2
        .value_kind:     hidden_remainder_x
      - .offset:         164
        .size:           2
        .value_kind:     hidden_remainder_y
      - .offset:         166
        .size:           2
        .value_kind:     hidden_remainder_z
      - .offset:         184
        .size:           8
        .value_kind:     hidden_global_offset_x
      - .offset:         192
        .size:           8
        .value_kind:     hidden_global_offset_y
      - .offset:         200
        .size:           8
        .value_kind:     hidden_global_offset_z
      - .offset:         208
        .size:           2
        .value_kind:     hidden_grid_dims
    .group_segment_fixed_size: 8192
    .kernarg_segment_align: 8
    .kernarg_segment_size: 400
    .language:       OpenCL C
    .language_version:
      - 2
      - 0
    .max_flat_workgroup_size: 512
    .name:           _ZL20rocblas_gemvn_kernelILi32ELi16EifffEviiT3_lPKT2_lT1_lS3_lS4_lS0_lPT4_lS4_li
    .private_segment_fixed_size: 0
    .sgpr_count:     53
    .sgpr_spill_count: 0
    .symbol:         _ZL20rocblas_gemvn_kernelILi32ELi16EifffEviiT3_lPKT2_lT1_lS3_lS4_lS0_lPT4_lS4_li.kd
    .uniform_work_group_size: 1
    .uses_dynamic_stack: false
    .vgpr_count:     54
    .vgpr_spill_count: 0
    .wavefront_size: 32
  - .args:
      - .offset:         0
        .size:           4
        .value_kind:     by_value
      - .offset:         4
        .size:           4
        .value_kind:     by_value
      - .offset:         8
        .size:           4
        .value_kind:     by_value
      - .offset:         16
        .size:           8
        .value_kind:     by_value
      - .address_space:  global
        .offset:         24
        .size:           8
        .value_kind:     global_buffer
      - .offset:         32
        .size:           8
        .value_kind:     by_value
      - .offset:         40
        .size:           8
        .value_kind:     by_value
      - .offset:         48
        .size:           8
        .value_kind:     by_value
      - .address_space:  global
        .offset:         56
        .size:           8
        .value_kind:     global_buffer
      - .offset:         64
        .size:           8
        .value_kind:     by_value
      - .offset:         72
        .size:           8
        .value_kind:     by_value
      - .offset:         80
        .size:           8
        .value_kind:     by_value
      - .offset:         88
        .size:           4
        .value_kind:     by_value
      - .offset:         96
        .size:           8
        .value_kind:     by_value
      - .address_space:  global
        .offset:         104
        .size:           8
        .value_kind:     global_buffer
      - .offset:         112
        .size:           8
        .value_kind:     by_value
      - .offset:         120
        .size:           8
        .value_kind:     by_value
      - .offset:         128
        .size:           8
        .value_kind:     by_value
      - .offset:         136
        .size:           4
        .value_kind:     by_value
      - .offset:         144
        .size:           4
        .value_kind:     hidden_block_count_x
      - .offset:         148
        .size:           4
        .value_kind:     hidden_block_count_y
      - .offset:         152
        .size:           4
        .value_kind:     hidden_block_count_z
      - .offset:         156
        .size:           2
        .value_kind:     hidden_group_size_x
      - .offset:         158
        .size:           2
        .value_kind:     hidden_group_size_y
      - .offset:         160
        .size:           2
        .value_kind:     hidden_group_size_z
      - .offset:         162
        .size:           2
        .value_kind:     hidden_remainder_x
      - .offset:         164
        .size:           2
        .value_kind:     hidden_remainder_y
      - .offset:         166
        .size:           2
        .value_kind:     hidden_remainder_z
      - .offset:         184
        .size:           8
        .value_kind:     hidden_global_offset_x
      - .offset:         192
        .size:           8
        .value_kind:     hidden_global_offset_y
      - .offset:         200
        .size:           8
        .value_kind:     hidden_global_offset_z
      - .offset:         208
        .size:           2
        .value_kind:     hidden_grid_dims
    .group_segment_fixed_size: 8192
    .kernarg_segment_align: 8
    .kernarg_segment_size: 400
    .language:       OpenCL C
    .language_version:
      - 2
      - 0
    .max_flat_workgroup_size: 512
    .name:           _ZL20rocblas_gemvn_kernelILi32ELi16ElfffEviiT3_lPKT2_lT1_lS3_lS4_lS0_lPT4_lS4_li
    .private_segment_fixed_size: 0
    .sgpr_count:     58
    .sgpr_spill_count: 0
    .symbol:         _ZL20rocblas_gemvn_kernelILi32ELi16ElfffEviiT3_lPKT2_lT1_lS3_lS4_lS0_lPT4_lS4_li.kd
    .uniform_work_group_size: 1
    .uses_dynamic_stack: false
    .vgpr_count:     71
    .vgpr_spill_count: 0
    .wavefront_size: 32
  - .args:
      - .offset:         0
        .size:           4
        .value_kind:     by_value
      - .offset:         4
        .size:           4
        .value_kind:     by_value
      - .address_space:  global
        .offset:         8
        .size:           8
        .value_kind:     global_buffer
      - .offset:         16
        .size:           8
        .value_kind:     by_value
      - .address_space:  global
        .offset:         24
        .size:           8
        .value_kind:     global_buffer
      - .offset:         32
        .size:           8
        .value_kind:     by_value
      - .offset:         40
        .size:           4
        .value_kind:     by_value
      - .offset:         48
        .size:           8
        .value_kind:     by_value
      - .address_space:  global
        .offset:         56
        .size:           8
        .value_kind:     global_buffer
      - .offset:         64
        .size:           8
        .value_kind:     by_value
      - .offset:         72
        .size:           4
        .value_kind:     by_value
      - .offset:         80
        .size:           8
        .value_kind:     by_value
      - .address_space:  global
        .offset:         88
        .size:           8
        .value_kind:     global_buffer
      - .offset:         96
        .size:           8
        .value_kind:     by_value
      - .address_space:  global
        .offset:         104
        .size:           8
        .value_kind:     global_buffer
      - .offset:         112
        .size:           8
        .value_kind:     by_value
      - .offset:         120
        .size:           4
        .value_kind:     by_value
      - .offset:         128
        .size:           8
        .value_kind:     by_value
      - .offset:         136
        .size:           4
        .value_kind:     by_value
      - .offset:         144
        .size:           4
        .value_kind:     hidden_block_count_x
      - .offset:         148
        .size:           4
        .value_kind:     hidden_block_count_y
      - .offset:         152
        .size:           4
        .value_kind:     hidden_block_count_z
      - .offset:         156
        .size:           2
        .value_kind:     hidden_group_size_x
      - .offset:         158
        .size:           2
        .value_kind:     hidden_group_size_y
      - .offset:         160
        .size:           2
        .value_kind:     hidden_group_size_z
      - .offset:         162
        .size:           2
        .value_kind:     hidden_remainder_x
      - .offset:         164
        .size:           2
        .value_kind:     hidden_remainder_y
      - .offset:         166
        .size:           2
        .value_kind:     hidden_remainder_z
      - .offset:         184
        .size:           8
        .value_kind:     hidden_global_offset_x
      - .offset:         192
        .size:           8
        .value_kind:     hidden_global_offset_y
      - .offset:         200
        .size:           8
        .value_kind:     hidden_global_offset_z
      - .offset:         208
        .size:           2
        .value_kind:     hidden_grid_dims
    .group_segment_fixed_size: 16384
    .kernarg_segment_align: 8
    .kernarg_segment_size: 400
    .language:       OpenCL C
    .language_version:
      - 2
      - 0
    .max_flat_workgroup_size: 1024
    .name:           _ZL20rocblas_gemvn_kernelILi64ELi16EifPKffEviiT3_lPKT2_lT1_lS5_lS6_lS2_lPT4_lS6_li
    .private_segment_fixed_size: 0
    .sgpr_count:     57
    .sgpr_spill_count: 0
    .symbol:         _ZL20rocblas_gemvn_kernelILi64ELi16EifPKffEviiT3_lPKT2_lT1_lS5_lS6_lS2_lPT4_lS6_li.kd
    .uniform_work_group_size: 1
    .uses_dynamic_stack: false
    .vgpr_count:     51
    .vgpr_spill_count: 0
    .wavefront_size: 32
  - .args:
      - .offset:         0
        .size:           4
        .value_kind:     by_value
      - .offset:         4
        .size:           4
        .value_kind:     by_value
      - .address_space:  global
        .offset:         8
        .size:           8
        .value_kind:     global_buffer
      - .offset:         16
        .size:           8
        .value_kind:     by_value
      - .address_space:  global
        .offset:         24
        .size:           8
        .value_kind:     global_buffer
      - .offset:         32
        .size:           8
        .value_kind:     by_value
      - .offset:         40
        .size:           8
        .value_kind:     by_value
      - .offset:         48
        .size:           8
        .value_kind:     by_value
      - .address_space:  global
        .offset:         56
        .size:           8
        .value_kind:     global_buffer
      - .offset:         64
        .size:           8
        .value_kind:     by_value
      - .offset:         72
        .size:           8
        .value_kind:     by_value
      - .offset:         80
        .size:           8
        .value_kind:     by_value
      - .address_space:  global
        .offset:         88
        .size:           8
        .value_kind:     global_buffer
      - .offset:         96
        .size:           8
        .value_kind:     by_value
      - .address_space:  global
        .offset:         104
        .size:           8
        .value_kind:     global_buffer
      - .offset:         112
        .size:           8
        .value_kind:     by_value
      - .offset:         120
        .size:           8
        .value_kind:     by_value
      - .offset:         128
        .size:           8
        .value_kind:     by_value
      - .offset:         136
        .size:           4
        .value_kind:     by_value
      - .offset:         144
        .size:           4
        .value_kind:     hidden_block_count_x
      - .offset:         148
        .size:           4
        .value_kind:     hidden_block_count_y
      - .offset:         152
        .size:           4
        .value_kind:     hidden_block_count_z
      - .offset:         156
        .size:           2
        .value_kind:     hidden_group_size_x
      - .offset:         158
        .size:           2
        .value_kind:     hidden_group_size_y
      - .offset:         160
        .size:           2
        .value_kind:     hidden_group_size_z
      - .offset:         162
        .size:           2
        .value_kind:     hidden_remainder_x
      - .offset:         164
        .size:           2
        .value_kind:     hidden_remainder_y
      - .offset:         166
        .size:           2
        .value_kind:     hidden_remainder_z
      - .offset:         184
        .size:           8
        .value_kind:     hidden_global_offset_x
      - .offset:         192
        .size:           8
        .value_kind:     hidden_global_offset_y
      - .offset:         200
        .size:           8
        .value_kind:     hidden_global_offset_z
      - .offset:         208
        .size:           2
        .value_kind:     hidden_grid_dims
    .group_segment_fixed_size: 16384
    .kernarg_segment_align: 8
    .kernarg_segment_size: 400
    .language:       OpenCL C
    .language_version:
      - 2
      - 0
    .max_flat_workgroup_size: 1024
    .name:           _ZL20rocblas_gemvn_kernelILi64ELi16ElfPKffEviiT3_lPKT2_lT1_lS5_lS6_lS2_lPT4_lS6_li
    .private_segment_fixed_size: 0
    .sgpr_count:     62
    .sgpr_spill_count: 0
    .symbol:         _ZL20rocblas_gemvn_kernelILi64ELi16ElfPKffEviiT3_lPKT2_lT1_lS5_lS6_lS2_lPT4_lS6_li.kd
    .uniform_work_group_size: 1
    .uses_dynamic_stack: false
    .vgpr_count:     72
    .vgpr_spill_count: 0
    .wavefront_size: 32
  - .args:
      - .offset:         0
        .size:           4
        .value_kind:     by_value
      - .offset:         4
        .size:           4
        .value_kind:     by_value
      - .offset:         8
        .size:           4
        .value_kind:     by_value
      - .offset:         16
        .size:           8
        .value_kind:     by_value
      - .address_space:  global
        .offset:         24
        .size:           8
        .value_kind:     global_buffer
      - .offset:         32
        .size:           8
        .value_kind:     by_value
      - .offset:         40
        .size:           4
        .value_kind:     by_value
      - .offset:         48
        .size:           8
        .value_kind:     by_value
      - .address_space:  global
        .offset:         56
        .size:           8
        .value_kind:     global_buffer
      - .offset:         64
        .size:           8
        .value_kind:     by_value
      - .offset:         72
        .size:           4
        .value_kind:     by_value
      - .offset:         80
        .size:           8
        .value_kind:     by_value
      - .offset:         88
        .size:           4
        .value_kind:     by_value
      - .offset:         96
        .size:           8
        .value_kind:     by_value
      - .address_space:  global
        .offset:         104
        .size:           8
        .value_kind:     global_buffer
      - .offset:         112
        .size:           8
        .value_kind:     by_value
      - .offset:         120
        .size:           4
        .value_kind:     by_value
      - .offset:         128
        .size:           8
        .value_kind:     by_value
      - .offset:         136
        .size:           4
        .value_kind:     by_value
      - .offset:         144
        .size:           4
        .value_kind:     hidden_block_count_x
      - .offset:         148
        .size:           4
        .value_kind:     hidden_block_count_y
      - .offset:         152
        .size:           4
        .value_kind:     hidden_block_count_z
      - .offset:         156
        .size:           2
        .value_kind:     hidden_group_size_x
      - .offset:         158
        .size:           2
        .value_kind:     hidden_group_size_y
      - .offset:         160
        .size:           2
        .value_kind:     hidden_group_size_z
      - .offset:         162
        .size:           2
        .value_kind:     hidden_remainder_x
      - .offset:         164
        .size:           2
        .value_kind:     hidden_remainder_y
      - .offset:         166
        .size:           2
        .value_kind:     hidden_remainder_z
      - .offset:         184
        .size:           8
        .value_kind:     hidden_global_offset_x
      - .offset:         192
        .size:           8
        .value_kind:     hidden_global_offset_y
      - .offset:         200
        .size:           8
        .value_kind:     hidden_global_offset_z
      - .offset:         208
        .size:           2
        .value_kind:     hidden_grid_dims
    .group_segment_fixed_size: 16384
    .kernarg_segment_align: 8
    .kernarg_segment_size: 400
    .language:       OpenCL C
    .language_version:
      - 2
      - 0
    .max_flat_workgroup_size: 1024
    .name:           _ZL20rocblas_gemvn_kernelILi64ELi16EifffEviiT3_lPKT2_lT1_lS3_lS4_lS0_lPT4_lS4_li
    .private_segment_fixed_size: 0
    .sgpr_count:     53
    .sgpr_spill_count: 0
    .symbol:         _ZL20rocblas_gemvn_kernelILi64ELi16EifffEviiT3_lPKT2_lT1_lS3_lS4_lS0_lPT4_lS4_li.kd
    .uniform_work_group_size: 1
    .uses_dynamic_stack: false
    .vgpr_count:     54
    .vgpr_spill_count: 0
    .wavefront_size: 32
  - .args:
      - .offset:         0
        .size:           4
        .value_kind:     by_value
      - .offset:         4
        .size:           4
        .value_kind:     by_value
      - .offset:         8
        .size:           4
        .value_kind:     by_value
      - .offset:         16
        .size:           8
        .value_kind:     by_value
      - .address_space:  global
        .offset:         24
        .size:           8
        .value_kind:     global_buffer
      - .offset:         32
        .size:           8
        .value_kind:     by_value
      - .offset:         40
        .size:           8
        .value_kind:     by_value
      - .offset:         48
        .size:           8
        .value_kind:     by_value
      - .address_space:  global
        .offset:         56
        .size:           8
        .value_kind:     global_buffer
      - .offset:         64
        .size:           8
        .value_kind:     by_value
      - .offset:         72
        .size:           8
        .value_kind:     by_value
      - .offset:         80
        .size:           8
        .value_kind:     by_value
      - .offset:         88
        .size:           4
        .value_kind:     by_value
      - .offset:         96
        .size:           8
        .value_kind:     by_value
      - .address_space:  global
        .offset:         104
        .size:           8
        .value_kind:     global_buffer
      - .offset:         112
        .size:           8
        .value_kind:     by_value
      - .offset:         120
        .size:           8
        .value_kind:     by_value
      - .offset:         128
        .size:           8
        .value_kind:     by_value
      - .offset:         136
        .size:           4
        .value_kind:     by_value
      - .offset:         144
        .size:           4
        .value_kind:     hidden_block_count_x
      - .offset:         148
        .size:           4
        .value_kind:     hidden_block_count_y
      - .offset:         152
        .size:           4
        .value_kind:     hidden_block_count_z
      - .offset:         156
        .size:           2
        .value_kind:     hidden_group_size_x
      - .offset:         158
        .size:           2
        .value_kind:     hidden_group_size_y
      - .offset:         160
        .size:           2
        .value_kind:     hidden_group_size_z
      - .offset:         162
        .size:           2
        .value_kind:     hidden_remainder_x
      - .offset:         164
        .size:           2
        .value_kind:     hidden_remainder_y
      - .offset:         166
        .size:           2
        .value_kind:     hidden_remainder_z
      - .offset:         184
        .size:           8
        .value_kind:     hidden_global_offset_x
      - .offset:         192
        .size:           8
        .value_kind:     hidden_global_offset_y
      - .offset:         200
        .size:           8
        .value_kind:     hidden_global_offset_z
      - .offset:         208
        .size:           2
        .value_kind:     hidden_grid_dims
    .group_segment_fixed_size: 16384
    .kernarg_segment_align: 8
    .kernarg_segment_size: 400
    .language:       OpenCL C
    .language_version:
      - 2
      - 0
    .max_flat_workgroup_size: 1024
    .name:           _ZL20rocblas_gemvn_kernelILi64ELi16ElfffEviiT3_lPKT2_lT1_lS3_lS4_lS0_lPT4_lS4_li
    .private_segment_fixed_size: 0
    .sgpr_count:     58
    .sgpr_spill_count: 0
    .symbol:         _ZL20rocblas_gemvn_kernelILi64ELi16ElfffEviiT3_lPKT2_lT1_lS3_lS4_lS0_lPT4_lS4_li.kd
    .uniform_work_group_size: 1
    .uses_dynamic_stack: false
    .vgpr_count:     71
    .vgpr_spill_count: 0
    .wavefront_size: 32
  - .args:
      - .offset:         0
        .size:           4
        .value_kind:     by_value
      - .offset:         4
        .size:           4
        .value_kind:     by_value
      - .address_space:  global
        .offset:         8
        .size:           8
        .value_kind:     global_buffer
      - .offset:         16
        .size:           8
        .value_kind:     by_value
      - .address_space:  global
        .offset:         24
        .size:           8
        .value_kind:     global_buffer
      - .offset:         32
        .size:           8
        .value_kind:     by_value
      - .offset:         40
        .size:           4
        .value_kind:     by_value
      - .offset:         48
        .size:           8
        .value_kind:     by_value
      - .address_space:  global
        .offset:         56
        .size:           8
        .value_kind:     global_buffer
      - .offset:         64
        .size:           8
        .value_kind:     by_value
      - .offset:         72
        .size:           4
        .value_kind:     by_value
      - .offset:         80
        .size:           8
        .value_kind:     by_value
      - .address_space:  global
        .offset:         88
        .size:           8
        .value_kind:     global_buffer
      - .offset:         96
        .size:           8
        .value_kind:     by_value
      - .address_space:  global
        .offset:         104
        .size:           8
        .value_kind:     global_buffer
      - .offset:         112
        .size:           8
        .value_kind:     by_value
      - .offset:         120
        .size:           4
        .value_kind:     by_value
      - .offset:         128
        .size:           8
        .value_kind:     by_value
    .group_segment_fixed_size: 256
    .kernarg_segment_align: 8
    .kernarg_segment_size: 136
    .language:       OpenCL C
    .language_version:
      - 2
      - 0
    .max_flat_workgroup_size: 256
    .name:           _ZL22rocblas_gemvtsm_kernelILb0ELi256EfPKffEviiT2_lPKT1_lilS5_lilS2_lPT3_lil
    .private_segment_fixed_size: 0
    .sgpr_count:     32
    .sgpr_spill_count: 0
    .symbol:         _ZL22rocblas_gemvtsm_kernelILb0ELi256EfPKffEviiT2_lPKT1_lilS5_lilS2_lPT3_lil.kd
    .uniform_work_group_size: 1
    .uses_dynamic_stack: false
    .vgpr_count:     28
    .vgpr_spill_count: 0
    .wavefront_size: 32
  - .args:
      - .offset:         0
        .size:           4
        .value_kind:     by_value
      - .offset:         4
        .size:           4
        .value_kind:     by_value
      - .offset:         8
        .size:           4
        .value_kind:     by_value
      - .offset:         16
        .size:           8
        .value_kind:     by_value
      - .address_space:  global
        .offset:         24
        .size:           8
        .value_kind:     global_buffer
      - .offset:         32
        .size:           8
        .value_kind:     by_value
      - .offset:         40
        .size:           4
        .value_kind:     by_value
      - .offset:         48
        .size:           8
        .value_kind:     by_value
      - .address_space:  global
        .offset:         56
        .size:           8
        .value_kind:     global_buffer
      - .offset:         64
        .size:           8
        .value_kind:     by_value
      - .offset:         72
        .size:           4
        .value_kind:     by_value
      - .offset:         80
        .size:           8
        .value_kind:     by_value
      - .offset:         88
        .size:           4
        .value_kind:     by_value
      - .offset:         96
        .size:           8
        .value_kind:     by_value
      - .address_space:  global
        .offset:         104
        .size:           8
        .value_kind:     global_buffer
      - .offset:         112
        .size:           8
        .value_kind:     by_value
      - .offset:         120
        .size:           4
        .value_kind:     by_value
      - .offset:         128
        .size:           8
        .value_kind:     by_value
    .group_segment_fixed_size: 256
    .kernarg_segment_align: 8
    .kernarg_segment_size: 136
    .language:       OpenCL C
    .language_version:
      - 2
      - 0
    .max_flat_workgroup_size: 256
    .name:           _ZL22rocblas_gemvtsm_kernelILb0ELi256EfffEviiT2_lPKT1_lilS3_lilS0_lPT3_lil
    .private_segment_fixed_size: 0
    .sgpr_count:     28
    .sgpr_spill_count: 0
    .symbol:         _ZL22rocblas_gemvtsm_kernelILb0ELi256EfffEviiT2_lPKT1_lilS3_lilS0_lPT3_lil.kd
    .uniform_work_group_size: 1
    .uses_dynamic_stack: false
    .vgpr_count:     28
    .vgpr_spill_count: 0
    .wavefront_size: 32
  - .args:
      - .offset:         0
        .size:           4
        .value_kind:     by_value
      - .offset:         4
        .size:           4
        .value_kind:     by_value
      - .address_space:  global
        .offset:         8
        .size:           8
        .value_kind:     global_buffer
      - .offset:         16
        .size:           8
        .value_kind:     by_value
      - .address_space:  global
        .offset:         24
        .size:           8
        .value_kind:     global_buffer
      - .offset:         32
        .size:           8
        .value_kind:     by_value
      - .offset:         40
        .size:           4
        .value_kind:     by_value
      - .offset:         48
        .size:           8
        .value_kind:     by_value
      - .address_space:  global
        .offset:         56
        .size:           8
        .value_kind:     global_buffer
      - .offset:         64
        .size:           8
        .value_kind:     by_value
      - .offset:         72
        .size:           4
        .value_kind:     by_value
      - .offset:         80
        .size:           8
        .value_kind:     by_value
      - .address_space:  global
        .offset:         88
        .size:           8
        .value_kind:     global_buffer
      - .offset:         96
        .size:           4
        .value_kind:     by_value
      - .offset:         104
        .size:           4
        .value_kind:     hidden_block_count_x
      - .offset:         108
        .size:           4
        .value_kind:     hidden_block_count_y
      - .offset:         112
        .size:           4
        .value_kind:     hidden_block_count_z
      - .offset:         116
        .size:           2
        .value_kind:     hidden_group_size_x
      - .offset:         118
        .size:           2
        .value_kind:     hidden_group_size_y
      - .offset:         120
        .size:           2
        .value_kind:     hidden_group_size_z
      - .offset:         122
        .size:           2
        .value_kind:     hidden_remainder_x
      - .offset:         124
        .size:           2
        .value_kind:     hidden_remainder_y
      - .offset:         126
        .size:           2
        .value_kind:     hidden_remainder_z
      - .offset:         144
        .size:           8
        .value_kind:     hidden_global_offset_x
      - .offset:         152
        .size:           8
        .value_kind:     hidden_global_offset_y
      - .offset:         160
        .size:           8
        .value_kind:     hidden_global_offset_z
      - .offset:         168
        .size:           2
        .value_kind:     hidden_grid_dims
    .group_segment_fixed_size: 128
    .kernarg_segment_align: 8
    .kernarg_segment_size: 360
    .language:       OpenCL C
    .language_version:
      - 2
      - 0
    .max_flat_workgroup_size: 256
    .name:           _ZL23rocblas_gemvt_sn_kernelILb0ELi256ELi4EifPKffEviiT4_lPKT3_lilS5_lilPT5_i
    .private_segment_fixed_size: 0
    .sgpr_count:     84
    .sgpr_spill_count: 0
    .symbol:         _ZL23rocblas_gemvt_sn_kernelILb0ELi256ELi4EifPKffEviiT4_lPKT3_lilS5_lilPT5_i.kd
    .uniform_work_group_size: 1
    .uses_dynamic_stack: false
    .vgpr_count:     64
    .vgpr_spill_count: 0
    .wavefront_size: 32
  - .args:
      - .offset:         0
        .size:           4
        .value_kind:     by_value
      - .offset:         4
        .size:           4
        .value_kind:     by_value
      - .address_space:  global
        .offset:         8
        .size:           8
        .value_kind:     global_buffer
      - .offset:         16
        .size:           8
        .value_kind:     by_value
      - .address_space:  global
        .offset:         24
        .size:           8
        .value_kind:     global_buffer
      - .offset:         32
        .size:           8
        .value_kind:     by_value
      - .offset:         40
        .size:           4
        .value_kind:     by_value
      - .offset:         48
        .size:           8
        .value_kind:     by_value
      - .address_space:  global
        .offset:         56
        .size:           8
        .value_kind:     global_buffer
      - .offset:         64
        .size:           8
        .value_kind:     by_value
      - .offset:         72
        .size:           4
        .value_kind:     by_value
      - .offset:         80
        .size:           8
        .value_kind:     by_value
      - .address_space:  global
        .offset:         88
        .size:           8
        .value_kind:     global_buffer
      - .offset:         96
        .size:           4
        .value_kind:     by_value
      - .offset:         104
        .size:           4
        .value_kind:     hidden_block_count_x
      - .offset:         108
        .size:           4
        .value_kind:     hidden_block_count_y
      - .offset:         112
        .size:           4
        .value_kind:     hidden_block_count_z
      - .offset:         116
        .size:           2
        .value_kind:     hidden_group_size_x
      - .offset:         118
        .size:           2
        .value_kind:     hidden_group_size_y
      - .offset:         120
        .size:           2
        .value_kind:     hidden_group_size_z
      - .offset:         122
        .size:           2
        .value_kind:     hidden_remainder_x
      - .offset:         124
        .size:           2
        .value_kind:     hidden_remainder_y
      - .offset:         126
        .size:           2
        .value_kind:     hidden_remainder_z
      - .offset:         144
        .size:           8
        .value_kind:     hidden_global_offset_x
      - .offset:         152
        .size:           8
        .value_kind:     hidden_global_offset_y
      - .offset:         160
        .size:           8
        .value_kind:     hidden_global_offset_z
      - .offset:         168
        .size:           2
        .value_kind:     hidden_grid_dims
    .group_segment_fixed_size: 128
    .kernarg_segment_align: 8
    .kernarg_segment_size: 360
    .language:       OpenCL C
    .language_version:
      - 2
      - 0
    .max_flat_workgroup_size: 256
    .name:           _ZL23rocblas_gemvt_sn_kernelILb0ELi256ELi4ElfPKffEviiT4_lPKT3_lilS5_lilPT5_i
    .private_segment_fixed_size: 0
    .sgpr_count:     78
    .sgpr_spill_count: 0
    .symbol:         _ZL23rocblas_gemvt_sn_kernelILb0ELi256ELi4ElfPKffEviiT4_lPKT3_lilS5_lilPT5_i.kd
    .uniform_work_group_size: 1
    .uses_dynamic_stack: false
    .vgpr_count:     68
    .vgpr_spill_count: 0
    .wavefront_size: 32
  - .args:
      - .offset:         0
        .size:           4
        .value_kind:     by_value
      - .offset:         4
        .size:           4
        .value_kind:     by_value
      - .offset:         8
        .size:           4
        .value_kind:     by_value
      - .offset:         16
        .size:           8
        .value_kind:     by_value
      - .address_space:  global
        .offset:         24
        .size:           8
        .value_kind:     global_buffer
      - .offset:         32
        .size:           8
        .value_kind:     by_value
      - .offset:         40
        .size:           4
        .value_kind:     by_value
      - .offset:         48
        .size:           8
        .value_kind:     by_value
      - .address_space:  global
        .offset:         56
        .size:           8
        .value_kind:     global_buffer
      - .offset:         64
        .size:           8
        .value_kind:     by_value
      - .offset:         72
        .size:           4
        .value_kind:     by_value
      - .offset:         80
        .size:           8
        .value_kind:     by_value
      - .address_space:  global
        .offset:         88
        .size:           8
        .value_kind:     global_buffer
      - .offset:         96
        .size:           4
        .value_kind:     by_value
      - .offset:         104
        .size:           4
        .value_kind:     hidden_block_count_x
      - .offset:         108
        .size:           4
        .value_kind:     hidden_block_count_y
      - .offset:         112
        .size:           4
        .value_kind:     hidden_block_count_z
      - .offset:         116
        .size:           2
        .value_kind:     hidden_group_size_x
      - .offset:         118
        .size:           2
        .value_kind:     hidden_group_size_y
      - .offset:         120
        .size:           2
        .value_kind:     hidden_group_size_z
      - .offset:         122
        .size:           2
        .value_kind:     hidden_remainder_x
      - .offset:         124
        .size:           2
        .value_kind:     hidden_remainder_y
      - .offset:         126
        .size:           2
        .value_kind:     hidden_remainder_z
      - .offset:         144
        .size:           8
        .value_kind:     hidden_global_offset_x
      - .offset:         152
        .size:           8
        .value_kind:     hidden_global_offset_y
      - .offset:         160
        .size:           8
        .value_kind:     hidden_global_offset_z
      - .offset:         168
        .size:           2
        .value_kind:     hidden_grid_dims
    .group_segment_fixed_size: 128
    .kernarg_segment_align: 8
    .kernarg_segment_size: 360
    .language:       OpenCL C
    .language_version:
      - 2
      - 0
    .max_flat_workgroup_size: 256
    .name:           _ZL23rocblas_gemvt_sn_kernelILb0ELi256ELi4EifffEviiT4_lPKT3_lilS3_lilPT5_i
    .private_segment_fixed_size: 0
    .sgpr_count:     82
    .sgpr_spill_count: 0
    .symbol:         _ZL23rocblas_gemvt_sn_kernelILb0ELi256ELi4EifffEviiT4_lPKT3_lilS3_lilPT5_i.kd
    .uniform_work_group_size: 1
    .uses_dynamic_stack: false
    .vgpr_count:     62
    .vgpr_spill_count: 0
    .wavefront_size: 32
  - .args:
      - .offset:         0
        .size:           4
        .value_kind:     by_value
      - .offset:         4
        .size:           4
        .value_kind:     by_value
      - .offset:         8
        .size:           4
        .value_kind:     by_value
      - .offset:         16
        .size:           8
        .value_kind:     by_value
      - .address_space:  global
        .offset:         24
        .size:           8
        .value_kind:     global_buffer
      - .offset:         32
        .size:           8
        .value_kind:     by_value
      - .offset:         40
        .size:           4
        .value_kind:     by_value
      - .offset:         48
        .size:           8
        .value_kind:     by_value
      - .address_space:  global
        .offset:         56
        .size:           8
        .value_kind:     global_buffer
      - .offset:         64
        .size:           8
        .value_kind:     by_value
      - .offset:         72
        .size:           4
        .value_kind:     by_value
      - .offset:         80
        .size:           8
        .value_kind:     by_value
      - .address_space:  global
        .offset:         88
        .size:           8
        .value_kind:     global_buffer
      - .offset:         96
        .size:           4
        .value_kind:     by_value
      - .offset:         104
        .size:           4
        .value_kind:     hidden_block_count_x
      - .offset:         108
        .size:           4
        .value_kind:     hidden_block_count_y
      - .offset:         112
        .size:           4
        .value_kind:     hidden_block_count_z
      - .offset:         116
        .size:           2
        .value_kind:     hidden_group_size_x
      - .offset:         118
        .size:           2
        .value_kind:     hidden_group_size_y
      - .offset:         120
        .size:           2
        .value_kind:     hidden_group_size_z
      - .offset:         122
        .size:           2
        .value_kind:     hidden_remainder_x
      - .offset:         124
        .size:           2
        .value_kind:     hidden_remainder_y
      - .offset:         126
        .size:           2
        .value_kind:     hidden_remainder_z
      - .offset:         144
        .size:           8
        .value_kind:     hidden_global_offset_x
      - .offset:         152
        .size:           8
        .value_kind:     hidden_global_offset_y
      - .offset:         160
        .size:           8
        .value_kind:     hidden_global_offset_z
      - .offset:         168
        .size:           2
        .value_kind:     hidden_grid_dims
    .group_segment_fixed_size: 128
    .kernarg_segment_align: 8
    .kernarg_segment_size: 360
    .language:       OpenCL C
    .language_version:
      - 2
      - 0
    .max_flat_workgroup_size: 256
    .name:           _ZL23rocblas_gemvt_sn_kernelILb0ELi256ELi4ElfffEviiT4_lPKT3_lilS3_lilPT5_i
    .private_segment_fixed_size: 0
    .sgpr_count:     76
    .sgpr_spill_count: 0
    .symbol:         _ZL23rocblas_gemvt_sn_kernelILb0ELi256ELi4ElfffEviiT4_lPKT3_lilS3_lilPT5_i.kd
    .uniform_work_group_size: 1
    .uses_dynamic_stack: false
    .vgpr_count:     66
    .vgpr_spill_count: 0
    .wavefront_size: 32
  - .args:
      - .offset:         0
        .size:           4
        .value_kind:     by_value
      - .offset:         4
        .size:           4
        .value_kind:     by_value
      - .address_space:  global
        .offset:         8
        .size:           8
        .value_kind:     global_buffer
      - .offset:         16
        .size:           8
        .value_kind:     by_value
      - .address_space:  global
        .offset:         24
        .size:           8
        .value_kind:     global_buffer
      - .offset:         32
        .size:           8
        .value_kind:     by_value
      - .offset:         40
        .size:           4
        .value_kind:     by_value
      - .offset:         48
        .size:           8
        .value_kind:     by_value
      - .address_space:  global
        .offset:         56
        .size:           8
        .value_kind:     global_buffer
      - .offset:         64
        .size:           8
        .value_kind:     by_value
      - .offset:         72
        .size:           4
        .value_kind:     by_value
      - .offset:         80
        .size:           8
        .value_kind:     by_value
      - .address_space:  global
        .offset:         88
        .size:           8
        .value_kind:     global_buffer
      - .offset:         96
        .size:           8
        .value_kind:     by_value
      - .offset:         104
        .size:           4
        .value_kind:     by_value
      - .offset:         112
        .size:           8
        .value_kind:     by_value
      - .offset:         120
        .size:           4
        .value_kind:     by_value
      - .offset:         128
        .size:           4
        .value_kind:     hidden_block_count_x
      - .offset:         132
        .size:           4
        .value_kind:     hidden_block_count_y
      - .offset:         136
        .size:           4
        .value_kind:     hidden_block_count_z
      - .offset:         140
        .size:           2
        .value_kind:     hidden_group_size_x
      - .offset:         142
        .size:           2
        .value_kind:     hidden_group_size_y
      - .offset:         144
        .size:           2
        .value_kind:     hidden_group_size_z
      - .offset:         146
        .size:           2
        .value_kind:     hidden_remainder_x
      - .offset:         148
        .size:           2
        .value_kind:     hidden_remainder_y
      - .offset:         150
        .size:           2
        .value_kind:     hidden_remainder_z
      - .offset:         168
        .size:           8
        .value_kind:     hidden_global_offset_x
      - .offset:         176
        .size:           8
        .value_kind:     hidden_global_offset_y
      - .offset:         184
        .size:           8
        .value_kind:     hidden_global_offset_z
      - .offset:         192
        .size:           2
        .value_kind:     hidden_grid_dims
    .group_segment_fixed_size: 32768
    .kernarg_segment_align: 8
    .kernarg_segment_size: 384
    .language:       OpenCL C
    .language_version:
      - 2
      - 0
    .max_flat_workgroup_size: 1024
    .name:           _ZL36rocblas_gemvt_double_buffered_kernelILb0ELi128ELi8ELi8EfPKffEviiT4_lPKT3_lilS5_lilPT5_lili
    .private_segment_fixed_size: 68
    .sgpr_count:     45
    .sgpr_spill_count: 0
    .symbol:         _ZL36rocblas_gemvt_double_buffered_kernelILb0ELi128ELi8ELi8EfPKffEviiT4_lPKT3_lilS5_lilPT5_lili.kd
    .uniform_work_group_size: 1
    .uses_dynamic_stack: false
    .vgpr_count:     128
    .vgpr_spill_count: 16
    .wavefront_size: 32
  - .args:
      - .offset:         0
        .size:           4
        .value_kind:     by_value
      - .offset:         4
        .size:           4
        .value_kind:     by_value
      - .offset:         8
        .size:           4
        .value_kind:     by_value
      - .offset:         16
        .size:           8
        .value_kind:     by_value
      - .address_space:  global
        .offset:         24
        .size:           8
        .value_kind:     global_buffer
      - .offset:         32
        .size:           8
        .value_kind:     by_value
      - .offset:         40
        .size:           4
        .value_kind:     by_value
      - .offset:         48
        .size:           8
        .value_kind:     by_value
      - .address_space:  global
        .offset:         56
        .size:           8
        .value_kind:     global_buffer
      - .offset:         64
        .size:           8
        .value_kind:     by_value
      - .offset:         72
        .size:           4
        .value_kind:     by_value
      - .offset:         80
        .size:           8
        .value_kind:     by_value
      - .address_space:  global
        .offset:         88
        .size:           8
        .value_kind:     global_buffer
      - .offset:         96
        .size:           8
        .value_kind:     by_value
      - .offset:         104
        .size:           4
        .value_kind:     by_value
      - .offset:         112
        .size:           8
        .value_kind:     by_value
      - .offset:         120
        .size:           4
        .value_kind:     by_value
      - .offset:         128
        .size:           4
        .value_kind:     hidden_block_count_x
      - .offset:         132
        .size:           4
        .value_kind:     hidden_block_count_y
      - .offset:         136
        .size:           4
        .value_kind:     hidden_block_count_z
      - .offset:         140
        .size:           2
        .value_kind:     hidden_group_size_x
      - .offset:         142
        .size:           2
        .value_kind:     hidden_group_size_y
      - .offset:         144
        .size:           2
        .value_kind:     hidden_group_size_z
      - .offset:         146
        .size:           2
        .value_kind:     hidden_remainder_x
      - .offset:         148
        .size:           2
        .value_kind:     hidden_remainder_y
      - .offset:         150
        .size:           2
        .value_kind:     hidden_remainder_z
      - .offset:         168
        .size:           8
        .value_kind:     hidden_global_offset_x
      - .offset:         176
        .size:           8
        .value_kind:     hidden_global_offset_y
      - .offset:         184
        .size:           8
        .value_kind:     hidden_global_offset_z
      - .offset:         192
        .size:           2
        .value_kind:     hidden_grid_dims
    .group_segment_fixed_size: 32768
    .kernarg_segment_align: 8
    .kernarg_segment_size: 384
    .language:       OpenCL C
    .language_version:
      - 2
      - 0
    .max_flat_workgroup_size: 1024
    .name:           _ZL36rocblas_gemvt_double_buffered_kernelILb0ELi128ELi8ELi8EfffEviiT4_lPKT3_lilS3_lilPT5_lili
    .private_segment_fixed_size: 64
    .sgpr_count:     42
    .sgpr_spill_count: 0
    .symbol:         _ZL36rocblas_gemvt_double_buffered_kernelILb0ELi128ELi8ELi8EfffEviiT4_lPKT3_lilS3_lilPT5_lili.kd
    .uniform_work_group_size: 1
    .uses_dynamic_stack: false
    .vgpr_count:     128
    .vgpr_spill_count: 15
    .wavefront_size: 32
  - .args:
      - .offset:         0
        .size:           4
        .value_kind:     by_value
      - .offset:         4
        .size:           4
        .value_kind:     by_value
      - .address_space:  global
        .offset:         8
        .size:           8
        .value_kind:     global_buffer
      - .offset:         16
        .size:           8
        .value_kind:     by_value
      - .address_space:  global
        .offset:         24
        .size:           8
        .value_kind:     global_buffer
      - .offset:         32
        .size:           8
        .value_kind:     by_value
      - .offset:         40
        .size:           4
        .value_kind:     by_value
      - .offset:         48
        .size:           8
        .value_kind:     by_value
      - .address_space:  global
        .offset:         56
        .size:           8
        .value_kind:     global_buffer
      - .offset:         64
        .size:           8
        .value_kind:     by_value
      - .offset:         72
        .size:           4
        .value_kind:     by_value
      - .offset:         80
        .size:           8
        .value_kind:     by_value
      - .address_space:  global
        .offset:         88
        .size:           8
        .value_kind:     global_buffer
      - .offset:         96
        .size:           8
        .value_kind:     by_value
      - .address_space:  global
        .offset:         104
        .size:           8
        .value_kind:     global_buffer
      - .offset:         112
        .size:           8
        .value_kind:     by_value
      - .offset:         120
        .size:           4
        .value_kind:     by_value
      - .offset:         128
        .size:           8
        .value_kind:     by_value
      - .offset:         136
        .size:           4
        .value_kind:     by_value
    .group_segment_fixed_size: 128
    .kernarg_segment_align: 8
    .kernarg_segment_size: 140
    .language:       OpenCL C
    .language_version:
      - 2
      - 0
    .max_flat_workgroup_size: 256
    .name:           _ZL32rocblas_gemvt_warp_reduce_kernelILb0ELi256EifPKffEviiT3_lPKT2_lT1_lS5_lS6_lS2_lPT4_lS6_li
    .private_segment_fixed_size: 0
    .sgpr_count:     46
    .sgpr_spill_count: 0
    .symbol:         _ZL32rocblas_gemvt_warp_reduce_kernelILb0ELi256EifPKffEviiT3_lPKT2_lT1_lS5_lS6_lS2_lPT4_lS6_li.kd
    .uniform_work_group_size: 1
    .uses_dynamic_stack: false
    .vgpr_count:     21
    .vgpr_spill_count: 0
    .wavefront_size: 32
  - .args:
      - .offset:         0
        .size:           4
        .value_kind:     by_value
      - .offset:         4
        .size:           4
        .value_kind:     by_value
      - .address_space:  global
        .offset:         8
        .size:           8
        .value_kind:     global_buffer
      - .offset:         16
        .size:           8
        .value_kind:     by_value
      - .address_space:  global
        .offset:         24
        .size:           8
        .value_kind:     global_buffer
      - .offset:         32
        .size:           8
        .value_kind:     by_value
      - .offset:         40
        .size:           8
        .value_kind:     by_value
      - .offset:         48
        .size:           8
        .value_kind:     by_value
      - .address_space:  global
        .offset:         56
        .size:           8
        .value_kind:     global_buffer
      - .offset:         64
        .size:           8
        .value_kind:     by_value
      - .offset:         72
        .size:           8
        .value_kind:     by_value
      - .offset:         80
        .size:           8
        .value_kind:     by_value
      - .address_space:  global
        .offset:         88
        .size:           8
        .value_kind:     global_buffer
      - .offset:         96
        .size:           8
        .value_kind:     by_value
      - .address_space:  global
        .offset:         104
        .size:           8
        .value_kind:     global_buffer
      - .offset:         112
        .size:           8
        .value_kind:     by_value
      - .offset:         120
        .size:           8
        .value_kind:     by_value
      - .offset:         128
        .size:           8
        .value_kind:     by_value
      - .offset:         136
        .size:           4
        .value_kind:     by_value
    .group_segment_fixed_size: 128
    .kernarg_segment_align: 8
    .kernarg_segment_size: 140
    .language:       OpenCL C
    .language_version:
      - 2
      - 0
    .max_flat_workgroup_size: 256
    .name:           _ZL32rocblas_gemvt_warp_reduce_kernelILb0ELi256ElfPKffEviiT3_lPKT2_lT1_lS5_lS6_lS2_lPT4_lS6_li
    .private_segment_fixed_size: 0
    .sgpr_count:     54
    .sgpr_spill_count: 0
    .symbol:         _ZL32rocblas_gemvt_warp_reduce_kernelILb0ELi256ElfPKffEviiT3_lPKT2_lT1_lS5_lS6_lS2_lPT4_lS6_li.kd
    .uniform_work_group_size: 1
    .uses_dynamic_stack: false
    .vgpr_count:     23
    .vgpr_spill_count: 0
    .wavefront_size: 32
  - .args:
      - .offset:         0
        .size:           4
        .value_kind:     by_value
      - .offset:         4
        .size:           4
        .value_kind:     by_value
      - .offset:         8
        .size:           4
        .value_kind:     by_value
      - .offset:         16
        .size:           8
        .value_kind:     by_value
      - .address_space:  global
        .offset:         24
        .size:           8
        .value_kind:     global_buffer
      - .offset:         32
        .size:           8
        .value_kind:     by_value
      - .offset:         40
        .size:           4
        .value_kind:     by_value
      - .offset:         48
        .size:           8
        .value_kind:     by_value
      - .address_space:  global
        .offset:         56
        .size:           8
        .value_kind:     global_buffer
      - .offset:         64
        .size:           8
        .value_kind:     by_value
      - .offset:         72
        .size:           4
        .value_kind:     by_value
      - .offset:         80
        .size:           8
        .value_kind:     by_value
      - .offset:         88
        .size:           4
        .value_kind:     by_value
      - .offset:         96
        .size:           8
        .value_kind:     by_value
      - .address_space:  global
        .offset:         104
        .size:           8
        .value_kind:     global_buffer
      - .offset:         112
        .size:           8
        .value_kind:     by_value
      - .offset:         120
        .size:           4
        .value_kind:     by_value
      - .offset:         128
        .size:           8
        .value_kind:     by_value
      - .offset:         136
        .size:           4
        .value_kind:     by_value
    .group_segment_fixed_size: 128
    .kernarg_segment_align: 8
    .kernarg_segment_size: 140
    .language:       OpenCL C
    .language_version:
      - 2
      - 0
    .max_flat_workgroup_size: 256
    .name:           _ZL32rocblas_gemvt_warp_reduce_kernelILb0ELi256EifffEviiT3_lPKT2_lT1_lS3_lS4_lS0_lPT4_lS4_li
    .private_segment_fixed_size: 0
    .sgpr_count:     42
    .sgpr_spill_count: 0
    .symbol:         _ZL32rocblas_gemvt_warp_reduce_kernelILb0ELi256EifffEviiT3_lPKT2_lT1_lS3_lS4_lS0_lPT4_lS4_li.kd
    .uniform_work_group_size: 1
    .uses_dynamic_stack: false
    .vgpr_count:     20
    .vgpr_spill_count: 0
    .wavefront_size: 32
  - .args:
      - .offset:         0
        .size:           4
        .value_kind:     by_value
      - .offset:         4
        .size:           4
        .value_kind:     by_value
      - .offset:         8
        .size:           4
        .value_kind:     by_value
      - .offset:         16
        .size:           8
        .value_kind:     by_value
      - .address_space:  global
        .offset:         24
        .size:           8
        .value_kind:     global_buffer
      - .offset:         32
        .size:           8
        .value_kind:     by_value
      - .offset:         40
        .size:           8
        .value_kind:     by_value
      - .offset:         48
        .size:           8
        .value_kind:     by_value
      - .address_space:  global
        .offset:         56
        .size:           8
        .value_kind:     global_buffer
      - .offset:         64
        .size:           8
        .value_kind:     by_value
      - .offset:         72
        .size:           8
        .value_kind:     by_value
      - .offset:         80
        .size:           8
        .value_kind:     by_value
      - .offset:         88
        .size:           4
        .value_kind:     by_value
      - .offset:         96
        .size:           8
        .value_kind:     by_value
      - .address_space:  global
        .offset:         104
        .size:           8
        .value_kind:     global_buffer
      - .offset:         112
        .size:           8
        .value_kind:     by_value
      - .offset:         120
        .size:           8
        .value_kind:     by_value
      - .offset:         128
        .size:           8
        .value_kind:     by_value
      - .offset:         136
        .size:           4
        .value_kind:     by_value
    .group_segment_fixed_size: 128
    .kernarg_segment_align: 8
    .kernarg_segment_size: 140
    .language:       OpenCL C
    .language_version:
      - 2
      - 0
    .max_flat_workgroup_size: 256
    .name:           _ZL32rocblas_gemvt_warp_reduce_kernelILb0ELi256ElfffEviiT3_lPKT2_lT1_lS3_lS4_lS0_lPT4_lS4_li
    .private_segment_fixed_size: 0
    .sgpr_count:     46
    .sgpr_spill_count: 0
    .symbol:         _ZL32rocblas_gemvt_warp_reduce_kernelILb0ELi256ElfffEviiT3_lPKT2_lT1_lS3_lS4_lS0_lPT4_lS4_li.kd
    .uniform_work_group_size: 1
    .uses_dynamic_stack: false
    .vgpr_count:     22
    .vgpr_spill_count: 0
    .wavefront_size: 32
  - .args:
      - .offset:         0
        .size:           4
        .value_kind:     by_value
      - .offset:         4
        .size:           4
        .value_kind:     by_value
      - .address_space:  global
        .offset:         8
        .size:           8
        .value_kind:     global_buffer
      - .offset:         16
        .size:           8
        .value_kind:     by_value
      - .address_space:  global
        .offset:         24
        .size:           8
        .value_kind:     global_buffer
      - .offset:         32
        .size:           8
        .value_kind:     by_value
      - .offset:         40
        .size:           4
        .value_kind:     by_value
      - .offset:         48
        .size:           8
        .value_kind:     by_value
      - .address_space:  global
        .offset:         56
        .size:           8
        .value_kind:     global_buffer
      - .offset:         64
        .size:           8
        .value_kind:     by_value
      - .offset:         72
        .size:           4
        .value_kind:     by_value
      - .offset:         80
        .size:           8
        .value_kind:     by_value
      - .address_space:  global
        .offset:         88
        .size:           8
        .value_kind:     global_buffer
      - .offset:         96
        .size:           8
        .value_kind:     by_value
      - .address_space:  global
        .offset:         104
        .size:           8
        .value_kind:     global_buffer
      - .offset:         112
        .size:           8
        .value_kind:     by_value
      - .offset:         120
        .size:           4
        .value_kind:     by_value
      - .offset:         128
        .size:           8
        .value_kind:     by_value
      - .offset:         136
        .size:           4
        .value_kind:     by_value
    .group_segment_fixed_size: 1024
    .kernarg_segment_align: 8
    .kernarg_segment_size: 140
    .language:       OpenCL C
    .language_version:
      - 2
      - 0
    .max_flat_workgroup_size: 256
    .name:           _ZL20rocblas_gemvt_kernelILb0ELi256EfPKffEviiT2_lPKT1_lilS5_lilS2_lPT3_lili
    .private_segment_fixed_size: 0
    .sgpr_count:     52
    .sgpr_spill_count: 0
    .symbol:         _ZL20rocblas_gemvt_kernelILb0ELi256EfPKffEviiT2_lPKT1_lilS5_lilS2_lPT3_lili.kd
    .uniform_work_group_size: 1
    .uses_dynamic_stack: false
    .vgpr_count:     19
    .vgpr_spill_count: 0
    .wavefront_size: 32
  - .args:
      - .offset:         0
        .size:           4
        .value_kind:     by_value
      - .offset:         4
        .size:           4
        .value_kind:     by_value
      - .offset:         8
        .size:           4
        .value_kind:     by_value
      - .offset:         16
        .size:           8
        .value_kind:     by_value
      - .address_space:  global
        .offset:         24
        .size:           8
        .value_kind:     global_buffer
      - .offset:         32
        .size:           8
        .value_kind:     by_value
      - .offset:         40
        .size:           4
        .value_kind:     by_value
      - .offset:         48
        .size:           8
        .value_kind:     by_value
      - .address_space:  global
        .offset:         56
        .size:           8
        .value_kind:     global_buffer
      - .offset:         64
        .size:           8
        .value_kind:     by_value
      - .offset:         72
        .size:           4
        .value_kind:     by_value
      - .offset:         80
        .size:           8
        .value_kind:     by_value
      - .offset:         88
        .size:           4
        .value_kind:     by_value
      - .offset:         96
        .size:           8
        .value_kind:     by_value
      - .address_space:  global
        .offset:         104
        .size:           8
        .value_kind:     global_buffer
      - .offset:         112
        .size:           8
        .value_kind:     by_value
      - .offset:         120
        .size:           4
        .value_kind:     by_value
      - .offset:         128
        .size:           8
        .value_kind:     by_value
      - .offset:         136
        .size:           4
        .value_kind:     by_value
    .group_segment_fixed_size: 1024
    .kernarg_segment_align: 8
    .kernarg_segment_size: 140
    .language:       OpenCL C
    .language_version:
      - 2
      - 0
    .max_flat_workgroup_size: 256
    .name:           _ZL20rocblas_gemvt_kernelILb0ELi256EfffEviiT2_lPKT1_lilS3_lilS0_lPT3_lili
    .private_segment_fixed_size: 0
    .sgpr_count:     50
    .sgpr_spill_count: 0
    .symbol:         _ZL20rocblas_gemvt_kernelILb0ELi256EfffEviiT2_lPKT1_lilS3_lilS0_lPT3_lili.kd
    .uniform_work_group_size: 1
    .uses_dynamic_stack: false
    .vgpr_count:     17
    .vgpr_spill_count: 0
    .wavefront_size: 32
  - .args:
      - .offset:         0
        .size:           4
        .value_kind:     by_value
      - .offset:         4
        .size:           4
        .value_kind:     by_value
      - .address_space:  global
        .offset:         8
        .size:           8
        .value_kind:     global_buffer
      - .offset:         16
        .size:           8
        .value_kind:     by_value
      - .address_space:  global
        .offset:         24
        .size:           8
        .value_kind:     global_buffer
      - .offset:         32
        .size:           8
        .value_kind:     by_value
      - .offset:         40
        .size:           4
        .value_kind:     by_value
      - .offset:         48
        .size:           8
        .value_kind:     by_value
      - .address_space:  global
        .offset:         56
        .size:           8
        .value_kind:     global_buffer
      - .offset:         64
        .size:           8
        .value_kind:     by_value
      - .offset:         72
        .size:           4
        .value_kind:     by_value
      - .offset:         80
        .size:           8
        .value_kind:     by_value
      - .address_space:  global
        .offset:         88
        .size:           8
        .value_kind:     global_buffer
      - .offset:         96
        .size:           8
        .value_kind:     by_value
      - .address_space:  global
        .offset:         104
        .size:           8
        .value_kind:     global_buffer
      - .offset:         112
        .size:           8
        .value_kind:     by_value
      - .offset:         120
        .size:           4
        .value_kind:     by_value
      - .offset:         128
        .size:           8
        .value_kind:     by_value
      - .offset:         136
        .size:           4
        .value_kind:     by_value
    .group_segment_fixed_size: 128
    .kernarg_segment_align: 8
    .kernarg_segment_size: 140
    .language:       OpenCL C
    .language_version:
      - 2
      - 0
    .max_flat_workgroup_size: 1024
    .name:           _ZL32rocblas_gemvt_warp_reduce_kernelILb0ELi1024EifPKffEviiT3_lPKT2_lT1_lS5_lS6_lS2_lPT4_lS6_li
    .private_segment_fixed_size: 0
    .sgpr_count:     46
    .sgpr_spill_count: 0
    .symbol:         _ZL32rocblas_gemvt_warp_reduce_kernelILb0ELi1024EifPKffEviiT3_lPKT2_lT1_lS5_lS6_lS2_lPT4_lS6_li.kd
    .uniform_work_group_size: 1
    .uses_dynamic_stack: false
    .vgpr_count:     21
    .vgpr_spill_count: 0
    .wavefront_size: 32
  - .args:
      - .offset:         0
        .size:           4
        .value_kind:     by_value
      - .offset:         4
        .size:           4
        .value_kind:     by_value
      - .address_space:  global
        .offset:         8
        .size:           8
        .value_kind:     global_buffer
      - .offset:         16
        .size:           8
        .value_kind:     by_value
      - .address_space:  global
        .offset:         24
        .size:           8
        .value_kind:     global_buffer
      - .offset:         32
        .size:           8
        .value_kind:     by_value
      - .offset:         40
        .size:           8
        .value_kind:     by_value
      - .offset:         48
        .size:           8
        .value_kind:     by_value
      - .address_space:  global
        .offset:         56
        .size:           8
        .value_kind:     global_buffer
      - .offset:         64
        .size:           8
        .value_kind:     by_value
      - .offset:         72
        .size:           8
        .value_kind:     by_value
      - .offset:         80
        .size:           8
        .value_kind:     by_value
      - .address_space:  global
        .offset:         88
        .size:           8
        .value_kind:     global_buffer
      - .offset:         96
        .size:           8
        .value_kind:     by_value
      - .address_space:  global
        .offset:         104
        .size:           8
        .value_kind:     global_buffer
      - .offset:         112
        .size:           8
        .value_kind:     by_value
      - .offset:         120
        .size:           8
        .value_kind:     by_value
      - .offset:         128
        .size:           8
        .value_kind:     by_value
      - .offset:         136
        .size:           4
        .value_kind:     by_value
    .group_segment_fixed_size: 128
    .kernarg_segment_align: 8
    .kernarg_segment_size: 140
    .language:       OpenCL C
    .language_version:
      - 2
      - 0
    .max_flat_workgroup_size: 1024
    .name:           _ZL32rocblas_gemvt_warp_reduce_kernelILb0ELi1024ElfPKffEviiT3_lPKT2_lT1_lS5_lS6_lS2_lPT4_lS6_li
    .private_segment_fixed_size: 0
    .sgpr_count:     54
    .sgpr_spill_count: 0
    .symbol:         _ZL32rocblas_gemvt_warp_reduce_kernelILb0ELi1024ElfPKffEviiT3_lPKT2_lT1_lS5_lS6_lS2_lPT4_lS6_li.kd
    .uniform_work_group_size: 1
    .uses_dynamic_stack: false
    .vgpr_count:     23
    .vgpr_spill_count: 0
    .wavefront_size: 32
  - .args:
      - .offset:         0
        .size:           4
        .value_kind:     by_value
      - .offset:         4
        .size:           4
        .value_kind:     by_value
      - .offset:         8
        .size:           4
        .value_kind:     by_value
      - .offset:         16
        .size:           8
        .value_kind:     by_value
      - .address_space:  global
        .offset:         24
        .size:           8
        .value_kind:     global_buffer
      - .offset:         32
        .size:           8
        .value_kind:     by_value
      - .offset:         40
        .size:           4
        .value_kind:     by_value
      - .offset:         48
        .size:           8
        .value_kind:     by_value
      - .address_space:  global
        .offset:         56
        .size:           8
        .value_kind:     global_buffer
      - .offset:         64
        .size:           8
        .value_kind:     by_value
      - .offset:         72
        .size:           4
        .value_kind:     by_value
      - .offset:         80
        .size:           8
        .value_kind:     by_value
      - .offset:         88
        .size:           4
        .value_kind:     by_value
      - .offset:         96
        .size:           8
        .value_kind:     by_value
      - .address_space:  global
        .offset:         104
        .size:           8
        .value_kind:     global_buffer
      - .offset:         112
        .size:           8
        .value_kind:     by_value
      - .offset:         120
        .size:           4
        .value_kind:     by_value
      - .offset:         128
        .size:           8
        .value_kind:     by_value
      - .offset:         136
        .size:           4
        .value_kind:     by_value
    .group_segment_fixed_size: 128
    .kernarg_segment_align: 8
    .kernarg_segment_size: 140
    .language:       OpenCL C
    .language_version:
      - 2
      - 0
    .max_flat_workgroup_size: 1024
    .name:           _ZL32rocblas_gemvt_warp_reduce_kernelILb0ELi1024EifffEviiT3_lPKT2_lT1_lS3_lS4_lS0_lPT4_lS4_li
    .private_segment_fixed_size: 0
    .sgpr_count:     42
    .sgpr_spill_count: 0
    .symbol:         _ZL32rocblas_gemvt_warp_reduce_kernelILb0ELi1024EifffEviiT3_lPKT2_lT1_lS3_lS4_lS0_lPT4_lS4_li.kd
    .uniform_work_group_size: 1
    .uses_dynamic_stack: false
    .vgpr_count:     20
    .vgpr_spill_count: 0
    .wavefront_size: 32
  - .args:
      - .offset:         0
        .size:           4
        .value_kind:     by_value
      - .offset:         4
        .size:           4
        .value_kind:     by_value
      - .offset:         8
        .size:           4
        .value_kind:     by_value
      - .offset:         16
        .size:           8
        .value_kind:     by_value
      - .address_space:  global
        .offset:         24
        .size:           8
        .value_kind:     global_buffer
      - .offset:         32
        .size:           8
        .value_kind:     by_value
      - .offset:         40
        .size:           8
        .value_kind:     by_value
      - .offset:         48
        .size:           8
        .value_kind:     by_value
      - .address_space:  global
        .offset:         56
        .size:           8
        .value_kind:     global_buffer
      - .offset:         64
        .size:           8
        .value_kind:     by_value
      - .offset:         72
        .size:           8
        .value_kind:     by_value
      - .offset:         80
        .size:           8
        .value_kind:     by_value
      - .offset:         88
        .size:           4
        .value_kind:     by_value
      - .offset:         96
        .size:           8
        .value_kind:     by_value
      - .address_space:  global
        .offset:         104
        .size:           8
        .value_kind:     global_buffer
      - .offset:         112
        .size:           8
        .value_kind:     by_value
      - .offset:         120
        .size:           8
        .value_kind:     by_value
      - .offset:         128
        .size:           8
        .value_kind:     by_value
      - .offset:         136
        .size:           4
        .value_kind:     by_value
    .group_segment_fixed_size: 128
    .kernarg_segment_align: 8
    .kernarg_segment_size: 140
    .language:       OpenCL C
    .language_version:
      - 2
      - 0
    .max_flat_workgroup_size: 1024
    .name:           _ZL32rocblas_gemvt_warp_reduce_kernelILb0ELi1024ElfffEviiT3_lPKT2_lT1_lS3_lS4_lS0_lPT4_lS4_li
    .private_segment_fixed_size: 0
    .sgpr_count:     44
    .sgpr_spill_count: 0
    .symbol:         _ZL32rocblas_gemvt_warp_reduce_kernelILb0ELi1024ElfffEviiT3_lPKT2_lT1_lS3_lS4_lS0_lPT4_lS4_li.kd
    .uniform_work_group_size: 1
    .uses_dynamic_stack: false
    .vgpr_count:     22
    .vgpr_spill_count: 0
    .wavefront_size: 32
  - .args:
      - .offset:         0
        .size:           4
        .value_kind:     by_value
      - .offset:         4
        .size:           4
        .value_kind:     by_value
      - .address_space:  global
        .offset:         8
        .size:           8
        .value_kind:     global_buffer
      - .offset:         16
        .size:           8
        .value_kind:     by_value
      - .address_space:  global
        .offset:         24
        .size:           8
        .value_kind:     global_buffer
      - .offset:         32
        .size:           8
        .value_kind:     by_value
      - .offset:         40
        .size:           4
        .value_kind:     by_value
      - .offset:         48
        .size:           8
        .value_kind:     by_value
      - .address_space:  global
        .offset:         56
        .size:           8
        .value_kind:     global_buffer
      - .offset:         64
        .size:           8
        .value_kind:     by_value
      - .offset:         72
        .size:           4
        .value_kind:     by_value
      - .offset:         80
        .size:           8
        .value_kind:     by_value
      - .address_space:  global
        .offset:         88
        .size:           8
        .value_kind:     global_buffer
      - .offset:         96
        .size:           8
        .value_kind:     by_value
      - .address_space:  global
        .offset:         104
        .size:           8
        .value_kind:     global_buffer
      - .offset:         112
        .size:           8
        .value_kind:     by_value
      - .offset:         120
        .size:           4
        .value_kind:     by_value
      - .offset:         128
        .size:           8
        .value_kind:     by_value
    .group_segment_fixed_size: 256
    .kernarg_segment_align: 8
    .kernarg_segment_size: 136
    .language:       OpenCL C
    .language_version:
      - 2
      - 0
    .max_flat_workgroup_size: 256
    .name:           _ZL22rocblas_gemvtsm_kernelILb1ELi256EfPKffEviiT2_lPKT1_lilS5_lilS2_lPT3_lil
    .private_segment_fixed_size: 0
    .sgpr_count:     32
    .sgpr_spill_count: 0
    .symbol:         _ZL22rocblas_gemvtsm_kernelILb1ELi256EfPKffEviiT2_lPKT1_lilS5_lilS2_lPT3_lil.kd
    .uniform_work_group_size: 1
    .uses_dynamic_stack: false
    .vgpr_count:     28
    .vgpr_spill_count: 0
    .wavefront_size: 32
  - .args:
      - .offset:         0
        .size:           4
        .value_kind:     by_value
      - .offset:         4
        .size:           4
        .value_kind:     by_value
      - .offset:         8
        .size:           4
        .value_kind:     by_value
      - .offset:         16
        .size:           8
        .value_kind:     by_value
      - .address_space:  global
        .offset:         24
        .size:           8
        .value_kind:     global_buffer
      - .offset:         32
        .size:           8
        .value_kind:     by_value
      - .offset:         40
        .size:           4
        .value_kind:     by_value
      - .offset:         48
        .size:           8
        .value_kind:     by_value
      - .address_space:  global
        .offset:         56
        .size:           8
        .value_kind:     global_buffer
      - .offset:         64
        .size:           8
        .value_kind:     by_value
      - .offset:         72
        .size:           4
        .value_kind:     by_value
      - .offset:         80
        .size:           8
        .value_kind:     by_value
      - .offset:         88
        .size:           4
        .value_kind:     by_value
      - .offset:         96
        .size:           8
        .value_kind:     by_value
      - .address_space:  global
        .offset:         104
        .size:           8
        .value_kind:     global_buffer
      - .offset:         112
        .size:           8
        .value_kind:     by_value
      - .offset:         120
        .size:           4
        .value_kind:     by_value
      - .offset:         128
        .size:           8
        .value_kind:     by_value
    .group_segment_fixed_size: 256
    .kernarg_segment_align: 8
    .kernarg_segment_size: 136
    .language:       OpenCL C
    .language_version:
      - 2
      - 0
    .max_flat_workgroup_size: 256
    .name:           _ZL22rocblas_gemvtsm_kernelILb1ELi256EfffEviiT2_lPKT1_lilS3_lilS0_lPT3_lil
    .private_segment_fixed_size: 0
    .sgpr_count:     28
    .sgpr_spill_count: 0
    .symbol:         _ZL22rocblas_gemvtsm_kernelILb1ELi256EfffEviiT2_lPKT1_lilS3_lilS0_lPT3_lil.kd
    .uniform_work_group_size: 1
    .uses_dynamic_stack: false
    .vgpr_count:     28
    .vgpr_spill_count: 0
    .wavefront_size: 32
  - .args:
      - .offset:         0
        .size:           4
        .value_kind:     by_value
      - .offset:         4
        .size:           4
        .value_kind:     by_value
      - .address_space:  global
        .offset:         8
        .size:           8
        .value_kind:     global_buffer
      - .offset:         16
        .size:           8
        .value_kind:     by_value
      - .address_space:  global
        .offset:         24
        .size:           8
        .value_kind:     global_buffer
      - .offset:         32
        .size:           8
        .value_kind:     by_value
      - .offset:         40
        .size:           4
        .value_kind:     by_value
      - .offset:         48
        .size:           8
        .value_kind:     by_value
      - .address_space:  global
        .offset:         56
        .size:           8
        .value_kind:     global_buffer
      - .offset:         64
        .size:           8
        .value_kind:     by_value
      - .offset:         72
        .size:           4
        .value_kind:     by_value
      - .offset:         80
        .size:           8
        .value_kind:     by_value
      - .address_space:  global
        .offset:         88
        .size:           8
        .value_kind:     global_buffer
      - .offset:         96
        .size:           4
        .value_kind:     by_value
      - .offset:         104
        .size:           4
        .value_kind:     hidden_block_count_x
      - .offset:         108
        .size:           4
        .value_kind:     hidden_block_count_y
      - .offset:         112
        .size:           4
        .value_kind:     hidden_block_count_z
      - .offset:         116
        .size:           2
        .value_kind:     hidden_group_size_x
      - .offset:         118
        .size:           2
        .value_kind:     hidden_group_size_y
      - .offset:         120
        .size:           2
        .value_kind:     hidden_group_size_z
      - .offset:         122
        .size:           2
        .value_kind:     hidden_remainder_x
      - .offset:         124
        .size:           2
        .value_kind:     hidden_remainder_y
      - .offset:         126
        .size:           2
        .value_kind:     hidden_remainder_z
      - .offset:         144
        .size:           8
        .value_kind:     hidden_global_offset_x
      - .offset:         152
        .size:           8
        .value_kind:     hidden_global_offset_y
      - .offset:         160
        .size:           8
        .value_kind:     hidden_global_offset_z
      - .offset:         168
        .size:           2
        .value_kind:     hidden_grid_dims
    .group_segment_fixed_size: 128
    .kernarg_segment_align: 8
    .kernarg_segment_size: 360
    .language:       OpenCL C
    .language_version:
      - 2
      - 0
    .max_flat_workgroup_size: 256
    .name:           _ZL23rocblas_gemvt_sn_kernelILb1ELi256ELi4EifPKffEviiT4_lPKT3_lilS5_lilPT5_i
    .private_segment_fixed_size: 0
    .sgpr_count:     84
    .sgpr_spill_count: 0
    .symbol:         _ZL23rocblas_gemvt_sn_kernelILb1ELi256ELi4EifPKffEviiT4_lPKT3_lilS5_lilPT5_i.kd
    .uniform_work_group_size: 1
    .uses_dynamic_stack: false
    .vgpr_count:     64
    .vgpr_spill_count: 0
    .wavefront_size: 32
  - .args:
      - .offset:         0
        .size:           4
        .value_kind:     by_value
      - .offset:         4
        .size:           4
        .value_kind:     by_value
      - .address_space:  global
        .offset:         8
        .size:           8
        .value_kind:     global_buffer
      - .offset:         16
        .size:           8
        .value_kind:     by_value
      - .address_space:  global
        .offset:         24
        .size:           8
        .value_kind:     global_buffer
      - .offset:         32
        .size:           8
        .value_kind:     by_value
      - .offset:         40
        .size:           4
        .value_kind:     by_value
      - .offset:         48
        .size:           8
        .value_kind:     by_value
      - .address_space:  global
        .offset:         56
        .size:           8
        .value_kind:     global_buffer
      - .offset:         64
        .size:           8
        .value_kind:     by_value
      - .offset:         72
        .size:           4
        .value_kind:     by_value
      - .offset:         80
        .size:           8
        .value_kind:     by_value
      - .address_space:  global
        .offset:         88
        .size:           8
        .value_kind:     global_buffer
      - .offset:         96
        .size:           4
        .value_kind:     by_value
      - .offset:         104
        .size:           4
        .value_kind:     hidden_block_count_x
      - .offset:         108
        .size:           4
        .value_kind:     hidden_block_count_y
      - .offset:         112
        .size:           4
        .value_kind:     hidden_block_count_z
      - .offset:         116
        .size:           2
        .value_kind:     hidden_group_size_x
      - .offset:         118
        .size:           2
        .value_kind:     hidden_group_size_y
      - .offset:         120
        .size:           2
        .value_kind:     hidden_group_size_z
      - .offset:         122
        .size:           2
        .value_kind:     hidden_remainder_x
      - .offset:         124
        .size:           2
        .value_kind:     hidden_remainder_y
      - .offset:         126
        .size:           2
        .value_kind:     hidden_remainder_z
      - .offset:         144
        .size:           8
        .value_kind:     hidden_global_offset_x
      - .offset:         152
        .size:           8
        .value_kind:     hidden_global_offset_y
      - .offset:         160
        .size:           8
        .value_kind:     hidden_global_offset_z
      - .offset:         168
        .size:           2
        .value_kind:     hidden_grid_dims
    .group_segment_fixed_size: 128
    .kernarg_segment_align: 8
    .kernarg_segment_size: 360
    .language:       OpenCL C
    .language_version:
      - 2
      - 0
    .max_flat_workgroup_size: 256
    .name:           _ZL23rocblas_gemvt_sn_kernelILb1ELi256ELi4ElfPKffEviiT4_lPKT3_lilS5_lilPT5_i
    .private_segment_fixed_size: 0
    .sgpr_count:     78
    .sgpr_spill_count: 0
    .symbol:         _ZL23rocblas_gemvt_sn_kernelILb1ELi256ELi4ElfPKffEviiT4_lPKT3_lilS5_lilPT5_i.kd
    .uniform_work_group_size: 1
    .uses_dynamic_stack: false
    .vgpr_count:     68
    .vgpr_spill_count: 0
    .wavefront_size: 32
  - .args:
      - .offset:         0
        .size:           4
        .value_kind:     by_value
      - .offset:         4
        .size:           4
        .value_kind:     by_value
      - .offset:         8
        .size:           4
        .value_kind:     by_value
      - .offset:         16
        .size:           8
        .value_kind:     by_value
      - .address_space:  global
        .offset:         24
        .size:           8
        .value_kind:     global_buffer
      - .offset:         32
        .size:           8
        .value_kind:     by_value
      - .offset:         40
        .size:           4
        .value_kind:     by_value
      - .offset:         48
        .size:           8
        .value_kind:     by_value
      - .address_space:  global
        .offset:         56
        .size:           8
        .value_kind:     global_buffer
      - .offset:         64
        .size:           8
        .value_kind:     by_value
      - .offset:         72
        .size:           4
        .value_kind:     by_value
      - .offset:         80
        .size:           8
        .value_kind:     by_value
      - .address_space:  global
        .offset:         88
        .size:           8
        .value_kind:     global_buffer
      - .offset:         96
        .size:           4
        .value_kind:     by_value
      - .offset:         104
        .size:           4
        .value_kind:     hidden_block_count_x
      - .offset:         108
        .size:           4
        .value_kind:     hidden_block_count_y
      - .offset:         112
        .size:           4
        .value_kind:     hidden_block_count_z
      - .offset:         116
        .size:           2
        .value_kind:     hidden_group_size_x
      - .offset:         118
        .size:           2
        .value_kind:     hidden_group_size_y
      - .offset:         120
        .size:           2
        .value_kind:     hidden_group_size_z
      - .offset:         122
        .size:           2
        .value_kind:     hidden_remainder_x
      - .offset:         124
        .size:           2
        .value_kind:     hidden_remainder_y
      - .offset:         126
        .size:           2
        .value_kind:     hidden_remainder_z
      - .offset:         144
        .size:           8
        .value_kind:     hidden_global_offset_x
      - .offset:         152
        .size:           8
        .value_kind:     hidden_global_offset_y
      - .offset:         160
        .size:           8
        .value_kind:     hidden_global_offset_z
      - .offset:         168
        .size:           2
        .value_kind:     hidden_grid_dims
    .group_segment_fixed_size: 128
    .kernarg_segment_align: 8
    .kernarg_segment_size: 360
    .language:       OpenCL C
    .language_version:
      - 2
      - 0
    .max_flat_workgroup_size: 256
    .name:           _ZL23rocblas_gemvt_sn_kernelILb1ELi256ELi4EifffEviiT4_lPKT3_lilS3_lilPT5_i
    .private_segment_fixed_size: 0
    .sgpr_count:     82
    .sgpr_spill_count: 0
    .symbol:         _ZL23rocblas_gemvt_sn_kernelILb1ELi256ELi4EifffEviiT4_lPKT3_lilS3_lilPT5_i.kd
    .uniform_work_group_size: 1
    .uses_dynamic_stack: false
    .vgpr_count:     62
    .vgpr_spill_count: 0
    .wavefront_size: 32
  - .args:
      - .offset:         0
        .size:           4
        .value_kind:     by_value
      - .offset:         4
        .size:           4
        .value_kind:     by_value
      - .offset:         8
        .size:           4
        .value_kind:     by_value
      - .offset:         16
        .size:           8
        .value_kind:     by_value
      - .address_space:  global
        .offset:         24
        .size:           8
        .value_kind:     global_buffer
      - .offset:         32
        .size:           8
        .value_kind:     by_value
      - .offset:         40
        .size:           4
        .value_kind:     by_value
      - .offset:         48
        .size:           8
        .value_kind:     by_value
      - .address_space:  global
        .offset:         56
        .size:           8
        .value_kind:     global_buffer
      - .offset:         64
        .size:           8
        .value_kind:     by_value
      - .offset:         72
        .size:           4
        .value_kind:     by_value
      - .offset:         80
        .size:           8
        .value_kind:     by_value
      - .address_space:  global
        .offset:         88
        .size:           8
        .value_kind:     global_buffer
      - .offset:         96
        .size:           4
        .value_kind:     by_value
      - .offset:         104
        .size:           4
        .value_kind:     hidden_block_count_x
      - .offset:         108
        .size:           4
        .value_kind:     hidden_block_count_y
      - .offset:         112
        .size:           4
        .value_kind:     hidden_block_count_z
      - .offset:         116
        .size:           2
        .value_kind:     hidden_group_size_x
      - .offset:         118
        .size:           2
        .value_kind:     hidden_group_size_y
      - .offset:         120
        .size:           2
        .value_kind:     hidden_group_size_z
      - .offset:         122
        .size:           2
        .value_kind:     hidden_remainder_x
      - .offset:         124
        .size:           2
        .value_kind:     hidden_remainder_y
      - .offset:         126
        .size:           2
        .value_kind:     hidden_remainder_z
      - .offset:         144
        .size:           8
        .value_kind:     hidden_global_offset_x
      - .offset:         152
        .size:           8
        .value_kind:     hidden_global_offset_y
      - .offset:         160
        .size:           8
        .value_kind:     hidden_global_offset_z
      - .offset:         168
        .size:           2
        .value_kind:     hidden_grid_dims
    .group_segment_fixed_size: 128
    .kernarg_segment_align: 8
    .kernarg_segment_size: 360
    .language:       OpenCL C
    .language_version:
      - 2
      - 0
    .max_flat_workgroup_size: 256
    .name:           _ZL23rocblas_gemvt_sn_kernelILb1ELi256ELi4ElfffEviiT4_lPKT3_lilS3_lilPT5_i
    .private_segment_fixed_size: 0
    .sgpr_count:     76
    .sgpr_spill_count: 0
    .symbol:         _ZL23rocblas_gemvt_sn_kernelILb1ELi256ELi4ElfffEviiT4_lPKT3_lilS3_lilPT5_i.kd
    .uniform_work_group_size: 1
    .uses_dynamic_stack: false
    .vgpr_count:     66
    .vgpr_spill_count: 0
    .wavefront_size: 32
  - .args:
      - .offset:         0
        .size:           4
        .value_kind:     by_value
      - .offset:         4
        .size:           4
        .value_kind:     by_value
      - .address_space:  global
        .offset:         8
        .size:           8
        .value_kind:     global_buffer
      - .offset:         16
        .size:           8
        .value_kind:     by_value
      - .address_space:  global
        .offset:         24
        .size:           8
        .value_kind:     global_buffer
      - .offset:         32
        .size:           8
        .value_kind:     by_value
      - .offset:         40
        .size:           4
        .value_kind:     by_value
      - .offset:         48
        .size:           8
        .value_kind:     by_value
      - .address_space:  global
        .offset:         56
        .size:           8
        .value_kind:     global_buffer
      - .offset:         64
        .size:           8
        .value_kind:     by_value
      - .offset:         72
        .size:           4
        .value_kind:     by_value
      - .offset:         80
        .size:           8
        .value_kind:     by_value
      - .address_space:  global
        .offset:         88
        .size:           8
        .value_kind:     global_buffer
      - .offset:         96
        .size:           8
        .value_kind:     by_value
      - .offset:         104
        .size:           4
        .value_kind:     by_value
      - .offset:         112
        .size:           8
        .value_kind:     by_value
      - .offset:         120
        .size:           4
        .value_kind:     by_value
      - .offset:         128
        .size:           4
        .value_kind:     hidden_block_count_x
      - .offset:         132
        .size:           4
        .value_kind:     hidden_block_count_y
      - .offset:         136
        .size:           4
        .value_kind:     hidden_block_count_z
      - .offset:         140
        .size:           2
        .value_kind:     hidden_group_size_x
      - .offset:         142
        .size:           2
        .value_kind:     hidden_group_size_y
      - .offset:         144
        .size:           2
        .value_kind:     hidden_group_size_z
      - .offset:         146
        .size:           2
        .value_kind:     hidden_remainder_x
      - .offset:         148
        .size:           2
        .value_kind:     hidden_remainder_y
      - .offset:         150
        .size:           2
        .value_kind:     hidden_remainder_z
      - .offset:         168
        .size:           8
        .value_kind:     hidden_global_offset_x
      - .offset:         176
        .size:           8
        .value_kind:     hidden_global_offset_y
      - .offset:         184
        .size:           8
        .value_kind:     hidden_global_offset_z
      - .offset:         192
        .size:           2
        .value_kind:     hidden_grid_dims
    .group_segment_fixed_size: 32768
    .kernarg_segment_align: 8
    .kernarg_segment_size: 384
    .language:       OpenCL C
    .language_version:
      - 2
      - 0
    .max_flat_workgroup_size: 1024
    .name:           _ZL36rocblas_gemvt_double_buffered_kernelILb1ELi128ELi8ELi8EfPKffEviiT4_lPKT3_lilS5_lilPT5_lili
    .private_segment_fixed_size: 68
    .sgpr_count:     45
    .sgpr_spill_count: 0
    .symbol:         _ZL36rocblas_gemvt_double_buffered_kernelILb1ELi128ELi8ELi8EfPKffEviiT4_lPKT3_lilS5_lilPT5_lili.kd
    .uniform_work_group_size: 1
    .uses_dynamic_stack: false
    .vgpr_count:     128
    .vgpr_spill_count: 16
    .wavefront_size: 32
  - .args:
      - .offset:         0
        .size:           4
        .value_kind:     by_value
      - .offset:         4
        .size:           4
        .value_kind:     by_value
      - .offset:         8
        .size:           4
        .value_kind:     by_value
      - .offset:         16
        .size:           8
        .value_kind:     by_value
      - .address_space:  global
        .offset:         24
        .size:           8
        .value_kind:     global_buffer
      - .offset:         32
        .size:           8
        .value_kind:     by_value
      - .offset:         40
        .size:           4
        .value_kind:     by_value
      - .offset:         48
        .size:           8
        .value_kind:     by_value
      - .address_space:  global
        .offset:         56
        .size:           8
        .value_kind:     global_buffer
      - .offset:         64
        .size:           8
        .value_kind:     by_value
      - .offset:         72
        .size:           4
        .value_kind:     by_value
      - .offset:         80
        .size:           8
        .value_kind:     by_value
      - .address_space:  global
        .offset:         88
        .size:           8
        .value_kind:     global_buffer
      - .offset:         96
        .size:           8
        .value_kind:     by_value
      - .offset:         104
        .size:           4
        .value_kind:     by_value
      - .offset:         112
        .size:           8
        .value_kind:     by_value
      - .offset:         120
        .size:           4
        .value_kind:     by_value
      - .offset:         128
        .size:           4
        .value_kind:     hidden_block_count_x
      - .offset:         132
        .size:           4
        .value_kind:     hidden_block_count_y
      - .offset:         136
        .size:           4
        .value_kind:     hidden_block_count_z
      - .offset:         140
        .size:           2
        .value_kind:     hidden_group_size_x
      - .offset:         142
        .size:           2
        .value_kind:     hidden_group_size_y
      - .offset:         144
        .size:           2
        .value_kind:     hidden_group_size_z
      - .offset:         146
        .size:           2
        .value_kind:     hidden_remainder_x
      - .offset:         148
        .size:           2
        .value_kind:     hidden_remainder_y
      - .offset:         150
        .size:           2
        .value_kind:     hidden_remainder_z
      - .offset:         168
        .size:           8
        .value_kind:     hidden_global_offset_x
      - .offset:         176
        .size:           8
        .value_kind:     hidden_global_offset_y
      - .offset:         184
        .size:           8
        .value_kind:     hidden_global_offset_z
      - .offset:         192
        .size:           2
        .value_kind:     hidden_grid_dims
    .group_segment_fixed_size: 32768
    .kernarg_segment_align: 8
    .kernarg_segment_size: 384
    .language:       OpenCL C
    .language_version:
      - 2
      - 0
    .max_flat_workgroup_size: 1024
    .name:           _ZL36rocblas_gemvt_double_buffered_kernelILb1ELi128ELi8ELi8EfffEviiT4_lPKT3_lilS3_lilPT5_lili
    .private_segment_fixed_size: 64
    .sgpr_count:     42
    .sgpr_spill_count: 0
    .symbol:         _ZL36rocblas_gemvt_double_buffered_kernelILb1ELi128ELi8ELi8EfffEviiT4_lPKT3_lilS3_lilPT5_lili.kd
    .uniform_work_group_size: 1
    .uses_dynamic_stack: false
    .vgpr_count:     128
    .vgpr_spill_count: 15
    .wavefront_size: 32
  - .args:
      - .offset:         0
        .size:           4
        .value_kind:     by_value
      - .offset:         4
        .size:           4
        .value_kind:     by_value
      - .address_space:  global
        .offset:         8
        .size:           8
        .value_kind:     global_buffer
      - .offset:         16
        .size:           8
        .value_kind:     by_value
      - .address_space:  global
        .offset:         24
        .size:           8
        .value_kind:     global_buffer
      - .offset:         32
        .size:           8
        .value_kind:     by_value
      - .offset:         40
        .size:           4
        .value_kind:     by_value
      - .offset:         48
        .size:           8
        .value_kind:     by_value
      - .address_space:  global
        .offset:         56
        .size:           8
        .value_kind:     global_buffer
      - .offset:         64
        .size:           8
        .value_kind:     by_value
      - .offset:         72
        .size:           4
        .value_kind:     by_value
      - .offset:         80
        .size:           8
        .value_kind:     by_value
      - .address_space:  global
        .offset:         88
        .size:           8
        .value_kind:     global_buffer
      - .offset:         96
        .size:           8
        .value_kind:     by_value
      - .address_space:  global
        .offset:         104
        .size:           8
        .value_kind:     global_buffer
      - .offset:         112
        .size:           8
        .value_kind:     by_value
      - .offset:         120
        .size:           4
        .value_kind:     by_value
      - .offset:         128
        .size:           8
        .value_kind:     by_value
      - .offset:         136
        .size:           4
        .value_kind:     by_value
    .group_segment_fixed_size: 1024
    .kernarg_segment_align: 8
    .kernarg_segment_size: 140
    .language:       OpenCL C
    .language_version:
      - 2
      - 0
    .max_flat_workgroup_size: 256
    .name:           _ZL20rocblas_gemvt_kernelILb1ELi256EfPKffEviiT2_lPKT1_lilS5_lilS2_lPT3_lili
    .private_segment_fixed_size: 0
    .sgpr_count:     52
    .sgpr_spill_count: 0
    .symbol:         _ZL20rocblas_gemvt_kernelILb1ELi256EfPKffEviiT2_lPKT1_lilS5_lilS2_lPT3_lili.kd
    .uniform_work_group_size: 1
    .uses_dynamic_stack: false
    .vgpr_count:     19
    .vgpr_spill_count: 0
    .wavefront_size: 32
  - .args:
      - .offset:         0
        .size:           4
        .value_kind:     by_value
      - .offset:         4
        .size:           4
        .value_kind:     by_value
      - .offset:         8
        .size:           4
        .value_kind:     by_value
      - .offset:         16
        .size:           8
        .value_kind:     by_value
      - .address_space:  global
        .offset:         24
        .size:           8
        .value_kind:     global_buffer
      - .offset:         32
        .size:           8
        .value_kind:     by_value
      - .offset:         40
        .size:           4
        .value_kind:     by_value
      - .offset:         48
        .size:           8
        .value_kind:     by_value
      - .address_space:  global
        .offset:         56
        .size:           8
        .value_kind:     global_buffer
      - .offset:         64
        .size:           8
        .value_kind:     by_value
      - .offset:         72
        .size:           4
        .value_kind:     by_value
      - .offset:         80
        .size:           8
        .value_kind:     by_value
      - .offset:         88
        .size:           4
        .value_kind:     by_value
      - .offset:         96
        .size:           8
        .value_kind:     by_value
      - .address_space:  global
        .offset:         104
        .size:           8
        .value_kind:     global_buffer
      - .offset:         112
        .size:           8
        .value_kind:     by_value
      - .offset:         120
        .size:           4
        .value_kind:     by_value
      - .offset:         128
        .size:           8
        .value_kind:     by_value
      - .offset:         136
        .size:           4
        .value_kind:     by_value
    .group_segment_fixed_size: 1024
    .kernarg_segment_align: 8
    .kernarg_segment_size: 140
    .language:       OpenCL C
    .language_version:
      - 2
      - 0
    .max_flat_workgroup_size: 256
    .name:           _ZL20rocblas_gemvt_kernelILb1ELi256EfffEviiT2_lPKT1_lilS3_lilS0_lPT3_lili
    .private_segment_fixed_size: 0
    .sgpr_count:     50
    .sgpr_spill_count: 0
    .symbol:         _ZL20rocblas_gemvt_kernelILb1ELi256EfffEviiT2_lPKT1_lilS3_lilS0_lPT3_lili.kd
    .uniform_work_group_size: 1
    .uses_dynamic_stack: false
    .vgpr_count:     17
    .vgpr_spill_count: 0
    .wavefront_size: 32
  - .args:
      - .offset:         0
        .size:           4
        .value_kind:     by_value
      - .offset:         4
        .size:           4
        .value_kind:     by_value
      - .address_space:  global
        .offset:         8
        .size:           8
        .value_kind:     global_buffer
      - .offset:         16
        .size:           8
        .value_kind:     by_value
      - .address_space:  global
        .offset:         24
        .size:           8
        .value_kind:     global_buffer
      - .offset:         32
        .size:           8
        .value_kind:     by_value
      - .offset:         40
        .size:           4
        .value_kind:     by_value
      - .offset:         48
        .size:           8
        .value_kind:     by_value
      - .address_space:  global
        .offset:         56
        .size:           8
        .value_kind:     global_buffer
      - .offset:         64
        .size:           8
        .value_kind:     by_value
      - .offset:         72
        .size:           4
        .value_kind:     by_value
      - .offset:         80
        .size:           8
        .value_kind:     by_value
      - .address_space:  global
        .offset:         88
        .size:           8
        .value_kind:     global_buffer
      - .offset:         96
        .size:           8
        .value_kind:     by_value
      - .address_space:  global
        .offset:         104
        .size:           8
        .value_kind:     global_buffer
      - .offset:         112
        .size:           8
        .value_kind:     by_value
      - .offset:         120
        .size:           4
        .value_kind:     by_value
      - .offset:         128
        .size:           8
        .value_kind:     by_value
      - .offset:         136
        .size:           4
        .value_kind:     by_value
    .group_segment_fixed_size: 128
    .kernarg_segment_align: 8
    .kernarg_segment_size: 140
    .language:       OpenCL C
    .language_version:
      - 2
      - 0
    .max_flat_workgroup_size: 1024
    .name:           _ZL32rocblas_gemvt_warp_reduce_kernelILb1ELi1024EifPKffEviiT3_lPKT2_lT1_lS5_lS6_lS2_lPT4_lS6_li
    .private_segment_fixed_size: 0
    .sgpr_count:     46
    .sgpr_spill_count: 0
    .symbol:         _ZL32rocblas_gemvt_warp_reduce_kernelILb1ELi1024EifPKffEviiT3_lPKT2_lT1_lS5_lS6_lS2_lPT4_lS6_li.kd
    .uniform_work_group_size: 1
    .uses_dynamic_stack: false
    .vgpr_count:     21
    .vgpr_spill_count: 0
    .wavefront_size: 32
  - .args:
      - .offset:         0
        .size:           4
        .value_kind:     by_value
      - .offset:         4
        .size:           4
        .value_kind:     by_value
      - .address_space:  global
        .offset:         8
        .size:           8
        .value_kind:     global_buffer
      - .offset:         16
        .size:           8
        .value_kind:     by_value
      - .address_space:  global
        .offset:         24
        .size:           8
        .value_kind:     global_buffer
      - .offset:         32
        .size:           8
        .value_kind:     by_value
      - .offset:         40
        .size:           8
        .value_kind:     by_value
      - .offset:         48
        .size:           8
        .value_kind:     by_value
      - .address_space:  global
        .offset:         56
        .size:           8
        .value_kind:     global_buffer
      - .offset:         64
        .size:           8
        .value_kind:     by_value
      - .offset:         72
        .size:           8
        .value_kind:     by_value
      - .offset:         80
        .size:           8
        .value_kind:     by_value
      - .address_space:  global
        .offset:         88
        .size:           8
        .value_kind:     global_buffer
      - .offset:         96
        .size:           8
        .value_kind:     by_value
      - .address_space:  global
        .offset:         104
        .size:           8
        .value_kind:     global_buffer
      - .offset:         112
        .size:           8
        .value_kind:     by_value
      - .offset:         120
        .size:           8
        .value_kind:     by_value
      - .offset:         128
        .size:           8
        .value_kind:     by_value
      - .offset:         136
        .size:           4
        .value_kind:     by_value
    .group_segment_fixed_size: 128
    .kernarg_segment_align: 8
    .kernarg_segment_size: 140
    .language:       OpenCL C
    .language_version:
      - 2
      - 0
    .max_flat_workgroup_size: 1024
    .name:           _ZL32rocblas_gemvt_warp_reduce_kernelILb1ELi1024ElfPKffEviiT3_lPKT2_lT1_lS5_lS6_lS2_lPT4_lS6_li
    .private_segment_fixed_size: 0
    .sgpr_count:     54
    .sgpr_spill_count: 0
    .symbol:         _ZL32rocblas_gemvt_warp_reduce_kernelILb1ELi1024ElfPKffEviiT3_lPKT2_lT1_lS5_lS6_lS2_lPT4_lS6_li.kd
    .uniform_work_group_size: 1
    .uses_dynamic_stack: false
    .vgpr_count:     23
    .vgpr_spill_count: 0
    .wavefront_size: 32
  - .args:
      - .offset:         0
        .size:           4
        .value_kind:     by_value
      - .offset:         4
        .size:           4
        .value_kind:     by_value
      - .offset:         8
        .size:           4
        .value_kind:     by_value
      - .offset:         16
        .size:           8
        .value_kind:     by_value
      - .address_space:  global
        .offset:         24
        .size:           8
        .value_kind:     global_buffer
      - .offset:         32
        .size:           8
        .value_kind:     by_value
      - .offset:         40
        .size:           4
        .value_kind:     by_value
      - .offset:         48
        .size:           8
        .value_kind:     by_value
      - .address_space:  global
        .offset:         56
        .size:           8
        .value_kind:     global_buffer
      - .offset:         64
        .size:           8
        .value_kind:     by_value
      - .offset:         72
        .size:           4
        .value_kind:     by_value
      - .offset:         80
        .size:           8
        .value_kind:     by_value
      - .offset:         88
        .size:           4
        .value_kind:     by_value
      - .offset:         96
        .size:           8
        .value_kind:     by_value
      - .address_space:  global
        .offset:         104
        .size:           8
        .value_kind:     global_buffer
      - .offset:         112
        .size:           8
        .value_kind:     by_value
      - .offset:         120
        .size:           4
        .value_kind:     by_value
      - .offset:         128
        .size:           8
        .value_kind:     by_value
      - .offset:         136
        .size:           4
        .value_kind:     by_value
    .group_segment_fixed_size: 128
    .kernarg_segment_align: 8
    .kernarg_segment_size: 140
    .language:       OpenCL C
    .language_version:
      - 2
      - 0
    .max_flat_workgroup_size: 1024
    .name:           _ZL32rocblas_gemvt_warp_reduce_kernelILb1ELi1024EifffEviiT3_lPKT2_lT1_lS3_lS4_lS0_lPT4_lS4_li
    .private_segment_fixed_size: 0
    .sgpr_count:     42
    .sgpr_spill_count: 0
    .symbol:         _ZL32rocblas_gemvt_warp_reduce_kernelILb1ELi1024EifffEviiT3_lPKT2_lT1_lS3_lS4_lS0_lPT4_lS4_li.kd
    .uniform_work_group_size: 1
    .uses_dynamic_stack: false
    .vgpr_count:     20
    .vgpr_spill_count: 0
    .wavefront_size: 32
  - .args:
      - .offset:         0
        .size:           4
        .value_kind:     by_value
      - .offset:         4
        .size:           4
        .value_kind:     by_value
      - .offset:         8
        .size:           4
        .value_kind:     by_value
      - .offset:         16
        .size:           8
        .value_kind:     by_value
      - .address_space:  global
        .offset:         24
        .size:           8
        .value_kind:     global_buffer
      - .offset:         32
        .size:           8
        .value_kind:     by_value
      - .offset:         40
        .size:           8
        .value_kind:     by_value
      - .offset:         48
        .size:           8
        .value_kind:     by_value
      - .address_space:  global
        .offset:         56
        .size:           8
        .value_kind:     global_buffer
      - .offset:         64
        .size:           8
        .value_kind:     by_value
      - .offset:         72
        .size:           8
        .value_kind:     by_value
      - .offset:         80
        .size:           8
        .value_kind:     by_value
      - .offset:         88
        .size:           4
        .value_kind:     by_value
      - .offset:         96
        .size:           8
        .value_kind:     by_value
      - .address_space:  global
        .offset:         104
        .size:           8
        .value_kind:     global_buffer
      - .offset:         112
        .size:           8
        .value_kind:     by_value
      - .offset:         120
        .size:           8
        .value_kind:     by_value
      - .offset:         128
        .size:           8
        .value_kind:     by_value
      - .offset:         136
        .size:           4
        .value_kind:     by_value
    .group_segment_fixed_size: 128
    .kernarg_segment_align: 8
    .kernarg_segment_size: 140
    .language:       OpenCL C
    .language_version:
      - 2
      - 0
    .max_flat_workgroup_size: 1024
    .name:           _ZL32rocblas_gemvt_warp_reduce_kernelILb1ELi1024ElfffEviiT3_lPKT2_lT1_lS3_lS4_lS0_lPT4_lS4_li
    .private_segment_fixed_size: 0
    .sgpr_count:     44
    .sgpr_spill_count: 0
    .symbol:         _ZL32rocblas_gemvt_warp_reduce_kernelILb1ELi1024ElfffEviiT3_lPKT2_lT1_lS3_lS4_lS0_lPT4_lS4_li.kd
    .uniform_work_group_size: 1
    .uses_dynamic_stack: false
    .vgpr_count:     22
    .vgpr_spill_count: 0
    .wavefront_size: 32
  - .args:
      - .offset:         0
        .size:           4
        .value_kind:     by_value
      - .offset:         4
        .size:           4
        .value_kind:     by_value
      - .address_space:  global
        .offset:         8
        .size:           8
        .value_kind:     global_buffer
      - .offset:         16
        .size:           8
        .value_kind:     by_value
      - .address_space:  global
        .offset:         24
        .size:           8
        .value_kind:     global_buffer
      - .offset:         32
        .size:           8
        .value_kind:     by_value
      - .offset:         40
        .size:           4
        .value_kind:     by_value
      - .offset:         48
        .size:           8
        .value_kind:     by_value
      - .address_space:  global
        .offset:         56
        .size:           8
        .value_kind:     global_buffer
      - .offset:         64
        .size:           8
        .value_kind:     by_value
      - .offset:         72
        .size:           4
        .value_kind:     by_value
      - .offset:         80
        .size:           8
        .value_kind:     by_value
      - .address_space:  global
        .offset:         88
        .size:           8
        .value_kind:     global_buffer
      - .offset:         96
        .size:           8
        .value_kind:     by_value
      - .address_space:  global
        .offset:         104
        .size:           8
        .value_kind:     global_buffer
      - .offset:         112
        .size:           8
        .value_kind:     by_value
      - .offset:         120
        .size:           4
        .value_kind:     by_value
      - .offset:         128
        .size:           8
        .value_kind:     by_value
      - .offset:         136
        .size:           4
        .value_kind:     by_value
    .group_segment_fixed_size: 0
    .kernarg_segment_align: 8
    .kernarg_segment_size: 140
    .language:       OpenCL C
    .language_version:
      - 2
      - 0
    .max_flat_workgroup_size: 768
    .name:           _ZL34rocblas_gemvn_sm_mn_batched_kernelILi32ELi24EdPKddEviiT2_lPKT1_lilS5_lilS2_lPT3_lili
    .private_segment_fixed_size: 0
    .sgpr_count:     0
    .sgpr_spill_count: 0
    .symbol:         _ZL34rocblas_gemvn_sm_mn_batched_kernelILi32ELi24EdPKddEviiT2_lPKT1_lilS5_lilS2_lPT3_lili.kd
    .uniform_work_group_size: 1
    .uses_dynamic_stack: false
    .vgpr_count:     0
    .vgpr_spill_count: 0
    .wavefront_size: 32
  - .args:
      - .offset:         0
        .size:           4
        .value_kind:     by_value
      - .offset:         4
        .size:           4
        .value_kind:     by_value
      - .offset:         8
        .size:           8
        .value_kind:     by_value
      - .offset:         16
        .size:           8
        .value_kind:     by_value
      - .address_space:  global
        .offset:         24
        .size:           8
        .value_kind:     global_buffer
      - .offset:         32
        .size:           8
        .value_kind:     by_value
      - .offset:         40
        .size:           4
        .value_kind:     by_value
      - .offset:         48
        .size:           8
        .value_kind:     by_value
      - .address_space:  global
        .offset:         56
        .size:           8
        .value_kind:     global_buffer
      - .offset:         64
        .size:           8
        .value_kind:     by_value
      - .offset:         72
        .size:           4
        .value_kind:     by_value
      - .offset:         80
        .size:           8
        .value_kind:     by_value
      - .offset:         88
        .size:           8
        .value_kind:     by_value
      - .offset:         96
        .size:           8
        .value_kind:     by_value
      - .address_space:  global
        .offset:         104
        .size:           8
        .value_kind:     global_buffer
      - .offset:         112
        .size:           8
        .value_kind:     by_value
      - .offset:         120
        .size:           4
        .value_kind:     by_value
      - .offset:         128
        .size:           8
        .value_kind:     by_value
      - .offset:         136
        .size:           4
        .value_kind:     by_value
    .group_segment_fixed_size: 0
    .kernarg_segment_align: 8
    .kernarg_segment_size: 140
    .language:       OpenCL C
    .language_version:
      - 2
      - 0
    .max_flat_workgroup_size: 768
    .name:           _ZL34rocblas_gemvn_sm_mn_batched_kernelILi32ELi24EdddEviiT2_lPKT1_lilS3_lilS0_lPT3_lili
    .private_segment_fixed_size: 0
    .sgpr_count:     0
    .sgpr_spill_count: 0
    .symbol:         _ZL34rocblas_gemvn_sm_mn_batched_kernelILi32ELi24EdddEviiT2_lPKT1_lilS3_lilS0_lPT3_lili.kd
    .uniform_work_group_size: 1
    .uses_dynamic_stack: false
    .vgpr_count:     0
    .vgpr_spill_count: 0
    .wavefront_size: 32
  - .args:
      - .offset:         0
        .size:           4
        .value_kind:     by_value
      - .offset:         4
        .size:           4
        .value_kind:     by_value
      - .address_space:  global
        .offset:         8
        .size:           8
        .value_kind:     global_buffer
      - .offset:         16
        .size:           8
        .value_kind:     by_value
      - .address_space:  global
        .offset:         24
        .size:           8
        .value_kind:     global_buffer
      - .offset:         32
        .size:           8
        .value_kind:     by_value
      - .offset:         40
        .size:           4
        .value_kind:     by_value
      - .offset:         48
        .size:           8
        .value_kind:     by_value
      - .address_space:  global
        .offset:         56
        .size:           8
        .value_kind:     global_buffer
      - .offset:         64
        .size:           8
        .value_kind:     by_value
      - .offset:         72
        .size:           4
        .value_kind:     by_value
      - .offset:         80
        .size:           8
        .value_kind:     by_value
      - .address_space:  global
        .offset:         88
        .size:           8
        .value_kind:     global_buffer
      - .offset:         96
        .size:           8
        .value_kind:     by_value
      - .address_space:  global
        .offset:         104
        .size:           8
        .value_kind:     global_buffer
      - .offset:         112
        .size:           8
        .value_kind:     by_value
      - .offset:         120
        .size:           4
        .value_kind:     by_value
      - .offset:         128
        .size:           8
        .value_kind:     by_value
      - .offset:         136
        .size:           4
        .value_kind:     by_value
      - .offset:         144
        .size:           4
        .value_kind:     hidden_block_count_x
      - .offset:         148
        .size:           4
        .value_kind:     hidden_block_count_y
      - .offset:         152
        .size:           4
        .value_kind:     hidden_block_count_z
      - .offset:         156
        .size:           2
        .value_kind:     hidden_group_size_x
      - .offset:         158
        .size:           2
        .value_kind:     hidden_group_size_y
      - .offset:         160
        .size:           2
        .value_kind:     hidden_group_size_z
      - .offset:         162
        .size:           2
        .value_kind:     hidden_remainder_x
      - .offset:         164
        .size:           2
        .value_kind:     hidden_remainder_y
      - .offset:         166
        .size:           2
        .value_kind:     hidden_remainder_z
      - .offset:         184
        .size:           8
        .value_kind:     hidden_global_offset_x
      - .offset:         192
        .size:           8
        .value_kind:     hidden_global_offset_y
      - .offset:         200
        .size:           8
        .value_kind:     hidden_global_offset_z
      - .offset:         208
        .size:           2
        .value_kind:     hidden_grid_dims
    .group_segment_fixed_size: 8192
    .kernarg_segment_align: 8
    .kernarg_segment_size: 400
    .language:       OpenCL C
    .language_version:
      - 2
      - 0
    .max_flat_workgroup_size: 256
    .name:           _ZL20rocblas_gemvn_kernelILi64ELi4EidPKddEviiT3_lPKT2_lT1_lS5_lS6_lS2_lPT4_lS6_li
    .private_segment_fixed_size: 0
    .sgpr_count:     56
    .sgpr_spill_count: 0
    .symbol:         _ZL20rocblas_gemvn_kernelILi64ELi4EidPKddEviiT3_lPKT2_lT1_lS5_lS6_lS2_lPT4_lS6_li.kd
    .uniform_work_group_size: 1
    .uses_dynamic_stack: false
    .vgpr_count:     78
    .vgpr_spill_count: 0
    .wavefront_size: 32
  - .args:
      - .offset:         0
        .size:           4
        .value_kind:     by_value
      - .offset:         4
        .size:           4
        .value_kind:     by_value
      - .address_space:  global
        .offset:         8
        .size:           8
        .value_kind:     global_buffer
      - .offset:         16
        .size:           8
        .value_kind:     by_value
      - .address_space:  global
        .offset:         24
        .size:           8
        .value_kind:     global_buffer
      - .offset:         32
        .size:           8
        .value_kind:     by_value
      - .offset:         40
        .size:           8
        .value_kind:     by_value
      - .offset:         48
        .size:           8
        .value_kind:     by_value
      - .address_space:  global
        .offset:         56
        .size:           8
        .value_kind:     global_buffer
      - .offset:         64
        .size:           8
        .value_kind:     by_value
      - .offset:         72
        .size:           8
        .value_kind:     by_value
      - .offset:         80
        .size:           8
        .value_kind:     by_value
      - .address_space:  global
        .offset:         88
        .size:           8
        .value_kind:     global_buffer
      - .offset:         96
        .size:           8
        .value_kind:     by_value
      - .address_space:  global
        .offset:         104
        .size:           8
        .value_kind:     global_buffer
      - .offset:         112
        .size:           8
        .value_kind:     by_value
      - .offset:         120
        .size:           8
        .value_kind:     by_value
      - .offset:         128
        .size:           8
        .value_kind:     by_value
      - .offset:         136
        .size:           4
        .value_kind:     by_value
      - .offset:         144
        .size:           4
        .value_kind:     hidden_block_count_x
      - .offset:         148
        .size:           4
        .value_kind:     hidden_block_count_y
      - .offset:         152
        .size:           4
        .value_kind:     hidden_block_count_z
      - .offset:         156
        .size:           2
        .value_kind:     hidden_group_size_x
      - .offset:         158
        .size:           2
        .value_kind:     hidden_group_size_y
      - .offset:         160
        .size:           2
        .value_kind:     hidden_group_size_z
      - .offset:         162
        .size:           2
        .value_kind:     hidden_remainder_x
      - .offset:         164
        .size:           2
        .value_kind:     hidden_remainder_y
      - .offset:         166
        .size:           2
        .value_kind:     hidden_remainder_z
      - .offset:         184
        .size:           8
        .value_kind:     hidden_global_offset_x
      - .offset:         192
        .size:           8
        .value_kind:     hidden_global_offset_y
      - .offset:         200
        .size:           8
        .value_kind:     hidden_global_offset_z
      - .offset:         208
        .size:           2
        .value_kind:     hidden_grid_dims
    .group_segment_fixed_size: 8192
    .kernarg_segment_align: 8
    .kernarg_segment_size: 400
    .language:       OpenCL C
    .language_version:
      - 2
      - 0
    .max_flat_workgroup_size: 256
    .name:           _ZL20rocblas_gemvn_kernelILi64ELi4EldPKddEviiT3_lPKT2_lT1_lS5_lS6_lS2_lPT4_lS6_li
    .private_segment_fixed_size: 0
    .sgpr_count:     61
    .sgpr_spill_count: 0
    .symbol:         _ZL20rocblas_gemvn_kernelILi64ELi4EldPKddEviiT3_lPKT2_lT1_lS5_lS6_lS2_lPT4_lS6_li.kd
    .uniform_work_group_size: 1
    .uses_dynamic_stack: false
    .vgpr_count:     95
    .vgpr_spill_count: 0
    .wavefront_size: 32
  - .args:
      - .offset:         0
        .size:           4
        .value_kind:     by_value
      - .offset:         4
        .size:           4
        .value_kind:     by_value
      - .offset:         8
        .size:           8
        .value_kind:     by_value
      - .offset:         16
        .size:           8
        .value_kind:     by_value
      - .address_space:  global
        .offset:         24
        .size:           8
        .value_kind:     global_buffer
      - .offset:         32
        .size:           8
        .value_kind:     by_value
      - .offset:         40
        .size:           4
        .value_kind:     by_value
      - .offset:         48
        .size:           8
        .value_kind:     by_value
      - .address_space:  global
        .offset:         56
        .size:           8
        .value_kind:     global_buffer
      - .offset:         64
        .size:           8
        .value_kind:     by_value
      - .offset:         72
        .size:           4
        .value_kind:     by_value
      - .offset:         80
        .size:           8
        .value_kind:     by_value
      - .offset:         88
        .size:           8
        .value_kind:     by_value
      - .offset:         96
        .size:           8
        .value_kind:     by_value
      - .address_space:  global
        .offset:         104
        .size:           8
        .value_kind:     global_buffer
      - .offset:         112
        .size:           8
        .value_kind:     by_value
      - .offset:         120
        .size:           4
        .value_kind:     by_value
      - .offset:         128
        .size:           8
        .value_kind:     by_value
      - .offset:         136
        .size:           4
        .value_kind:     by_value
      - .offset:         144
        .size:           4
        .value_kind:     hidden_block_count_x
      - .offset:         148
        .size:           4
        .value_kind:     hidden_block_count_y
      - .offset:         152
        .size:           4
        .value_kind:     hidden_block_count_z
      - .offset:         156
        .size:           2
        .value_kind:     hidden_group_size_x
      - .offset:         158
        .size:           2
        .value_kind:     hidden_group_size_y
      - .offset:         160
        .size:           2
        .value_kind:     hidden_group_size_z
      - .offset:         162
        .size:           2
        .value_kind:     hidden_remainder_x
      - .offset:         164
        .size:           2
        .value_kind:     hidden_remainder_y
      - .offset:         166
        .size:           2
        .value_kind:     hidden_remainder_z
      - .offset:         184
        .size:           8
        .value_kind:     hidden_global_offset_x
      - .offset:         192
        .size:           8
        .value_kind:     hidden_global_offset_y
      - .offset:         200
        .size:           8
        .value_kind:     hidden_global_offset_z
      - .offset:         208
        .size:           2
        .value_kind:     hidden_grid_dims
    .group_segment_fixed_size: 8192
    .kernarg_segment_align: 8
    .kernarg_segment_size: 400
    .language:       OpenCL C
    .language_version:
      - 2
      - 0
    .max_flat_workgroup_size: 256
    .name:           _ZL20rocblas_gemvn_kernelILi64ELi4EidddEviiT3_lPKT2_lT1_lS3_lS4_lS0_lPT4_lS4_li
    .private_segment_fixed_size: 0
    .sgpr_count:     55
    .sgpr_spill_count: 0
    .symbol:         _ZL20rocblas_gemvn_kernelILi64ELi4EidddEviiT3_lPKT2_lT1_lS3_lS4_lS0_lPT4_lS4_li.kd
    .uniform_work_group_size: 1
    .uses_dynamic_stack: false
    .vgpr_count:     78
    .vgpr_spill_count: 0
    .wavefront_size: 32
  - .args:
      - .offset:         0
        .size:           4
        .value_kind:     by_value
      - .offset:         4
        .size:           4
        .value_kind:     by_value
      - .offset:         8
        .size:           8
        .value_kind:     by_value
      - .offset:         16
        .size:           8
        .value_kind:     by_value
      - .address_space:  global
        .offset:         24
        .size:           8
        .value_kind:     global_buffer
      - .offset:         32
        .size:           8
        .value_kind:     by_value
      - .offset:         40
        .size:           8
        .value_kind:     by_value
      - .offset:         48
        .size:           8
        .value_kind:     by_value
      - .address_space:  global
        .offset:         56
        .size:           8
        .value_kind:     global_buffer
      - .offset:         64
        .size:           8
        .value_kind:     by_value
      - .offset:         72
        .size:           8
        .value_kind:     by_value
      - .offset:         80
        .size:           8
        .value_kind:     by_value
      - .offset:         88
        .size:           8
        .value_kind:     by_value
      - .offset:         96
        .size:           8
        .value_kind:     by_value
      - .address_space:  global
        .offset:         104
        .size:           8
        .value_kind:     global_buffer
      - .offset:         112
        .size:           8
        .value_kind:     by_value
      - .offset:         120
        .size:           8
        .value_kind:     by_value
      - .offset:         128
        .size:           8
        .value_kind:     by_value
      - .offset:         136
        .size:           4
        .value_kind:     by_value
      - .offset:         144
        .size:           4
        .value_kind:     hidden_block_count_x
      - .offset:         148
        .size:           4
        .value_kind:     hidden_block_count_y
      - .offset:         152
        .size:           4
        .value_kind:     hidden_block_count_z
      - .offset:         156
        .size:           2
        .value_kind:     hidden_group_size_x
      - .offset:         158
        .size:           2
        .value_kind:     hidden_group_size_y
      - .offset:         160
        .size:           2
        .value_kind:     hidden_group_size_z
      - .offset:         162
        .size:           2
        .value_kind:     hidden_remainder_x
      - .offset:         164
        .size:           2
        .value_kind:     hidden_remainder_y
      - .offset:         166
        .size:           2
        .value_kind:     hidden_remainder_z
      - .offset:         184
        .size:           8
        .value_kind:     hidden_global_offset_x
      - .offset:         192
        .size:           8
        .value_kind:     hidden_global_offset_y
      - .offset:         200
        .size:           8
        .value_kind:     hidden_global_offset_z
      - .offset:         208
        .size:           2
        .value_kind:     hidden_grid_dims
    .group_segment_fixed_size: 8192
    .kernarg_segment_align: 8
    .kernarg_segment_size: 400
    .language:       OpenCL C
    .language_version:
      - 2
      - 0
    .max_flat_workgroup_size: 256
    .name:           _ZL20rocblas_gemvn_kernelILi64ELi4EldddEviiT3_lPKT2_lT1_lS3_lS4_lS0_lPT4_lS4_li
    .private_segment_fixed_size: 0
    .sgpr_count:     60
    .sgpr_spill_count: 0
    .symbol:         _ZL20rocblas_gemvn_kernelILi64ELi4EldddEviiT3_lPKT2_lT1_lS3_lS4_lS0_lPT4_lS4_li.kd
    .uniform_work_group_size: 1
    .uses_dynamic_stack: false
    .vgpr_count:     91
    .vgpr_spill_count: 0
    .wavefront_size: 32
  - .args:
      - .offset:         0
        .size:           4
        .value_kind:     by_value
      - .address_space:  global
        .offset:         8
        .size:           8
        .value_kind:     global_buffer
      - .offset:         16
        .size:           8
        .value_kind:     by_value
      - .address_space:  global
        .offset:         24
        .size:           8
        .value_kind:     global_buffer
      - .offset:         32
        .size:           8
        .value_kind:     by_value
      - .offset:         40
        .size:           4
        .value_kind:     by_value
      - .offset:         48
        .size:           8
        .value_kind:     by_value
      - .offset:         56
        .size:           4
        .value_kind:     by_value
      - .offset:         64
        .size:           4
        .value_kind:     hidden_block_count_x
      - .offset:         68
        .size:           4
        .value_kind:     hidden_block_count_y
      - .offset:         72
        .size:           4
        .value_kind:     hidden_block_count_z
      - .offset:         76
        .size:           2
        .value_kind:     hidden_group_size_x
      - .offset:         78
        .size:           2
        .value_kind:     hidden_group_size_y
      - .offset:         80
        .size:           2
        .value_kind:     hidden_group_size_z
      - .offset:         82
        .size:           2
        .value_kind:     hidden_remainder_x
      - .offset:         84
        .size:           2
        .value_kind:     hidden_remainder_y
      - .offset:         86
        .size:           2
        .value_kind:     hidden_remainder_z
      - .offset:         104
        .size:           8
        .value_kind:     hidden_global_offset_x
      - .offset:         112
        .size:           8
        .value_kind:     hidden_global_offset_y
      - .offset:         120
        .size:           8
        .value_kind:     hidden_global_offset_z
      - .offset:         128
        .size:           2
        .value_kind:     hidden_grid_dims
    .group_segment_fixed_size: 0
    .kernarg_segment_align: 8
    .kernarg_segment_size: 320
    .language:       OpenCL C
    .language_version:
      - 2
      - 0
    .max_flat_workgroup_size: 256
    .name:           _ZL24rocblas_gemv_scal_kernelILi256EPKdPdEviT0_lT1_lili
    .private_segment_fixed_size: 0
    .sgpr_count:     24
    .sgpr_spill_count: 0
    .symbol:         _ZL24rocblas_gemv_scal_kernelILi256EPKdPdEviT0_lT1_lili.kd
    .uniform_work_group_size: 1
    .uses_dynamic_stack: false
    .vgpr_count:     10
    .vgpr_spill_count: 0
    .wavefront_size: 32
  - .args:
      - .offset:         0
        .size:           4
        .value_kind:     by_value
      - .offset:         8
        .size:           8
        .value_kind:     by_value
      - .offset:         16
        .size:           8
        .value_kind:     by_value
      - .address_space:  global
        .offset:         24
        .size:           8
        .value_kind:     global_buffer
      - .offset:         32
        .size:           8
        .value_kind:     by_value
      - .offset:         40
        .size:           4
        .value_kind:     by_value
      - .offset:         48
        .size:           8
        .value_kind:     by_value
      - .offset:         56
        .size:           4
        .value_kind:     by_value
      - .offset:         64
        .size:           4
        .value_kind:     hidden_block_count_x
      - .offset:         68
        .size:           4
        .value_kind:     hidden_block_count_y
      - .offset:         72
        .size:           4
        .value_kind:     hidden_block_count_z
      - .offset:         76
        .size:           2
        .value_kind:     hidden_group_size_x
      - .offset:         78
        .size:           2
        .value_kind:     hidden_group_size_y
      - .offset:         80
        .size:           2
        .value_kind:     hidden_group_size_z
      - .offset:         82
        .size:           2
        .value_kind:     hidden_remainder_x
      - .offset:         84
        .size:           2
        .value_kind:     hidden_remainder_y
      - .offset:         86
        .size:           2
        .value_kind:     hidden_remainder_z
      - .offset:         104
        .size:           8
        .value_kind:     hidden_global_offset_x
      - .offset:         112
        .size:           8
        .value_kind:     hidden_global_offset_y
      - .offset:         120
        .size:           8
        .value_kind:     hidden_global_offset_z
      - .offset:         128
        .size:           2
        .value_kind:     hidden_grid_dims
    .group_segment_fixed_size: 0
    .kernarg_segment_align: 8
    .kernarg_segment_size: 320
    .language:       OpenCL C
    .language_version:
      - 2
      - 0
    .max_flat_workgroup_size: 256
    .name:           _ZL24rocblas_gemv_scal_kernelILi256EdPdEviT0_lT1_lili
    .private_segment_fixed_size: 0
    .sgpr_count:     26
    .sgpr_spill_count: 0
    .symbol:         _ZL24rocblas_gemv_scal_kernelILi256EdPdEviT0_lT1_lili.kd
    .uniform_work_group_size: 1
    .uses_dynamic_stack: false
    .vgpr_count:     8
    .vgpr_spill_count: 0
    .wavefront_size: 32
  - .args:
      - .offset:         0
        .size:           4
        .value_kind:     by_value
      - .offset:         4
        .size:           4
        .value_kind:     by_value
      - .address_space:  global
        .offset:         8
        .size:           8
        .value_kind:     global_buffer
      - .offset:         16
        .size:           8
        .value_kind:     by_value
      - .address_space:  global
        .offset:         24
        .size:           8
        .value_kind:     global_buffer
      - .offset:         32
        .size:           8
        .value_kind:     by_value
      - .offset:         40
        .size:           4
        .value_kind:     by_value
      - .offset:         48
        .size:           8
        .value_kind:     by_value
      - .address_space:  global
        .offset:         56
        .size:           8
        .value_kind:     global_buffer
      - .offset:         64
        .size:           8
        .value_kind:     by_value
      - .offset:         72
        .size:           4
        .value_kind:     by_value
      - .offset:         80
        .size:           8
        .value_kind:     by_value
      - .address_space:  global
        .offset:         88
        .size:           8
        .value_kind:     global_buffer
      - .offset:         96
        .size:           8
        .value_kind:     by_value
      - .offset:         104
        .size:           4
        .value_kind:     by_value
      - .offset:         112
        .size:           8
        .value_kind:     by_value
      - .offset:         120
        .size:           4
        .value_kind:     by_value
      - .offset:         128
        .size:           4
        .value_kind:     hidden_block_count_x
      - .offset:         132
        .size:           4
        .value_kind:     hidden_block_count_y
      - .offset:         136
        .size:           4
        .value_kind:     hidden_block_count_z
      - .offset:         140
        .size:           2
        .value_kind:     hidden_group_size_x
      - .offset:         142
        .size:           2
        .value_kind:     hidden_group_size_y
      - .offset:         144
        .size:           2
        .value_kind:     hidden_group_size_z
      - .offset:         146
        .size:           2
        .value_kind:     hidden_remainder_x
      - .offset:         148
        .size:           2
        .value_kind:     hidden_remainder_y
      - .offset:         150
        .size:           2
        .value_kind:     hidden_remainder_z
      - .offset:         168
        .size:           8
        .value_kind:     hidden_global_offset_x
      - .offset:         176
        .size:           8
        .value_kind:     hidden_global_offset_y
      - .offset:         184
        .size:           8
        .value_kind:     hidden_global_offset_z
      - .offset:         192
        .size:           2
        .value_kind:     hidden_grid_dims
    .group_segment_fixed_size: 8192
    .kernarg_segment_align: 8
    .kernarg_segment_size: 384
    .language:       OpenCL C
    .language_version:
      - 2
      - 0
    .max_flat_workgroup_size: 512
    .name:           _ZL36rocblas_gemvn_double_buffered_kernelILi128ELi4ELi16EdPKddEviiT3_lPKT2_lilS5_lilPT4_lili
    .private_segment_fixed_size: 0
    .sgpr_count:     52
    .sgpr_spill_count: 0
    .symbol:         _ZL36rocblas_gemvn_double_buffered_kernelILi128ELi4ELi16EdPKddEviiT3_lPKT2_lilS5_lilPT4_lili.kd
    .uniform_work_group_size: 1
    .uses_dynamic_stack: false
    .vgpr_count:     200
    .vgpr_spill_count: 0
    .wavefront_size: 32
  - .args:
      - .offset:         0
        .size:           4
        .value_kind:     by_value
      - .offset:         4
        .size:           4
        .value_kind:     by_value
      - .offset:         8
        .size:           8
        .value_kind:     by_value
      - .offset:         16
        .size:           8
        .value_kind:     by_value
      - .address_space:  global
        .offset:         24
        .size:           8
        .value_kind:     global_buffer
      - .offset:         32
        .size:           8
        .value_kind:     by_value
      - .offset:         40
        .size:           4
        .value_kind:     by_value
      - .offset:         48
        .size:           8
        .value_kind:     by_value
      - .address_space:  global
        .offset:         56
        .size:           8
        .value_kind:     global_buffer
      - .offset:         64
        .size:           8
        .value_kind:     by_value
      - .offset:         72
        .size:           4
        .value_kind:     by_value
      - .offset:         80
        .size:           8
        .value_kind:     by_value
      - .address_space:  global
        .offset:         88
        .size:           8
        .value_kind:     global_buffer
      - .offset:         96
        .size:           8
        .value_kind:     by_value
      - .offset:         104
        .size:           4
        .value_kind:     by_value
      - .offset:         112
        .size:           8
        .value_kind:     by_value
      - .offset:         120
        .size:           4
        .value_kind:     by_value
      - .offset:         128
        .size:           4
        .value_kind:     hidden_block_count_x
      - .offset:         132
        .size:           4
        .value_kind:     hidden_block_count_y
      - .offset:         136
        .size:           4
        .value_kind:     hidden_block_count_z
      - .offset:         140
        .size:           2
        .value_kind:     hidden_group_size_x
      - .offset:         142
        .size:           2
        .value_kind:     hidden_group_size_y
      - .offset:         144
        .size:           2
        .value_kind:     hidden_group_size_z
      - .offset:         146
        .size:           2
        .value_kind:     hidden_remainder_x
      - .offset:         148
        .size:           2
        .value_kind:     hidden_remainder_y
      - .offset:         150
        .size:           2
        .value_kind:     hidden_remainder_z
      - .offset:         168
        .size:           8
        .value_kind:     hidden_global_offset_x
      - .offset:         176
        .size:           8
        .value_kind:     hidden_global_offset_y
      - .offset:         184
        .size:           8
        .value_kind:     hidden_global_offset_z
      - .offset:         192
        .size:           2
        .value_kind:     hidden_grid_dims
    .group_segment_fixed_size: 8192
    .kernarg_segment_align: 8
    .kernarg_segment_size: 384
    .language:       OpenCL C
    .language_version:
      - 2
      - 0
    .max_flat_workgroup_size: 512
    .name:           _ZL36rocblas_gemvn_double_buffered_kernelILi128ELi4ELi16EdddEviiT3_lPKT2_lilS3_lilPT4_lili
    .private_segment_fixed_size: 0
    .sgpr_count:     50
    .sgpr_spill_count: 0
    .symbol:         _ZL36rocblas_gemvn_double_buffered_kernelILi128ELi4ELi16EdddEviiT3_lPKT2_lilS3_lilPT4_lili.kd
    .uniform_work_group_size: 1
    .uses_dynamic_stack: false
    .vgpr_count:     198
    .vgpr_spill_count: 0
    .wavefront_size: 32
  - .args:
      - .offset:         0
        .size:           4
        .value_kind:     by_value
      - .offset:         4
        .size:           4
        .value_kind:     by_value
      - .address_space:  global
        .offset:         8
        .size:           8
        .value_kind:     global_buffer
      - .offset:         16
        .size:           8
        .value_kind:     by_value
      - .address_space:  global
        .offset:         24
        .size:           8
        .value_kind:     global_buffer
      - .offset:         32
        .size:           8
        .value_kind:     by_value
      - .offset:         40
        .size:           4
        .value_kind:     by_value
      - .offset:         48
        .size:           8
        .value_kind:     by_value
      - .address_space:  global
        .offset:         56
        .size:           8
        .value_kind:     global_buffer
      - .offset:         64
        .size:           8
        .value_kind:     by_value
      - .offset:         72
        .size:           4
        .value_kind:     by_value
      - .offset:         80
        .size:           8
        .value_kind:     by_value
      - .address_space:  global
        .offset:         88
        .size:           8
        .value_kind:     global_buffer
      - .offset:         96
        .size:           8
        .value_kind:     by_value
      - .address_space:  global
        .offset:         104
        .size:           8
        .value_kind:     global_buffer
      - .offset:         112
        .size:           8
        .value_kind:     by_value
      - .offset:         120
        .size:           4
        .value_kind:     by_value
      - .offset:         128
        .size:           8
        .value_kind:     by_value
      - .offset:         136
        .size:           4
        .value_kind:     by_value
      - .offset:         144
        .size:           4
        .value_kind:     hidden_block_count_x
      - .offset:         148
        .size:           4
        .value_kind:     hidden_block_count_y
      - .offset:         152
        .size:           4
        .value_kind:     hidden_block_count_z
      - .offset:         156
        .size:           2
        .value_kind:     hidden_group_size_x
      - .offset:         158
        .size:           2
        .value_kind:     hidden_group_size_y
      - .offset:         160
        .size:           2
        .value_kind:     hidden_group_size_z
      - .offset:         162
        .size:           2
        .value_kind:     hidden_remainder_x
      - .offset:         164
        .size:           2
        .value_kind:     hidden_remainder_y
      - .offset:         166
        .size:           2
        .value_kind:     hidden_remainder_z
      - .offset:         184
        .size:           8
        .value_kind:     hidden_global_offset_x
      - .offset:         192
        .size:           8
        .value_kind:     hidden_global_offset_y
      - .offset:         200
        .size:           8
        .value_kind:     hidden_global_offset_z
      - .offset:         208
        .size:           2
        .value_kind:     hidden_grid_dims
    .group_segment_fixed_size: 16384
    .kernarg_segment_align: 8
    .kernarg_segment_size: 400
    .language:       OpenCL C
    .language_version:
      - 2
      - 0
    .max_flat_workgroup_size: 512
    .name:           _ZL20rocblas_gemvn_kernelILi32ELi16EidPKddEviiT3_lPKT2_lT1_lS5_lS6_lS2_lPT4_lS6_li
    .private_segment_fixed_size: 0
    .sgpr_count:     56
    .sgpr_spill_count: 0
    .symbol:         _ZL20rocblas_gemvn_kernelILi32ELi16EidPKddEviiT3_lPKT2_lT1_lS5_lS6_lS2_lPT4_lS6_li.kd
    .uniform_work_group_size: 1
    .uses_dynamic_stack: false
    .vgpr_count:     78
    .vgpr_spill_count: 0
    .wavefront_size: 32
  - .args:
      - .offset:         0
        .size:           4
        .value_kind:     by_value
      - .offset:         4
        .size:           4
        .value_kind:     by_value
      - .address_space:  global
        .offset:         8
        .size:           8
        .value_kind:     global_buffer
      - .offset:         16
        .size:           8
        .value_kind:     by_value
      - .address_space:  global
        .offset:         24
        .size:           8
        .value_kind:     global_buffer
      - .offset:         32
        .size:           8
        .value_kind:     by_value
      - .offset:         40
        .size:           8
        .value_kind:     by_value
      - .offset:         48
        .size:           8
        .value_kind:     by_value
      - .address_space:  global
        .offset:         56
        .size:           8
        .value_kind:     global_buffer
      - .offset:         64
        .size:           8
        .value_kind:     by_value
      - .offset:         72
        .size:           8
        .value_kind:     by_value
      - .offset:         80
        .size:           8
        .value_kind:     by_value
      - .address_space:  global
        .offset:         88
        .size:           8
        .value_kind:     global_buffer
      - .offset:         96
        .size:           8
        .value_kind:     by_value
      - .address_space:  global
        .offset:         104
        .size:           8
        .value_kind:     global_buffer
      - .offset:         112
        .size:           8
        .value_kind:     by_value
      - .offset:         120
        .size:           8
        .value_kind:     by_value
      - .offset:         128
        .size:           8
        .value_kind:     by_value
      - .offset:         136
        .size:           4
        .value_kind:     by_value
      - .offset:         144
        .size:           4
        .value_kind:     hidden_block_count_x
      - .offset:         148
        .size:           4
        .value_kind:     hidden_block_count_y
      - .offset:         152
        .size:           4
        .value_kind:     hidden_block_count_z
      - .offset:         156
        .size:           2
        .value_kind:     hidden_group_size_x
      - .offset:         158
        .size:           2
        .value_kind:     hidden_group_size_y
      - .offset:         160
        .size:           2
        .value_kind:     hidden_group_size_z
      - .offset:         162
        .size:           2
        .value_kind:     hidden_remainder_x
      - .offset:         164
        .size:           2
        .value_kind:     hidden_remainder_y
      - .offset:         166
        .size:           2
        .value_kind:     hidden_remainder_z
      - .offset:         184
        .size:           8
        .value_kind:     hidden_global_offset_x
      - .offset:         192
        .size:           8
        .value_kind:     hidden_global_offset_y
      - .offset:         200
        .size:           8
        .value_kind:     hidden_global_offset_z
      - .offset:         208
        .size:           2
        .value_kind:     hidden_grid_dims
    .group_segment_fixed_size: 16384
    .kernarg_segment_align: 8
    .kernarg_segment_size: 400
    .language:       OpenCL C
    .language_version:
      - 2
      - 0
    .max_flat_workgroup_size: 512
    .name:           _ZL20rocblas_gemvn_kernelILi32ELi16EldPKddEviiT3_lPKT2_lT1_lS5_lS6_lS2_lPT4_lS6_li
    .private_segment_fixed_size: 0
    .sgpr_count:     61
    .sgpr_spill_count: 0
    .symbol:         _ZL20rocblas_gemvn_kernelILi32ELi16EldPKddEviiT3_lPKT2_lT1_lS5_lS6_lS2_lPT4_lS6_li.kd
    .uniform_work_group_size: 1
    .uses_dynamic_stack: false
    .vgpr_count:     95
    .vgpr_spill_count: 0
    .wavefront_size: 32
  - .args:
      - .offset:         0
        .size:           4
        .value_kind:     by_value
      - .offset:         4
        .size:           4
        .value_kind:     by_value
      - .offset:         8
        .size:           8
        .value_kind:     by_value
      - .offset:         16
        .size:           8
        .value_kind:     by_value
      - .address_space:  global
        .offset:         24
        .size:           8
        .value_kind:     global_buffer
      - .offset:         32
        .size:           8
        .value_kind:     by_value
      - .offset:         40
        .size:           4
        .value_kind:     by_value
      - .offset:         48
        .size:           8
        .value_kind:     by_value
      - .address_space:  global
        .offset:         56
        .size:           8
        .value_kind:     global_buffer
      - .offset:         64
        .size:           8
        .value_kind:     by_value
      - .offset:         72
        .size:           4
        .value_kind:     by_value
      - .offset:         80
        .size:           8
        .value_kind:     by_value
      - .offset:         88
        .size:           8
        .value_kind:     by_value
      - .offset:         96
        .size:           8
        .value_kind:     by_value
      - .address_space:  global
        .offset:         104
        .size:           8
        .value_kind:     global_buffer
      - .offset:         112
        .size:           8
        .value_kind:     by_value
      - .offset:         120
        .size:           4
        .value_kind:     by_value
      - .offset:         128
        .size:           8
        .value_kind:     by_value
      - .offset:         136
        .size:           4
        .value_kind:     by_value
      - .offset:         144
        .size:           4
        .value_kind:     hidden_block_count_x
      - .offset:         148
        .size:           4
        .value_kind:     hidden_block_count_y
      - .offset:         152
        .size:           4
        .value_kind:     hidden_block_count_z
      - .offset:         156
        .size:           2
        .value_kind:     hidden_group_size_x
      - .offset:         158
        .size:           2
        .value_kind:     hidden_group_size_y
      - .offset:         160
        .size:           2
        .value_kind:     hidden_group_size_z
      - .offset:         162
        .size:           2
        .value_kind:     hidden_remainder_x
      - .offset:         164
        .size:           2
        .value_kind:     hidden_remainder_y
      - .offset:         166
        .size:           2
        .value_kind:     hidden_remainder_z
      - .offset:         184
        .size:           8
        .value_kind:     hidden_global_offset_x
      - .offset:         192
        .size:           8
        .value_kind:     hidden_global_offset_y
      - .offset:         200
        .size:           8
        .value_kind:     hidden_global_offset_z
      - .offset:         208
        .size:           2
        .value_kind:     hidden_grid_dims
    .group_segment_fixed_size: 16384
    .kernarg_segment_align: 8
    .kernarg_segment_size: 400
    .language:       OpenCL C
    .language_version:
      - 2
      - 0
    .max_flat_workgroup_size: 512
    .name:           _ZL20rocblas_gemvn_kernelILi32ELi16EidddEviiT3_lPKT2_lT1_lS3_lS4_lS0_lPT4_lS4_li
    .private_segment_fixed_size: 0
    .sgpr_count:     55
    .sgpr_spill_count: 0
    .symbol:         _ZL20rocblas_gemvn_kernelILi32ELi16EidddEviiT3_lPKT2_lT1_lS3_lS4_lS0_lPT4_lS4_li.kd
    .uniform_work_group_size: 1
    .uses_dynamic_stack: false
    .vgpr_count:     78
    .vgpr_spill_count: 0
    .wavefront_size: 32
  - .args:
      - .offset:         0
        .size:           4
        .value_kind:     by_value
      - .offset:         4
        .size:           4
        .value_kind:     by_value
      - .offset:         8
        .size:           8
        .value_kind:     by_value
      - .offset:         16
        .size:           8
        .value_kind:     by_value
      - .address_space:  global
        .offset:         24
        .size:           8
        .value_kind:     global_buffer
      - .offset:         32
        .size:           8
        .value_kind:     by_value
      - .offset:         40
        .size:           8
        .value_kind:     by_value
      - .offset:         48
        .size:           8
        .value_kind:     by_value
      - .address_space:  global
        .offset:         56
        .size:           8
        .value_kind:     global_buffer
      - .offset:         64
        .size:           8
        .value_kind:     by_value
      - .offset:         72
        .size:           8
        .value_kind:     by_value
      - .offset:         80
        .size:           8
        .value_kind:     by_value
      - .offset:         88
        .size:           8
        .value_kind:     by_value
      - .offset:         96
        .size:           8
        .value_kind:     by_value
      - .address_space:  global
        .offset:         104
        .size:           8
        .value_kind:     global_buffer
      - .offset:         112
        .size:           8
        .value_kind:     by_value
      - .offset:         120
        .size:           8
        .value_kind:     by_value
      - .offset:         128
        .size:           8
        .value_kind:     by_value
      - .offset:         136
        .size:           4
        .value_kind:     by_value
      - .offset:         144
        .size:           4
        .value_kind:     hidden_block_count_x
      - .offset:         148
        .size:           4
        .value_kind:     hidden_block_count_y
      - .offset:         152
        .size:           4
        .value_kind:     hidden_block_count_z
      - .offset:         156
        .size:           2
        .value_kind:     hidden_group_size_x
      - .offset:         158
        .size:           2
        .value_kind:     hidden_group_size_y
      - .offset:         160
        .size:           2
        .value_kind:     hidden_group_size_z
      - .offset:         162
        .size:           2
        .value_kind:     hidden_remainder_x
      - .offset:         164
        .size:           2
        .value_kind:     hidden_remainder_y
      - .offset:         166
        .size:           2
        .value_kind:     hidden_remainder_z
      - .offset:         184
        .size:           8
        .value_kind:     hidden_global_offset_x
      - .offset:         192
        .size:           8
        .value_kind:     hidden_global_offset_y
      - .offset:         200
        .size:           8
        .value_kind:     hidden_global_offset_z
      - .offset:         208
        .size:           2
        .value_kind:     hidden_grid_dims
    .group_segment_fixed_size: 16384
    .kernarg_segment_align: 8
    .kernarg_segment_size: 400
    .language:       OpenCL C
    .language_version:
      - 2
      - 0
    .max_flat_workgroup_size: 512
    .name:           _ZL20rocblas_gemvn_kernelILi32ELi16EldddEviiT3_lPKT2_lT1_lS3_lS4_lS0_lPT4_lS4_li
    .private_segment_fixed_size: 0
    .sgpr_count:     60
    .sgpr_spill_count: 0
    .symbol:         _ZL20rocblas_gemvn_kernelILi32ELi16EldddEviiT3_lPKT2_lT1_lS3_lS4_lS0_lPT4_lS4_li.kd
    .uniform_work_group_size: 1
    .uses_dynamic_stack: false
    .vgpr_count:     91
    .vgpr_spill_count: 0
    .wavefront_size: 32
  - .args:
      - .offset:         0
        .size:           4
        .value_kind:     by_value
      - .offset:         4
        .size:           4
        .value_kind:     by_value
      - .address_space:  global
        .offset:         8
        .size:           8
        .value_kind:     global_buffer
      - .offset:         16
        .size:           8
        .value_kind:     by_value
      - .address_space:  global
        .offset:         24
        .size:           8
        .value_kind:     global_buffer
      - .offset:         32
        .size:           8
        .value_kind:     by_value
      - .offset:         40
        .size:           4
        .value_kind:     by_value
      - .offset:         48
        .size:           8
        .value_kind:     by_value
      - .address_space:  global
        .offset:         56
        .size:           8
        .value_kind:     global_buffer
      - .offset:         64
        .size:           8
        .value_kind:     by_value
      - .offset:         72
        .size:           4
        .value_kind:     by_value
      - .offset:         80
        .size:           8
        .value_kind:     by_value
      - .address_space:  global
        .offset:         88
        .size:           8
        .value_kind:     global_buffer
      - .offset:         96
        .size:           8
        .value_kind:     by_value
      - .address_space:  global
        .offset:         104
        .size:           8
        .value_kind:     global_buffer
      - .offset:         112
        .size:           8
        .value_kind:     by_value
      - .offset:         120
        .size:           4
        .value_kind:     by_value
      - .offset:         128
        .size:           8
        .value_kind:     by_value
      - .offset:         136
        .size:           4
        .value_kind:     by_value
      - .offset:         144
        .size:           4
        .value_kind:     hidden_block_count_x
      - .offset:         148
        .size:           4
        .value_kind:     hidden_block_count_y
      - .offset:         152
        .size:           4
        .value_kind:     hidden_block_count_z
      - .offset:         156
        .size:           2
        .value_kind:     hidden_group_size_x
      - .offset:         158
        .size:           2
        .value_kind:     hidden_group_size_y
      - .offset:         160
        .size:           2
        .value_kind:     hidden_group_size_z
      - .offset:         162
        .size:           2
        .value_kind:     hidden_remainder_x
      - .offset:         164
        .size:           2
        .value_kind:     hidden_remainder_y
      - .offset:         166
        .size:           2
        .value_kind:     hidden_remainder_z
      - .offset:         184
        .size:           8
        .value_kind:     hidden_global_offset_x
      - .offset:         192
        .size:           8
        .value_kind:     hidden_global_offset_y
      - .offset:         200
        .size:           8
        .value_kind:     hidden_global_offset_z
      - .offset:         208
        .size:           2
        .value_kind:     hidden_grid_dims
    .group_segment_fixed_size: 32768
    .kernarg_segment_align: 8
    .kernarg_segment_size: 400
    .language:       OpenCL C
    .language_version:
      - 2
      - 0
    .max_flat_workgroup_size: 1024
    .name:           _ZL20rocblas_gemvn_kernelILi64ELi16EidPKddEviiT3_lPKT2_lT1_lS5_lS6_lS2_lPT4_lS6_li
    .private_segment_fixed_size: 0
    .sgpr_count:     56
    .sgpr_spill_count: 0
    .symbol:         _ZL20rocblas_gemvn_kernelILi64ELi16EidPKddEviiT3_lPKT2_lT1_lS5_lS6_lS2_lPT4_lS6_li.kd
    .uniform_work_group_size: 1
    .uses_dynamic_stack: false
    .vgpr_count:     74
    .vgpr_spill_count: 0
    .wavefront_size: 32
  - .args:
      - .offset:         0
        .size:           4
        .value_kind:     by_value
      - .offset:         4
        .size:           4
        .value_kind:     by_value
      - .address_space:  global
        .offset:         8
        .size:           8
        .value_kind:     global_buffer
      - .offset:         16
        .size:           8
        .value_kind:     by_value
      - .address_space:  global
        .offset:         24
        .size:           8
        .value_kind:     global_buffer
      - .offset:         32
        .size:           8
        .value_kind:     by_value
      - .offset:         40
        .size:           8
        .value_kind:     by_value
      - .offset:         48
        .size:           8
        .value_kind:     by_value
      - .address_space:  global
        .offset:         56
        .size:           8
        .value_kind:     global_buffer
      - .offset:         64
        .size:           8
        .value_kind:     by_value
      - .offset:         72
        .size:           8
        .value_kind:     by_value
      - .offset:         80
        .size:           8
        .value_kind:     by_value
      - .address_space:  global
        .offset:         88
        .size:           8
        .value_kind:     global_buffer
      - .offset:         96
        .size:           8
        .value_kind:     by_value
      - .address_space:  global
        .offset:         104
        .size:           8
        .value_kind:     global_buffer
      - .offset:         112
        .size:           8
        .value_kind:     by_value
      - .offset:         120
        .size:           8
        .value_kind:     by_value
      - .offset:         128
        .size:           8
        .value_kind:     by_value
      - .offset:         136
        .size:           4
        .value_kind:     by_value
      - .offset:         144
        .size:           4
        .value_kind:     hidden_block_count_x
      - .offset:         148
        .size:           4
        .value_kind:     hidden_block_count_y
      - .offset:         152
        .size:           4
        .value_kind:     hidden_block_count_z
      - .offset:         156
        .size:           2
        .value_kind:     hidden_group_size_x
      - .offset:         158
        .size:           2
        .value_kind:     hidden_group_size_y
      - .offset:         160
        .size:           2
        .value_kind:     hidden_group_size_z
      - .offset:         162
        .size:           2
        .value_kind:     hidden_remainder_x
      - .offset:         164
        .size:           2
        .value_kind:     hidden_remainder_y
      - .offset:         166
        .size:           2
        .value_kind:     hidden_remainder_z
      - .offset:         184
        .size:           8
        .value_kind:     hidden_global_offset_x
      - .offset:         192
        .size:           8
        .value_kind:     hidden_global_offset_y
      - .offset:         200
        .size:           8
        .value_kind:     hidden_global_offset_z
      - .offset:         208
        .size:           2
        .value_kind:     hidden_grid_dims
    .group_segment_fixed_size: 32768
    .kernarg_segment_align: 8
    .kernarg_segment_size: 400
    .language:       OpenCL C
    .language_version:
      - 2
      - 0
    .max_flat_workgroup_size: 1024
    .name:           _ZL20rocblas_gemvn_kernelILi64ELi16EldPKddEviiT3_lPKT2_lT1_lS5_lS6_lS2_lPT4_lS6_li
    .private_segment_fixed_size: 0
    .sgpr_count:     61
    .sgpr_spill_count: 0
    .symbol:         _ZL20rocblas_gemvn_kernelILi64ELi16EldPKddEviiT3_lPKT2_lT1_lS5_lS6_lS2_lPT4_lS6_li.kd
    .uniform_work_group_size: 1
    .uses_dynamic_stack: false
    .vgpr_count:     95
    .vgpr_spill_count: 0
    .wavefront_size: 32
  - .args:
      - .offset:         0
        .size:           4
        .value_kind:     by_value
      - .offset:         4
        .size:           4
        .value_kind:     by_value
      - .offset:         8
        .size:           8
        .value_kind:     by_value
      - .offset:         16
        .size:           8
        .value_kind:     by_value
      - .address_space:  global
        .offset:         24
        .size:           8
        .value_kind:     global_buffer
      - .offset:         32
        .size:           8
        .value_kind:     by_value
      - .offset:         40
        .size:           4
        .value_kind:     by_value
      - .offset:         48
        .size:           8
        .value_kind:     by_value
      - .address_space:  global
        .offset:         56
        .size:           8
        .value_kind:     global_buffer
      - .offset:         64
        .size:           8
        .value_kind:     by_value
      - .offset:         72
        .size:           4
        .value_kind:     by_value
      - .offset:         80
        .size:           8
        .value_kind:     by_value
      - .offset:         88
        .size:           8
        .value_kind:     by_value
      - .offset:         96
        .size:           8
        .value_kind:     by_value
      - .address_space:  global
        .offset:         104
        .size:           8
        .value_kind:     global_buffer
      - .offset:         112
        .size:           8
        .value_kind:     by_value
      - .offset:         120
        .size:           4
        .value_kind:     by_value
      - .offset:         128
        .size:           8
        .value_kind:     by_value
      - .offset:         136
        .size:           4
        .value_kind:     by_value
      - .offset:         144
        .size:           4
        .value_kind:     hidden_block_count_x
      - .offset:         148
        .size:           4
        .value_kind:     hidden_block_count_y
      - .offset:         152
        .size:           4
        .value_kind:     hidden_block_count_z
      - .offset:         156
        .size:           2
        .value_kind:     hidden_group_size_x
      - .offset:         158
        .size:           2
        .value_kind:     hidden_group_size_y
      - .offset:         160
        .size:           2
        .value_kind:     hidden_group_size_z
      - .offset:         162
        .size:           2
        .value_kind:     hidden_remainder_x
      - .offset:         164
        .size:           2
        .value_kind:     hidden_remainder_y
      - .offset:         166
        .size:           2
        .value_kind:     hidden_remainder_z
      - .offset:         184
        .size:           8
        .value_kind:     hidden_global_offset_x
      - .offset:         192
        .size:           8
        .value_kind:     hidden_global_offset_y
      - .offset:         200
        .size:           8
        .value_kind:     hidden_global_offset_z
      - .offset:         208
        .size:           2
        .value_kind:     hidden_grid_dims
    .group_segment_fixed_size: 32768
    .kernarg_segment_align: 8
    .kernarg_segment_size: 400
    .language:       OpenCL C
    .language_version:
      - 2
      - 0
    .max_flat_workgroup_size: 1024
    .name:           _ZL20rocblas_gemvn_kernelILi64ELi16EidddEviiT3_lPKT2_lT1_lS3_lS4_lS0_lPT4_lS4_li
    .private_segment_fixed_size: 0
    .sgpr_count:     55
    .sgpr_spill_count: 0
    .symbol:         _ZL20rocblas_gemvn_kernelILi64ELi16EidddEviiT3_lPKT2_lT1_lS3_lS4_lS0_lPT4_lS4_li.kd
    .uniform_work_group_size: 1
    .uses_dynamic_stack: false
    .vgpr_count:     69
    .vgpr_spill_count: 0
    .wavefront_size: 32
  - .args:
      - .offset:         0
        .size:           4
        .value_kind:     by_value
      - .offset:         4
        .size:           4
        .value_kind:     by_value
      - .offset:         8
        .size:           8
        .value_kind:     by_value
      - .offset:         16
        .size:           8
        .value_kind:     by_value
      - .address_space:  global
        .offset:         24
        .size:           8
        .value_kind:     global_buffer
      - .offset:         32
        .size:           8
        .value_kind:     by_value
      - .offset:         40
        .size:           8
        .value_kind:     by_value
      - .offset:         48
        .size:           8
        .value_kind:     by_value
      - .address_space:  global
        .offset:         56
        .size:           8
        .value_kind:     global_buffer
      - .offset:         64
        .size:           8
        .value_kind:     by_value
      - .offset:         72
        .size:           8
        .value_kind:     by_value
      - .offset:         80
        .size:           8
        .value_kind:     by_value
      - .offset:         88
        .size:           8
        .value_kind:     by_value
      - .offset:         96
        .size:           8
        .value_kind:     by_value
      - .address_space:  global
        .offset:         104
        .size:           8
        .value_kind:     global_buffer
      - .offset:         112
        .size:           8
        .value_kind:     by_value
      - .offset:         120
        .size:           8
        .value_kind:     by_value
      - .offset:         128
        .size:           8
        .value_kind:     by_value
      - .offset:         136
        .size:           4
        .value_kind:     by_value
      - .offset:         144
        .size:           4
        .value_kind:     hidden_block_count_x
      - .offset:         148
        .size:           4
        .value_kind:     hidden_block_count_y
      - .offset:         152
        .size:           4
        .value_kind:     hidden_block_count_z
      - .offset:         156
        .size:           2
        .value_kind:     hidden_group_size_x
      - .offset:         158
        .size:           2
        .value_kind:     hidden_group_size_y
      - .offset:         160
        .size:           2
        .value_kind:     hidden_group_size_z
      - .offset:         162
        .size:           2
        .value_kind:     hidden_remainder_x
      - .offset:         164
        .size:           2
        .value_kind:     hidden_remainder_y
      - .offset:         166
        .size:           2
        .value_kind:     hidden_remainder_z
      - .offset:         184
        .size:           8
        .value_kind:     hidden_global_offset_x
      - .offset:         192
        .size:           8
        .value_kind:     hidden_global_offset_y
      - .offset:         200
        .size:           8
        .value_kind:     hidden_global_offset_z
      - .offset:         208
        .size:           2
        .value_kind:     hidden_grid_dims
    .group_segment_fixed_size: 32768
    .kernarg_segment_align: 8
    .kernarg_segment_size: 400
    .language:       OpenCL C
    .language_version:
      - 2
      - 0
    .max_flat_workgroup_size: 1024
    .name:           _ZL20rocblas_gemvn_kernelILi64ELi16EldddEviiT3_lPKT2_lT1_lS3_lS4_lS0_lPT4_lS4_li
    .private_segment_fixed_size: 0
    .sgpr_count:     60
    .sgpr_spill_count: 0
    .symbol:         _ZL20rocblas_gemvn_kernelILi64ELi16EldddEviiT3_lPKT2_lT1_lS3_lS4_lS0_lPT4_lS4_li.kd
    .uniform_work_group_size: 1
    .uses_dynamic_stack: false
    .vgpr_count:     91
    .vgpr_spill_count: 0
    .wavefront_size: 32
  - .args:
      - .offset:         0
        .size:           4
        .value_kind:     by_value
      - .offset:         4
        .size:           4
        .value_kind:     by_value
      - .address_space:  global
        .offset:         8
        .size:           8
        .value_kind:     global_buffer
      - .offset:         16
        .size:           8
        .value_kind:     by_value
      - .address_space:  global
        .offset:         24
        .size:           8
        .value_kind:     global_buffer
      - .offset:         32
        .size:           8
        .value_kind:     by_value
      - .offset:         40
        .size:           4
        .value_kind:     by_value
      - .offset:         48
        .size:           8
        .value_kind:     by_value
      - .address_space:  global
        .offset:         56
        .size:           8
        .value_kind:     global_buffer
      - .offset:         64
        .size:           8
        .value_kind:     by_value
      - .offset:         72
        .size:           4
        .value_kind:     by_value
      - .offset:         80
        .size:           8
        .value_kind:     by_value
      - .address_space:  global
        .offset:         88
        .size:           8
        .value_kind:     global_buffer
      - .offset:         96
        .size:           8
        .value_kind:     by_value
      - .address_space:  global
        .offset:         104
        .size:           8
        .value_kind:     global_buffer
      - .offset:         112
        .size:           8
        .value_kind:     by_value
      - .offset:         120
        .size:           4
        .value_kind:     by_value
      - .offset:         128
        .size:           8
        .value_kind:     by_value
    .group_segment_fixed_size: 512
    .kernarg_segment_align: 8
    .kernarg_segment_size: 136
    .language:       OpenCL C
    .language_version:
      - 2
      - 0
    .max_flat_workgroup_size: 256
    .name:           _ZL22rocblas_gemvtsm_kernelILb0ELi256EdPKddEviiT2_lPKT1_lilS5_lilS2_lPT3_lil
    .private_segment_fixed_size: 0
    .sgpr_count:     34
    .sgpr_spill_count: 0
    .symbol:         _ZL22rocblas_gemvtsm_kernelILb0ELi256EdPKddEviiT2_lPKT1_lilS5_lilS2_lPT3_lil.kd
    .uniform_work_group_size: 1
    .uses_dynamic_stack: false
    .vgpr_count:     38
    .vgpr_spill_count: 0
    .wavefront_size: 32
  - .args:
      - .offset:         0
        .size:           4
        .value_kind:     by_value
      - .offset:         4
        .size:           4
        .value_kind:     by_value
      - .offset:         8
        .size:           8
        .value_kind:     by_value
      - .offset:         16
        .size:           8
        .value_kind:     by_value
      - .address_space:  global
        .offset:         24
        .size:           8
        .value_kind:     global_buffer
      - .offset:         32
        .size:           8
        .value_kind:     by_value
      - .offset:         40
        .size:           4
        .value_kind:     by_value
      - .offset:         48
        .size:           8
        .value_kind:     by_value
      - .address_space:  global
        .offset:         56
        .size:           8
        .value_kind:     global_buffer
      - .offset:         64
        .size:           8
        .value_kind:     by_value
      - .offset:         72
        .size:           4
        .value_kind:     by_value
      - .offset:         80
        .size:           8
        .value_kind:     by_value
      - .offset:         88
        .size:           8
        .value_kind:     by_value
      - .offset:         96
        .size:           8
        .value_kind:     by_value
      - .address_space:  global
        .offset:         104
        .size:           8
        .value_kind:     global_buffer
      - .offset:         112
        .size:           8
        .value_kind:     by_value
      - .offset:         120
        .size:           4
        .value_kind:     by_value
      - .offset:         128
        .size:           8
        .value_kind:     by_value
    .group_segment_fixed_size: 512
    .kernarg_segment_align: 8
    .kernarg_segment_size: 136
    .language:       OpenCL C
    .language_version:
      - 2
      - 0
    .max_flat_workgroup_size: 256
    .name:           _ZL22rocblas_gemvtsm_kernelILb0ELi256EdddEviiT2_lPKT1_lilS3_lilS0_lPT3_lil
    .private_segment_fixed_size: 0
    .sgpr_count:     30
    .sgpr_spill_count: 0
    .symbol:         _ZL22rocblas_gemvtsm_kernelILb0ELi256EdddEviiT2_lPKT1_lilS3_lilS0_lPT3_lil.kd
    .uniform_work_group_size: 1
    .uses_dynamic_stack: false
    .vgpr_count:     38
    .vgpr_spill_count: 0
    .wavefront_size: 32
  - .args:
      - .offset:         0
        .size:           4
        .value_kind:     by_value
      - .offset:         4
        .size:           4
        .value_kind:     by_value
      - .address_space:  global
        .offset:         8
        .size:           8
        .value_kind:     global_buffer
      - .offset:         16
        .size:           8
        .value_kind:     by_value
      - .address_space:  global
        .offset:         24
        .size:           8
        .value_kind:     global_buffer
      - .offset:         32
        .size:           8
        .value_kind:     by_value
      - .offset:         40
        .size:           4
        .value_kind:     by_value
      - .offset:         48
        .size:           8
        .value_kind:     by_value
      - .address_space:  global
        .offset:         56
        .size:           8
        .value_kind:     global_buffer
      - .offset:         64
        .size:           8
        .value_kind:     by_value
      - .offset:         72
        .size:           4
        .value_kind:     by_value
      - .offset:         80
        .size:           8
        .value_kind:     by_value
      - .address_space:  global
        .offset:         88
        .size:           8
        .value_kind:     global_buffer
      - .offset:         96
        .size:           4
        .value_kind:     by_value
      - .offset:         104
        .size:           4
        .value_kind:     hidden_block_count_x
      - .offset:         108
        .size:           4
        .value_kind:     hidden_block_count_y
      - .offset:         112
        .size:           4
        .value_kind:     hidden_block_count_z
      - .offset:         116
        .size:           2
        .value_kind:     hidden_group_size_x
      - .offset:         118
        .size:           2
        .value_kind:     hidden_group_size_y
      - .offset:         120
        .size:           2
        .value_kind:     hidden_group_size_z
      - .offset:         122
        .size:           2
        .value_kind:     hidden_remainder_x
      - .offset:         124
        .size:           2
        .value_kind:     hidden_remainder_y
      - .offset:         126
        .size:           2
        .value_kind:     hidden_remainder_z
      - .offset:         144
        .size:           8
        .value_kind:     hidden_global_offset_x
      - .offset:         152
        .size:           8
        .value_kind:     hidden_global_offset_y
      - .offset:         160
        .size:           8
        .value_kind:     hidden_global_offset_z
      - .offset:         168
        .size:           2
        .value_kind:     hidden_grid_dims
    .group_segment_fixed_size: 256
    .kernarg_segment_align: 8
    .kernarg_segment_size: 360
    .language:       OpenCL C
    .language_version:
      - 2
      - 0
    .max_flat_workgroup_size: 256
    .name:           _ZL23rocblas_gemvt_sn_kernelILb0ELi256ELi4EidPKddEviiT4_lPKT3_lilS5_lilPT5_i
    .private_segment_fixed_size: 0
    .sgpr_count:     80
    .sgpr_spill_count: 0
    .symbol:         _ZL23rocblas_gemvt_sn_kernelILb0ELi256ELi4EidPKddEviiT4_lPKT3_lilS5_lilPT5_i.kd
    .uniform_work_group_size: 1
    .uses_dynamic_stack: false
    .vgpr_count:     86
    .vgpr_spill_count: 0
    .wavefront_size: 32
  - .args:
      - .offset:         0
        .size:           4
        .value_kind:     by_value
      - .offset:         4
        .size:           4
        .value_kind:     by_value
      - .address_space:  global
        .offset:         8
        .size:           8
        .value_kind:     global_buffer
      - .offset:         16
        .size:           8
        .value_kind:     by_value
      - .address_space:  global
        .offset:         24
        .size:           8
        .value_kind:     global_buffer
      - .offset:         32
        .size:           8
        .value_kind:     by_value
      - .offset:         40
        .size:           4
        .value_kind:     by_value
      - .offset:         48
        .size:           8
        .value_kind:     by_value
      - .address_space:  global
        .offset:         56
        .size:           8
        .value_kind:     global_buffer
      - .offset:         64
        .size:           8
        .value_kind:     by_value
      - .offset:         72
        .size:           4
        .value_kind:     by_value
      - .offset:         80
        .size:           8
        .value_kind:     by_value
      - .address_space:  global
        .offset:         88
        .size:           8
        .value_kind:     global_buffer
      - .offset:         96
        .size:           4
        .value_kind:     by_value
      - .offset:         104
        .size:           4
        .value_kind:     hidden_block_count_x
      - .offset:         108
        .size:           4
        .value_kind:     hidden_block_count_y
      - .offset:         112
        .size:           4
        .value_kind:     hidden_block_count_z
      - .offset:         116
        .size:           2
        .value_kind:     hidden_group_size_x
      - .offset:         118
        .size:           2
        .value_kind:     hidden_group_size_y
      - .offset:         120
        .size:           2
        .value_kind:     hidden_group_size_z
      - .offset:         122
        .size:           2
        .value_kind:     hidden_remainder_x
      - .offset:         124
        .size:           2
        .value_kind:     hidden_remainder_y
      - .offset:         126
        .size:           2
        .value_kind:     hidden_remainder_z
      - .offset:         144
        .size:           8
        .value_kind:     hidden_global_offset_x
      - .offset:         152
        .size:           8
        .value_kind:     hidden_global_offset_y
      - .offset:         160
        .size:           8
        .value_kind:     hidden_global_offset_z
      - .offset:         168
        .size:           2
        .value_kind:     hidden_grid_dims
    .group_segment_fixed_size: 256
    .kernarg_segment_align: 8
    .kernarg_segment_size: 360
    .language:       OpenCL C
    .language_version:
      - 2
      - 0
    .max_flat_workgroup_size: 256
    .name:           _ZL23rocblas_gemvt_sn_kernelILb0ELi256ELi4EldPKddEviiT4_lPKT3_lilS5_lilPT5_i
    .private_segment_fixed_size: 0
    .sgpr_count:     76
    .sgpr_spill_count: 0
    .symbol:         _ZL23rocblas_gemvt_sn_kernelILb0ELi256ELi4EldPKddEviiT4_lPKT3_lilS5_lilPT5_i.kd
    .uniform_work_group_size: 1
    .uses_dynamic_stack: false
    .vgpr_count:     90
    .vgpr_spill_count: 0
    .wavefront_size: 32
  - .args:
      - .offset:         0
        .size:           4
        .value_kind:     by_value
      - .address_space:  global
        .offset:         8
        .size:           8
        .value_kind:     global_buffer
      - .offset:         16
        .size:           8
        .value_kind:     by_value
      - .address_space:  global
        .offset:         24
        .size:           8
        .value_kind:     global_buffer
      - .offset:         32
        .size:           8
        .value_kind:     by_value
      - .offset:         40
        .size:           4
        .value_kind:     by_value
      - .offset:         48
        .size:           8
        .value_kind:     by_value
      - .actual_access:  read_only
        .address_space:  global
        .offset:         56
        .size:           8
        .value_kind:     global_buffer
      - .offset:         64
        .size:           4
        .value_kind:     by_value
      - .offset:         72
        .size:           4
        .value_kind:     hidden_block_count_x
      - .offset:         76
        .size:           4
        .value_kind:     hidden_block_count_y
      - .offset:         80
        .size:           4
        .value_kind:     hidden_block_count_z
      - .offset:         84
        .size:           2
        .value_kind:     hidden_group_size_x
      - .offset:         86
        .size:           2
        .value_kind:     hidden_group_size_y
      - .offset:         88
        .size:           2
        .value_kind:     hidden_group_size_z
      - .offset:         90
        .size:           2
        .value_kind:     hidden_remainder_x
      - .offset:         92
        .size:           2
        .value_kind:     hidden_remainder_y
      - .offset:         94
        .size:           2
        .value_kind:     hidden_remainder_z
      - .offset:         112
        .size:           8
        .value_kind:     hidden_global_offset_x
      - .offset:         120
        .size:           8
        .value_kind:     hidden_global_offset_y
      - .offset:         128
        .size:           8
        .value_kind:     hidden_global_offset_z
      - .offset:         136
        .size:           2
        .value_kind:     hidden_grid_dims
    .group_segment_fixed_size: 256
    .kernarg_segment_align: 8
    .kernarg_segment_size: 328
    .language:       OpenCL C
    .language_version:
      - 2
      - 0
    .max_flat_workgroup_size: 256
    .name:           _ZL23rocblas_gemvt_sn_reduceILi256ELi8EdPKddEviT2_lPT3_lilPT1_i
    .private_segment_fixed_size: 0
    .sgpr_count:     40
    .sgpr_spill_count: 0
    .symbol:         _ZL23rocblas_gemvt_sn_reduceILi256ELi8EdPKddEviT2_lPT3_lilPT1_i.kd
    .uniform_work_group_size: 1
    .uses_dynamic_stack: false
    .vgpr_count:     38
    .vgpr_spill_count: 0
    .wavefront_size: 32
  - .args:
      - .offset:         0
        .size:           4
        .value_kind:     by_value
      - .offset:         4
        .size:           4
        .value_kind:     by_value
      - .offset:         8
        .size:           8
        .value_kind:     by_value
      - .offset:         16
        .size:           8
        .value_kind:     by_value
      - .address_space:  global
        .offset:         24
        .size:           8
        .value_kind:     global_buffer
      - .offset:         32
        .size:           8
        .value_kind:     by_value
      - .offset:         40
        .size:           4
        .value_kind:     by_value
      - .offset:         48
        .size:           8
        .value_kind:     by_value
      - .address_space:  global
        .offset:         56
        .size:           8
        .value_kind:     global_buffer
      - .offset:         64
        .size:           8
        .value_kind:     by_value
      - .offset:         72
        .size:           4
        .value_kind:     by_value
      - .offset:         80
        .size:           8
        .value_kind:     by_value
      - .address_space:  global
        .offset:         88
        .size:           8
        .value_kind:     global_buffer
      - .offset:         96
        .size:           4
        .value_kind:     by_value
      - .offset:         104
        .size:           4
        .value_kind:     hidden_block_count_x
      - .offset:         108
        .size:           4
        .value_kind:     hidden_block_count_y
      - .offset:         112
        .size:           4
        .value_kind:     hidden_block_count_z
      - .offset:         116
        .size:           2
        .value_kind:     hidden_group_size_x
      - .offset:         118
        .size:           2
        .value_kind:     hidden_group_size_y
      - .offset:         120
        .size:           2
        .value_kind:     hidden_group_size_z
      - .offset:         122
        .size:           2
        .value_kind:     hidden_remainder_x
      - .offset:         124
        .size:           2
        .value_kind:     hidden_remainder_y
      - .offset:         126
        .size:           2
        .value_kind:     hidden_remainder_z
      - .offset:         144
        .size:           8
        .value_kind:     hidden_global_offset_x
      - .offset:         152
        .size:           8
        .value_kind:     hidden_global_offset_y
      - .offset:         160
        .size:           8
        .value_kind:     hidden_global_offset_z
      - .offset:         168
        .size:           2
        .value_kind:     hidden_grid_dims
    .group_segment_fixed_size: 256
    .kernarg_segment_align: 8
    .kernarg_segment_size: 360
    .language:       OpenCL C
    .language_version:
      - 2
      - 0
    .max_flat_workgroup_size: 256
    .name:           _ZL23rocblas_gemvt_sn_kernelILb0ELi256ELi4EidddEviiT4_lPKT3_lilS3_lilPT5_i
    .private_segment_fixed_size: 0
    .sgpr_count:     78
    .sgpr_spill_count: 0
    .symbol:         _ZL23rocblas_gemvt_sn_kernelILb0ELi256ELi4EidddEviiT4_lPKT3_lilS3_lilPT5_i.kd
    .uniform_work_group_size: 1
    .uses_dynamic_stack: false
    .vgpr_count:     84
    .vgpr_spill_count: 0
    .wavefront_size: 32
  - .args:
      - .offset:         0
        .size:           4
        .value_kind:     by_value
      - .offset:         4
        .size:           4
        .value_kind:     by_value
      - .offset:         8
        .size:           8
        .value_kind:     by_value
      - .offset:         16
        .size:           8
        .value_kind:     by_value
      - .address_space:  global
        .offset:         24
        .size:           8
        .value_kind:     global_buffer
      - .offset:         32
        .size:           8
        .value_kind:     by_value
      - .offset:         40
        .size:           4
        .value_kind:     by_value
      - .offset:         48
        .size:           8
        .value_kind:     by_value
      - .address_space:  global
        .offset:         56
        .size:           8
        .value_kind:     global_buffer
      - .offset:         64
        .size:           8
        .value_kind:     by_value
      - .offset:         72
        .size:           4
        .value_kind:     by_value
      - .offset:         80
        .size:           8
        .value_kind:     by_value
      - .address_space:  global
        .offset:         88
        .size:           8
        .value_kind:     global_buffer
      - .offset:         96
        .size:           4
        .value_kind:     by_value
      - .offset:         104
        .size:           4
        .value_kind:     hidden_block_count_x
      - .offset:         108
        .size:           4
        .value_kind:     hidden_block_count_y
      - .offset:         112
        .size:           4
        .value_kind:     hidden_block_count_z
      - .offset:         116
        .size:           2
        .value_kind:     hidden_group_size_x
      - .offset:         118
        .size:           2
        .value_kind:     hidden_group_size_y
      - .offset:         120
        .size:           2
        .value_kind:     hidden_group_size_z
      - .offset:         122
        .size:           2
        .value_kind:     hidden_remainder_x
      - .offset:         124
        .size:           2
        .value_kind:     hidden_remainder_y
      - .offset:         126
        .size:           2
        .value_kind:     hidden_remainder_z
      - .offset:         144
        .size:           8
        .value_kind:     hidden_global_offset_x
      - .offset:         152
        .size:           8
        .value_kind:     hidden_global_offset_y
      - .offset:         160
        .size:           8
        .value_kind:     hidden_global_offset_z
      - .offset:         168
        .size:           2
        .value_kind:     hidden_grid_dims
    .group_segment_fixed_size: 256
    .kernarg_segment_align: 8
    .kernarg_segment_size: 360
    .language:       OpenCL C
    .language_version:
      - 2
      - 0
    .max_flat_workgroup_size: 256
    .name:           _ZL23rocblas_gemvt_sn_kernelILb0ELi256ELi4EldddEviiT4_lPKT3_lilS3_lilPT5_i
    .private_segment_fixed_size: 0
    .sgpr_count:     74
    .sgpr_spill_count: 0
    .symbol:         _ZL23rocblas_gemvt_sn_kernelILb0ELi256ELi4EldddEviiT4_lPKT3_lilS3_lilPT5_i.kd
    .uniform_work_group_size: 1
    .uses_dynamic_stack: false
    .vgpr_count:     88
    .vgpr_spill_count: 0
    .wavefront_size: 32
  - .args:
      - .offset:         0
        .size:           4
        .value_kind:     by_value
      - .offset:         8
        .size:           8
        .value_kind:     by_value
      - .offset:         16
        .size:           8
        .value_kind:     by_value
      - .address_space:  global
        .offset:         24
        .size:           8
        .value_kind:     global_buffer
      - .offset:         32
        .size:           8
        .value_kind:     by_value
      - .offset:         40
        .size:           4
        .value_kind:     by_value
      - .offset:         48
        .size:           8
        .value_kind:     by_value
      - .actual_access:  read_only
        .address_space:  global
        .offset:         56
        .size:           8
        .value_kind:     global_buffer
      - .offset:         64
        .size:           4
        .value_kind:     by_value
      - .offset:         72
        .size:           4
        .value_kind:     hidden_block_count_x
      - .offset:         76
        .size:           4
        .value_kind:     hidden_block_count_y
      - .offset:         80
        .size:           4
        .value_kind:     hidden_block_count_z
      - .offset:         84
        .size:           2
        .value_kind:     hidden_group_size_x
      - .offset:         86
        .size:           2
        .value_kind:     hidden_group_size_y
      - .offset:         88
        .size:           2
        .value_kind:     hidden_group_size_z
      - .offset:         90
        .size:           2
        .value_kind:     hidden_remainder_x
      - .offset:         92
        .size:           2
        .value_kind:     hidden_remainder_y
      - .offset:         94
        .size:           2
        .value_kind:     hidden_remainder_z
      - .offset:         112
        .size:           8
        .value_kind:     hidden_global_offset_x
      - .offset:         120
        .size:           8
        .value_kind:     hidden_global_offset_y
      - .offset:         128
        .size:           8
        .value_kind:     hidden_global_offset_z
      - .offset:         136
        .size:           2
        .value_kind:     hidden_grid_dims
    .group_segment_fixed_size: 256
    .kernarg_segment_align: 8
    .kernarg_segment_size: 328
    .language:       OpenCL C
    .language_version:
      - 2
      - 0
    .max_flat_workgroup_size: 256
    .name:           _ZL23rocblas_gemvt_sn_reduceILi256ELi8EdddEviT2_lPT3_lilPT1_i
    .private_segment_fixed_size: 0
    .sgpr_count:     40
    .sgpr_spill_count: 0
    .symbol:         _ZL23rocblas_gemvt_sn_reduceILi256ELi8EdddEviT2_lPT3_lilPT1_i.kd
    .uniform_work_group_size: 1
    .uses_dynamic_stack: false
    .vgpr_count:     36
    .vgpr_spill_count: 0
    .wavefront_size: 32
  - .args:
      - .offset:         0
        .size:           4
        .value_kind:     by_value
      - .offset:         4
        .size:           4
        .value_kind:     by_value
      - .address_space:  global
        .offset:         8
        .size:           8
        .value_kind:     global_buffer
      - .offset:         16
        .size:           8
        .value_kind:     by_value
      - .address_space:  global
        .offset:         24
        .size:           8
        .value_kind:     global_buffer
      - .offset:         32
        .size:           8
        .value_kind:     by_value
      - .offset:         40
        .size:           4
        .value_kind:     by_value
      - .offset:         48
        .size:           8
        .value_kind:     by_value
      - .address_space:  global
        .offset:         56
        .size:           8
        .value_kind:     global_buffer
      - .offset:         64
        .size:           8
        .value_kind:     by_value
      - .offset:         72
        .size:           4
        .value_kind:     by_value
      - .offset:         80
        .size:           8
        .value_kind:     by_value
      - .address_space:  global
        .offset:         88
        .size:           8
        .value_kind:     global_buffer
      - .offset:         96
        .size:           8
        .value_kind:     by_value
      - .offset:         104
        .size:           4
        .value_kind:     by_value
      - .offset:         112
        .size:           8
        .value_kind:     by_value
      - .offset:         120
        .size:           4
        .value_kind:     by_value
      - .offset:         128
        .size:           4
        .value_kind:     hidden_block_count_x
      - .offset:         132
        .size:           4
        .value_kind:     hidden_block_count_y
      - .offset:         136
        .size:           4
        .value_kind:     hidden_block_count_z
      - .offset:         140
        .size:           2
        .value_kind:     hidden_group_size_x
      - .offset:         142
        .size:           2
        .value_kind:     hidden_group_size_y
      - .offset:         144
        .size:           2
        .value_kind:     hidden_group_size_z
      - .offset:         146
        .size:           2
        .value_kind:     hidden_remainder_x
      - .offset:         148
        .size:           2
        .value_kind:     hidden_remainder_y
      - .offset:         150
        .size:           2
        .value_kind:     hidden_remainder_z
      - .offset:         168
        .size:           8
        .value_kind:     hidden_global_offset_x
      - .offset:         176
        .size:           8
        .value_kind:     hidden_global_offset_y
      - .offset:         184
        .size:           8
        .value_kind:     hidden_global_offset_z
      - .offset:         192
        .size:           2
        .value_kind:     hidden_grid_dims
    .group_segment_fixed_size: 65536
    .kernarg_segment_align: 8
    .kernarg_segment_size: 384
    .language:       OpenCL C
    .language_version:
      - 2
      - 0
    .max_flat_workgroup_size: 512
    .name:           _ZL36rocblas_gemvt_double_buffered_kernelILb0ELi128ELi4ELi16EdPKddEviiT4_lPKT3_lilS5_lilPT5_lili
    .private_segment_fixed_size: 132
    .sgpr_count:     46
    .sgpr_spill_count: 0
    .symbol:         _ZL36rocblas_gemvt_double_buffered_kernelILb0ELi128ELi4ELi16EdPKddEviiT4_lPKT3_lilS5_lilPT5_lili.kd
    .uniform_work_group_size: 1
    .uses_dynamic_stack: false
    .vgpr_count:     256
    .vgpr_spill_count: 32
    .wavefront_size: 32
  - .args:
      - .offset:         0
        .size:           4
        .value_kind:     by_value
      - .offset:         4
        .size:           4
        .value_kind:     by_value
      - .offset:         8
        .size:           8
        .value_kind:     by_value
      - .offset:         16
        .size:           8
        .value_kind:     by_value
      - .address_space:  global
        .offset:         24
        .size:           8
        .value_kind:     global_buffer
      - .offset:         32
        .size:           8
        .value_kind:     by_value
      - .offset:         40
        .size:           4
        .value_kind:     by_value
      - .offset:         48
        .size:           8
        .value_kind:     by_value
      - .address_space:  global
        .offset:         56
        .size:           8
        .value_kind:     global_buffer
      - .offset:         64
        .size:           8
        .value_kind:     by_value
      - .offset:         72
        .size:           4
        .value_kind:     by_value
      - .offset:         80
        .size:           8
        .value_kind:     by_value
      - .address_space:  global
        .offset:         88
        .size:           8
        .value_kind:     global_buffer
      - .offset:         96
        .size:           8
        .value_kind:     by_value
      - .offset:         104
        .size:           4
        .value_kind:     by_value
      - .offset:         112
        .size:           8
        .value_kind:     by_value
      - .offset:         120
        .size:           4
        .value_kind:     by_value
      - .offset:         128
        .size:           4
        .value_kind:     hidden_block_count_x
      - .offset:         132
        .size:           4
        .value_kind:     hidden_block_count_y
      - .offset:         136
        .size:           4
        .value_kind:     hidden_block_count_z
      - .offset:         140
        .size:           2
        .value_kind:     hidden_group_size_x
      - .offset:         142
        .size:           2
        .value_kind:     hidden_group_size_y
      - .offset:         144
        .size:           2
        .value_kind:     hidden_group_size_z
      - .offset:         146
        .size:           2
        .value_kind:     hidden_remainder_x
      - .offset:         148
        .size:           2
        .value_kind:     hidden_remainder_y
      - .offset:         150
        .size:           2
        .value_kind:     hidden_remainder_z
      - .offset:         168
        .size:           8
        .value_kind:     hidden_global_offset_x
      - .offset:         176
        .size:           8
        .value_kind:     hidden_global_offset_y
      - .offset:         184
        .size:           8
        .value_kind:     hidden_global_offset_z
      - .offset:         192
        .size:           2
        .value_kind:     hidden_grid_dims
    .group_segment_fixed_size: 65536
    .kernarg_segment_align: 8
    .kernarg_segment_size: 384
    .language:       OpenCL C
    .language_version:
      - 2
      - 0
    .max_flat_workgroup_size: 512
    .name:           _ZL36rocblas_gemvt_double_buffered_kernelILb0ELi128ELi4ELi16EdddEviiT4_lPKT3_lilS3_lilPT5_lili
    .private_segment_fixed_size: 124
    .sgpr_count:     45
    .sgpr_spill_count: 0
    .symbol:         _ZL36rocblas_gemvt_double_buffered_kernelILb0ELi128ELi4ELi16EdddEviiT4_lPKT3_lilS3_lilPT5_lili.kd
    .uniform_work_group_size: 1
    .uses_dynamic_stack: false
    .vgpr_count:     256
    .vgpr_spill_count: 30
    .wavefront_size: 32
  - .args:
      - .offset:         0
        .size:           4
        .value_kind:     by_value
      - .offset:         4
        .size:           4
        .value_kind:     by_value
      - .address_space:  global
        .offset:         8
        .size:           8
        .value_kind:     global_buffer
      - .offset:         16
        .size:           8
        .value_kind:     by_value
      - .address_space:  global
        .offset:         24
        .size:           8
        .value_kind:     global_buffer
      - .offset:         32
        .size:           8
        .value_kind:     by_value
      - .offset:         40
        .size:           4
        .value_kind:     by_value
      - .offset:         48
        .size:           8
        .value_kind:     by_value
      - .address_space:  global
        .offset:         56
        .size:           8
        .value_kind:     global_buffer
      - .offset:         64
        .size:           8
        .value_kind:     by_value
      - .offset:         72
        .size:           4
        .value_kind:     by_value
      - .offset:         80
        .size:           8
        .value_kind:     by_value
      - .address_space:  global
        .offset:         88
        .size:           8
        .value_kind:     global_buffer
      - .offset:         96
        .size:           8
        .value_kind:     by_value
      - .address_space:  global
        .offset:         104
        .size:           8
        .value_kind:     global_buffer
      - .offset:         112
        .size:           8
        .value_kind:     by_value
      - .offset:         120
        .size:           4
        .value_kind:     by_value
      - .offset:         128
        .size:           8
        .value_kind:     by_value
      - .offset:         136
        .size:           4
        .value_kind:     by_value
    .group_segment_fixed_size: 256
    .kernarg_segment_align: 8
    .kernarg_segment_size: 140
    .language:       OpenCL C
    .language_version:
      - 2
      - 0
    .max_flat_workgroup_size: 256
    .name:           _ZL32rocblas_gemvt_warp_reduce_kernelILb0ELi256EidPKddEviiT3_lPKT2_lT1_lS5_lS6_lS2_lPT4_lS6_li
    .private_segment_fixed_size: 0
    .sgpr_count:     46
    .sgpr_spill_count: 0
    .symbol:         _ZL32rocblas_gemvt_warp_reduce_kernelILb0ELi256EidPKddEviiT3_lPKT2_lT1_lS5_lS6_lS2_lPT4_lS6_li.kd
    .uniform_work_group_size: 1
    .uses_dynamic_stack: false
    .vgpr_count:     30
    .vgpr_spill_count: 0
    .wavefront_size: 32
  - .args:
      - .offset:         0
        .size:           4
        .value_kind:     by_value
      - .offset:         4
        .size:           4
        .value_kind:     by_value
      - .address_space:  global
        .offset:         8
        .size:           8
        .value_kind:     global_buffer
      - .offset:         16
        .size:           8
        .value_kind:     by_value
      - .address_space:  global
        .offset:         24
        .size:           8
        .value_kind:     global_buffer
      - .offset:         32
        .size:           8
        .value_kind:     by_value
      - .offset:         40
        .size:           8
        .value_kind:     by_value
      - .offset:         48
        .size:           8
        .value_kind:     by_value
      - .address_space:  global
        .offset:         56
        .size:           8
        .value_kind:     global_buffer
      - .offset:         64
        .size:           8
        .value_kind:     by_value
      - .offset:         72
        .size:           8
        .value_kind:     by_value
      - .offset:         80
        .size:           8
        .value_kind:     by_value
      - .address_space:  global
        .offset:         88
        .size:           8
        .value_kind:     global_buffer
      - .offset:         96
        .size:           8
        .value_kind:     by_value
      - .address_space:  global
        .offset:         104
        .size:           8
        .value_kind:     global_buffer
      - .offset:         112
        .size:           8
        .value_kind:     by_value
      - .offset:         120
        .size:           8
        .value_kind:     by_value
      - .offset:         128
        .size:           8
        .value_kind:     by_value
      - .offset:         136
        .size:           4
        .value_kind:     by_value
    .group_segment_fixed_size: 256
    .kernarg_segment_align: 8
    .kernarg_segment_size: 140
    .language:       OpenCL C
    .language_version:
      - 2
      - 0
    .max_flat_workgroup_size: 256
    .name:           _ZL32rocblas_gemvt_warp_reduce_kernelILb0ELi256EldPKddEviiT3_lPKT2_lT1_lS5_lS6_lS2_lPT4_lS6_li
    .private_segment_fixed_size: 0
    .sgpr_count:     54
    .sgpr_spill_count: 0
    .symbol:         _ZL32rocblas_gemvt_warp_reduce_kernelILb0ELi256EldPKddEviiT3_lPKT2_lT1_lS5_lS6_lS2_lPT4_lS6_li.kd
    .uniform_work_group_size: 1
    .uses_dynamic_stack: false
    .vgpr_count:     32
    .vgpr_spill_count: 0
    .wavefront_size: 32
  - .args:
      - .offset:         0
        .size:           4
        .value_kind:     by_value
      - .offset:         4
        .size:           4
        .value_kind:     by_value
      - .offset:         8
        .size:           8
        .value_kind:     by_value
      - .offset:         16
        .size:           8
        .value_kind:     by_value
      - .address_space:  global
        .offset:         24
        .size:           8
        .value_kind:     global_buffer
      - .offset:         32
        .size:           8
        .value_kind:     by_value
      - .offset:         40
        .size:           4
        .value_kind:     by_value
      - .offset:         48
        .size:           8
        .value_kind:     by_value
      - .address_space:  global
        .offset:         56
        .size:           8
        .value_kind:     global_buffer
      - .offset:         64
        .size:           8
        .value_kind:     by_value
      - .offset:         72
        .size:           4
        .value_kind:     by_value
      - .offset:         80
        .size:           8
        .value_kind:     by_value
      - .offset:         88
        .size:           8
        .value_kind:     by_value
      - .offset:         96
        .size:           8
        .value_kind:     by_value
      - .address_space:  global
        .offset:         104
        .size:           8
        .value_kind:     global_buffer
      - .offset:         112
        .size:           8
        .value_kind:     by_value
      - .offset:         120
        .size:           4
        .value_kind:     by_value
      - .offset:         128
        .size:           8
        .value_kind:     by_value
      - .offset:         136
        .size:           4
        .value_kind:     by_value
    .group_segment_fixed_size: 256
    .kernarg_segment_align: 8
    .kernarg_segment_size: 140
    .language:       OpenCL C
    .language_version:
      - 2
      - 0
    .max_flat_workgroup_size: 256
    .name:           _ZL32rocblas_gemvt_warp_reduce_kernelILb0ELi256EidddEviiT3_lPKT2_lT1_lS3_lS4_lS0_lPT4_lS4_li
    .private_segment_fixed_size: 0
    .sgpr_count:     45
    .sgpr_spill_count: 0
    .symbol:         _ZL32rocblas_gemvt_warp_reduce_kernelILb0ELi256EidddEviiT3_lPKT2_lT1_lS3_lS4_lS0_lPT4_lS4_li.kd
    .uniform_work_group_size: 1
    .uses_dynamic_stack: false
    .vgpr_count:     26
    .vgpr_spill_count: 0
    .wavefront_size: 32
  - .args:
      - .offset:         0
        .size:           4
        .value_kind:     by_value
      - .offset:         4
        .size:           4
        .value_kind:     by_value
      - .offset:         8
        .size:           8
        .value_kind:     by_value
      - .offset:         16
        .size:           8
        .value_kind:     by_value
      - .address_space:  global
        .offset:         24
        .size:           8
        .value_kind:     global_buffer
      - .offset:         32
        .size:           8
        .value_kind:     by_value
      - .offset:         40
        .size:           8
        .value_kind:     by_value
      - .offset:         48
        .size:           8
        .value_kind:     by_value
      - .address_space:  global
        .offset:         56
        .size:           8
        .value_kind:     global_buffer
      - .offset:         64
        .size:           8
        .value_kind:     by_value
      - .offset:         72
        .size:           8
        .value_kind:     by_value
      - .offset:         80
        .size:           8
        .value_kind:     by_value
      - .offset:         88
        .size:           8
        .value_kind:     by_value
      - .offset:         96
        .size:           8
        .value_kind:     by_value
      - .address_space:  global
        .offset:         104
        .size:           8
        .value_kind:     global_buffer
      - .offset:         112
        .size:           8
        .value_kind:     by_value
      - .offset:         120
        .size:           8
        .value_kind:     by_value
      - .offset:         128
        .size:           8
        .value_kind:     by_value
      - .offset:         136
        .size:           4
        .value_kind:     by_value
    .group_segment_fixed_size: 256
    .kernarg_segment_align: 8
    .kernarg_segment_size: 140
    .language:       OpenCL C
    .language_version:
      - 2
      - 0
    .max_flat_workgroup_size: 256
    .name:           _ZL32rocblas_gemvt_warp_reduce_kernelILb0ELi256EldddEviiT3_lPKT2_lT1_lS3_lS4_lS0_lPT4_lS4_li
    .private_segment_fixed_size: 0
    .sgpr_count:     48
    .sgpr_spill_count: 0
    .symbol:         _ZL32rocblas_gemvt_warp_reduce_kernelILb0ELi256EldddEviiT3_lPKT2_lT1_lS3_lS4_lS0_lPT4_lS4_li.kd
    .uniform_work_group_size: 1
    .uses_dynamic_stack: false
    .vgpr_count:     28
    .vgpr_spill_count: 0
    .wavefront_size: 32
  - .args:
      - .offset:         0
        .size:           4
        .value_kind:     by_value
      - .offset:         4
        .size:           4
        .value_kind:     by_value
      - .address_space:  global
        .offset:         8
        .size:           8
        .value_kind:     global_buffer
      - .offset:         16
        .size:           8
        .value_kind:     by_value
      - .address_space:  global
        .offset:         24
        .size:           8
        .value_kind:     global_buffer
      - .offset:         32
        .size:           8
        .value_kind:     by_value
      - .offset:         40
        .size:           4
        .value_kind:     by_value
      - .offset:         48
        .size:           8
        .value_kind:     by_value
      - .address_space:  global
        .offset:         56
        .size:           8
        .value_kind:     global_buffer
      - .offset:         64
        .size:           8
        .value_kind:     by_value
      - .offset:         72
        .size:           4
        .value_kind:     by_value
      - .offset:         80
        .size:           8
        .value_kind:     by_value
      - .address_space:  global
        .offset:         88
        .size:           8
        .value_kind:     global_buffer
      - .offset:         96
        .size:           8
        .value_kind:     by_value
      - .address_space:  global
        .offset:         104
        .size:           8
        .value_kind:     global_buffer
      - .offset:         112
        .size:           8
        .value_kind:     by_value
      - .offset:         120
        .size:           4
        .value_kind:     by_value
      - .offset:         128
        .size:           8
        .value_kind:     by_value
      - .offset:         136
        .size:           4
        .value_kind:     by_value
    .group_segment_fixed_size: 2048
    .kernarg_segment_align: 8
    .kernarg_segment_size: 140
    .language:       OpenCL C
    .language_version:
      - 2
      - 0
    .max_flat_workgroup_size: 256
    .name:           _ZL20rocblas_gemvt_kernelILb0ELi256EdPKddEviiT2_lPKT1_lilS5_lilS2_lPT3_lili
    .private_segment_fixed_size: 0
    .sgpr_count:     52
    .sgpr_spill_count: 0
    .symbol:         _ZL20rocblas_gemvt_kernelILb0ELi256EdPKddEviiT2_lPKT1_lilS5_lilS2_lPT3_lili.kd
    .uniform_work_group_size: 1
    .uses_dynamic_stack: false
    .vgpr_count:     26
    .vgpr_spill_count: 0
    .wavefront_size: 32
  - .args:
      - .offset:         0
        .size:           4
        .value_kind:     by_value
      - .offset:         4
        .size:           4
        .value_kind:     by_value
      - .offset:         8
        .size:           8
        .value_kind:     by_value
      - .offset:         16
        .size:           8
        .value_kind:     by_value
      - .address_space:  global
        .offset:         24
        .size:           8
        .value_kind:     global_buffer
      - .offset:         32
        .size:           8
        .value_kind:     by_value
      - .offset:         40
        .size:           4
        .value_kind:     by_value
      - .offset:         48
        .size:           8
        .value_kind:     by_value
      - .address_space:  global
        .offset:         56
        .size:           8
        .value_kind:     global_buffer
      - .offset:         64
        .size:           8
        .value_kind:     by_value
      - .offset:         72
        .size:           4
        .value_kind:     by_value
      - .offset:         80
        .size:           8
        .value_kind:     by_value
      - .offset:         88
        .size:           8
        .value_kind:     by_value
      - .offset:         96
        .size:           8
        .value_kind:     by_value
      - .address_space:  global
        .offset:         104
        .size:           8
        .value_kind:     global_buffer
      - .offset:         112
        .size:           8
        .value_kind:     by_value
      - .offset:         120
        .size:           4
        .value_kind:     by_value
      - .offset:         128
        .size:           8
        .value_kind:     by_value
      - .offset:         136
        .size:           4
        .value_kind:     by_value
    .group_segment_fixed_size: 2048
    .kernarg_segment_align: 8
    .kernarg_segment_size: 140
    .language:       OpenCL C
    .language_version:
      - 2
      - 0
    .max_flat_workgroup_size: 256
    .name:           _ZL20rocblas_gemvt_kernelILb0ELi256EdddEviiT2_lPKT1_lilS3_lilS0_lPT3_lili
    .private_segment_fixed_size: 0
    .sgpr_count:     52
    .sgpr_spill_count: 0
    .symbol:         _ZL20rocblas_gemvt_kernelILb0ELi256EdddEviiT2_lPKT1_lilS3_lilS0_lPT3_lili.kd
    .uniform_work_group_size: 1
    .uses_dynamic_stack: false
    .vgpr_count:     22
    .vgpr_spill_count: 0
    .wavefront_size: 32
  - .args:
      - .offset:         0
        .size:           4
        .value_kind:     by_value
      - .offset:         4
        .size:           4
        .value_kind:     by_value
      - .address_space:  global
        .offset:         8
        .size:           8
        .value_kind:     global_buffer
      - .offset:         16
        .size:           8
        .value_kind:     by_value
      - .address_space:  global
        .offset:         24
        .size:           8
        .value_kind:     global_buffer
      - .offset:         32
        .size:           8
        .value_kind:     by_value
      - .offset:         40
        .size:           4
        .value_kind:     by_value
      - .offset:         48
        .size:           8
        .value_kind:     by_value
      - .address_space:  global
        .offset:         56
        .size:           8
        .value_kind:     global_buffer
      - .offset:         64
        .size:           8
        .value_kind:     by_value
      - .offset:         72
        .size:           4
        .value_kind:     by_value
      - .offset:         80
        .size:           8
        .value_kind:     by_value
      - .address_space:  global
        .offset:         88
        .size:           8
        .value_kind:     global_buffer
      - .offset:         96
        .size:           8
        .value_kind:     by_value
      - .address_space:  global
        .offset:         104
        .size:           8
        .value_kind:     global_buffer
      - .offset:         112
        .size:           8
        .value_kind:     by_value
      - .offset:         120
        .size:           4
        .value_kind:     by_value
      - .offset:         128
        .size:           8
        .value_kind:     by_value
      - .offset:         136
        .size:           4
        .value_kind:     by_value
    .group_segment_fixed_size: 256
    .kernarg_segment_align: 8
    .kernarg_segment_size: 140
    .language:       OpenCL C
    .language_version:
      - 2
      - 0
    .max_flat_workgroup_size: 1024
    .name:           _ZL32rocblas_gemvt_warp_reduce_kernelILb0ELi1024EidPKddEviiT3_lPKT2_lT1_lS5_lS6_lS2_lPT4_lS6_li
    .private_segment_fixed_size: 0
    .sgpr_count:     44
    .sgpr_spill_count: 0
    .symbol:         _ZL32rocblas_gemvt_warp_reduce_kernelILb0ELi1024EidPKddEviiT3_lPKT2_lT1_lS5_lS6_lS2_lPT4_lS6_li.kd
    .uniform_work_group_size: 1
    .uses_dynamic_stack: false
    .vgpr_count:     30
    .vgpr_spill_count: 0
    .wavefront_size: 32
  - .args:
      - .offset:         0
        .size:           4
        .value_kind:     by_value
      - .offset:         4
        .size:           4
        .value_kind:     by_value
      - .address_space:  global
        .offset:         8
        .size:           8
        .value_kind:     global_buffer
      - .offset:         16
        .size:           8
        .value_kind:     by_value
      - .address_space:  global
        .offset:         24
        .size:           8
        .value_kind:     global_buffer
      - .offset:         32
        .size:           8
        .value_kind:     by_value
      - .offset:         40
        .size:           8
        .value_kind:     by_value
      - .offset:         48
        .size:           8
        .value_kind:     by_value
      - .address_space:  global
        .offset:         56
        .size:           8
        .value_kind:     global_buffer
      - .offset:         64
        .size:           8
        .value_kind:     by_value
      - .offset:         72
        .size:           8
        .value_kind:     by_value
      - .offset:         80
        .size:           8
        .value_kind:     by_value
      - .address_space:  global
        .offset:         88
        .size:           8
        .value_kind:     global_buffer
      - .offset:         96
        .size:           8
        .value_kind:     by_value
      - .address_space:  global
        .offset:         104
        .size:           8
        .value_kind:     global_buffer
      - .offset:         112
        .size:           8
        .value_kind:     by_value
      - .offset:         120
        .size:           8
        .value_kind:     by_value
      - .offset:         128
        .size:           8
        .value_kind:     by_value
      - .offset:         136
        .size:           4
        .value_kind:     by_value
    .group_segment_fixed_size: 256
    .kernarg_segment_align: 8
    .kernarg_segment_size: 140
    .language:       OpenCL C
    .language_version:
      - 2
      - 0
    .max_flat_workgroup_size: 1024
    .name:           _ZL32rocblas_gemvt_warp_reduce_kernelILb0ELi1024EldPKddEviiT3_lPKT2_lT1_lS5_lS6_lS2_lPT4_lS6_li
    .private_segment_fixed_size: 0
    .sgpr_count:     54
    .sgpr_spill_count: 0
    .symbol:         _ZL32rocblas_gemvt_warp_reduce_kernelILb0ELi1024EldPKddEviiT3_lPKT2_lT1_lS5_lS6_lS2_lPT4_lS6_li.kd
    .uniform_work_group_size: 1
    .uses_dynamic_stack: false
    .vgpr_count:     32
    .vgpr_spill_count: 0
    .wavefront_size: 32
  - .args:
      - .offset:         0
        .size:           4
        .value_kind:     by_value
      - .offset:         4
        .size:           4
        .value_kind:     by_value
      - .offset:         8
        .size:           8
        .value_kind:     by_value
      - .offset:         16
        .size:           8
        .value_kind:     by_value
      - .address_space:  global
        .offset:         24
        .size:           8
        .value_kind:     global_buffer
      - .offset:         32
        .size:           8
        .value_kind:     by_value
      - .offset:         40
        .size:           4
        .value_kind:     by_value
      - .offset:         48
        .size:           8
        .value_kind:     by_value
      - .address_space:  global
        .offset:         56
        .size:           8
        .value_kind:     global_buffer
      - .offset:         64
        .size:           8
        .value_kind:     by_value
      - .offset:         72
        .size:           4
        .value_kind:     by_value
      - .offset:         80
        .size:           8
        .value_kind:     by_value
      - .offset:         88
        .size:           8
        .value_kind:     by_value
      - .offset:         96
        .size:           8
        .value_kind:     by_value
      - .address_space:  global
        .offset:         104
        .size:           8
        .value_kind:     global_buffer
      - .offset:         112
        .size:           8
        .value_kind:     by_value
      - .offset:         120
        .size:           4
        .value_kind:     by_value
      - .offset:         128
        .size:           8
        .value_kind:     by_value
      - .offset:         136
        .size:           4
        .value_kind:     by_value
    .group_segment_fixed_size: 256
    .kernarg_segment_align: 8
    .kernarg_segment_size: 140
    .language:       OpenCL C
    .language_version:
      - 2
      - 0
    .max_flat_workgroup_size: 1024
    .name:           _ZL32rocblas_gemvt_warp_reduce_kernelILb0ELi1024EidddEviiT3_lPKT2_lT1_lS3_lS4_lS0_lPT4_lS4_li
    .private_segment_fixed_size: 0
    .sgpr_count:     45
    .sgpr_spill_count: 0
    .symbol:         _ZL32rocblas_gemvt_warp_reduce_kernelILb0ELi1024EidddEviiT3_lPKT2_lT1_lS3_lS4_lS0_lPT4_lS4_li.kd
    .uniform_work_group_size: 1
    .uses_dynamic_stack: false
    .vgpr_count:     26
    .vgpr_spill_count: 0
    .wavefront_size: 32
  - .args:
      - .offset:         0
        .size:           4
        .value_kind:     by_value
      - .offset:         4
        .size:           4
        .value_kind:     by_value
      - .offset:         8
        .size:           8
        .value_kind:     by_value
      - .offset:         16
        .size:           8
        .value_kind:     by_value
      - .address_space:  global
        .offset:         24
        .size:           8
        .value_kind:     global_buffer
      - .offset:         32
        .size:           8
        .value_kind:     by_value
      - .offset:         40
        .size:           8
        .value_kind:     by_value
      - .offset:         48
        .size:           8
        .value_kind:     by_value
      - .address_space:  global
        .offset:         56
        .size:           8
        .value_kind:     global_buffer
      - .offset:         64
        .size:           8
        .value_kind:     by_value
      - .offset:         72
        .size:           8
        .value_kind:     by_value
      - .offset:         80
        .size:           8
        .value_kind:     by_value
      - .offset:         88
        .size:           8
        .value_kind:     by_value
      - .offset:         96
        .size:           8
        .value_kind:     by_value
      - .address_space:  global
        .offset:         104
        .size:           8
        .value_kind:     global_buffer
      - .offset:         112
        .size:           8
        .value_kind:     by_value
      - .offset:         120
        .size:           8
        .value_kind:     by_value
      - .offset:         128
        .size:           8
        .value_kind:     by_value
      - .offset:         136
        .size:           4
        .value_kind:     by_value
    .group_segment_fixed_size: 256
    .kernarg_segment_align: 8
    .kernarg_segment_size: 140
    .language:       OpenCL C
    .language_version:
      - 2
      - 0
    .max_flat_workgroup_size: 1024
    .name:           _ZL32rocblas_gemvt_warp_reduce_kernelILb0ELi1024EldddEviiT3_lPKT2_lT1_lS3_lS4_lS0_lPT4_lS4_li
    .private_segment_fixed_size: 0
    .sgpr_count:     46
    .sgpr_spill_count: 0
    .symbol:         _ZL32rocblas_gemvt_warp_reduce_kernelILb0ELi1024EldddEviiT3_lPKT2_lT1_lS3_lS4_lS0_lPT4_lS4_li.kd
    .uniform_work_group_size: 1
    .uses_dynamic_stack: false
    .vgpr_count:     28
    .vgpr_spill_count: 0
    .wavefront_size: 32
  - .args:
      - .offset:         0
        .size:           4
        .value_kind:     by_value
      - .offset:         4
        .size:           4
        .value_kind:     by_value
      - .address_space:  global
        .offset:         8
        .size:           8
        .value_kind:     global_buffer
      - .offset:         16
        .size:           8
        .value_kind:     by_value
      - .address_space:  global
        .offset:         24
        .size:           8
        .value_kind:     global_buffer
      - .offset:         32
        .size:           8
        .value_kind:     by_value
      - .offset:         40
        .size:           4
        .value_kind:     by_value
      - .offset:         48
        .size:           8
        .value_kind:     by_value
      - .address_space:  global
        .offset:         56
        .size:           8
        .value_kind:     global_buffer
      - .offset:         64
        .size:           8
        .value_kind:     by_value
      - .offset:         72
        .size:           4
        .value_kind:     by_value
      - .offset:         80
        .size:           8
        .value_kind:     by_value
      - .address_space:  global
        .offset:         88
        .size:           8
        .value_kind:     global_buffer
      - .offset:         96
        .size:           8
        .value_kind:     by_value
      - .address_space:  global
        .offset:         104
        .size:           8
        .value_kind:     global_buffer
      - .offset:         112
        .size:           8
        .value_kind:     by_value
      - .offset:         120
        .size:           4
        .value_kind:     by_value
      - .offset:         128
        .size:           8
        .value_kind:     by_value
    .group_segment_fixed_size: 512
    .kernarg_segment_align: 8
    .kernarg_segment_size: 136
    .language:       OpenCL C
    .language_version:
      - 2
      - 0
    .max_flat_workgroup_size: 256
    .name:           _ZL22rocblas_gemvtsm_kernelILb1ELi256EdPKddEviiT2_lPKT1_lilS5_lilS2_lPT3_lil
    .private_segment_fixed_size: 0
    .sgpr_count:     34
    .sgpr_spill_count: 0
    .symbol:         _ZL22rocblas_gemvtsm_kernelILb1ELi256EdPKddEviiT2_lPKT1_lilS5_lilS2_lPT3_lil.kd
    .uniform_work_group_size: 1
    .uses_dynamic_stack: false
    .vgpr_count:     38
    .vgpr_spill_count: 0
    .wavefront_size: 32
  - .args:
      - .offset:         0
        .size:           4
        .value_kind:     by_value
      - .offset:         4
        .size:           4
        .value_kind:     by_value
      - .offset:         8
        .size:           8
        .value_kind:     by_value
      - .offset:         16
        .size:           8
        .value_kind:     by_value
      - .address_space:  global
        .offset:         24
        .size:           8
        .value_kind:     global_buffer
      - .offset:         32
        .size:           8
        .value_kind:     by_value
      - .offset:         40
        .size:           4
        .value_kind:     by_value
      - .offset:         48
        .size:           8
        .value_kind:     by_value
      - .address_space:  global
        .offset:         56
        .size:           8
        .value_kind:     global_buffer
      - .offset:         64
        .size:           8
        .value_kind:     by_value
      - .offset:         72
        .size:           4
        .value_kind:     by_value
      - .offset:         80
        .size:           8
        .value_kind:     by_value
      - .offset:         88
        .size:           8
        .value_kind:     by_value
      - .offset:         96
        .size:           8
        .value_kind:     by_value
      - .address_space:  global
        .offset:         104
        .size:           8
        .value_kind:     global_buffer
      - .offset:         112
        .size:           8
        .value_kind:     by_value
      - .offset:         120
        .size:           4
        .value_kind:     by_value
      - .offset:         128
        .size:           8
        .value_kind:     by_value
    .group_segment_fixed_size: 512
    .kernarg_segment_align: 8
    .kernarg_segment_size: 136
    .language:       OpenCL C
    .language_version:
      - 2
      - 0
    .max_flat_workgroup_size: 256
    .name:           _ZL22rocblas_gemvtsm_kernelILb1ELi256EdddEviiT2_lPKT1_lilS3_lilS0_lPT3_lil
    .private_segment_fixed_size: 0
    .sgpr_count:     30
    .sgpr_spill_count: 0
    .symbol:         _ZL22rocblas_gemvtsm_kernelILb1ELi256EdddEviiT2_lPKT1_lilS3_lilS0_lPT3_lil.kd
    .uniform_work_group_size: 1
    .uses_dynamic_stack: false
    .vgpr_count:     38
    .vgpr_spill_count: 0
    .wavefront_size: 32
  - .args:
      - .offset:         0
        .size:           4
        .value_kind:     by_value
      - .offset:         4
        .size:           4
        .value_kind:     by_value
      - .address_space:  global
        .offset:         8
        .size:           8
        .value_kind:     global_buffer
      - .offset:         16
        .size:           8
        .value_kind:     by_value
      - .address_space:  global
        .offset:         24
        .size:           8
        .value_kind:     global_buffer
      - .offset:         32
        .size:           8
        .value_kind:     by_value
      - .offset:         40
        .size:           4
        .value_kind:     by_value
      - .offset:         48
        .size:           8
        .value_kind:     by_value
      - .address_space:  global
        .offset:         56
        .size:           8
        .value_kind:     global_buffer
      - .offset:         64
        .size:           8
        .value_kind:     by_value
      - .offset:         72
        .size:           4
        .value_kind:     by_value
      - .offset:         80
        .size:           8
        .value_kind:     by_value
      - .address_space:  global
        .offset:         88
        .size:           8
        .value_kind:     global_buffer
      - .offset:         96
        .size:           4
        .value_kind:     by_value
      - .offset:         104
        .size:           4
        .value_kind:     hidden_block_count_x
      - .offset:         108
        .size:           4
        .value_kind:     hidden_block_count_y
      - .offset:         112
        .size:           4
        .value_kind:     hidden_block_count_z
      - .offset:         116
        .size:           2
        .value_kind:     hidden_group_size_x
      - .offset:         118
        .size:           2
        .value_kind:     hidden_group_size_y
      - .offset:         120
        .size:           2
        .value_kind:     hidden_group_size_z
      - .offset:         122
        .size:           2
        .value_kind:     hidden_remainder_x
      - .offset:         124
        .size:           2
        .value_kind:     hidden_remainder_y
      - .offset:         126
        .size:           2
        .value_kind:     hidden_remainder_z
      - .offset:         144
        .size:           8
        .value_kind:     hidden_global_offset_x
      - .offset:         152
        .size:           8
        .value_kind:     hidden_global_offset_y
      - .offset:         160
        .size:           8
        .value_kind:     hidden_global_offset_z
      - .offset:         168
        .size:           2
        .value_kind:     hidden_grid_dims
    .group_segment_fixed_size: 256
    .kernarg_segment_align: 8
    .kernarg_segment_size: 360
    .language:       OpenCL C
    .language_version:
      - 2
      - 0
    .max_flat_workgroup_size: 256
    .name:           _ZL23rocblas_gemvt_sn_kernelILb1ELi256ELi4EidPKddEviiT4_lPKT3_lilS5_lilPT5_i
    .private_segment_fixed_size: 0
    .sgpr_count:     80
    .sgpr_spill_count: 0
    .symbol:         _ZL23rocblas_gemvt_sn_kernelILb1ELi256ELi4EidPKddEviiT4_lPKT3_lilS5_lilPT5_i.kd
    .uniform_work_group_size: 1
    .uses_dynamic_stack: false
    .vgpr_count:     86
    .vgpr_spill_count: 0
    .wavefront_size: 32
  - .args:
      - .offset:         0
        .size:           4
        .value_kind:     by_value
      - .offset:         4
        .size:           4
        .value_kind:     by_value
      - .address_space:  global
        .offset:         8
        .size:           8
        .value_kind:     global_buffer
      - .offset:         16
        .size:           8
        .value_kind:     by_value
      - .address_space:  global
        .offset:         24
        .size:           8
        .value_kind:     global_buffer
      - .offset:         32
        .size:           8
        .value_kind:     by_value
      - .offset:         40
        .size:           4
        .value_kind:     by_value
      - .offset:         48
        .size:           8
        .value_kind:     by_value
      - .address_space:  global
        .offset:         56
        .size:           8
        .value_kind:     global_buffer
      - .offset:         64
        .size:           8
        .value_kind:     by_value
      - .offset:         72
        .size:           4
        .value_kind:     by_value
      - .offset:         80
        .size:           8
        .value_kind:     by_value
      - .address_space:  global
        .offset:         88
        .size:           8
        .value_kind:     global_buffer
      - .offset:         96
        .size:           4
        .value_kind:     by_value
      - .offset:         104
        .size:           4
        .value_kind:     hidden_block_count_x
      - .offset:         108
        .size:           4
        .value_kind:     hidden_block_count_y
      - .offset:         112
        .size:           4
        .value_kind:     hidden_block_count_z
      - .offset:         116
        .size:           2
        .value_kind:     hidden_group_size_x
      - .offset:         118
        .size:           2
        .value_kind:     hidden_group_size_y
      - .offset:         120
        .size:           2
        .value_kind:     hidden_group_size_z
      - .offset:         122
        .size:           2
        .value_kind:     hidden_remainder_x
      - .offset:         124
        .size:           2
        .value_kind:     hidden_remainder_y
      - .offset:         126
        .size:           2
        .value_kind:     hidden_remainder_z
      - .offset:         144
        .size:           8
        .value_kind:     hidden_global_offset_x
      - .offset:         152
        .size:           8
        .value_kind:     hidden_global_offset_y
      - .offset:         160
        .size:           8
        .value_kind:     hidden_global_offset_z
      - .offset:         168
        .size:           2
        .value_kind:     hidden_grid_dims
    .group_segment_fixed_size: 256
    .kernarg_segment_align: 8
    .kernarg_segment_size: 360
    .language:       OpenCL C
    .language_version:
      - 2
      - 0
    .max_flat_workgroup_size: 256
    .name:           _ZL23rocblas_gemvt_sn_kernelILb1ELi256ELi4EldPKddEviiT4_lPKT3_lilS5_lilPT5_i
    .private_segment_fixed_size: 0
    .sgpr_count:     76
    .sgpr_spill_count: 0
    .symbol:         _ZL23rocblas_gemvt_sn_kernelILb1ELi256ELi4EldPKddEviiT4_lPKT3_lilS5_lilPT5_i.kd
    .uniform_work_group_size: 1
    .uses_dynamic_stack: false
    .vgpr_count:     90
    .vgpr_spill_count: 0
    .wavefront_size: 32
  - .args:
      - .offset:         0
        .size:           4
        .value_kind:     by_value
      - .offset:         4
        .size:           4
        .value_kind:     by_value
      - .offset:         8
        .size:           8
        .value_kind:     by_value
      - .offset:         16
        .size:           8
        .value_kind:     by_value
      - .address_space:  global
        .offset:         24
        .size:           8
        .value_kind:     global_buffer
      - .offset:         32
        .size:           8
        .value_kind:     by_value
      - .offset:         40
        .size:           4
        .value_kind:     by_value
      - .offset:         48
        .size:           8
        .value_kind:     by_value
      - .address_space:  global
        .offset:         56
        .size:           8
        .value_kind:     global_buffer
      - .offset:         64
        .size:           8
        .value_kind:     by_value
      - .offset:         72
        .size:           4
        .value_kind:     by_value
      - .offset:         80
        .size:           8
        .value_kind:     by_value
      - .address_space:  global
        .offset:         88
        .size:           8
        .value_kind:     global_buffer
      - .offset:         96
        .size:           4
        .value_kind:     by_value
      - .offset:         104
        .size:           4
        .value_kind:     hidden_block_count_x
      - .offset:         108
        .size:           4
        .value_kind:     hidden_block_count_y
      - .offset:         112
        .size:           4
        .value_kind:     hidden_block_count_z
      - .offset:         116
        .size:           2
        .value_kind:     hidden_group_size_x
      - .offset:         118
        .size:           2
        .value_kind:     hidden_group_size_y
      - .offset:         120
        .size:           2
        .value_kind:     hidden_group_size_z
      - .offset:         122
        .size:           2
        .value_kind:     hidden_remainder_x
      - .offset:         124
        .size:           2
        .value_kind:     hidden_remainder_y
      - .offset:         126
        .size:           2
        .value_kind:     hidden_remainder_z
      - .offset:         144
        .size:           8
        .value_kind:     hidden_global_offset_x
      - .offset:         152
        .size:           8
        .value_kind:     hidden_global_offset_y
      - .offset:         160
        .size:           8
        .value_kind:     hidden_global_offset_z
      - .offset:         168
        .size:           2
        .value_kind:     hidden_grid_dims
    .group_segment_fixed_size: 256
    .kernarg_segment_align: 8
    .kernarg_segment_size: 360
    .language:       OpenCL C
    .language_version:
      - 2
      - 0
    .max_flat_workgroup_size: 256
    .name:           _ZL23rocblas_gemvt_sn_kernelILb1ELi256ELi4EidddEviiT4_lPKT3_lilS3_lilPT5_i
    .private_segment_fixed_size: 0
    .sgpr_count:     78
    .sgpr_spill_count: 0
    .symbol:         _ZL23rocblas_gemvt_sn_kernelILb1ELi256ELi4EidddEviiT4_lPKT3_lilS3_lilPT5_i.kd
    .uniform_work_group_size: 1
    .uses_dynamic_stack: false
    .vgpr_count:     84
    .vgpr_spill_count: 0
    .wavefront_size: 32
  - .args:
      - .offset:         0
        .size:           4
        .value_kind:     by_value
      - .offset:         4
        .size:           4
        .value_kind:     by_value
      - .offset:         8
        .size:           8
        .value_kind:     by_value
      - .offset:         16
        .size:           8
        .value_kind:     by_value
      - .address_space:  global
        .offset:         24
        .size:           8
        .value_kind:     global_buffer
      - .offset:         32
        .size:           8
        .value_kind:     by_value
      - .offset:         40
        .size:           4
        .value_kind:     by_value
      - .offset:         48
        .size:           8
        .value_kind:     by_value
      - .address_space:  global
        .offset:         56
        .size:           8
        .value_kind:     global_buffer
      - .offset:         64
        .size:           8
        .value_kind:     by_value
      - .offset:         72
        .size:           4
        .value_kind:     by_value
      - .offset:         80
        .size:           8
        .value_kind:     by_value
      - .address_space:  global
        .offset:         88
        .size:           8
        .value_kind:     global_buffer
      - .offset:         96
        .size:           4
        .value_kind:     by_value
      - .offset:         104
        .size:           4
        .value_kind:     hidden_block_count_x
      - .offset:         108
        .size:           4
        .value_kind:     hidden_block_count_y
      - .offset:         112
        .size:           4
        .value_kind:     hidden_block_count_z
      - .offset:         116
        .size:           2
        .value_kind:     hidden_group_size_x
      - .offset:         118
        .size:           2
        .value_kind:     hidden_group_size_y
      - .offset:         120
        .size:           2
        .value_kind:     hidden_group_size_z
      - .offset:         122
        .size:           2
        .value_kind:     hidden_remainder_x
      - .offset:         124
        .size:           2
        .value_kind:     hidden_remainder_y
      - .offset:         126
        .size:           2
        .value_kind:     hidden_remainder_z
      - .offset:         144
        .size:           8
        .value_kind:     hidden_global_offset_x
      - .offset:         152
        .size:           8
        .value_kind:     hidden_global_offset_y
      - .offset:         160
        .size:           8
        .value_kind:     hidden_global_offset_z
      - .offset:         168
        .size:           2
        .value_kind:     hidden_grid_dims
    .group_segment_fixed_size: 256
    .kernarg_segment_align: 8
    .kernarg_segment_size: 360
    .language:       OpenCL C
    .language_version:
      - 2
      - 0
    .max_flat_workgroup_size: 256
    .name:           _ZL23rocblas_gemvt_sn_kernelILb1ELi256ELi4EldddEviiT4_lPKT3_lilS3_lilPT5_i
    .private_segment_fixed_size: 0
    .sgpr_count:     74
    .sgpr_spill_count: 0
    .symbol:         _ZL23rocblas_gemvt_sn_kernelILb1ELi256ELi4EldddEviiT4_lPKT3_lilS3_lilPT5_i.kd
    .uniform_work_group_size: 1
    .uses_dynamic_stack: false
    .vgpr_count:     88
    .vgpr_spill_count: 0
    .wavefront_size: 32
  - .args:
      - .offset:         0
        .size:           4
        .value_kind:     by_value
      - .offset:         4
        .size:           4
        .value_kind:     by_value
      - .address_space:  global
        .offset:         8
        .size:           8
        .value_kind:     global_buffer
      - .offset:         16
        .size:           8
        .value_kind:     by_value
      - .address_space:  global
        .offset:         24
        .size:           8
        .value_kind:     global_buffer
      - .offset:         32
        .size:           8
        .value_kind:     by_value
      - .offset:         40
        .size:           4
        .value_kind:     by_value
      - .offset:         48
        .size:           8
        .value_kind:     by_value
      - .address_space:  global
        .offset:         56
        .size:           8
        .value_kind:     global_buffer
      - .offset:         64
        .size:           8
        .value_kind:     by_value
      - .offset:         72
        .size:           4
        .value_kind:     by_value
      - .offset:         80
        .size:           8
        .value_kind:     by_value
      - .address_space:  global
        .offset:         88
        .size:           8
        .value_kind:     global_buffer
      - .offset:         96
        .size:           8
        .value_kind:     by_value
      - .offset:         104
        .size:           4
        .value_kind:     by_value
      - .offset:         112
        .size:           8
        .value_kind:     by_value
      - .offset:         120
        .size:           4
        .value_kind:     by_value
      - .offset:         128
        .size:           4
        .value_kind:     hidden_block_count_x
      - .offset:         132
        .size:           4
        .value_kind:     hidden_block_count_y
      - .offset:         136
        .size:           4
        .value_kind:     hidden_block_count_z
      - .offset:         140
        .size:           2
        .value_kind:     hidden_group_size_x
      - .offset:         142
        .size:           2
        .value_kind:     hidden_group_size_y
      - .offset:         144
        .size:           2
        .value_kind:     hidden_group_size_z
      - .offset:         146
        .size:           2
        .value_kind:     hidden_remainder_x
      - .offset:         148
        .size:           2
        .value_kind:     hidden_remainder_y
      - .offset:         150
        .size:           2
        .value_kind:     hidden_remainder_z
      - .offset:         168
        .size:           8
        .value_kind:     hidden_global_offset_x
      - .offset:         176
        .size:           8
        .value_kind:     hidden_global_offset_y
      - .offset:         184
        .size:           8
        .value_kind:     hidden_global_offset_z
      - .offset:         192
        .size:           2
        .value_kind:     hidden_grid_dims
    .group_segment_fixed_size: 65536
    .kernarg_segment_align: 8
    .kernarg_segment_size: 384
    .language:       OpenCL C
    .language_version:
      - 2
      - 0
    .max_flat_workgroup_size: 512
    .name:           _ZL36rocblas_gemvt_double_buffered_kernelILb1ELi128ELi4ELi16EdPKddEviiT4_lPKT3_lilS5_lilPT5_lili
    .private_segment_fixed_size: 132
    .sgpr_count:     46
    .sgpr_spill_count: 0
    .symbol:         _ZL36rocblas_gemvt_double_buffered_kernelILb1ELi128ELi4ELi16EdPKddEviiT4_lPKT3_lilS5_lilPT5_lili.kd
    .uniform_work_group_size: 1
    .uses_dynamic_stack: false
    .vgpr_count:     256
    .vgpr_spill_count: 32
    .wavefront_size: 32
  - .args:
      - .offset:         0
        .size:           4
        .value_kind:     by_value
      - .offset:         4
        .size:           4
        .value_kind:     by_value
      - .offset:         8
        .size:           8
        .value_kind:     by_value
      - .offset:         16
        .size:           8
        .value_kind:     by_value
      - .address_space:  global
        .offset:         24
        .size:           8
        .value_kind:     global_buffer
      - .offset:         32
        .size:           8
        .value_kind:     by_value
      - .offset:         40
        .size:           4
        .value_kind:     by_value
      - .offset:         48
        .size:           8
        .value_kind:     by_value
      - .address_space:  global
        .offset:         56
        .size:           8
        .value_kind:     global_buffer
      - .offset:         64
        .size:           8
        .value_kind:     by_value
      - .offset:         72
        .size:           4
        .value_kind:     by_value
      - .offset:         80
        .size:           8
        .value_kind:     by_value
      - .address_space:  global
        .offset:         88
        .size:           8
        .value_kind:     global_buffer
      - .offset:         96
        .size:           8
        .value_kind:     by_value
      - .offset:         104
        .size:           4
        .value_kind:     by_value
      - .offset:         112
        .size:           8
        .value_kind:     by_value
      - .offset:         120
        .size:           4
        .value_kind:     by_value
      - .offset:         128
        .size:           4
        .value_kind:     hidden_block_count_x
      - .offset:         132
        .size:           4
        .value_kind:     hidden_block_count_y
      - .offset:         136
        .size:           4
        .value_kind:     hidden_block_count_z
      - .offset:         140
        .size:           2
        .value_kind:     hidden_group_size_x
      - .offset:         142
        .size:           2
        .value_kind:     hidden_group_size_y
      - .offset:         144
        .size:           2
        .value_kind:     hidden_group_size_z
      - .offset:         146
        .size:           2
        .value_kind:     hidden_remainder_x
      - .offset:         148
        .size:           2
        .value_kind:     hidden_remainder_y
      - .offset:         150
        .size:           2
        .value_kind:     hidden_remainder_z
      - .offset:         168
        .size:           8
        .value_kind:     hidden_global_offset_x
      - .offset:         176
        .size:           8
        .value_kind:     hidden_global_offset_y
      - .offset:         184
        .size:           8
        .value_kind:     hidden_global_offset_z
      - .offset:         192
        .size:           2
        .value_kind:     hidden_grid_dims
    .group_segment_fixed_size: 65536
    .kernarg_segment_align: 8
    .kernarg_segment_size: 384
    .language:       OpenCL C
    .language_version:
      - 2
      - 0
    .max_flat_workgroup_size: 512
    .name:           _ZL36rocblas_gemvt_double_buffered_kernelILb1ELi128ELi4ELi16EdddEviiT4_lPKT3_lilS3_lilPT5_lili
    .private_segment_fixed_size: 124
    .sgpr_count:     45
    .sgpr_spill_count: 0
    .symbol:         _ZL36rocblas_gemvt_double_buffered_kernelILb1ELi128ELi4ELi16EdddEviiT4_lPKT3_lilS3_lilPT5_lili.kd
    .uniform_work_group_size: 1
    .uses_dynamic_stack: false
    .vgpr_count:     256
    .vgpr_spill_count: 30
    .wavefront_size: 32
  - .args:
      - .offset:         0
        .size:           4
        .value_kind:     by_value
      - .offset:         4
        .size:           4
        .value_kind:     by_value
      - .address_space:  global
        .offset:         8
        .size:           8
        .value_kind:     global_buffer
      - .offset:         16
        .size:           8
        .value_kind:     by_value
      - .address_space:  global
        .offset:         24
        .size:           8
        .value_kind:     global_buffer
      - .offset:         32
        .size:           8
        .value_kind:     by_value
      - .offset:         40
        .size:           4
        .value_kind:     by_value
      - .offset:         48
        .size:           8
        .value_kind:     by_value
      - .address_space:  global
        .offset:         56
        .size:           8
        .value_kind:     global_buffer
      - .offset:         64
        .size:           8
        .value_kind:     by_value
      - .offset:         72
        .size:           4
        .value_kind:     by_value
      - .offset:         80
        .size:           8
        .value_kind:     by_value
      - .address_space:  global
        .offset:         88
        .size:           8
        .value_kind:     global_buffer
      - .offset:         96
        .size:           8
        .value_kind:     by_value
      - .address_space:  global
        .offset:         104
        .size:           8
        .value_kind:     global_buffer
      - .offset:         112
        .size:           8
        .value_kind:     by_value
      - .offset:         120
        .size:           4
        .value_kind:     by_value
      - .offset:         128
        .size:           8
        .value_kind:     by_value
      - .offset:         136
        .size:           4
        .value_kind:     by_value
    .group_segment_fixed_size: 2048
    .kernarg_segment_align: 8
    .kernarg_segment_size: 140
    .language:       OpenCL C
    .language_version:
      - 2
      - 0
    .max_flat_workgroup_size: 256
    .name:           _ZL20rocblas_gemvt_kernelILb1ELi256EdPKddEviiT2_lPKT1_lilS5_lilS2_lPT3_lili
    .private_segment_fixed_size: 0
    .sgpr_count:     52
    .sgpr_spill_count: 0
    .symbol:         _ZL20rocblas_gemvt_kernelILb1ELi256EdPKddEviiT2_lPKT1_lilS5_lilS2_lPT3_lili.kd
    .uniform_work_group_size: 1
    .uses_dynamic_stack: false
    .vgpr_count:     26
    .vgpr_spill_count: 0
    .wavefront_size: 32
  - .args:
      - .offset:         0
        .size:           4
        .value_kind:     by_value
      - .offset:         4
        .size:           4
        .value_kind:     by_value
      - .offset:         8
        .size:           8
        .value_kind:     by_value
      - .offset:         16
        .size:           8
        .value_kind:     by_value
      - .address_space:  global
        .offset:         24
        .size:           8
        .value_kind:     global_buffer
      - .offset:         32
        .size:           8
        .value_kind:     by_value
      - .offset:         40
        .size:           4
        .value_kind:     by_value
      - .offset:         48
        .size:           8
        .value_kind:     by_value
      - .address_space:  global
        .offset:         56
        .size:           8
        .value_kind:     global_buffer
      - .offset:         64
        .size:           8
        .value_kind:     by_value
      - .offset:         72
        .size:           4
        .value_kind:     by_value
      - .offset:         80
        .size:           8
        .value_kind:     by_value
      - .offset:         88
        .size:           8
        .value_kind:     by_value
      - .offset:         96
        .size:           8
        .value_kind:     by_value
      - .address_space:  global
        .offset:         104
        .size:           8
        .value_kind:     global_buffer
      - .offset:         112
        .size:           8
        .value_kind:     by_value
      - .offset:         120
        .size:           4
        .value_kind:     by_value
      - .offset:         128
        .size:           8
        .value_kind:     by_value
      - .offset:         136
        .size:           4
        .value_kind:     by_value
    .group_segment_fixed_size: 2048
    .kernarg_segment_align: 8
    .kernarg_segment_size: 140
    .language:       OpenCL C
    .language_version:
      - 2
      - 0
    .max_flat_workgroup_size: 256
    .name:           _ZL20rocblas_gemvt_kernelILb1ELi256EdddEviiT2_lPKT1_lilS3_lilS0_lPT3_lili
    .private_segment_fixed_size: 0
    .sgpr_count:     52
    .sgpr_spill_count: 0
    .symbol:         _ZL20rocblas_gemvt_kernelILb1ELi256EdddEviiT2_lPKT1_lilS3_lilS0_lPT3_lili.kd
    .uniform_work_group_size: 1
    .uses_dynamic_stack: false
    .vgpr_count:     22
    .vgpr_spill_count: 0
    .wavefront_size: 32
  - .args:
      - .offset:         0
        .size:           4
        .value_kind:     by_value
      - .offset:         4
        .size:           4
        .value_kind:     by_value
      - .address_space:  global
        .offset:         8
        .size:           8
        .value_kind:     global_buffer
      - .offset:         16
        .size:           8
        .value_kind:     by_value
      - .address_space:  global
        .offset:         24
        .size:           8
        .value_kind:     global_buffer
      - .offset:         32
        .size:           8
        .value_kind:     by_value
      - .offset:         40
        .size:           4
        .value_kind:     by_value
      - .offset:         48
        .size:           8
        .value_kind:     by_value
      - .address_space:  global
        .offset:         56
        .size:           8
        .value_kind:     global_buffer
      - .offset:         64
        .size:           8
        .value_kind:     by_value
      - .offset:         72
        .size:           4
        .value_kind:     by_value
      - .offset:         80
        .size:           8
        .value_kind:     by_value
      - .address_space:  global
        .offset:         88
        .size:           8
        .value_kind:     global_buffer
      - .offset:         96
        .size:           8
        .value_kind:     by_value
      - .address_space:  global
        .offset:         104
        .size:           8
        .value_kind:     global_buffer
      - .offset:         112
        .size:           8
        .value_kind:     by_value
      - .offset:         120
        .size:           4
        .value_kind:     by_value
      - .offset:         128
        .size:           8
        .value_kind:     by_value
      - .offset:         136
        .size:           4
        .value_kind:     by_value
    .group_segment_fixed_size: 256
    .kernarg_segment_align: 8
    .kernarg_segment_size: 140
    .language:       OpenCL C
    .language_version:
      - 2
      - 0
    .max_flat_workgroup_size: 1024
    .name:           _ZL32rocblas_gemvt_warp_reduce_kernelILb1ELi1024EidPKddEviiT3_lPKT2_lT1_lS5_lS6_lS2_lPT4_lS6_li
    .private_segment_fixed_size: 0
    .sgpr_count:     44
    .sgpr_spill_count: 0
    .symbol:         _ZL32rocblas_gemvt_warp_reduce_kernelILb1ELi1024EidPKddEviiT3_lPKT2_lT1_lS5_lS6_lS2_lPT4_lS6_li.kd
    .uniform_work_group_size: 1
    .uses_dynamic_stack: false
    .vgpr_count:     30
    .vgpr_spill_count: 0
    .wavefront_size: 32
  - .args:
      - .offset:         0
        .size:           4
        .value_kind:     by_value
      - .offset:         4
        .size:           4
        .value_kind:     by_value
      - .address_space:  global
        .offset:         8
        .size:           8
        .value_kind:     global_buffer
      - .offset:         16
        .size:           8
        .value_kind:     by_value
      - .address_space:  global
        .offset:         24
        .size:           8
        .value_kind:     global_buffer
      - .offset:         32
        .size:           8
        .value_kind:     by_value
      - .offset:         40
        .size:           8
        .value_kind:     by_value
      - .offset:         48
        .size:           8
        .value_kind:     by_value
      - .address_space:  global
        .offset:         56
        .size:           8
        .value_kind:     global_buffer
      - .offset:         64
        .size:           8
        .value_kind:     by_value
      - .offset:         72
        .size:           8
        .value_kind:     by_value
      - .offset:         80
        .size:           8
        .value_kind:     by_value
      - .address_space:  global
        .offset:         88
        .size:           8
        .value_kind:     global_buffer
      - .offset:         96
        .size:           8
        .value_kind:     by_value
      - .address_space:  global
        .offset:         104
        .size:           8
        .value_kind:     global_buffer
      - .offset:         112
        .size:           8
        .value_kind:     by_value
      - .offset:         120
        .size:           8
        .value_kind:     by_value
      - .offset:         128
        .size:           8
        .value_kind:     by_value
      - .offset:         136
        .size:           4
        .value_kind:     by_value
    .group_segment_fixed_size: 256
    .kernarg_segment_align: 8
    .kernarg_segment_size: 140
    .language:       OpenCL C
    .language_version:
      - 2
      - 0
    .max_flat_workgroup_size: 1024
    .name:           _ZL32rocblas_gemvt_warp_reduce_kernelILb1ELi1024EldPKddEviiT3_lPKT2_lT1_lS5_lS6_lS2_lPT4_lS6_li
    .private_segment_fixed_size: 0
    .sgpr_count:     54
    .sgpr_spill_count: 0
    .symbol:         _ZL32rocblas_gemvt_warp_reduce_kernelILb1ELi1024EldPKddEviiT3_lPKT2_lT1_lS5_lS6_lS2_lPT4_lS6_li.kd
    .uniform_work_group_size: 1
    .uses_dynamic_stack: false
    .vgpr_count:     32
    .vgpr_spill_count: 0
    .wavefront_size: 32
  - .args:
      - .offset:         0
        .size:           4
        .value_kind:     by_value
      - .offset:         4
        .size:           4
        .value_kind:     by_value
      - .offset:         8
        .size:           8
        .value_kind:     by_value
      - .offset:         16
        .size:           8
        .value_kind:     by_value
      - .address_space:  global
        .offset:         24
        .size:           8
        .value_kind:     global_buffer
      - .offset:         32
        .size:           8
        .value_kind:     by_value
      - .offset:         40
        .size:           4
        .value_kind:     by_value
      - .offset:         48
        .size:           8
        .value_kind:     by_value
      - .address_space:  global
        .offset:         56
        .size:           8
        .value_kind:     global_buffer
      - .offset:         64
        .size:           8
        .value_kind:     by_value
      - .offset:         72
        .size:           4
        .value_kind:     by_value
      - .offset:         80
        .size:           8
        .value_kind:     by_value
      - .offset:         88
        .size:           8
        .value_kind:     by_value
      - .offset:         96
        .size:           8
        .value_kind:     by_value
      - .address_space:  global
        .offset:         104
        .size:           8
        .value_kind:     global_buffer
      - .offset:         112
        .size:           8
        .value_kind:     by_value
      - .offset:         120
        .size:           4
        .value_kind:     by_value
      - .offset:         128
        .size:           8
        .value_kind:     by_value
      - .offset:         136
        .size:           4
        .value_kind:     by_value
    .group_segment_fixed_size: 256
    .kernarg_segment_align: 8
    .kernarg_segment_size: 140
    .language:       OpenCL C
    .language_version:
      - 2
      - 0
    .max_flat_workgroup_size: 1024
    .name:           _ZL32rocblas_gemvt_warp_reduce_kernelILb1ELi1024EidddEviiT3_lPKT2_lT1_lS3_lS4_lS0_lPT4_lS4_li
    .private_segment_fixed_size: 0
    .sgpr_count:     45
    .sgpr_spill_count: 0
    .symbol:         _ZL32rocblas_gemvt_warp_reduce_kernelILb1ELi1024EidddEviiT3_lPKT2_lT1_lS3_lS4_lS0_lPT4_lS4_li.kd
    .uniform_work_group_size: 1
    .uses_dynamic_stack: false
    .vgpr_count:     26
    .vgpr_spill_count: 0
    .wavefront_size: 32
  - .args:
      - .offset:         0
        .size:           4
        .value_kind:     by_value
      - .offset:         4
        .size:           4
        .value_kind:     by_value
      - .offset:         8
        .size:           8
        .value_kind:     by_value
      - .offset:         16
        .size:           8
        .value_kind:     by_value
      - .address_space:  global
        .offset:         24
        .size:           8
        .value_kind:     global_buffer
      - .offset:         32
        .size:           8
        .value_kind:     by_value
      - .offset:         40
        .size:           8
        .value_kind:     by_value
      - .offset:         48
        .size:           8
        .value_kind:     by_value
      - .address_space:  global
        .offset:         56
        .size:           8
        .value_kind:     global_buffer
      - .offset:         64
        .size:           8
        .value_kind:     by_value
      - .offset:         72
        .size:           8
        .value_kind:     by_value
      - .offset:         80
        .size:           8
        .value_kind:     by_value
      - .offset:         88
        .size:           8
        .value_kind:     by_value
      - .offset:         96
        .size:           8
        .value_kind:     by_value
      - .address_space:  global
        .offset:         104
        .size:           8
        .value_kind:     global_buffer
      - .offset:         112
        .size:           8
        .value_kind:     by_value
      - .offset:         120
        .size:           8
        .value_kind:     by_value
      - .offset:         128
        .size:           8
        .value_kind:     by_value
      - .offset:         136
        .size:           4
        .value_kind:     by_value
    .group_segment_fixed_size: 256
    .kernarg_segment_align: 8
    .kernarg_segment_size: 140
    .language:       OpenCL C
    .language_version:
      - 2
      - 0
    .max_flat_workgroup_size: 1024
    .name:           _ZL32rocblas_gemvt_warp_reduce_kernelILb1ELi1024EldddEviiT3_lPKT2_lT1_lS3_lS4_lS0_lPT4_lS4_li
    .private_segment_fixed_size: 0
    .sgpr_count:     46
    .sgpr_spill_count: 0
    .symbol:         _ZL32rocblas_gemvt_warp_reduce_kernelILb1ELi1024EldddEviiT3_lPKT2_lT1_lS3_lS4_lS0_lPT4_lS4_li.kd
    .uniform_work_group_size: 1
    .uses_dynamic_stack: false
    .vgpr_count:     28
    .vgpr_spill_count: 0
    .wavefront_size: 32
  - .args:
      - .offset:         0
        .size:           4
        .value_kind:     by_value
      - .offset:         4
        .size:           4
        .value_kind:     by_value
      - .address_space:  global
        .offset:         8
        .size:           8
        .value_kind:     global_buffer
      - .offset:         16
        .size:           8
        .value_kind:     by_value
      - .address_space:  global
        .offset:         24
        .size:           8
        .value_kind:     global_buffer
      - .offset:         32
        .size:           8
        .value_kind:     by_value
      - .offset:         40
        .size:           4
        .value_kind:     by_value
      - .offset:         48
        .size:           8
        .value_kind:     by_value
      - .address_space:  global
        .offset:         56
        .size:           8
        .value_kind:     global_buffer
      - .offset:         64
        .size:           8
        .value_kind:     by_value
      - .offset:         72
        .size:           4
        .value_kind:     by_value
      - .offset:         80
        .size:           8
        .value_kind:     by_value
      - .address_space:  global
        .offset:         88
        .size:           8
        .value_kind:     global_buffer
      - .offset:         96
        .size:           8
        .value_kind:     by_value
      - .address_space:  global
        .offset:         104
        .size:           8
        .value_kind:     global_buffer
      - .offset:         112
        .size:           8
        .value_kind:     by_value
      - .offset:         120
        .size:           4
        .value_kind:     by_value
      - .offset:         128
        .size:           8
        .value_kind:     by_value
      - .offset:         136
        .size:           4
        .value_kind:     by_value
    .group_segment_fixed_size: 0
    .kernarg_segment_align: 8
    .kernarg_segment_size: 140
    .language:       OpenCL C
    .language_version:
      - 2
      - 0
    .max_flat_workgroup_size: 768
    .name:           _ZL34rocblas_gemvn_sm_mn_batched_kernelILi32ELi24E19rocblas_complex_numIfEPKS1_S1_EviiT2_lPKT1_lilS7_lilS4_lPT3_lili
    .private_segment_fixed_size: 0
    .sgpr_count:     0
    .sgpr_spill_count: 0
    .symbol:         _ZL34rocblas_gemvn_sm_mn_batched_kernelILi32ELi24E19rocblas_complex_numIfEPKS1_S1_EviiT2_lPKT1_lilS7_lilS4_lPT3_lili.kd
    .uniform_work_group_size: 1
    .uses_dynamic_stack: false
    .vgpr_count:     0
    .vgpr_spill_count: 0
    .wavefront_size: 32
  - .args:
      - .offset:         0
        .size:           4
        .value_kind:     by_value
      - .offset:         4
        .size:           4
        .value_kind:     by_value
      - .offset:         8
        .size:           8
        .value_kind:     by_value
      - .offset:         16
        .size:           8
        .value_kind:     by_value
      - .address_space:  global
        .offset:         24
        .size:           8
        .value_kind:     global_buffer
      - .offset:         32
        .size:           8
        .value_kind:     by_value
      - .offset:         40
        .size:           4
        .value_kind:     by_value
      - .offset:         48
        .size:           8
        .value_kind:     by_value
      - .address_space:  global
        .offset:         56
        .size:           8
        .value_kind:     global_buffer
      - .offset:         64
        .size:           8
        .value_kind:     by_value
      - .offset:         72
        .size:           4
        .value_kind:     by_value
      - .offset:         80
        .size:           8
        .value_kind:     by_value
      - .offset:         88
        .size:           8
        .value_kind:     by_value
      - .offset:         96
        .size:           8
        .value_kind:     by_value
      - .address_space:  global
        .offset:         104
        .size:           8
        .value_kind:     global_buffer
      - .offset:         112
        .size:           8
        .value_kind:     by_value
      - .offset:         120
        .size:           4
        .value_kind:     by_value
      - .offset:         128
        .size:           8
        .value_kind:     by_value
      - .offset:         136
        .size:           4
        .value_kind:     by_value
    .group_segment_fixed_size: 0
    .kernarg_segment_align: 8
    .kernarg_segment_size: 140
    .language:       OpenCL C
    .language_version:
      - 2
      - 0
    .max_flat_workgroup_size: 768
    .name:           _ZL34rocblas_gemvn_sm_mn_batched_kernelILi32ELi24E19rocblas_complex_numIfES1_S1_EviiT2_lPKT1_lilS5_lilS2_lPT3_lili
    .private_segment_fixed_size: 0
    .sgpr_count:     0
    .sgpr_spill_count: 0
    .symbol:         _ZL34rocblas_gemvn_sm_mn_batched_kernelILi32ELi24E19rocblas_complex_numIfES1_S1_EviiT2_lPKT1_lilS5_lilS2_lPT3_lili.kd
    .uniform_work_group_size: 1
    .uses_dynamic_stack: false
    .vgpr_count:     0
    .vgpr_spill_count: 0
    .wavefront_size: 32
  - .args:
      - .offset:         0
        .size:           4
        .value_kind:     by_value
      - .offset:         4
        .size:           4
        .value_kind:     by_value
      - .address_space:  global
        .offset:         8
        .size:           8
        .value_kind:     global_buffer
      - .offset:         16
        .size:           8
        .value_kind:     by_value
      - .address_space:  global
        .offset:         24
        .size:           8
        .value_kind:     global_buffer
      - .offset:         32
        .size:           8
        .value_kind:     by_value
      - .offset:         40
        .size:           4
        .value_kind:     by_value
      - .offset:         48
        .size:           8
        .value_kind:     by_value
      - .address_space:  global
        .offset:         56
        .size:           8
        .value_kind:     global_buffer
      - .offset:         64
        .size:           8
        .value_kind:     by_value
      - .offset:         72
        .size:           4
        .value_kind:     by_value
      - .offset:         80
        .size:           8
        .value_kind:     by_value
      - .address_space:  global
        .offset:         88
        .size:           8
        .value_kind:     global_buffer
      - .offset:         96
        .size:           8
        .value_kind:     by_value
      - .address_space:  global
        .offset:         104
        .size:           8
        .value_kind:     global_buffer
      - .offset:         112
        .size:           8
        .value_kind:     by_value
      - .offset:         120
        .size:           4
        .value_kind:     by_value
      - .offset:         128
        .size:           8
        .value_kind:     by_value
      - .offset:         136
        .size:           4
        .value_kind:     by_value
      - .offset:         144
        .size:           4
        .value_kind:     hidden_block_count_x
      - .offset:         148
        .size:           4
        .value_kind:     hidden_block_count_y
      - .offset:         152
        .size:           4
        .value_kind:     hidden_block_count_z
      - .offset:         156
        .size:           2
        .value_kind:     hidden_group_size_x
      - .offset:         158
        .size:           2
        .value_kind:     hidden_group_size_y
      - .offset:         160
        .size:           2
        .value_kind:     hidden_group_size_z
      - .offset:         162
        .size:           2
        .value_kind:     hidden_remainder_x
      - .offset:         164
        .size:           2
        .value_kind:     hidden_remainder_y
      - .offset:         166
        .size:           2
        .value_kind:     hidden_remainder_z
      - .offset:         184
        .size:           8
        .value_kind:     hidden_global_offset_x
      - .offset:         192
        .size:           8
        .value_kind:     hidden_global_offset_y
      - .offset:         200
        .size:           8
        .value_kind:     hidden_global_offset_z
      - .offset:         208
        .size:           2
        .value_kind:     hidden_grid_dims
    .group_segment_fixed_size: 8192
    .kernarg_segment_align: 8
    .kernarg_segment_size: 400
    .language:       OpenCL C
    .language_version:
      - 2
      - 0
    .max_flat_workgroup_size: 256
    .name:           _ZL20rocblas_gemvn_kernelILi64ELi4Ei19rocblas_complex_numIfEPKS1_S1_EviiT3_lPKT2_lT1_lS7_lS8_lS4_lPT4_lS8_li
    .private_segment_fixed_size: 0
    .sgpr_count:     55
    .sgpr_spill_count: 0
    .symbol:         _ZL20rocblas_gemvn_kernelILi64ELi4Ei19rocblas_complex_numIfEPKS1_S1_EviiT3_lPKT2_lT1_lS7_lS8_lS4_lPT4_lS8_li.kd
    .uniform_work_group_size: 1
    .uses_dynamic_stack: false
    .vgpr_count:     86
    .vgpr_spill_count: 0
    .wavefront_size: 32
  - .args:
      - .offset:         0
        .size:           4
        .value_kind:     by_value
      - .offset:         4
        .size:           4
        .value_kind:     by_value
      - .address_space:  global
        .offset:         8
        .size:           8
        .value_kind:     global_buffer
      - .offset:         16
        .size:           8
        .value_kind:     by_value
      - .address_space:  global
        .offset:         24
        .size:           8
        .value_kind:     global_buffer
      - .offset:         32
        .size:           8
        .value_kind:     by_value
      - .offset:         40
        .size:           8
        .value_kind:     by_value
      - .offset:         48
        .size:           8
        .value_kind:     by_value
      - .address_space:  global
        .offset:         56
        .size:           8
        .value_kind:     global_buffer
      - .offset:         64
        .size:           8
        .value_kind:     by_value
      - .offset:         72
        .size:           8
        .value_kind:     by_value
      - .offset:         80
        .size:           8
        .value_kind:     by_value
      - .address_space:  global
        .offset:         88
        .size:           8
        .value_kind:     global_buffer
      - .offset:         96
        .size:           8
        .value_kind:     by_value
      - .address_space:  global
        .offset:         104
        .size:           8
        .value_kind:     global_buffer
      - .offset:         112
        .size:           8
        .value_kind:     by_value
      - .offset:         120
        .size:           8
        .value_kind:     by_value
      - .offset:         128
        .size:           8
        .value_kind:     by_value
      - .offset:         136
        .size:           4
        .value_kind:     by_value
      - .offset:         144
        .size:           4
        .value_kind:     hidden_block_count_x
      - .offset:         148
        .size:           4
        .value_kind:     hidden_block_count_y
      - .offset:         152
        .size:           4
        .value_kind:     hidden_block_count_z
      - .offset:         156
        .size:           2
        .value_kind:     hidden_group_size_x
      - .offset:         158
        .size:           2
        .value_kind:     hidden_group_size_y
      - .offset:         160
        .size:           2
        .value_kind:     hidden_group_size_z
      - .offset:         162
        .size:           2
        .value_kind:     hidden_remainder_x
      - .offset:         164
        .size:           2
        .value_kind:     hidden_remainder_y
      - .offset:         166
        .size:           2
        .value_kind:     hidden_remainder_z
      - .offset:         184
        .size:           8
        .value_kind:     hidden_global_offset_x
      - .offset:         192
        .size:           8
        .value_kind:     hidden_global_offset_y
      - .offset:         200
        .size:           8
        .value_kind:     hidden_global_offset_z
      - .offset:         208
        .size:           2
        .value_kind:     hidden_grid_dims
    .group_segment_fixed_size: 8192
    .kernarg_segment_align: 8
    .kernarg_segment_size: 400
    .language:       OpenCL C
    .language_version:
      - 2
      - 0
    .max_flat_workgroup_size: 256
    .name:           _ZL20rocblas_gemvn_kernelILi64ELi4El19rocblas_complex_numIfEPKS1_S1_EviiT3_lPKT2_lT1_lS7_lS8_lS4_lPT4_lS8_li
    .private_segment_fixed_size: 0
    .sgpr_count:     60
    .sgpr_spill_count: 0
    .symbol:         _ZL20rocblas_gemvn_kernelILi64ELi4El19rocblas_complex_numIfEPKS1_S1_EviiT3_lPKT2_lT1_lS7_lS8_lS4_lPT4_lS8_li.kd
    .uniform_work_group_size: 1
    .uses_dynamic_stack: false
    .vgpr_count:     105
    .vgpr_spill_count: 0
    .wavefront_size: 32
  - .args:
      - .offset:         0
        .size:           4
        .value_kind:     by_value
      - .offset:         4
        .size:           4
        .value_kind:     by_value
      - .offset:         8
        .size:           8
        .value_kind:     by_value
      - .offset:         16
        .size:           8
        .value_kind:     by_value
      - .address_space:  global
        .offset:         24
        .size:           8
        .value_kind:     global_buffer
      - .offset:         32
        .size:           8
        .value_kind:     by_value
      - .offset:         40
        .size:           4
        .value_kind:     by_value
      - .offset:         48
        .size:           8
        .value_kind:     by_value
      - .address_space:  global
        .offset:         56
        .size:           8
        .value_kind:     global_buffer
      - .offset:         64
        .size:           8
        .value_kind:     by_value
      - .offset:         72
        .size:           4
        .value_kind:     by_value
      - .offset:         80
        .size:           8
        .value_kind:     by_value
      - .offset:         88
        .size:           8
        .value_kind:     by_value
      - .offset:         96
        .size:           8
        .value_kind:     by_value
      - .address_space:  global
        .offset:         104
        .size:           8
        .value_kind:     global_buffer
      - .offset:         112
        .size:           8
        .value_kind:     by_value
      - .offset:         120
        .size:           4
        .value_kind:     by_value
      - .offset:         128
        .size:           8
        .value_kind:     by_value
      - .offset:         136
        .size:           4
        .value_kind:     by_value
      - .offset:         144
        .size:           4
        .value_kind:     hidden_block_count_x
      - .offset:         148
        .size:           4
        .value_kind:     hidden_block_count_y
      - .offset:         152
        .size:           4
        .value_kind:     hidden_block_count_z
      - .offset:         156
        .size:           2
        .value_kind:     hidden_group_size_x
      - .offset:         158
        .size:           2
        .value_kind:     hidden_group_size_y
      - .offset:         160
        .size:           2
        .value_kind:     hidden_group_size_z
      - .offset:         162
        .size:           2
        .value_kind:     hidden_remainder_x
      - .offset:         164
        .size:           2
        .value_kind:     hidden_remainder_y
      - .offset:         166
        .size:           2
        .value_kind:     hidden_remainder_z
      - .offset:         184
        .size:           8
        .value_kind:     hidden_global_offset_x
      - .offset:         192
        .size:           8
        .value_kind:     hidden_global_offset_y
      - .offset:         200
        .size:           8
        .value_kind:     hidden_global_offset_z
      - .offset:         208
        .size:           2
        .value_kind:     hidden_grid_dims
    .group_segment_fixed_size: 8192
    .kernarg_segment_align: 8
    .kernarg_segment_size: 400
    .language:       OpenCL C
    .language_version:
      - 2
      - 0
    .max_flat_workgroup_size: 256
    .name:           _ZL20rocblas_gemvn_kernelILi64ELi4Ei19rocblas_complex_numIfES1_S1_EviiT3_lPKT2_lT1_lS5_lS6_lS2_lPT4_lS6_li
    .private_segment_fixed_size: 0
    .sgpr_count:     58
    .sgpr_spill_count: 0
    .symbol:         _ZL20rocblas_gemvn_kernelILi64ELi4Ei19rocblas_complex_numIfES1_S1_EviiT3_lPKT2_lT1_lS5_lS6_lS2_lPT4_lS6_li.kd
    .uniform_work_group_size: 1
    .uses_dynamic_stack: false
    .vgpr_count:     80
    .vgpr_spill_count: 0
    .wavefront_size: 32
  - .args:
      - .offset:         0
        .size:           4
        .value_kind:     by_value
      - .offset:         4
        .size:           4
        .value_kind:     by_value
      - .offset:         8
        .size:           8
        .value_kind:     by_value
      - .offset:         16
        .size:           8
        .value_kind:     by_value
      - .address_space:  global
        .offset:         24
        .size:           8
        .value_kind:     global_buffer
      - .offset:         32
        .size:           8
        .value_kind:     by_value
      - .offset:         40
        .size:           8
        .value_kind:     by_value
      - .offset:         48
        .size:           8
        .value_kind:     by_value
      - .address_space:  global
        .offset:         56
        .size:           8
        .value_kind:     global_buffer
      - .offset:         64
        .size:           8
        .value_kind:     by_value
      - .offset:         72
        .size:           8
        .value_kind:     by_value
      - .offset:         80
        .size:           8
        .value_kind:     by_value
      - .offset:         88
        .size:           8
        .value_kind:     by_value
      - .offset:         96
        .size:           8
        .value_kind:     by_value
      - .address_space:  global
        .offset:         104
        .size:           8
        .value_kind:     global_buffer
      - .offset:         112
        .size:           8
        .value_kind:     by_value
      - .offset:         120
        .size:           8
        .value_kind:     by_value
      - .offset:         128
        .size:           8
        .value_kind:     by_value
      - .offset:         136
        .size:           4
        .value_kind:     by_value
      - .offset:         144
        .size:           4
        .value_kind:     hidden_block_count_x
      - .offset:         148
        .size:           4
        .value_kind:     hidden_block_count_y
      - .offset:         152
        .size:           4
        .value_kind:     hidden_block_count_z
      - .offset:         156
        .size:           2
        .value_kind:     hidden_group_size_x
      - .offset:         158
        .size:           2
        .value_kind:     hidden_group_size_y
      - .offset:         160
        .size:           2
        .value_kind:     hidden_group_size_z
      - .offset:         162
        .size:           2
        .value_kind:     hidden_remainder_x
      - .offset:         164
        .size:           2
        .value_kind:     hidden_remainder_y
      - .offset:         166
        .size:           2
        .value_kind:     hidden_remainder_z
      - .offset:         184
        .size:           8
        .value_kind:     hidden_global_offset_x
      - .offset:         192
        .size:           8
        .value_kind:     hidden_global_offset_y
      - .offset:         200
        .size:           8
        .value_kind:     hidden_global_offset_z
      - .offset:         208
        .size:           2
        .value_kind:     hidden_grid_dims
    .group_segment_fixed_size: 8192
    .kernarg_segment_align: 8
    .kernarg_segment_size: 400
    .language:       OpenCL C
    .language_version:
      - 2
      - 0
    .max_flat_workgroup_size: 256
    .name:           _ZL20rocblas_gemvn_kernelILi64ELi4El19rocblas_complex_numIfES1_S1_EviiT3_lPKT2_lT1_lS5_lS6_lS2_lPT4_lS6_li
    .private_segment_fixed_size: 0
    .sgpr_count:     63
    .sgpr_spill_count: 0
    .symbol:         _ZL20rocblas_gemvn_kernelILi64ELi4El19rocblas_complex_numIfES1_S1_EviiT3_lPKT2_lT1_lS5_lS6_lS2_lPT4_lS6_li.kd
    .uniform_work_group_size: 1
    .uses_dynamic_stack: false
    .vgpr_count:     101
    .vgpr_spill_count: 0
    .wavefront_size: 32
  - .args:
      - .offset:         0
        .size:           4
        .value_kind:     by_value
      - .offset:         4
        .size:           4
        .value_kind:     by_value
      - .address_space:  global
        .offset:         8
        .size:           8
        .value_kind:     global_buffer
      - .offset:         16
        .size:           8
        .value_kind:     by_value
      - .address_space:  global
        .offset:         24
        .size:           8
        .value_kind:     global_buffer
      - .offset:         32
        .size:           8
        .value_kind:     by_value
      - .offset:         40
        .size:           4
        .value_kind:     by_value
      - .offset:         48
        .size:           8
        .value_kind:     by_value
      - .address_space:  global
        .offset:         56
        .size:           8
        .value_kind:     global_buffer
      - .offset:         64
        .size:           8
        .value_kind:     by_value
      - .offset:         72
        .size:           4
        .value_kind:     by_value
      - .offset:         80
        .size:           8
        .value_kind:     by_value
      - .address_space:  global
        .offset:         88
        .size:           8
        .value_kind:     global_buffer
      - .offset:         96
        .size:           8
        .value_kind:     by_value
      - .address_space:  global
        .offset:         104
        .size:           8
        .value_kind:     global_buffer
      - .offset:         112
        .size:           8
        .value_kind:     by_value
      - .offset:         120
        .size:           4
        .value_kind:     by_value
      - .offset:         128
        .size:           8
        .value_kind:     by_value
      - .offset:         136
        .size:           4
        .value_kind:     by_value
      - .offset:         144
        .size:           4
        .value_kind:     hidden_block_count_x
      - .offset:         148
        .size:           4
        .value_kind:     hidden_block_count_y
      - .offset:         152
        .size:           4
        .value_kind:     hidden_block_count_z
      - .offset:         156
        .size:           2
        .value_kind:     hidden_group_size_x
      - .offset:         158
        .size:           2
        .value_kind:     hidden_group_size_y
      - .offset:         160
        .size:           2
        .value_kind:     hidden_group_size_z
      - .offset:         162
        .size:           2
        .value_kind:     hidden_remainder_x
      - .offset:         164
        .size:           2
        .value_kind:     hidden_remainder_y
      - .offset:         166
        .size:           2
        .value_kind:     hidden_remainder_z
      - .offset:         184
        .size:           8
        .value_kind:     hidden_global_offset_x
      - .offset:         192
        .size:           8
        .value_kind:     hidden_global_offset_y
      - .offset:         200
        .size:           8
        .value_kind:     hidden_global_offset_z
      - .offset:         208
        .size:           2
        .value_kind:     hidden_grid_dims
    .group_segment_fixed_size: 16384
    .kernarg_segment_align: 8
    .kernarg_segment_size: 400
    .language:       OpenCL C
    .language_version:
      - 2
      - 0
    .max_flat_workgroup_size: 512
    .name:           _ZL20rocblas_gemvn_kernelILi32ELi16Ei19rocblas_complex_numIfEPKS1_S1_EviiT3_lPKT2_lT1_lS7_lS8_lS4_lPT4_lS8_li
    .private_segment_fixed_size: 0
    .sgpr_count:     55
    .sgpr_spill_count: 0
    .symbol:         _ZL20rocblas_gemvn_kernelILi32ELi16Ei19rocblas_complex_numIfEPKS1_S1_EviiT3_lPKT2_lT1_lS7_lS8_lS4_lPT4_lS8_li.kd
    .uniform_work_group_size: 1
    .uses_dynamic_stack: false
    .vgpr_count:     86
    .vgpr_spill_count: 0
    .wavefront_size: 32
  - .args:
      - .offset:         0
        .size:           4
        .value_kind:     by_value
      - .offset:         4
        .size:           4
        .value_kind:     by_value
      - .address_space:  global
        .offset:         8
        .size:           8
        .value_kind:     global_buffer
      - .offset:         16
        .size:           8
        .value_kind:     by_value
      - .address_space:  global
        .offset:         24
        .size:           8
        .value_kind:     global_buffer
      - .offset:         32
        .size:           8
        .value_kind:     by_value
      - .offset:         40
        .size:           8
        .value_kind:     by_value
      - .offset:         48
        .size:           8
        .value_kind:     by_value
      - .address_space:  global
        .offset:         56
        .size:           8
        .value_kind:     global_buffer
      - .offset:         64
        .size:           8
        .value_kind:     by_value
      - .offset:         72
        .size:           8
        .value_kind:     by_value
      - .offset:         80
        .size:           8
        .value_kind:     by_value
      - .address_space:  global
        .offset:         88
        .size:           8
        .value_kind:     global_buffer
      - .offset:         96
        .size:           8
        .value_kind:     by_value
      - .address_space:  global
        .offset:         104
        .size:           8
        .value_kind:     global_buffer
      - .offset:         112
        .size:           8
        .value_kind:     by_value
      - .offset:         120
        .size:           8
        .value_kind:     by_value
      - .offset:         128
        .size:           8
        .value_kind:     by_value
      - .offset:         136
        .size:           4
        .value_kind:     by_value
      - .offset:         144
        .size:           4
        .value_kind:     hidden_block_count_x
      - .offset:         148
        .size:           4
        .value_kind:     hidden_block_count_y
      - .offset:         152
        .size:           4
        .value_kind:     hidden_block_count_z
      - .offset:         156
        .size:           2
        .value_kind:     hidden_group_size_x
      - .offset:         158
        .size:           2
        .value_kind:     hidden_group_size_y
      - .offset:         160
        .size:           2
        .value_kind:     hidden_group_size_z
      - .offset:         162
        .size:           2
        .value_kind:     hidden_remainder_x
      - .offset:         164
        .size:           2
        .value_kind:     hidden_remainder_y
      - .offset:         166
        .size:           2
        .value_kind:     hidden_remainder_z
      - .offset:         184
        .size:           8
        .value_kind:     hidden_global_offset_x
      - .offset:         192
        .size:           8
        .value_kind:     hidden_global_offset_y
      - .offset:         200
        .size:           8
        .value_kind:     hidden_global_offset_z
      - .offset:         208
        .size:           2
        .value_kind:     hidden_grid_dims
    .group_segment_fixed_size: 16384
    .kernarg_segment_align: 8
    .kernarg_segment_size: 400
    .language:       OpenCL C
    .language_version:
      - 2
      - 0
    .max_flat_workgroup_size: 512
    .name:           _ZL20rocblas_gemvn_kernelILi32ELi16El19rocblas_complex_numIfEPKS1_S1_EviiT3_lPKT2_lT1_lS7_lS8_lS4_lPT4_lS8_li
    .private_segment_fixed_size: 0
    .sgpr_count:     60
    .sgpr_spill_count: 0
    .symbol:         _ZL20rocblas_gemvn_kernelILi32ELi16El19rocblas_complex_numIfEPKS1_S1_EviiT3_lPKT2_lT1_lS7_lS8_lS4_lPT4_lS8_li.kd
    .uniform_work_group_size: 1
    .uses_dynamic_stack: false
    .vgpr_count:     105
    .vgpr_spill_count: 0
    .wavefront_size: 32
  - .args:
      - .offset:         0
        .size:           4
        .value_kind:     by_value
      - .offset:         4
        .size:           4
        .value_kind:     by_value
      - .offset:         8
        .size:           8
        .value_kind:     by_value
      - .offset:         16
        .size:           8
        .value_kind:     by_value
      - .address_space:  global
        .offset:         24
        .size:           8
        .value_kind:     global_buffer
      - .offset:         32
        .size:           8
        .value_kind:     by_value
      - .offset:         40
        .size:           4
        .value_kind:     by_value
      - .offset:         48
        .size:           8
        .value_kind:     by_value
      - .address_space:  global
        .offset:         56
        .size:           8
        .value_kind:     global_buffer
      - .offset:         64
        .size:           8
        .value_kind:     by_value
      - .offset:         72
        .size:           4
        .value_kind:     by_value
      - .offset:         80
        .size:           8
        .value_kind:     by_value
      - .offset:         88
        .size:           8
        .value_kind:     by_value
      - .offset:         96
        .size:           8
        .value_kind:     by_value
      - .address_space:  global
        .offset:         104
        .size:           8
        .value_kind:     global_buffer
      - .offset:         112
        .size:           8
        .value_kind:     by_value
      - .offset:         120
        .size:           4
        .value_kind:     by_value
      - .offset:         128
        .size:           8
        .value_kind:     by_value
      - .offset:         136
        .size:           4
        .value_kind:     by_value
      - .offset:         144
        .size:           4
        .value_kind:     hidden_block_count_x
      - .offset:         148
        .size:           4
        .value_kind:     hidden_block_count_y
      - .offset:         152
        .size:           4
        .value_kind:     hidden_block_count_z
      - .offset:         156
        .size:           2
        .value_kind:     hidden_group_size_x
      - .offset:         158
        .size:           2
        .value_kind:     hidden_group_size_y
      - .offset:         160
        .size:           2
        .value_kind:     hidden_group_size_z
      - .offset:         162
        .size:           2
        .value_kind:     hidden_remainder_x
      - .offset:         164
        .size:           2
        .value_kind:     hidden_remainder_y
      - .offset:         166
        .size:           2
        .value_kind:     hidden_remainder_z
      - .offset:         184
        .size:           8
        .value_kind:     hidden_global_offset_x
      - .offset:         192
        .size:           8
        .value_kind:     hidden_global_offset_y
      - .offset:         200
        .size:           8
        .value_kind:     hidden_global_offset_z
      - .offset:         208
        .size:           2
        .value_kind:     hidden_grid_dims
    .group_segment_fixed_size: 16384
    .kernarg_segment_align: 8
    .kernarg_segment_size: 400
    .language:       OpenCL C
    .language_version:
      - 2
      - 0
    .max_flat_workgroup_size: 512
    .name:           _ZL20rocblas_gemvn_kernelILi32ELi16Ei19rocblas_complex_numIfES1_S1_EviiT3_lPKT2_lT1_lS5_lS6_lS2_lPT4_lS6_li
    .private_segment_fixed_size: 0
    .sgpr_count:     58
    .sgpr_spill_count: 0
    .symbol:         _ZL20rocblas_gemvn_kernelILi32ELi16Ei19rocblas_complex_numIfES1_S1_EviiT3_lPKT2_lT1_lS5_lS6_lS2_lPT4_lS6_li.kd
    .uniform_work_group_size: 1
    .uses_dynamic_stack: false
    .vgpr_count:     80
    .vgpr_spill_count: 0
    .wavefront_size: 32
  - .args:
      - .offset:         0
        .size:           4
        .value_kind:     by_value
      - .offset:         4
        .size:           4
        .value_kind:     by_value
      - .offset:         8
        .size:           8
        .value_kind:     by_value
      - .offset:         16
        .size:           8
        .value_kind:     by_value
      - .address_space:  global
        .offset:         24
        .size:           8
        .value_kind:     global_buffer
      - .offset:         32
        .size:           8
        .value_kind:     by_value
      - .offset:         40
        .size:           8
        .value_kind:     by_value
      - .offset:         48
        .size:           8
        .value_kind:     by_value
      - .address_space:  global
        .offset:         56
        .size:           8
        .value_kind:     global_buffer
      - .offset:         64
        .size:           8
        .value_kind:     by_value
      - .offset:         72
        .size:           8
        .value_kind:     by_value
      - .offset:         80
        .size:           8
        .value_kind:     by_value
      - .offset:         88
        .size:           8
        .value_kind:     by_value
      - .offset:         96
        .size:           8
        .value_kind:     by_value
      - .address_space:  global
        .offset:         104
        .size:           8
        .value_kind:     global_buffer
      - .offset:         112
        .size:           8
        .value_kind:     by_value
      - .offset:         120
        .size:           8
        .value_kind:     by_value
      - .offset:         128
        .size:           8
        .value_kind:     by_value
      - .offset:         136
        .size:           4
        .value_kind:     by_value
      - .offset:         144
        .size:           4
        .value_kind:     hidden_block_count_x
      - .offset:         148
        .size:           4
        .value_kind:     hidden_block_count_y
      - .offset:         152
        .size:           4
        .value_kind:     hidden_block_count_z
      - .offset:         156
        .size:           2
        .value_kind:     hidden_group_size_x
      - .offset:         158
        .size:           2
        .value_kind:     hidden_group_size_y
      - .offset:         160
        .size:           2
        .value_kind:     hidden_group_size_z
      - .offset:         162
        .size:           2
        .value_kind:     hidden_remainder_x
      - .offset:         164
        .size:           2
        .value_kind:     hidden_remainder_y
      - .offset:         166
        .size:           2
        .value_kind:     hidden_remainder_z
      - .offset:         184
        .size:           8
        .value_kind:     hidden_global_offset_x
      - .offset:         192
        .size:           8
        .value_kind:     hidden_global_offset_y
      - .offset:         200
        .size:           8
        .value_kind:     hidden_global_offset_z
      - .offset:         208
        .size:           2
        .value_kind:     hidden_grid_dims
    .group_segment_fixed_size: 16384
    .kernarg_segment_align: 8
    .kernarg_segment_size: 400
    .language:       OpenCL C
    .language_version:
      - 2
      - 0
    .max_flat_workgroup_size: 512
    .name:           _ZL20rocblas_gemvn_kernelILi32ELi16El19rocblas_complex_numIfES1_S1_EviiT3_lPKT2_lT1_lS5_lS6_lS2_lPT4_lS6_li
    .private_segment_fixed_size: 0
    .sgpr_count:     63
    .sgpr_spill_count: 0
    .symbol:         _ZL20rocblas_gemvn_kernelILi32ELi16El19rocblas_complex_numIfES1_S1_EviiT3_lPKT2_lT1_lS5_lS6_lS2_lPT4_lS6_li.kd
    .uniform_work_group_size: 1
    .uses_dynamic_stack: false
    .vgpr_count:     101
    .vgpr_spill_count: 0
    .wavefront_size: 32
  - .args:
      - .offset:         0
        .size:           4
        .value_kind:     by_value
      - .offset:         4
        .size:           4
        .value_kind:     by_value
      - .address_space:  global
        .offset:         8
        .size:           8
        .value_kind:     global_buffer
      - .offset:         16
        .size:           8
        .value_kind:     by_value
      - .address_space:  global
        .offset:         24
        .size:           8
        .value_kind:     global_buffer
      - .offset:         32
        .size:           8
        .value_kind:     by_value
      - .offset:         40
        .size:           4
        .value_kind:     by_value
      - .offset:         48
        .size:           8
        .value_kind:     by_value
      - .address_space:  global
        .offset:         56
        .size:           8
        .value_kind:     global_buffer
      - .offset:         64
        .size:           8
        .value_kind:     by_value
      - .offset:         72
        .size:           4
        .value_kind:     by_value
      - .offset:         80
        .size:           8
        .value_kind:     by_value
      - .address_space:  global
        .offset:         88
        .size:           8
        .value_kind:     global_buffer
      - .offset:         96
        .size:           8
        .value_kind:     by_value
      - .address_space:  global
        .offset:         104
        .size:           8
        .value_kind:     global_buffer
      - .offset:         112
        .size:           8
        .value_kind:     by_value
      - .offset:         120
        .size:           4
        .value_kind:     by_value
      - .offset:         128
        .size:           8
        .value_kind:     by_value
      - .offset:         136
        .size:           4
        .value_kind:     by_value
      - .offset:         144
        .size:           4
        .value_kind:     hidden_block_count_x
      - .offset:         148
        .size:           4
        .value_kind:     hidden_block_count_y
      - .offset:         152
        .size:           4
        .value_kind:     hidden_block_count_z
      - .offset:         156
        .size:           2
        .value_kind:     hidden_group_size_x
      - .offset:         158
        .size:           2
        .value_kind:     hidden_group_size_y
      - .offset:         160
        .size:           2
        .value_kind:     hidden_group_size_z
      - .offset:         162
        .size:           2
        .value_kind:     hidden_remainder_x
      - .offset:         164
        .size:           2
        .value_kind:     hidden_remainder_y
      - .offset:         166
        .size:           2
        .value_kind:     hidden_remainder_z
      - .offset:         184
        .size:           8
        .value_kind:     hidden_global_offset_x
      - .offset:         192
        .size:           8
        .value_kind:     hidden_global_offset_y
      - .offset:         200
        .size:           8
        .value_kind:     hidden_global_offset_z
      - .offset:         208
        .size:           2
        .value_kind:     hidden_grid_dims
    .group_segment_fixed_size: 32768
    .kernarg_segment_align: 8
    .kernarg_segment_size: 400
    .language:       OpenCL C
    .language_version:
      - 2
      - 0
    .max_flat_workgroup_size: 1024
    .name:           _ZL20rocblas_gemvn_kernelILi64ELi16Ei19rocblas_complex_numIfEPKS1_S1_EviiT3_lPKT2_lT1_lS7_lS8_lS4_lPT4_lS8_li
    .private_segment_fixed_size: 0
    .sgpr_count:     55
    .sgpr_spill_count: 0
    .symbol:         _ZL20rocblas_gemvn_kernelILi64ELi16Ei19rocblas_complex_numIfEPKS1_S1_EviiT3_lPKT2_lT1_lS7_lS8_lS4_lPT4_lS8_li.kd
    .uniform_work_group_size: 1
    .uses_dynamic_stack: false
    .vgpr_count:     86
    .vgpr_spill_count: 0
    .wavefront_size: 32
  - .args:
      - .offset:         0
        .size:           4
        .value_kind:     by_value
      - .offset:         4
        .size:           4
        .value_kind:     by_value
      - .address_space:  global
        .offset:         8
        .size:           8
        .value_kind:     global_buffer
      - .offset:         16
        .size:           8
        .value_kind:     by_value
      - .address_space:  global
        .offset:         24
        .size:           8
        .value_kind:     global_buffer
      - .offset:         32
        .size:           8
        .value_kind:     by_value
      - .offset:         40
        .size:           8
        .value_kind:     by_value
      - .offset:         48
        .size:           8
        .value_kind:     by_value
      - .address_space:  global
        .offset:         56
        .size:           8
        .value_kind:     global_buffer
      - .offset:         64
        .size:           8
        .value_kind:     by_value
      - .offset:         72
        .size:           8
        .value_kind:     by_value
      - .offset:         80
        .size:           8
        .value_kind:     by_value
      - .address_space:  global
        .offset:         88
        .size:           8
        .value_kind:     global_buffer
      - .offset:         96
        .size:           8
        .value_kind:     by_value
      - .address_space:  global
        .offset:         104
        .size:           8
        .value_kind:     global_buffer
      - .offset:         112
        .size:           8
        .value_kind:     by_value
      - .offset:         120
        .size:           8
        .value_kind:     by_value
      - .offset:         128
        .size:           8
        .value_kind:     by_value
      - .offset:         136
        .size:           4
        .value_kind:     by_value
      - .offset:         144
        .size:           4
        .value_kind:     hidden_block_count_x
      - .offset:         148
        .size:           4
        .value_kind:     hidden_block_count_y
      - .offset:         152
        .size:           4
        .value_kind:     hidden_block_count_z
      - .offset:         156
        .size:           2
        .value_kind:     hidden_group_size_x
      - .offset:         158
        .size:           2
        .value_kind:     hidden_group_size_y
      - .offset:         160
        .size:           2
        .value_kind:     hidden_group_size_z
      - .offset:         162
        .size:           2
        .value_kind:     hidden_remainder_x
      - .offset:         164
        .size:           2
        .value_kind:     hidden_remainder_y
      - .offset:         166
        .size:           2
        .value_kind:     hidden_remainder_z
      - .offset:         184
        .size:           8
        .value_kind:     hidden_global_offset_x
      - .offset:         192
        .size:           8
        .value_kind:     hidden_global_offset_y
      - .offset:         200
        .size:           8
        .value_kind:     hidden_global_offset_z
      - .offset:         208
        .size:           2
        .value_kind:     hidden_grid_dims
    .group_segment_fixed_size: 32768
    .kernarg_segment_align: 8
    .kernarg_segment_size: 400
    .language:       OpenCL C
    .language_version:
      - 2
      - 0
    .max_flat_workgroup_size: 1024
    .name:           _ZL20rocblas_gemvn_kernelILi64ELi16El19rocblas_complex_numIfEPKS1_S1_EviiT3_lPKT2_lT1_lS7_lS8_lS4_lPT4_lS8_li
    .private_segment_fixed_size: 0
    .sgpr_count:     60
    .sgpr_spill_count: 0
    .symbol:         _ZL20rocblas_gemvn_kernelILi64ELi16El19rocblas_complex_numIfEPKS1_S1_EviiT3_lPKT2_lT1_lS7_lS8_lS4_lPT4_lS8_li.kd
    .uniform_work_group_size: 1
    .uses_dynamic_stack: false
    .vgpr_count:     105
    .vgpr_spill_count: 0
    .wavefront_size: 32
  - .args:
      - .offset:         0
        .size:           4
        .value_kind:     by_value
      - .offset:         4
        .size:           4
        .value_kind:     by_value
      - .offset:         8
        .size:           8
        .value_kind:     by_value
      - .offset:         16
        .size:           8
        .value_kind:     by_value
      - .address_space:  global
        .offset:         24
        .size:           8
        .value_kind:     global_buffer
      - .offset:         32
        .size:           8
        .value_kind:     by_value
      - .offset:         40
        .size:           4
        .value_kind:     by_value
      - .offset:         48
        .size:           8
        .value_kind:     by_value
      - .address_space:  global
        .offset:         56
        .size:           8
        .value_kind:     global_buffer
      - .offset:         64
        .size:           8
        .value_kind:     by_value
      - .offset:         72
        .size:           4
        .value_kind:     by_value
      - .offset:         80
        .size:           8
        .value_kind:     by_value
      - .offset:         88
        .size:           8
        .value_kind:     by_value
      - .offset:         96
        .size:           8
        .value_kind:     by_value
      - .address_space:  global
        .offset:         104
        .size:           8
        .value_kind:     global_buffer
      - .offset:         112
        .size:           8
        .value_kind:     by_value
      - .offset:         120
        .size:           4
        .value_kind:     by_value
      - .offset:         128
        .size:           8
        .value_kind:     by_value
      - .offset:         136
        .size:           4
        .value_kind:     by_value
      - .offset:         144
        .size:           4
        .value_kind:     hidden_block_count_x
      - .offset:         148
        .size:           4
        .value_kind:     hidden_block_count_y
      - .offset:         152
        .size:           4
        .value_kind:     hidden_block_count_z
      - .offset:         156
        .size:           2
        .value_kind:     hidden_group_size_x
      - .offset:         158
        .size:           2
        .value_kind:     hidden_group_size_y
      - .offset:         160
        .size:           2
        .value_kind:     hidden_group_size_z
      - .offset:         162
        .size:           2
        .value_kind:     hidden_remainder_x
      - .offset:         164
        .size:           2
        .value_kind:     hidden_remainder_y
      - .offset:         166
        .size:           2
        .value_kind:     hidden_remainder_z
      - .offset:         184
        .size:           8
        .value_kind:     hidden_global_offset_x
      - .offset:         192
        .size:           8
        .value_kind:     hidden_global_offset_y
      - .offset:         200
        .size:           8
        .value_kind:     hidden_global_offset_z
      - .offset:         208
        .size:           2
        .value_kind:     hidden_grid_dims
    .group_segment_fixed_size: 32768
    .kernarg_segment_align: 8
    .kernarg_segment_size: 400
    .language:       OpenCL C
    .language_version:
      - 2
      - 0
    .max_flat_workgroup_size: 1024
    .name:           _ZL20rocblas_gemvn_kernelILi64ELi16Ei19rocblas_complex_numIfES1_S1_EviiT3_lPKT2_lT1_lS5_lS6_lS2_lPT4_lS6_li
    .private_segment_fixed_size: 0
    .sgpr_count:     58
    .sgpr_spill_count: 0
    .symbol:         _ZL20rocblas_gemvn_kernelILi64ELi16Ei19rocblas_complex_numIfES1_S1_EviiT3_lPKT2_lT1_lS5_lS6_lS2_lPT4_lS6_li.kd
    .uniform_work_group_size: 1
    .uses_dynamic_stack: false
    .vgpr_count:     76
    .vgpr_spill_count: 0
    .wavefront_size: 32
  - .args:
      - .offset:         0
        .size:           4
        .value_kind:     by_value
      - .offset:         4
        .size:           4
        .value_kind:     by_value
      - .offset:         8
        .size:           8
        .value_kind:     by_value
      - .offset:         16
        .size:           8
        .value_kind:     by_value
      - .address_space:  global
        .offset:         24
        .size:           8
        .value_kind:     global_buffer
      - .offset:         32
        .size:           8
        .value_kind:     by_value
      - .offset:         40
        .size:           8
        .value_kind:     by_value
      - .offset:         48
        .size:           8
        .value_kind:     by_value
      - .address_space:  global
        .offset:         56
        .size:           8
        .value_kind:     global_buffer
      - .offset:         64
        .size:           8
        .value_kind:     by_value
      - .offset:         72
        .size:           8
        .value_kind:     by_value
      - .offset:         80
        .size:           8
        .value_kind:     by_value
      - .offset:         88
        .size:           8
        .value_kind:     by_value
      - .offset:         96
        .size:           8
        .value_kind:     by_value
      - .address_space:  global
        .offset:         104
        .size:           8
        .value_kind:     global_buffer
      - .offset:         112
        .size:           8
        .value_kind:     by_value
      - .offset:         120
        .size:           8
        .value_kind:     by_value
      - .offset:         128
        .size:           8
        .value_kind:     by_value
      - .offset:         136
        .size:           4
        .value_kind:     by_value
      - .offset:         144
        .size:           4
        .value_kind:     hidden_block_count_x
      - .offset:         148
        .size:           4
        .value_kind:     hidden_block_count_y
      - .offset:         152
        .size:           4
        .value_kind:     hidden_block_count_z
      - .offset:         156
        .size:           2
        .value_kind:     hidden_group_size_x
      - .offset:         158
        .size:           2
        .value_kind:     hidden_group_size_y
      - .offset:         160
        .size:           2
        .value_kind:     hidden_group_size_z
      - .offset:         162
        .size:           2
        .value_kind:     hidden_remainder_x
      - .offset:         164
        .size:           2
        .value_kind:     hidden_remainder_y
      - .offset:         166
        .size:           2
        .value_kind:     hidden_remainder_z
      - .offset:         184
        .size:           8
        .value_kind:     hidden_global_offset_x
      - .offset:         192
        .size:           8
        .value_kind:     hidden_global_offset_y
      - .offset:         200
        .size:           8
        .value_kind:     hidden_global_offset_z
      - .offset:         208
        .size:           2
        .value_kind:     hidden_grid_dims
    .group_segment_fixed_size: 32768
    .kernarg_segment_align: 8
    .kernarg_segment_size: 400
    .language:       OpenCL C
    .language_version:
      - 2
      - 0
    .max_flat_workgroup_size: 1024
    .name:           _ZL20rocblas_gemvn_kernelILi64ELi16El19rocblas_complex_numIfES1_S1_EviiT3_lPKT2_lT1_lS5_lS6_lS2_lPT4_lS6_li
    .private_segment_fixed_size: 0
    .sgpr_count:     63
    .sgpr_spill_count: 0
    .symbol:         _ZL20rocblas_gemvn_kernelILi64ELi16El19rocblas_complex_numIfES1_S1_EviiT3_lPKT2_lT1_lS5_lS6_lS2_lPT4_lS6_li.kd
    .uniform_work_group_size: 1
    .uses_dynamic_stack: false
    .vgpr_count:     101
    .vgpr_spill_count: 0
    .wavefront_size: 32
  - .args:
      - .offset:         0
        .size:           4
        .value_kind:     by_value
      - .offset:         4
        .size:           4
        .value_kind:     by_value
      - .address_space:  global
        .offset:         8
        .size:           8
        .value_kind:     global_buffer
      - .offset:         16
        .size:           8
        .value_kind:     by_value
      - .address_space:  global
        .offset:         24
        .size:           8
        .value_kind:     global_buffer
      - .offset:         32
        .size:           8
        .value_kind:     by_value
      - .offset:         40
        .size:           4
        .value_kind:     by_value
      - .offset:         48
        .size:           8
        .value_kind:     by_value
      - .address_space:  global
        .offset:         56
        .size:           8
        .value_kind:     global_buffer
      - .offset:         64
        .size:           8
        .value_kind:     by_value
      - .offset:         72
        .size:           4
        .value_kind:     by_value
      - .offset:         80
        .size:           8
        .value_kind:     by_value
      - .address_space:  global
        .offset:         88
        .size:           8
        .value_kind:     global_buffer
      - .offset:         96
        .size:           8
        .value_kind:     by_value
      - .address_space:  global
        .offset:         104
        .size:           8
        .value_kind:     global_buffer
      - .offset:         112
        .size:           8
        .value_kind:     by_value
      - .offset:         120
        .size:           4
        .value_kind:     by_value
      - .offset:         128
        .size:           8
        .value_kind:     by_value
    .group_segment_fixed_size: 512
    .kernarg_segment_align: 8
    .kernarg_segment_size: 136
    .language:       OpenCL C
    .language_version:
      - 2
      - 0
    .max_flat_workgroup_size: 256
    .name:           _ZL22rocblas_gemvtsm_kernelILb0ELi256E19rocblas_complex_numIfEPKS1_S1_EviiT2_lPKT1_lilS7_lilS4_lPT3_lil
    .private_segment_fixed_size: 0
    .sgpr_count:     34
    .sgpr_spill_count: 0
    .symbol:         _ZL22rocblas_gemvtsm_kernelILb0ELi256E19rocblas_complex_numIfEPKS1_S1_EviiT2_lPKT1_lilS7_lilS4_lPT3_lil.kd
    .uniform_work_group_size: 1
    .uses_dynamic_stack: false
    .vgpr_count:     68
    .vgpr_spill_count: 0
    .wavefront_size: 32
  - .args:
      - .offset:         0
        .size:           4
        .value_kind:     by_value
      - .offset:         4
        .size:           4
        .value_kind:     by_value
      - .offset:         8
        .size:           8
        .value_kind:     by_value
      - .offset:         16
        .size:           8
        .value_kind:     by_value
      - .address_space:  global
        .offset:         24
        .size:           8
        .value_kind:     global_buffer
      - .offset:         32
        .size:           8
        .value_kind:     by_value
      - .offset:         40
        .size:           4
        .value_kind:     by_value
      - .offset:         48
        .size:           8
        .value_kind:     by_value
      - .address_space:  global
        .offset:         56
        .size:           8
        .value_kind:     global_buffer
      - .offset:         64
        .size:           8
        .value_kind:     by_value
      - .offset:         72
        .size:           4
        .value_kind:     by_value
      - .offset:         80
        .size:           8
        .value_kind:     by_value
      - .offset:         88
        .size:           8
        .value_kind:     by_value
      - .offset:         96
        .size:           8
        .value_kind:     by_value
      - .address_space:  global
        .offset:         104
        .size:           8
        .value_kind:     global_buffer
      - .offset:         112
        .size:           8
        .value_kind:     by_value
      - .offset:         120
        .size:           4
        .value_kind:     by_value
      - .offset:         128
        .size:           8
        .value_kind:     by_value
    .group_segment_fixed_size: 512
    .kernarg_segment_align: 8
    .kernarg_segment_size: 136
    .language:       OpenCL C
    .language_version:
      - 2
      - 0
    .max_flat_workgroup_size: 256
    .name:           _ZL22rocblas_gemvtsm_kernelILb0ELi256E19rocblas_complex_numIfES1_S1_EviiT2_lPKT1_lilS5_lilS2_lPT3_lil
    .private_segment_fixed_size: 0
    .sgpr_count:     30
    .sgpr_spill_count: 0
    .symbol:         _ZL22rocblas_gemvtsm_kernelILb0ELi256E19rocblas_complex_numIfES1_S1_EviiT2_lPKT1_lilS5_lilS2_lPT3_lil.kd
    .uniform_work_group_size: 1
    .uses_dynamic_stack: false
    .vgpr_count:     68
    .vgpr_spill_count: 0
    .wavefront_size: 32
  - .args:
      - .offset:         0
        .size:           4
        .value_kind:     by_value
      - .offset:         4
        .size:           4
        .value_kind:     by_value
      - .address_space:  global
        .offset:         8
        .size:           8
        .value_kind:     global_buffer
      - .offset:         16
        .size:           8
        .value_kind:     by_value
      - .address_space:  global
        .offset:         24
        .size:           8
        .value_kind:     global_buffer
      - .offset:         32
        .size:           8
        .value_kind:     by_value
      - .offset:         40
        .size:           4
        .value_kind:     by_value
      - .offset:         48
        .size:           8
        .value_kind:     by_value
      - .address_space:  global
        .offset:         56
        .size:           8
        .value_kind:     global_buffer
      - .offset:         64
        .size:           8
        .value_kind:     by_value
      - .offset:         72
        .size:           4
        .value_kind:     by_value
      - .offset:         80
        .size:           8
        .value_kind:     by_value
      - .address_space:  global
        .offset:         88
        .size:           8
        .value_kind:     global_buffer
      - .offset:         96
        .size:           4
        .value_kind:     by_value
      - .offset:         104
        .size:           4
        .value_kind:     hidden_block_count_x
      - .offset:         108
        .size:           4
        .value_kind:     hidden_block_count_y
      - .offset:         112
        .size:           4
        .value_kind:     hidden_block_count_z
      - .offset:         116
        .size:           2
        .value_kind:     hidden_group_size_x
      - .offset:         118
        .size:           2
        .value_kind:     hidden_group_size_y
      - .offset:         120
        .size:           2
        .value_kind:     hidden_group_size_z
      - .offset:         122
        .size:           2
        .value_kind:     hidden_remainder_x
      - .offset:         124
        .size:           2
        .value_kind:     hidden_remainder_y
      - .offset:         126
        .size:           2
        .value_kind:     hidden_remainder_z
      - .offset:         144
        .size:           8
        .value_kind:     hidden_global_offset_x
      - .offset:         152
        .size:           8
        .value_kind:     hidden_global_offset_y
      - .offset:         160
        .size:           8
        .value_kind:     hidden_global_offset_z
      - .offset:         168
        .size:           2
        .value_kind:     hidden_grid_dims
    .group_segment_fixed_size: 8448
    .kernarg_segment_align: 8
    .kernarg_segment_size: 360
    .language:       OpenCL C
    .language_version:
      - 2
      - 0
    .max_flat_workgroup_size: 256
    .name:           _ZL23rocblas_gemvt_sn_kernelILb0ELi256ELi4Ei19rocblas_complex_numIfEPKS1_S1_EviiT4_lPKT3_lilS7_lilPT5_i
    .private_segment_fixed_size: 0
    .sgpr_count:     72
    .sgpr_spill_count: 0
    .symbol:         _ZL23rocblas_gemvt_sn_kernelILb0ELi256ELi4Ei19rocblas_complex_numIfEPKS1_S1_EviiT4_lPKT3_lilS7_lilPT5_i.kd
    .uniform_work_group_size: 1
    .uses_dynamic_stack: false
    .vgpr_count:     100
    .vgpr_spill_count: 0
    .wavefront_size: 32
  - .args:
      - .offset:         0
        .size:           4
        .value_kind:     by_value
      - .offset:         4
        .size:           4
        .value_kind:     by_value
      - .address_space:  global
        .offset:         8
        .size:           8
        .value_kind:     global_buffer
      - .offset:         16
        .size:           8
        .value_kind:     by_value
      - .address_space:  global
        .offset:         24
        .size:           8
        .value_kind:     global_buffer
      - .offset:         32
        .size:           8
        .value_kind:     by_value
      - .offset:         40
        .size:           4
        .value_kind:     by_value
      - .offset:         48
        .size:           8
        .value_kind:     by_value
      - .address_space:  global
        .offset:         56
        .size:           8
        .value_kind:     global_buffer
      - .offset:         64
        .size:           8
        .value_kind:     by_value
      - .offset:         72
        .size:           4
        .value_kind:     by_value
      - .offset:         80
        .size:           8
        .value_kind:     by_value
      - .address_space:  global
        .offset:         88
        .size:           8
        .value_kind:     global_buffer
      - .offset:         96
        .size:           4
        .value_kind:     by_value
      - .offset:         104
        .size:           4
        .value_kind:     hidden_block_count_x
      - .offset:         108
        .size:           4
        .value_kind:     hidden_block_count_y
      - .offset:         112
        .size:           4
        .value_kind:     hidden_block_count_z
      - .offset:         116
        .size:           2
        .value_kind:     hidden_group_size_x
      - .offset:         118
        .size:           2
        .value_kind:     hidden_group_size_y
      - .offset:         120
        .size:           2
        .value_kind:     hidden_group_size_z
      - .offset:         122
        .size:           2
        .value_kind:     hidden_remainder_x
      - .offset:         124
        .size:           2
        .value_kind:     hidden_remainder_y
      - .offset:         126
        .size:           2
        .value_kind:     hidden_remainder_z
      - .offset:         144
        .size:           8
        .value_kind:     hidden_global_offset_x
      - .offset:         152
        .size:           8
        .value_kind:     hidden_global_offset_y
      - .offset:         160
        .size:           8
        .value_kind:     hidden_global_offset_z
      - .offset:         168
        .size:           2
        .value_kind:     hidden_grid_dims
    .group_segment_fixed_size: 8448
    .kernarg_segment_align: 8
    .kernarg_segment_size: 360
    .language:       OpenCL C
    .language_version:
      - 2
      - 0
    .max_flat_workgroup_size: 256
    .name:           _ZL23rocblas_gemvt_sn_kernelILb0ELi256ELi4El19rocblas_complex_numIfEPKS1_S1_EviiT4_lPKT3_lilS7_lilPT5_i
    .private_segment_fixed_size: 0
    .sgpr_count:     78
    .sgpr_spill_count: 0
    .symbol:         _ZL23rocblas_gemvt_sn_kernelILb0ELi256ELi4El19rocblas_complex_numIfEPKS1_S1_EviiT4_lPKT3_lilS7_lilPT5_i.kd
    .uniform_work_group_size: 1
    .uses_dynamic_stack: false
    .vgpr_count:     108
    .vgpr_spill_count: 0
    .wavefront_size: 32
  - .args:
      - .offset:         0
        .size:           4
        .value_kind:     by_value
      - .address_space:  global
        .offset:         8
        .size:           8
        .value_kind:     global_buffer
      - .offset:         16
        .size:           8
        .value_kind:     by_value
      - .address_space:  global
        .offset:         24
        .size:           8
        .value_kind:     global_buffer
      - .offset:         32
        .size:           8
        .value_kind:     by_value
      - .offset:         40
        .size:           4
        .value_kind:     by_value
      - .offset:         48
        .size:           8
        .value_kind:     by_value
      - .actual_access:  read_only
        .address_space:  global
        .offset:         56
        .size:           8
        .value_kind:     global_buffer
      - .offset:         64
        .size:           4
        .value_kind:     by_value
      - .offset:         72
        .size:           4
        .value_kind:     hidden_block_count_x
      - .offset:         76
        .size:           4
        .value_kind:     hidden_block_count_y
      - .offset:         80
        .size:           4
        .value_kind:     hidden_block_count_z
      - .offset:         84
        .size:           2
        .value_kind:     hidden_group_size_x
      - .offset:         86
        .size:           2
        .value_kind:     hidden_group_size_y
      - .offset:         88
        .size:           2
        .value_kind:     hidden_group_size_z
      - .offset:         90
        .size:           2
        .value_kind:     hidden_remainder_x
      - .offset:         92
        .size:           2
        .value_kind:     hidden_remainder_y
      - .offset:         94
        .size:           2
        .value_kind:     hidden_remainder_z
      - .offset:         112
        .size:           8
        .value_kind:     hidden_global_offset_x
      - .offset:         120
        .size:           8
        .value_kind:     hidden_global_offset_y
      - .offset:         128
        .size:           8
        .value_kind:     hidden_global_offset_z
      - .offset:         136
        .size:           2
        .value_kind:     hidden_grid_dims
    .group_segment_fixed_size: 256
    .kernarg_segment_align: 8
    .kernarg_segment_size: 328
    .language:       OpenCL C
    .language_version:
      - 2
      - 0
    .max_flat_workgroup_size: 256
    .name:           _ZL23rocblas_gemvt_sn_reduceILi256ELi8E19rocblas_complex_numIfEPKS1_S1_EviT2_lPT3_lilPT1_i
    .private_segment_fixed_size: 0
    .sgpr_count:     40
    .sgpr_spill_count: 0
    .symbol:         _ZL23rocblas_gemvt_sn_reduceILi256ELi8E19rocblas_complex_numIfEPKS1_S1_EviT2_lPT3_lilPT1_i.kd
    .uniform_work_group_size: 1
    .uses_dynamic_stack: false
    .vgpr_count:     38
    .vgpr_spill_count: 0
    .wavefront_size: 32
  - .args:
      - .offset:         0
        .size:           4
        .value_kind:     by_value
      - .offset:         4
        .size:           4
        .value_kind:     by_value
      - .offset:         8
        .size:           8
        .value_kind:     by_value
      - .offset:         16
        .size:           8
        .value_kind:     by_value
      - .address_space:  global
        .offset:         24
        .size:           8
        .value_kind:     global_buffer
      - .offset:         32
        .size:           8
        .value_kind:     by_value
      - .offset:         40
        .size:           4
        .value_kind:     by_value
      - .offset:         48
        .size:           8
        .value_kind:     by_value
      - .address_space:  global
        .offset:         56
        .size:           8
        .value_kind:     global_buffer
      - .offset:         64
        .size:           8
        .value_kind:     by_value
      - .offset:         72
        .size:           4
        .value_kind:     by_value
      - .offset:         80
        .size:           8
        .value_kind:     by_value
      - .address_space:  global
        .offset:         88
        .size:           8
        .value_kind:     global_buffer
      - .offset:         96
        .size:           4
        .value_kind:     by_value
      - .offset:         104
        .size:           4
        .value_kind:     hidden_block_count_x
      - .offset:         108
        .size:           4
        .value_kind:     hidden_block_count_y
      - .offset:         112
        .size:           4
        .value_kind:     hidden_block_count_z
      - .offset:         116
        .size:           2
        .value_kind:     hidden_group_size_x
      - .offset:         118
        .size:           2
        .value_kind:     hidden_group_size_y
      - .offset:         120
        .size:           2
        .value_kind:     hidden_group_size_z
      - .offset:         122
        .size:           2
        .value_kind:     hidden_remainder_x
      - .offset:         124
        .size:           2
        .value_kind:     hidden_remainder_y
      - .offset:         126
        .size:           2
        .value_kind:     hidden_remainder_z
      - .offset:         144
        .size:           8
        .value_kind:     hidden_global_offset_x
      - .offset:         152
        .size:           8
        .value_kind:     hidden_global_offset_y
      - .offset:         160
        .size:           8
        .value_kind:     hidden_global_offset_z
      - .offset:         168
        .size:           2
        .value_kind:     hidden_grid_dims
    .group_segment_fixed_size: 8448
    .kernarg_segment_align: 8
    .kernarg_segment_size: 360
    .language:       OpenCL C
    .language_version:
      - 2
      - 0
    .max_flat_workgroup_size: 256
    .name:           _ZL23rocblas_gemvt_sn_kernelILb0ELi256ELi4Ei19rocblas_complex_numIfES1_S1_EviiT4_lPKT3_lilS5_lilPT5_i
    .private_segment_fixed_size: 0
    .sgpr_count:     73
    .sgpr_spill_count: 0
    .symbol:         _ZL23rocblas_gemvt_sn_kernelILb0ELi256ELi4Ei19rocblas_complex_numIfES1_S1_EviiT4_lPKT3_lilS5_lilPT5_i.kd
    .uniform_work_group_size: 1
    .uses_dynamic_stack: false
    .vgpr_count:     80
    .vgpr_spill_count: 0
    .wavefront_size: 32
  - .args:
      - .offset:         0
        .size:           4
        .value_kind:     by_value
      - .offset:         4
        .size:           4
        .value_kind:     by_value
      - .offset:         8
        .size:           8
        .value_kind:     by_value
      - .offset:         16
        .size:           8
        .value_kind:     by_value
      - .address_space:  global
        .offset:         24
        .size:           8
        .value_kind:     global_buffer
      - .offset:         32
        .size:           8
        .value_kind:     by_value
      - .offset:         40
        .size:           4
        .value_kind:     by_value
      - .offset:         48
        .size:           8
        .value_kind:     by_value
      - .address_space:  global
        .offset:         56
        .size:           8
        .value_kind:     global_buffer
      - .offset:         64
        .size:           8
        .value_kind:     by_value
      - .offset:         72
        .size:           4
        .value_kind:     by_value
      - .offset:         80
        .size:           8
        .value_kind:     by_value
      - .address_space:  global
        .offset:         88
        .size:           8
        .value_kind:     global_buffer
      - .offset:         96
        .size:           4
        .value_kind:     by_value
      - .offset:         104
        .size:           4
        .value_kind:     hidden_block_count_x
      - .offset:         108
        .size:           4
        .value_kind:     hidden_block_count_y
      - .offset:         112
        .size:           4
        .value_kind:     hidden_block_count_z
      - .offset:         116
        .size:           2
        .value_kind:     hidden_group_size_x
      - .offset:         118
        .size:           2
        .value_kind:     hidden_group_size_y
      - .offset:         120
        .size:           2
        .value_kind:     hidden_group_size_z
      - .offset:         122
        .size:           2
        .value_kind:     hidden_remainder_x
      - .offset:         124
        .size:           2
        .value_kind:     hidden_remainder_y
      - .offset:         126
        .size:           2
        .value_kind:     hidden_remainder_z
      - .offset:         144
        .size:           8
        .value_kind:     hidden_global_offset_x
      - .offset:         152
        .size:           8
        .value_kind:     hidden_global_offset_y
      - .offset:         160
        .size:           8
        .value_kind:     hidden_global_offset_z
      - .offset:         168
        .size:           2
        .value_kind:     hidden_grid_dims
    .group_segment_fixed_size: 8448
    .kernarg_segment_align: 8
    .kernarg_segment_size: 360
    .language:       OpenCL C
    .language_version:
      - 2
      - 0
    .max_flat_workgroup_size: 256
    .name:           _ZL23rocblas_gemvt_sn_kernelILb0ELi256ELi4El19rocblas_complex_numIfES1_S1_EviiT4_lPKT3_lilS5_lilPT5_i
    .private_segment_fixed_size: 0
    .sgpr_count:     80
    .sgpr_spill_count: 0
    .symbol:         _ZL23rocblas_gemvt_sn_kernelILb0ELi256ELi4El19rocblas_complex_numIfES1_S1_EviiT4_lPKT3_lilS5_lilPT5_i.kd
    .uniform_work_group_size: 1
    .uses_dynamic_stack: false
    .vgpr_count:     104
    .vgpr_spill_count: 0
    .wavefront_size: 32
  - .args:
      - .offset:         0
        .size:           4
        .value_kind:     by_value
      - .offset:         4
        .size:           8
        .value_kind:     by_value
      - .offset:         16
        .size:           8
        .value_kind:     by_value
      - .address_space:  global
        .offset:         24
        .size:           8
        .value_kind:     global_buffer
      - .offset:         32
        .size:           8
        .value_kind:     by_value
      - .offset:         40
        .size:           4
        .value_kind:     by_value
      - .offset:         48
        .size:           8
        .value_kind:     by_value
      - .actual_access:  read_only
        .address_space:  global
        .offset:         56
        .size:           8
        .value_kind:     global_buffer
      - .offset:         64
        .size:           4
        .value_kind:     by_value
      - .offset:         72
        .size:           4
        .value_kind:     hidden_block_count_x
      - .offset:         76
        .size:           4
        .value_kind:     hidden_block_count_y
      - .offset:         80
        .size:           4
        .value_kind:     hidden_block_count_z
      - .offset:         84
        .size:           2
        .value_kind:     hidden_group_size_x
      - .offset:         86
        .size:           2
        .value_kind:     hidden_group_size_y
      - .offset:         88
        .size:           2
        .value_kind:     hidden_group_size_z
      - .offset:         90
        .size:           2
        .value_kind:     hidden_remainder_x
      - .offset:         92
        .size:           2
        .value_kind:     hidden_remainder_y
      - .offset:         94
        .size:           2
        .value_kind:     hidden_remainder_z
      - .offset:         112
        .size:           8
        .value_kind:     hidden_global_offset_x
      - .offset:         120
        .size:           8
        .value_kind:     hidden_global_offset_y
      - .offset:         128
        .size:           8
        .value_kind:     hidden_global_offset_z
      - .offset:         136
        .size:           2
        .value_kind:     hidden_grid_dims
    .group_segment_fixed_size: 256
    .kernarg_segment_align: 8
    .kernarg_segment_size: 328
    .language:       OpenCL C
    .language_version:
      - 2
      - 0
    .max_flat_workgroup_size: 256
    .name:           _ZL23rocblas_gemvt_sn_reduceILi256ELi8E19rocblas_complex_numIfES1_S1_EviT2_lPT3_lilPT1_i
    .private_segment_fixed_size: 0
    .sgpr_count:     42
    .sgpr_spill_count: 0
    .symbol:         _ZL23rocblas_gemvt_sn_reduceILi256ELi8E19rocblas_complex_numIfES1_S1_EviT2_lPT3_lilPT1_i.kd
    .uniform_work_group_size: 1
    .uses_dynamic_stack: false
    .vgpr_count:     36
    .vgpr_spill_count: 0
    .wavefront_size: 32
  - .args:
      - .offset:         0
        .size:           4
        .value_kind:     by_value
      - .offset:         4
        .size:           4
        .value_kind:     by_value
      - .address_space:  global
        .offset:         8
        .size:           8
        .value_kind:     global_buffer
      - .offset:         16
        .size:           8
        .value_kind:     by_value
      - .address_space:  global
        .offset:         24
        .size:           8
        .value_kind:     global_buffer
      - .offset:         32
        .size:           8
        .value_kind:     by_value
      - .offset:         40
        .size:           4
        .value_kind:     by_value
      - .offset:         48
        .size:           8
        .value_kind:     by_value
      - .address_space:  global
        .offset:         56
        .size:           8
        .value_kind:     global_buffer
      - .offset:         64
        .size:           8
        .value_kind:     by_value
      - .offset:         72
        .size:           4
        .value_kind:     by_value
      - .offset:         80
        .size:           8
        .value_kind:     by_value
      - .address_space:  global
        .offset:         88
        .size:           8
        .value_kind:     global_buffer
      - .offset:         96
        .size:           8
        .value_kind:     by_value
      - .address_space:  global
        .offset:         104
        .size:           8
        .value_kind:     global_buffer
      - .offset:         112
        .size:           8
        .value_kind:     by_value
      - .offset:         120
        .size:           4
        .value_kind:     by_value
      - .offset:         128
        .size:           8
        .value_kind:     by_value
      - .offset:         136
        .size:           4
        .value_kind:     by_value
    .group_segment_fixed_size: 256
    .kernarg_segment_align: 8
    .kernarg_segment_size: 140
    .language:       OpenCL C
    .language_version:
      - 2
      - 0
    .max_flat_workgroup_size: 256
    .name:           _ZL32rocblas_gemvt_warp_reduce_kernelILb0ELi256Ei19rocblas_complex_numIfEPKS1_S1_EviiT3_lPKT2_lT1_lS7_lS8_lS4_lPT4_lS8_li
    .private_segment_fixed_size: 0
    .sgpr_count:     44
    .sgpr_spill_count: 0
    .symbol:         _ZL32rocblas_gemvt_warp_reduce_kernelILb0ELi256Ei19rocblas_complex_numIfEPKS1_S1_EviiT3_lPKT2_lT1_lS7_lS8_lS4_lPT4_lS8_li.kd
    .uniform_work_group_size: 1
    .uses_dynamic_stack: false
    .vgpr_count:     32
    .vgpr_spill_count: 0
    .wavefront_size: 32
  - .args:
      - .offset:         0
        .size:           4
        .value_kind:     by_value
      - .offset:         4
        .size:           4
        .value_kind:     by_value
      - .address_space:  global
        .offset:         8
        .size:           8
        .value_kind:     global_buffer
      - .offset:         16
        .size:           8
        .value_kind:     by_value
      - .address_space:  global
        .offset:         24
        .size:           8
        .value_kind:     global_buffer
      - .offset:         32
        .size:           8
        .value_kind:     by_value
      - .offset:         40
        .size:           8
        .value_kind:     by_value
      - .offset:         48
        .size:           8
        .value_kind:     by_value
      - .address_space:  global
        .offset:         56
        .size:           8
        .value_kind:     global_buffer
      - .offset:         64
        .size:           8
        .value_kind:     by_value
      - .offset:         72
        .size:           8
        .value_kind:     by_value
      - .offset:         80
        .size:           8
        .value_kind:     by_value
      - .address_space:  global
        .offset:         88
        .size:           8
        .value_kind:     global_buffer
      - .offset:         96
        .size:           8
        .value_kind:     by_value
      - .address_space:  global
        .offset:         104
        .size:           8
        .value_kind:     global_buffer
      - .offset:         112
        .size:           8
        .value_kind:     by_value
      - .offset:         120
        .size:           8
        .value_kind:     by_value
      - .offset:         128
        .size:           8
        .value_kind:     by_value
      - .offset:         136
        .size:           4
        .value_kind:     by_value
    .group_segment_fixed_size: 256
    .kernarg_segment_align: 8
    .kernarg_segment_size: 140
    .language:       OpenCL C
    .language_version:
      - 2
      - 0
    .max_flat_workgroup_size: 256
    .name:           _ZL32rocblas_gemvt_warp_reduce_kernelILb0ELi256El19rocblas_complex_numIfEPKS1_S1_EviiT3_lPKT2_lT1_lS7_lS8_lS4_lPT4_lS8_li
    .private_segment_fixed_size: 0
    .sgpr_count:     54
    .sgpr_spill_count: 0
    .symbol:         _ZL32rocblas_gemvt_warp_reduce_kernelILb0ELi256El19rocblas_complex_numIfEPKS1_S1_EviiT3_lPKT2_lT1_lS7_lS8_lS4_lPT4_lS8_li.kd
    .uniform_work_group_size: 1
    .uses_dynamic_stack: false
    .vgpr_count:     34
    .vgpr_spill_count: 0
    .wavefront_size: 32
  - .args:
      - .offset:         0
        .size:           4
        .value_kind:     by_value
      - .offset:         4
        .size:           4
        .value_kind:     by_value
      - .offset:         8
        .size:           8
        .value_kind:     by_value
      - .offset:         16
        .size:           8
        .value_kind:     by_value
      - .address_space:  global
        .offset:         24
        .size:           8
        .value_kind:     global_buffer
      - .offset:         32
        .size:           8
        .value_kind:     by_value
      - .offset:         40
        .size:           4
        .value_kind:     by_value
      - .offset:         48
        .size:           8
        .value_kind:     by_value
      - .address_space:  global
        .offset:         56
        .size:           8
        .value_kind:     global_buffer
      - .offset:         64
        .size:           8
        .value_kind:     by_value
      - .offset:         72
        .size:           4
        .value_kind:     by_value
      - .offset:         80
        .size:           8
        .value_kind:     by_value
      - .offset:         88
        .size:           8
        .value_kind:     by_value
      - .offset:         96
        .size:           8
        .value_kind:     by_value
      - .address_space:  global
        .offset:         104
        .size:           8
        .value_kind:     global_buffer
      - .offset:         112
        .size:           8
        .value_kind:     by_value
      - .offset:         120
        .size:           4
        .value_kind:     by_value
      - .offset:         128
        .size:           8
        .value_kind:     by_value
      - .offset:         136
        .size:           4
        .value_kind:     by_value
    .group_segment_fixed_size: 256
    .kernarg_segment_align: 8
    .kernarg_segment_size: 140
    .language:       OpenCL C
    .language_version:
      - 2
      - 0
    .max_flat_workgroup_size: 256
    .name:           _ZL32rocblas_gemvt_warp_reduce_kernelILb0ELi256Ei19rocblas_complex_numIfES1_S1_EviiT3_lPKT2_lT1_lS5_lS6_lS2_lPT4_lS6_li
    .private_segment_fixed_size: 0
    .sgpr_count:     48
    .sgpr_spill_count: 0
    .symbol:         _ZL32rocblas_gemvt_warp_reduce_kernelILb0ELi256Ei19rocblas_complex_numIfES1_S1_EviiT3_lPKT2_lT1_lS5_lS6_lS2_lPT4_lS6_li.kd
    .uniform_work_group_size: 1
    .uses_dynamic_stack: false
    .vgpr_count:     28
    .vgpr_spill_count: 0
    .wavefront_size: 32
  - .args:
      - .offset:         0
        .size:           4
        .value_kind:     by_value
      - .offset:         4
        .size:           4
        .value_kind:     by_value
      - .offset:         8
        .size:           8
        .value_kind:     by_value
      - .offset:         16
        .size:           8
        .value_kind:     by_value
      - .address_space:  global
        .offset:         24
        .size:           8
        .value_kind:     global_buffer
      - .offset:         32
        .size:           8
        .value_kind:     by_value
      - .offset:         40
        .size:           8
        .value_kind:     by_value
      - .offset:         48
        .size:           8
        .value_kind:     by_value
      - .address_space:  global
        .offset:         56
        .size:           8
        .value_kind:     global_buffer
      - .offset:         64
        .size:           8
        .value_kind:     by_value
      - .offset:         72
        .size:           8
        .value_kind:     by_value
      - .offset:         80
        .size:           8
        .value_kind:     by_value
      - .offset:         88
        .size:           8
        .value_kind:     by_value
      - .offset:         96
        .size:           8
        .value_kind:     by_value
      - .address_space:  global
        .offset:         104
        .size:           8
        .value_kind:     global_buffer
      - .offset:         112
        .size:           8
        .value_kind:     by_value
      - .offset:         120
        .size:           8
        .value_kind:     by_value
      - .offset:         128
        .size:           8
        .value_kind:     by_value
      - .offset:         136
        .size:           4
        .value_kind:     by_value
    .group_segment_fixed_size: 256
    .kernarg_segment_align: 8
    .kernarg_segment_size: 140
    .language:       OpenCL C
    .language_version:
      - 2
      - 0
    .max_flat_workgroup_size: 256
    .name:           _ZL32rocblas_gemvt_warp_reduce_kernelILb0ELi256El19rocblas_complex_numIfES1_S1_EviiT3_lPKT2_lT1_lS5_lS6_lS2_lPT4_lS6_li
    .private_segment_fixed_size: 0
    .sgpr_count:     50
    .sgpr_spill_count: 0
    .symbol:         _ZL32rocblas_gemvt_warp_reduce_kernelILb0ELi256El19rocblas_complex_numIfES1_S1_EviiT3_lPKT2_lT1_lS5_lS6_lS2_lPT4_lS6_li.kd
    .uniform_work_group_size: 1
    .uses_dynamic_stack: false
    .vgpr_count:     30
    .vgpr_spill_count: 0
    .wavefront_size: 32
  - .args:
      - .offset:         0
        .size:           4
        .value_kind:     by_value
      - .offset:         4
        .size:           4
        .value_kind:     by_value
      - .address_space:  global
        .offset:         8
        .size:           8
        .value_kind:     global_buffer
      - .offset:         16
        .size:           8
        .value_kind:     by_value
      - .address_space:  global
        .offset:         24
        .size:           8
        .value_kind:     global_buffer
      - .offset:         32
        .size:           8
        .value_kind:     by_value
      - .offset:         40
        .size:           4
        .value_kind:     by_value
      - .offset:         48
        .size:           8
        .value_kind:     by_value
      - .address_space:  global
        .offset:         56
        .size:           8
        .value_kind:     global_buffer
      - .offset:         64
        .size:           8
        .value_kind:     by_value
      - .offset:         72
        .size:           4
        .value_kind:     by_value
      - .offset:         80
        .size:           8
        .value_kind:     by_value
      - .address_space:  global
        .offset:         88
        .size:           8
        .value_kind:     global_buffer
      - .offset:         96
        .size:           8
        .value_kind:     by_value
      - .address_space:  global
        .offset:         104
        .size:           8
        .value_kind:     global_buffer
      - .offset:         112
        .size:           8
        .value_kind:     by_value
      - .offset:         120
        .size:           4
        .value_kind:     by_value
      - .offset:         128
        .size:           8
        .value_kind:     by_value
      - .offset:         136
        .size:           4
        .value_kind:     by_value
    .group_segment_fixed_size: 2048
    .kernarg_segment_align: 8
    .kernarg_segment_size: 140
    .language:       OpenCL C
    .language_version:
      - 2
      - 0
    .max_flat_workgroup_size: 256
    .name:           _ZL20rocblas_gemvt_kernelILb0ELi256E19rocblas_complex_numIfEPKS1_S1_EviiT2_lPKT1_lilS7_lilS4_lPT3_lili
    .private_segment_fixed_size: 0
    .sgpr_count:     54
    .sgpr_spill_count: 0
    .symbol:         _ZL20rocblas_gemvt_kernelILb0ELi256E19rocblas_complex_numIfEPKS1_S1_EviiT2_lPKT1_lilS7_lilS4_lPT3_lili.kd
    .uniform_work_group_size: 1
    .uses_dynamic_stack: false
    .vgpr_count:     28
    .vgpr_spill_count: 0
    .wavefront_size: 32
  - .args:
      - .offset:         0
        .size:           4
        .value_kind:     by_value
      - .offset:         4
        .size:           4
        .value_kind:     by_value
      - .offset:         8
        .size:           8
        .value_kind:     by_value
      - .offset:         16
        .size:           8
        .value_kind:     by_value
      - .address_space:  global
        .offset:         24
        .size:           8
        .value_kind:     global_buffer
      - .offset:         32
        .size:           8
        .value_kind:     by_value
      - .offset:         40
        .size:           4
        .value_kind:     by_value
      - .offset:         48
        .size:           8
        .value_kind:     by_value
      - .address_space:  global
        .offset:         56
        .size:           8
        .value_kind:     global_buffer
      - .offset:         64
        .size:           8
        .value_kind:     by_value
      - .offset:         72
        .size:           4
        .value_kind:     by_value
      - .offset:         80
        .size:           8
        .value_kind:     by_value
      - .offset:         88
        .size:           8
        .value_kind:     by_value
      - .offset:         96
        .size:           8
        .value_kind:     by_value
      - .address_space:  global
        .offset:         104
        .size:           8
        .value_kind:     global_buffer
      - .offset:         112
        .size:           8
        .value_kind:     by_value
      - .offset:         120
        .size:           4
        .value_kind:     by_value
      - .offset:         128
        .size:           8
        .value_kind:     by_value
      - .offset:         136
        .size:           4
        .value_kind:     by_value
    .group_segment_fixed_size: 2048
    .kernarg_segment_align: 8
    .kernarg_segment_size: 140
    .language:       OpenCL C
    .language_version:
      - 2
      - 0
    .max_flat_workgroup_size: 256
    .name:           _ZL20rocblas_gemvt_kernelILb0ELi256E19rocblas_complex_numIfES1_S1_EviiT2_lPKT1_lilS5_lilS2_lPT3_lili
    .private_segment_fixed_size: 0
    .sgpr_count:     54
    .sgpr_spill_count: 0
    .symbol:         _ZL20rocblas_gemvt_kernelILb0ELi256E19rocblas_complex_numIfES1_S1_EviiT2_lPKT1_lilS5_lilS2_lPT3_lili.kd
    .uniform_work_group_size: 1
    .uses_dynamic_stack: false
    .vgpr_count:     26
    .vgpr_spill_count: 0
    .wavefront_size: 32
  - .args:
      - .offset:         0
        .size:           4
        .value_kind:     by_value
      - .offset:         4
        .size:           4
        .value_kind:     by_value
      - .address_space:  global
        .offset:         8
        .size:           8
        .value_kind:     global_buffer
      - .offset:         16
        .size:           8
        .value_kind:     by_value
      - .address_space:  global
        .offset:         24
        .size:           8
        .value_kind:     global_buffer
      - .offset:         32
        .size:           8
        .value_kind:     by_value
      - .offset:         40
        .size:           4
        .value_kind:     by_value
      - .offset:         48
        .size:           8
        .value_kind:     by_value
      - .address_space:  global
        .offset:         56
        .size:           8
        .value_kind:     global_buffer
      - .offset:         64
        .size:           8
        .value_kind:     by_value
      - .offset:         72
        .size:           4
        .value_kind:     by_value
      - .offset:         80
        .size:           8
        .value_kind:     by_value
      - .address_space:  global
        .offset:         88
        .size:           8
        .value_kind:     global_buffer
      - .offset:         96
        .size:           8
        .value_kind:     by_value
      - .address_space:  global
        .offset:         104
        .size:           8
        .value_kind:     global_buffer
      - .offset:         112
        .size:           8
        .value_kind:     by_value
      - .offset:         120
        .size:           4
        .value_kind:     by_value
      - .offset:         128
        .size:           8
        .value_kind:     by_value
      - .offset:         136
        .size:           4
        .value_kind:     by_value
    .group_segment_fixed_size: 256
    .kernarg_segment_align: 8
    .kernarg_segment_size: 140
    .language:       OpenCL C
    .language_version:
      - 2
      - 0
    .max_flat_workgroup_size: 1024
    .name:           _ZL32rocblas_gemvt_warp_reduce_kernelILb0ELi1024Ei19rocblas_complex_numIfEPKS1_S1_EviiT3_lPKT2_lT1_lS7_lS8_lS4_lPT4_lS8_li
    .private_segment_fixed_size: 0
    .sgpr_count:     44
    .sgpr_spill_count: 0
    .symbol:         _ZL32rocblas_gemvt_warp_reduce_kernelILb0ELi1024Ei19rocblas_complex_numIfEPKS1_S1_EviiT3_lPKT2_lT1_lS7_lS8_lS4_lPT4_lS8_li.kd
    .uniform_work_group_size: 1
    .uses_dynamic_stack: false
    .vgpr_count:     32
    .vgpr_spill_count: 0
    .wavefront_size: 32
  - .args:
      - .offset:         0
        .size:           4
        .value_kind:     by_value
      - .offset:         4
        .size:           4
        .value_kind:     by_value
      - .address_space:  global
        .offset:         8
        .size:           8
        .value_kind:     global_buffer
      - .offset:         16
        .size:           8
        .value_kind:     by_value
      - .address_space:  global
        .offset:         24
        .size:           8
        .value_kind:     global_buffer
      - .offset:         32
        .size:           8
        .value_kind:     by_value
      - .offset:         40
        .size:           8
        .value_kind:     by_value
      - .offset:         48
        .size:           8
        .value_kind:     by_value
      - .address_space:  global
        .offset:         56
        .size:           8
        .value_kind:     global_buffer
      - .offset:         64
        .size:           8
        .value_kind:     by_value
      - .offset:         72
        .size:           8
        .value_kind:     by_value
      - .offset:         80
        .size:           8
        .value_kind:     by_value
      - .address_space:  global
        .offset:         88
        .size:           8
        .value_kind:     global_buffer
      - .offset:         96
        .size:           8
        .value_kind:     by_value
      - .address_space:  global
        .offset:         104
        .size:           8
        .value_kind:     global_buffer
      - .offset:         112
        .size:           8
        .value_kind:     by_value
      - .offset:         120
        .size:           8
        .value_kind:     by_value
      - .offset:         128
        .size:           8
        .value_kind:     by_value
      - .offset:         136
        .size:           4
        .value_kind:     by_value
    .group_segment_fixed_size: 256
    .kernarg_segment_align: 8
    .kernarg_segment_size: 140
    .language:       OpenCL C
    .language_version:
      - 2
      - 0
    .max_flat_workgroup_size: 1024
    .name:           _ZL32rocblas_gemvt_warp_reduce_kernelILb0ELi1024El19rocblas_complex_numIfEPKS1_S1_EviiT3_lPKT2_lT1_lS7_lS8_lS4_lPT4_lS8_li
    .private_segment_fixed_size: 0
    .sgpr_count:     54
    .sgpr_spill_count: 0
    .symbol:         _ZL32rocblas_gemvt_warp_reduce_kernelILb0ELi1024El19rocblas_complex_numIfEPKS1_S1_EviiT3_lPKT2_lT1_lS7_lS8_lS4_lPT4_lS8_li.kd
    .uniform_work_group_size: 1
    .uses_dynamic_stack: false
    .vgpr_count:     34
    .vgpr_spill_count: 0
    .wavefront_size: 32
  - .args:
      - .offset:         0
        .size:           4
        .value_kind:     by_value
      - .offset:         4
        .size:           4
        .value_kind:     by_value
      - .offset:         8
        .size:           8
        .value_kind:     by_value
      - .offset:         16
        .size:           8
        .value_kind:     by_value
      - .address_space:  global
        .offset:         24
        .size:           8
        .value_kind:     global_buffer
      - .offset:         32
        .size:           8
        .value_kind:     by_value
      - .offset:         40
        .size:           4
        .value_kind:     by_value
      - .offset:         48
        .size:           8
        .value_kind:     by_value
      - .address_space:  global
        .offset:         56
        .size:           8
        .value_kind:     global_buffer
      - .offset:         64
        .size:           8
        .value_kind:     by_value
      - .offset:         72
        .size:           4
        .value_kind:     by_value
      - .offset:         80
        .size:           8
        .value_kind:     by_value
      - .offset:         88
        .size:           8
        .value_kind:     by_value
      - .offset:         96
        .size:           8
        .value_kind:     by_value
      - .address_space:  global
        .offset:         104
        .size:           8
        .value_kind:     global_buffer
      - .offset:         112
        .size:           8
        .value_kind:     by_value
      - .offset:         120
        .size:           4
        .value_kind:     by_value
      - .offset:         128
        .size:           8
        .value_kind:     by_value
      - .offset:         136
        .size:           4
        .value_kind:     by_value
    .group_segment_fixed_size: 256
    .kernarg_segment_align: 8
    .kernarg_segment_size: 140
    .language:       OpenCL C
    .language_version:
      - 2
      - 0
    .max_flat_workgroup_size: 1024
    .name:           _ZL32rocblas_gemvt_warp_reduce_kernelILb0ELi1024Ei19rocblas_complex_numIfES1_S1_EviiT3_lPKT2_lT1_lS5_lS6_lS2_lPT4_lS6_li
    .private_segment_fixed_size: 0
    .sgpr_count:     46
    .sgpr_spill_count: 0
    .symbol:         _ZL32rocblas_gemvt_warp_reduce_kernelILb0ELi1024Ei19rocblas_complex_numIfES1_S1_EviiT3_lPKT2_lT1_lS5_lS6_lS2_lPT4_lS6_li.kd
    .uniform_work_group_size: 1
    .uses_dynamic_stack: false
    .vgpr_count:     28
    .vgpr_spill_count: 0
    .wavefront_size: 32
  - .args:
      - .offset:         0
        .size:           4
        .value_kind:     by_value
      - .offset:         4
        .size:           4
        .value_kind:     by_value
      - .offset:         8
        .size:           8
        .value_kind:     by_value
      - .offset:         16
        .size:           8
        .value_kind:     by_value
      - .address_space:  global
        .offset:         24
        .size:           8
        .value_kind:     global_buffer
      - .offset:         32
        .size:           8
        .value_kind:     by_value
      - .offset:         40
        .size:           8
        .value_kind:     by_value
      - .offset:         48
        .size:           8
        .value_kind:     by_value
      - .address_space:  global
        .offset:         56
        .size:           8
        .value_kind:     global_buffer
      - .offset:         64
        .size:           8
        .value_kind:     by_value
      - .offset:         72
        .size:           8
        .value_kind:     by_value
      - .offset:         80
        .size:           8
        .value_kind:     by_value
      - .offset:         88
        .size:           8
        .value_kind:     by_value
      - .offset:         96
        .size:           8
        .value_kind:     by_value
      - .address_space:  global
        .offset:         104
        .size:           8
        .value_kind:     global_buffer
      - .offset:         112
        .size:           8
        .value_kind:     by_value
      - .offset:         120
        .size:           8
        .value_kind:     by_value
      - .offset:         128
        .size:           8
        .value_kind:     by_value
      - .offset:         136
        .size:           4
        .value_kind:     by_value
    .group_segment_fixed_size: 256
    .kernarg_segment_align: 8
    .kernarg_segment_size: 140
    .language:       OpenCL C
    .language_version:
      - 2
      - 0
    .max_flat_workgroup_size: 1024
    .name:           _ZL32rocblas_gemvt_warp_reduce_kernelILb0ELi1024El19rocblas_complex_numIfES1_S1_EviiT3_lPKT2_lT1_lS5_lS6_lS2_lPT4_lS6_li
    .private_segment_fixed_size: 0
    .sgpr_count:     50
    .sgpr_spill_count: 0
    .symbol:         _ZL32rocblas_gemvt_warp_reduce_kernelILb0ELi1024El19rocblas_complex_numIfES1_S1_EviiT3_lPKT2_lT1_lS5_lS6_lS2_lPT4_lS6_li.kd
    .uniform_work_group_size: 1
    .uses_dynamic_stack: false
    .vgpr_count:     30
    .vgpr_spill_count: 0
    .wavefront_size: 32
  - .args:
      - .offset:         0
        .size:           4
        .value_kind:     by_value
      - .offset:         4
        .size:           4
        .value_kind:     by_value
      - .address_space:  global
        .offset:         8
        .size:           8
        .value_kind:     global_buffer
      - .offset:         16
        .size:           8
        .value_kind:     by_value
      - .address_space:  global
        .offset:         24
        .size:           8
        .value_kind:     global_buffer
      - .offset:         32
        .size:           8
        .value_kind:     by_value
      - .offset:         40
        .size:           4
        .value_kind:     by_value
      - .offset:         48
        .size:           8
        .value_kind:     by_value
      - .address_space:  global
        .offset:         56
        .size:           8
        .value_kind:     global_buffer
      - .offset:         64
        .size:           8
        .value_kind:     by_value
      - .offset:         72
        .size:           4
        .value_kind:     by_value
      - .offset:         80
        .size:           8
        .value_kind:     by_value
      - .address_space:  global
        .offset:         88
        .size:           8
        .value_kind:     global_buffer
      - .offset:         96
        .size:           8
        .value_kind:     by_value
      - .address_space:  global
        .offset:         104
        .size:           8
        .value_kind:     global_buffer
      - .offset:         112
        .size:           8
        .value_kind:     by_value
      - .offset:         120
        .size:           4
        .value_kind:     by_value
      - .offset:         128
        .size:           8
        .value_kind:     by_value
    .group_segment_fixed_size: 512
    .kernarg_segment_align: 8
    .kernarg_segment_size: 136
    .language:       OpenCL C
    .language_version:
      - 2
      - 0
    .max_flat_workgroup_size: 256
    .name:           _ZL22rocblas_gemvtsm_kernelILb1ELi256E19rocblas_complex_numIfEPKS1_S1_EviiT2_lPKT1_lilS7_lilS4_lPT3_lil
    .private_segment_fixed_size: 0
    .sgpr_count:     34
    .sgpr_spill_count: 0
    .symbol:         _ZL22rocblas_gemvtsm_kernelILb1ELi256E19rocblas_complex_numIfEPKS1_S1_EviiT2_lPKT1_lilS7_lilS4_lPT3_lil.kd
    .uniform_work_group_size: 1
    .uses_dynamic_stack: false
    .vgpr_count:     68
    .vgpr_spill_count: 0
    .wavefront_size: 32
  - .args:
      - .offset:         0
        .size:           4
        .value_kind:     by_value
      - .offset:         4
        .size:           4
        .value_kind:     by_value
      - .offset:         8
        .size:           8
        .value_kind:     by_value
      - .offset:         16
        .size:           8
        .value_kind:     by_value
      - .address_space:  global
        .offset:         24
        .size:           8
        .value_kind:     global_buffer
      - .offset:         32
        .size:           8
        .value_kind:     by_value
      - .offset:         40
        .size:           4
        .value_kind:     by_value
      - .offset:         48
        .size:           8
        .value_kind:     by_value
      - .address_space:  global
        .offset:         56
        .size:           8
        .value_kind:     global_buffer
      - .offset:         64
        .size:           8
        .value_kind:     by_value
      - .offset:         72
        .size:           4
        .value_kind:     by_value
      - .offset:         80
        .size:           8
        .value_kind:     by_value
      - .offset:         88
        .size:           8
        .value_kind:     by_value
      - .offset:         96
        .size:           8
        .value_kind:     by_value
      - .address_space:  global
        .offset:         104
        .size:           8
        .value_kind:     global_buffer
      - .offset:         112
        .size:           8
        .value_kind:     by_value
      - .offset:         120
        .size:           4
        .value_kind:     by_value
      - .offset:         128
        .size:           8
        .value_kind:     by_value
    .group_segment_fixed_size: 512
    .kernarg_segment_align: 8
    .kernarg_segment_size: 136
    .language:       OpenCL C
    .language_version:
      - 2
      - 0
    .max_flat_workgroup_size: 256
    .name:           _ZL22rocblas_gemvtsm_kernelILb1ELi256E19rocblas_complex_numIfES1_S1_EviiT2_lPKT1_lilS5_lilS2_lPT3_lil
    .private_segment_fixed_size: 0
    .sgpr_count:     30
    .sgpr_spill_count: 0
    .symbol:         _ZL22rocblas_gemvtsm_kernelILb1ELi256E19rocblas_complex_numIfES1_S1_EviiT2_lPKT1_lilS5_lilS2_lPT3_lil.kd
    .uniform_work_group_size: 1
    .uses_dynamic_stack: false
    .vgpr_count:     68
    .vgpr_spill_count: 0
    .wavefront_size: 32
  - .args:
      - .offset:         0
        .size:           4
        .value_kind:     by_value
      - .offset:         4
        .size:           4
        .value_kind:     by_value
      - .address_space:  global
        .offset:         8
        .size:           8
        .value_kind:     global_buffer
      - .offset:         16
        .size:           8
        .value_kind:     by_value
      - .address_space:  global
        .offset:         24
        .size:           8
        .value_kind:     global_buffer
      - .offset:         32
        .size:           8
        .value_kind:     by_value
      - .offset:         40
        .size:           4
        .value_kind:     by_value
      - .offset:         48
        .size:           8
        .value_kind:     by_value
      - .address_space:  global
        .offset:         56
        .size:           8
        .value_kind:     global_buffer
      - .offset:         64
        .size:           8
        .value_kind:     by_value
      - .offset:         72
        .size:           4
        .value_kind:     by_value
      - .offset:         80
        .size:           8
        .value_kind:     by_value
      - .address_space:  global
        .offset:         88
        .size:           8
        .value_kind:     global_buffer
      - .offset:         96
        .size:           4
        .value_kind:     by_value
      - .offset:         104
        .size:           4
        .value_kind:     hidden_block_count_x
      - .offset:         108
        .size:           4
        .value_kind:     hidden_block_count_y
      - .offset:         112
        .size:           4
        .value_kind:     hidden_block_count_z
      - .offset:         116
        .size:           2
        .value_kind:     hidden_group_size_x
      - .offset:         118
        .size:           2
        .value_kind:     hidden_group_size_y
      - .offset:         120
        .size:           2
        .value_kind:     hidden_group_size_z
      - .offset:         122
        .size:           2
        .value_kind:     hidden_remainder_x
      - .offset:         124
        .size:           2
        .value_kind:     hidden_remainder_y
      - .offset:         126
        .size:           2
        .value_kind:     hidden_remainder_z
      - .offset:         144
        .size:           8
        .value_kind:     hidden_global_offset_x
      - .offset:         152
        .size:           8
        .value_kind:     hidden_global_offset_y
      - .offset:         160
        .size:           8
        .value_kind:     hidden_global_offset_z
      - .offset:         168
        .size:           2
        .value_kind:     hidden_grid_dims
    .group_segment_fixed_size: 8448
    .kernarg_segment_align: 8
    .kernarg_segment_size: 360
    .language:       OpenCL C
    .language_version:
      - 2
      - 0
    .max_flat_workgroup_size: 256
    .name:           _ZL23rocblas_gemvt_sn_kernelILb1ELi256ELi4Ei19rocblas_complex_numIfEPKS1_S1_EviiT4_lPKT3_lilS7_lilPT5_i
    .private_segment_fixed_size: 0
    .sgpr_count:     72
    .sgpr_spill_count: 0
    .symbol:         _ZL23rocblas_gemvt_sn_kernelILb1ELi256ELi4Ei19rocblas_complex_numIfEPKS1_S1_EviiT4_lPKT3_lilS7_lilPT5_i.kd
    .uniform_work_group_size: 1
    .uses_dynamic_stack: false
    .vgpr_count:     102
    .vgpr_spill_count: 0
    .wavefront_size: 32
  - .args:
      - .offset:         0
        .size:           4
        .value_kind:     by_value
      - .offset:         4
        .size:           4
        .value_kind:     by_value
      - .address_space:  global
        .offset:         8
        .size:           8
        .value_kind:     global_buffer
      - .offset:         16
        .size:           8
        .value_kind:     by_value
      - .address_space:  global
        .offset:         24
        .size:           8
        .value_kind:     global_buffer
      - .offset:         32
        .size:           8
        .value_kind:     by_value
      - .offset:         40
        .size:           4
        .value_kind:     by_value
      - .offset:         48
        .size:           8
        .value_kind:     by_value
      - .address_space:  global
        .offset:         56
        .size:           8
        .value_kind:     global_buffer
      - .offset:         64
        .size:           8
        .value_kind:     by_value
      - .offset:         72
        .size:           4
        .value_kind:     by_value
      - .offset:         80
        .size:           8
        .value_kind:     by_value
      - .address_space:  global
        .offset:         88
        .size:           8
        .value_kind:     global_buffer
      - .offset:         96
        .size:           4
        .value_kind:     by_value
      - .offset:         104
        .size:           4
        .value_kind:     hidden_block_count_x
      - .offset:         108
        .size:           4
        .value_kind:     hidden_block_count_y
      - .offset:         112
        .size:           4
        .value_kind:     hidden_block_count_z
      - .offset:         116
        .size:           2
        .value_kind:     hidden_group_size_x
      - .offset:         118
        .size:           2
        .value_kind:     hidden_group_size_y
      - .offset:         120
        .size:           2
        .value_kind:     hidden_group_size_z
      - .offset:         122
        .size:           2
        .value_kind:     hidden_remainder_x
      - .offset:         124
        .size:           2
        .value_kind:     hidden_remainder_y
      - .offset:         126
        .size:           2
        .value_kind:     hidden_remainder_z
      - .offset:         144
        .size:           8
        .value_kind:     hidden_global_offset_x
      - .offset:         152
        .size:           8
        .value_kind:     hidden_global_offset_y
      - .offset:         160
        .size:           8
        .value_kind:     hidden_global_offset_z
      - .offset:         168
        .size:           2
        .value_kind:     hidden_grid_dims
    .group_segment_fixed_size: 8448
    .kernarg_segment_align: 8
    .kernarg_segment_size: 360
    .language:       OpenCL C
    .language_version:
      - 2
      - 0
    .max_flat_workgroup_size: 256
    .name:           _ZL23rocblas_gemvt_sn_kernelILb1ELi256ELi4El19rocblas_complex_numIfEPKS1_S1_EviiT4_lPKT3_lilS7_lilPT5_i
    .private_segment_fixed_size: 0
    .sgpr_count:     74
    .sgpr_spill_count: 0
    .symbol:         _ZL23rocblas_gemvt_sn_kernelILb1ELi256ELi4El19rocblas_complex_numIfEPKS1_S1_EviiT4_lPKT3_lilS7_lilPT5_i.kd
    .uniform_work_group_size: 1
    .uses_dynamic_stack: false
    .vgpr_count:     110
    .vgpr_spill_count: 0
    .wavefront_size: 32
  - .args:
      - .offset:         0
        .size:           4
        .value_kind:     by_value
      - .offset:         4
        .size:           4
        .value_kind:     by_value
      - .offset:         8
        .size:           8
        .value_kind:     by_value
      - .offset:         16
        .size:           8
        .value_kind:     by_value
      - .address_space:  global
        .offset:         24
        .size:           8
        .value_kind:     global_buffer
      - .offset:         32
        .size:           8
        .value_kind:     by_value
      - .offset:         40
        .size:           4
        .value_kind:     by_value
      - .offset:         48
        .size:           8
        .value_kind:     by_value
      - .address_space:  global
        .offset:         56
        .size:           8
        .value_kind:     global_buffer
      - .offset:         64
        .size:           8
        .value_kind:     by_value
      - .offset:         72
        .size:           4
        .value_kind:     by_value
      - .offset:         80
        .size:           8
        .value_kind:     by_value
      - .address_space:  global
        .offset:         88
        .size:           8
        .value_kind:     global_buffer
      - .offset:         96
        .size:           4
        .value_kind:     by_value
      - .offset:         104
        .size:           4
        .value_kind:     hidden_block_count_x
      - .offset:         108
        .size:           4
        .value_kind:     hidden_block_count_y
      - .offset:         112
        .size:           4
        .value_kind:     hidden_block_count_z
      - .offset:         116
        .size:           2
        .value_kind:     hidden_group_size_x
      - .offset:         118
        .size:           2
        .value_kind:     hidden_group_size_y
      - .offset:         120
        .size:           2
        .value_kind:     hidden_group_size_z
      - .offset:         122
        .size:           2
        .value_kind:     hidden_remainder_x
      - .offset:         124
        .size:           2
        .value_kind:     hidden_remainder_y
      - .offset:         126
        .size:           2
        .value_kind:     hidden_remainder_z
      - .offset:         144
        .size:           8
        .value_kind:     hidden_global_offset_x
      - .offset:         152
        .size:           8
        .value_kind:     hidden_global_offset_y
      - .offset:         160
        .size:           8
        .value_kind:     hidden_global_offset_z
      - .offset:         168
        .size:           2
        .value_kind:     hidden_grid_dims
    .group_segment_fixed_size: 8448
    .kernarg_segment_align: 8
    .kernarg_segment_size: 360
    .language:       OpenCL C
    .language_version:
      - 2
      - 0
    .max_flat_workgroup_size: 256
    .name:           _ZL23rocblas_gemvt_sn_kernelILb1ELi256ELi4Ei19rocblas_complex_numIfES1_S1_EviiT4_lPKT3_lilS5_lilPT5_i
    .private_segment_fixed_size: 0
    .sgpr_count:     73
    .sgpr_spill_count: 0
    .symbol:         _ZL23rocblas_gemvt_sn_kernelILb1ELi256ELi4Ei19rocblas_complex_numIfES1_S1_EviiT4_lPKT3_lilS5_lilPT5_i.kd
    .uniform_work_group_size: 1
    .uses_dynamic_stack: false
    .vgpr_count:     98
    .vgpr_spill_count: 0
    .wavefront_size: 32
  - .args:
      - .offset:         0
        .size:           4
        .value_kind:     by_value
      - .offset:         4
        .size:           4
        .value_kind:     by_value
      - .offset:         8
        .size:           8
        .value_kind:     by_value
      - .offset:         16
        .size:           8
        .value_kind:     by_value
      - .address_space:  global
        .offset:         24
        .size:           8
        .value_kind:     global_buffer
      - .offset:         32
        .size:           8
        .value_kind:     by_value
      - .offset:         40
        .size:           4
        .value_kind:     by_value
      - .offset:         48
        .size:           8
        .value_kind:     by_value
      - .address_space:  global
        .offset:         56
        .size:           8
        .value_kind:     global_buffer
      - .offset:         64
        .size:           8
        .value_kind:     by_value
      - .offset:         72
        .size:           4
        .value_kind:     by_value
      - .offset:         80
        .size:           8
        .value_kind:     by_value
      - .address_space:  global
        .offset:         88
        .size:           8
        .value_kind:     global_buffer
      - .offset:         96
        .size:           4
        .value_kind:     by_value
      - .offset:         104
        .size:           4
        .value_kind:     hidden_block_count_x
      - .offset:         108
        .size:           4
        .value_kind:     hidden_block_count_y
      - .offset:         112
        .size:           4
        .value_kind:     hidden_block_count_z
      - .offset:         116
        .size:           2
        .value_kind:     hidden_group_size_x
      - .offset:         118
        .size:           2
        .value_kind:     hidden_group_size_y
      - .offset:         120
        .size:           2
        .value_kind:     hidden_group_size_z
      - .offset:         122
        .size:           2
        .value_kind:     hidden_remainder_x
      - .offset:         124
        .size:           2
        .value_kind:     hidden_remainder_y
      - .offset:         126
        .size:           2
        .value_kind:     hidden_remainder_z
      - .offset:         144
        .size:           8
        .value_kind:     hidden_global_offset_x
      - .offset:         152
        .size:           8
        .value_kind:     hidden_global_offset_y
      - .offset:         160
        .size:           8
        .value_kind:     hidden_global_offset_z
      - .offset:         168
        .size:           2
        .value_kind:     hidden_grid_dims
    .group_segment_fixed_size: 8448
    .kernarg_segment_align: 8
    .kernarg_segment_size: 360
    .language:       OpenCL C
    .language_version:
      - 2
      - 0
    .max_flat_workgroup_size: 256
    .name:           _ZL23rocblas_gemvt_sn_kernelILb1ELi256ELi4El19rocblas_complex_numIfES1_S1_EviiT4_lPKT3_lilS5_lilPT5_i
    .private_segment_fixed_size: 0
    .sgpr_count:     76
    .sgpr_spill_count: 0
    .symbol:         _ZL23rocblas_gemvt_sn_kernelILb1ELi256ELi4El19rocblas_complex_numIfES1_S1_EviiT4_lPKT3_lilS5_lilPT5_i.kd
    .uniform_work_group_size: 1
    .uses_dynamic_stack: false
    .vgpr_count:     106
    .vgpr_spill_count: 0
    .wavefront_size: 32
  - .args:
      - .offset:         0
        .size:           4
        .value_kind:     by_value
      - .offset:         4
        .size:           4
        .value_kind:     by_value
      - .address_space:  global
        .offset:         8
        .size:           8
        .value_kind:     global_buffer
      - .offset:         16
        .size:           8
        .value_kind:     by_value
      - .address_space:  global
        .offset:         24
        .size:           8
        .value_kind:     global_buffer
      - .offset:         32
        .size:           8
        .value_kind:     by_value
      - .offset:         40
        .size:           4
        .value_kind:     by_value
      - .offset:         48
        .size:           8
        .value_kind:     by_value
      - .address_space:  global
        .offset:         56
        .size:           8
        .value_kind:     global_buffer
      - .offset:         64
        .size:           8
        .value_kind:     by_value
      - .offset:         72
        .size:           4
        .value_kind:     by_value
      - .offset:         80
        .size:           8
        .value_kind:     by_value
      - .address_space:  global
        .offset:         88
        .size:           8
        .value_kind:     global_buffer
      - .offset:         96
        .size:           8
        .value_kind:     by_value
      - .address_space:  global
        .offset:         104
        .size:           8
        .value_kind:     global_buffer
      - .offset:         112
        .size:           8
        .value_kind:     by_value
      - .offset:         120
        .size:           4
        .value_kind:     by_value
      - .offset:         128
        .size:           8
        .value_kind:     by_value
      - .offset:         136
        .size:           4
        .value_kind:     by_value
    .group_segment_fixed_size: 2048
    .kernarg_segment_align: 8
    .kernarg_segment_size: 140
    .language:       OpenCL C
    .language_version:
      - 2
      - 0
    .max_flat_workgroup_size: 256
    .name:           _ZL20rocblas_gemvt_kernelILb1ELi256E19rocblas_complex_numIfEPKS1_S1_EviiT2_lPKT1_lilS7_lilS4_lPT3_lili
    .private_segment_fixed_size: 0
    .sgpr_count:     54
    .sgpr_spill_count: 0
    .symbol:         _ZL20rocblas_gemvt_kernelILb1ELi256E19rocblas_complex_numIfEPKS1_S1_EviiT2_lPKT1_lilS7_lilS4_lPT3_lili.kd
    .uniform_work_group_size: 1
    .uses_dynamic_stack: false
    .vgpr_count:     28
    .vgpr_spill_count: 0
    .wavefront_size: 32
  - .args:
      - .offset:         0
        .size:           4
        .value_kind:     by_value
      - .offset:         4
        .size:           4
        .value_kind:     by_value
      - .offset:         8
        .size:           8
        .value_kind:     by_value
      - .offset:         16
        .size:           8
        .value_kind:     by_value
      - .address_space:  global
        .offset:         24
        .size:           8
        .value_kind:     global_buffer
      - .offset:         32
        .size:           8
        .value_kind:     by_value
      - .offset:         40
        .size:           4
        .value_kind:     by_value
      - .offset:         48
        .size:           8
        .value_kind:     by_value
      - .address_space:  global
        .offset:         56
        .size:           8
        .value_kind:     global_buffer
      - .offset:         64
        .size:           8
        .value_kind:     by_value
      - .offset:         72
        .size:           4
        .value_kind:     by_value
      - .offset:         80
        .size:           8
        .value_kind:     by_value
      - .offset:         88
        .size:           8
        .value_kind:     by_value
      - .offset:         96
        .size:           8
        .value_kind:     by_value
      - .address_space:  global
        .offset:         104
        .size:           8
        .value_kind:     global_buffer
      - .offset:         112
        .size:           8
        .value_kind:     by_value
      - .offset:         120
        .size:           4
        .value_kind:     by_value
      - .offset:         128
        .size:           8
        .value_kind:     by_value
      - .offset:         136
        .size:           4
        .value_kind:     by_value
    .group_segment_fixed_size: 2048
    .kernarg_segment_align: 8
    .kernarg_segment_size: 140
    .language:       OpenCL C
    .language_version:
      - 2
      - 0
    .max_flat_workgroup_size: 256
    .name:           _ZL20rocblas_gemvt_kernelILb1ELi256E19rocblas_complex_numIfES1_S1_EviiT2_lPKT1_lilS5_lilS2_lPT3_lili
    .private_segment_fixed_size: 0
    .sgpr_count:     54
    .sgpr_spill_count: 0
    .symbol:         _ZL20rocblas_gemvt_kernelILb1ELi256E19rocblas_complex_numIfES1_S1_EviiT2_lPKT1_lilS5_lilS2_lPT3_lili.kd
    .uniform_work_group_size: 1
    .uses_dynamic_stack: false
    .vgpr_count:     26
    .vgpr_spill_count: 0
    .wavefront_size: 32
  - .args:
      - .offset:         0
        .size:           4
        .value_kind:     by_value
      - .offset:         4
        .size:           4
        .value_kind:     by_value
      - .address_space:  global
        .offset:         8
        .size:           8
        .value_kind:     global_buffer
      - .offset:         16
        .size:           8
        .value_kind:     by_value
      - .address_space:  global
        .offset:         24
        .size:           8
        .value_kind:     global_buffer
      - .offset:         32
        .size:           8
        .value_kind:     by_value
      - .offset:         40
        .size:           4
        .value_kind:     by_value
      - .offset:         48
        .size:           8
        .value_kind:     by_value
      - .address_space:  global
        .offset:         56
        .size:           8
        .value_kind:     global_buffer
      - .offset:         64
        .size:           8
        .value_kind:     by_value
      - .offset:         72
        .size:           4
        .value_kind:     by_value
      - .offset:         80
        .size:           8
        .value_kind:     by_value
      - .address_space:  global
        .offset:         88
        .size:           8
        .value_kind:     global_buffer
      - .offset:         96
        .size:           8
        .value_kind:     by_value
      - .address_space:  global
        .offset:         104
        .size:           8
        .value_kind:     global_buffer
      - .offset:         112
        .size:           8
        .value_kind:     by_value
      - .offset:         120
        .size:           4
        .value_kind:     by_value
      - .offset:         128
        .size:           8
        .value_kind:     by_value
      - .offset:         136
        .size:           4
        .value_kind:     by_value
    .group_segment_fixed_size: 256
    .kernarg_segment_align: 8
    .kernarg_segment_size: 140
    .language:       OpenCL C
    .language_version:
      - 2
      - 0
    .max_flat_workgroup_size: 1024
    .name:           _ZL32rocblas_gemvt_warp_reduce_kernelILb1ELi1024Ei19rocblas_complex_numIfEPKS1_S1_EviiT3_lPKT2_lT1_lS7_lS8_lS4_lPT4_lS8_li
    .private_segment_fixed_size: 0
    .sgpr_count:     44
    .sgpr_spill_count: 0
    .symbol:         _ZL32rocblas_gemvt_warp_reduce_kernelILb1ELi1024Ei19rocblas_complex_numIfEPKS1_S1_EviiT3_lPKT2_lT1_lS7_lS8_lS4_lPT4_lS8_li.kd
    .uniform_work_group_size: 1
    .uses_dynamic_stack: false
    .vgpr_count:     32
    .vgpr_spill_count: 0
    .wavefront_size: 32
  - .args:
      - .offset:         0
        .size:           4
        .value_kind:     by_value
      - .offset:         4
        .size:           4
        .value_kind:     by_value
      - .address_space:  global
        .offset:         8
        .size:           8
        .value_kind:     global_buffer
      - .offset:         16
        .size:           8
        .value_kind:     by_value
      - .address_space:  global
        .offset:         24
        .size:           8
        .value_kind:     global_buffer
      - .offset:         32
        .size:           8
        .value_kind:     by_value
      - .offset:         40
        .size:           8
        .value_kind:     by_value
      - .offset:         48
        .size:           8
        .value_kind:     by_value
      - .address_space:  global
        .offset:         56
        .size:           8
        .value_kind:     global_buffer
      - .offset:         64
        .size:           8
        .value_kind:     by_value
      - .offset:         72
        .size:           8
        .value_kind:     by_value
      - .offset:         80
        .size:           8
        .value_kind:     by_value
      - .address_space:  global
        .offset:         88
        .size:           8
        .value_kind:     global_buffer
      - .offset:         96
        .size:           8
        .value_kind:     by_value
      - .address_space:  global
        .offset:         104
        .size:           8
        .value_kind:     global_buffer
      - .offset:         112
        .size:           8
        .value_kind:     by_value
      - .offset:         120
        .size:           8
        .value_kind:     by_value
      - .offset:         128
        .size:           8
        .value_kind:     by_value
      - .offset:         136
        .size:           4
        .value_kind:     by_value
    .group_segment_fixed_size: 256
    .kernarg_segment_align: 8
    .kernarg_segment_size: 140
    .language:       OpenCL C
    .language_version:
      - 2
      - 0
    .max_flat_workgroup_size: 1024
    .name:           _ZL32rocblas_gemvt_warp_reduce_kernelILb1ELi1024El19rocblas_complex_numIfEPKS1_S1_EviiT3_lPKT2_lT1_lS7_lS8_lS4_lPT4_lS8_li
    .private_segment_fixed_size: 0
    .sgpr_count:     54
    .sgpr_spill_count: 0
    .symbol:         _ZL32rocblas_gemvt_warp_reduce_kernelILb1ELi1024El19rocblas_complex_numIfEPKS1_S1_EviiT3_lPKT2_lT1_lS7_lS8_lS4_lPT4_lS8_li.kd
    .uniform_work_group_size: 1
    .uses_dynamic_stack: false
    .vgpr_count:     34
    .vgpr_spill_count: 0
    .wavefront_size: 32
  - .args:
      - .offset:         0
        .size:           4
        .value_kind:     by_value
      - .offset:         4
        .size:           4
        .value_kind:     by_value
      - .offset:         8
        .size:           8
        .value_kind:     by_value
      - .offset:         16
        .size:           8
        .value_kind:     by_value
      - .address_space:  global
        .offset:         24
        .size:           8
        .value_kind:     global_buffer
      - .offset:         32
        .size:           8
        .value_kind:     by_value
      - .offset:         40
        .size:           4
        .value_kind:     by_value
      - .offset:         48
        .size:           8
        .value_kind:     by_value
      - .address_space:  global
        .offset:         56
        .size:           8
        .value_kind:     global_buffer
      - .offset:         64
        .size:           8
        .value_kind:     by_value
      - .offset:         72
        .size:           4
        .value_kind:     by_value
      - .offset:         80
        .size:           8
        .value_kind:     by_value
      - .offset:         88
        .size:           8
        .value_kind:     by_value
      - .offset:         96
        .size:           8
        .value_kind:     by_value
      - .address_space:  global
        .offset:         104
        .size:           8
        .value_kind:     global_buffer
      - .offset:         112
        .size:           8
        .value_kind:     by_value
      - .offset:         120
        .size:           4
        .value_kind:     by_value
      - .offset:         128
        .size:           8
        .value_kind:     by_value
      - .offset:         136
        .size:           4
        .value_kind:     by_value
    .group_segment_fixed_size: 256
    .kernarg_segment_align: 8
    .kernarg_segment_size: 140
    .language:       OpenCL C
    .language_version:
      - 2
      - 0
    .max_flat_workgroup_size: 1024
    .name:           _ZL32rocblas_gemvt_warp_reduce_kernelILb1ELi1024Ei19rocblas_complex_numIfES1_S1_EviiT3_lPKT2_lT1_lS5_lS6_lS2_lPT4_lS6_li
    .private_segment_fixed_size: 0
    .sgpr_count:     46
    .sgpr_spill_count: 0
    .symbol:         _ZL32rocblas_gemvt_warp_reduce_kernelILb1ELi1024Ei19rocblas_complex_numIfES1_S1_EviiT3_lPKT2_lT1_lS5_lS6_lS2_lPT4_lS6_li.kd
    .uniform_work_group_size: 1
    .uses_dynamic_stack: false
    .vgpr_count:     28
    .vgpr_spill_count: 0
    .wavefront_size: 32
  - .args:
      - .offset:         0
        .size:           4
        .value_kind:     by_value
      - .offset:         4
        .size:           4
        .value_kind:     by_value
      - .offset:         8
        .size:           8
        .value_kind:     by_value
      - .offset:         16
        .size:           8
        .value_kind:     by_value
      - .address_space:  global
        .offset:         24
        .size:           8
        .value_kind:     global_buffer
      - .offset:         32
        .size:           8
        .value_kind:     by_value
      - .offset:         40
        .size:           8
        .value_kind:     by_value
      - .offset:         48
        .size:           8
        .value_kind:     by_value
      - .address_space:  global
        .offset:         56
        .size:           8
        .value_kind:     global_buffer
      - .offset:         64
        .size:           8
        .value_kind:     by_value
      - .offset:         72
        .size:           8
        .value_kind:     by_value
      - .offset:         80
        .size:           8
        .value_kind:     by_value
      - .offset:         88
        .size:           8
        .value_kind:     by_value
      - .offset:         96
        .size:           8
        .value_kind:     by_value
      - .address_space:  global
        .offset:         104
        .size:           8
        .value_kind:     global_buffer
      - .offset:         112
        .size:           8
        .value_kind:     by_value
      - .offset:         120
        .size:           8
        .value_kind:     by_value
      - .offset:         128
        .size:           8
        .value_kind:     by_value
      - .offset:         136
        .size:           4
        .value_kind:     by_value
    .group_segment_fixed_size: 256
    .kernarg_segment_align: 8
    .kernarg_segment_size: 140
    .language:       OpenCL C
    .language_version:
      - 2
      - 0
    .max_flat_workgroup_size: 1024
    .name:           _ZL32rocblas_gemvt_warp_reduce_kernelILb1ELi1024El19rocblas_complex_numIfES1_S1_EviiT3_lPKT2_lT1_lS5_lS6_lS2_lPT4_lS6_li
    .private_segment_fixed_size: 0
    .sgpr_count:     50
    .sgpr_spill_count: 0
    .symbol:         _ZL32rocblas_gemvt_warp_reduce_kernelILb1ELi1024El19rocblas_complex_numIfES1_S1_EviiT3_lPKT2_lT1_lS5_lS6_lS2_lPT4_lS6_li.kd
    .uniform_work_group_size: 1
    .uses_dynamic_stack: false
    .vgpr_count:     30
    .vgpr_spill_count: 0
    .wavefront_size: 32
  - .args:
      - .offset:         0
        .size:           4
        .value_kind:     by_value
      - .offset:         4
        .size:           4
        .value_kind:     by_value
      - .address_space:  global
        .offset:         8
        .size:           8
        .value_kind:     global_buffer
      - .offset:         16
        .size:           8
        .value_kind:     by_value
      - .address_space:  global
        .offset:         24
        .size:           8
        .value_kind:     global_buffer
      - .offset:         32
        .size:           8
        .value_kind:     by_value
      - .offset:         40
        .size:           4
        .value_kind:     by_value
      - .offset:         48
        .size:           8
        .value_kind:     by_value
      - .address_space:  global
        .offset:         56
        .size:           8
        .value_kind:     global_buffer
      - .offset:         64
        .size:           8
        .value_kind:     by_value
      - .offset:         72
        .size:           4
        .value_kind:     by_value
      - .offset:         80
        .size:           8
        .value_kind:     by_value
      - .address_space:  global
        .offset:         88
        .size:           8
        .value_kind:     global_buffer
      - .offset:         96
        .size:           8
        .value_kind:     by_value
      - .address_space:  global
        .offset:         104
        .size:           8
        .value_kind:     global_buffer
      - .offset:         112
        .size:           8
        .value_kind:     by_value
      - .offset:         120
        .size:           4
        .value_kind:     by_value
      - .offset:         128
        .size:           8
        .value_kind:     by_value
      - .offset:         136
        .size:           4
        .value_kind:     by_value
    .group_segment_fixed_size: 0
    .kernarg_segment_align: 8
    .kernarg_segment_size: 140
    .language:       OpenCL C
    .language_version:
      - 2
      - 0
    .max_flat_workgroup_size: 768
    .name:           _ZL34rocblas_gemvn_sm_mn_batched_kernelILi32ELi24E19rocblas_complex_numIdEPKS1_S1_EviiT2_lPKT1_lilS7_lilS4_lPT3_lili
    .private_segment_fixed_size: 0
    .sgpr_count:     0
    .sgpr_spill_count: 0
    .symbol:         _ZL34rocblas_gemvn_sm_mn_batched_kernelILi32ELi24E19rocblas_complex_numIdEPKS1_S1_EviiT2_lPKT1_lilS7_lilS4_lPT3_lili.kd
    .uniform_work_group_size: 1
    .uses_dynamic_stack: false
    .vgpr_count:     0
    .vgpr_spill_count: 0
    .wavefront_size: 32
  - .args:
      - .offset:         0
        .size:           4
        .value_kind:     by_value
      - .offset:         4
        .size:           4
        .value_kind:     by_value
      - .offset:         8
        .size:           16
        .value_kind:     by_value
      - .offset:         24
        .size:           8
        .value_kind:     by_value
      - .address_space:  global
        .offset:         32
        .size:           8
        .value_kind:     global_buffer
      - .offset:         40
        .size:           8
        .value_kind:     by_value
      - .offset:         48
        .size:           4
        .value_kind:     by_value
      - .offset:         56
        .size:           8
        .value_kind:     by_value
      - .address_space:  global
        .offset:         64
        .size:           8
        .value_kind:     global_buffer
      - .offset:         72
        .size:           8
        .value_kind:     by_value
      - .offset:         80
        .size:           4
        .value_kind:     by_value
      - .offset:         88
        .size:           8
        .value_kind:     by_value
      - .offset:         96
        .size:           16
        .value_kind:     by_value
      - .offset:         112
        .size:           8
        .value_kind:     by_value
      - .address_space:  global
        .offset:         120
        .size:           8
        .value_kind:     global_buffer
      - .offset:         128
        .size:           8
        .value_kind:     by_value
      - .offset:         136
        .size:           4
        .value_kind:     by_value
      - .offset:         144
        .size:           8
        .value_kind:     by_value
      - .offset:         152
        .size:           4
        .value_kind:     by_value
    .group_segment_fixed_size: 0
    .kernarg_segment_align: 8
    .kernarg_segment_size: 156
    .language:       OpenCL C
    .language_version:
      - 2
      - 0
    .max_flat_workgroup_size: 768
    .name:           _ZL34rocblas_gemvn_sm_mn_batched_kernelILi32ELi24E19rocblas_complex_numIdES1_S1_EviiT2_lPKT1_lilS5_lilS2_lPT3_lili
    .private_segment_fixed_size: 0
    .sgpr_count:     0
    .sgpr_spill_count: 0
    .symbol:         _ZL34rocblas_gemvn_sm_mn_batched_kernelILi32ELi24E19rocblas_complex_numIdES1_S1_EviiT2_lPKT1_lilS5_lilS2_lPT3_lili.kd
    .uniform_work_group_size: 1
    .uses_dynamic_stack: false
    .vgpr_count:     0
    .vgpr_spill_count: 0
    .wavefront_size: 32
  - .args:
      - .offset:         0
        .size:           4
        .value_kind:     by_value
      - .offset:         4
        .size:           4
        .value_kind:     by_value
      - .address_space:  global
        .offset:         8
        .size:           8
        .value_kind:     global_buffer
      - .offset:         16
        .size:           8
        .value_kind:     by_value
      - .address_space:  global
        .offset:         24
        .size:           8
        .value_kind:     global_buffer
      - .offset:         32
        .size:           8
        .value_kind:     by_value
      - .offset:         40
        .size:           4
        .value_kind:     by_value
      - .offset:         48
        .size:           8
        .value_kind:     by_value
      - .address_space:  global
        .offset:         56
        .size:           8
        .value_kind:     global_buffer
      - .offset:         64
        .size:           8
        .value_kind:     by_value
      - .offset:         72
        .size:           4
        .value_kind:     by_value
      - .offset:         80
        .size:           8
        .value_kind:     by_value
      - .address_space:  global
        .offset:         88
        .size:           8
        .value_kind:     global_buffer
      - .offset:         96
        .size:           8
        .value_kind:     by_value
      - .address_space:  global
        .offset:         104
        .size:           8
        .value_kind:     global_buffer
      - .offset:         112
        .size:           8
        .value_kind:     by_value
      - .offset:         120
        .size:           4
        .value_kind:     by_value
      - .offset:         128
        .size:           8
        .value_kind:     by_value
      - .offset:         136
        .size:           4
        .value_kind:     by_value
      - .offset:         144
        .size:           4
        .value_kind:     hidden_block_count_x
      - .offset:         148
        .size:           4
        .value_kind:     hidden_block_count_y
      - .offset:         152
        .size:           4
        .value_kind:     hidden_block_count_z
      - .offset:         156
        .size:           2
        .value_kind:     hidden_group_size_x
      - .offset:         158
        .size:           2
        .value_kind:     hidden_group_size_y
      - .offset:         160
        .size:           2
        .value_kind:     hidden_group_size_z
      - .offset:         162
        .size:           2
        .value_kind:     hidden_remainder_x
      - .offset:         164
        .size:           2
        .value_kind:     hidden_remainder_y
      - .offset:         166
        .size:           2
        .value_kind:     hidden_remainder_z
      - .offset:         184
        .size:           8
        .value_kind:     hidden_global_offset_x
      - .offset:         192
        .size:           8
        .value_kind:     hidden_global_offset_y
      - .offset:         200
        .size:           8
        .value_kind:     hidden_global_offset_z
      - .offset:         208
        .size:           2
        .value_kind:     hidden_grid_dims
    .group_segment_fixed_size: 4096
    .kernarg_segment_align: 8
    .kernarg_segment_size: 400
    .language:       OpenCL C
    .language_version:
      - 2
      - 0
    .max_flat_workgroup_size: 256
    .name:           _ZL20rocblas_gemvn_kernelILi64ELi4Ei19rocblas_complex_numIdEPKS1_S1_EviiT3_lPKT2_lT1_lS7_lS8_lS4_lPT4_lS8_li
    .private_segment_fixed_size: 0
    .sgpr_count:     48
    .sgpr_spill_count: 0
    .symbol:         _ZL20rocblas_gemvn_kernelILi64ELi4Ei19rocblas_complex_numIdEPKS1_S1_EviiT3_lPKT2_lT1_lS7_lS8_lS4_lPT4_lS8_li.kd
    .uniform_work_group_size: 1
    .uses_dynamic_stack: false
    .vgpr_count:     36
    .vgpr_spill_count: 0
    .wavefront_size: 32
  - .args:
      - .offset:         0
        .size:           4
        .value_kind:     by_value
      - .offset:         4
        .size:           4
        .value_kind:     by_value
      - .address_space:  global
        .offset:         8
        .size:           8
        .value_kind:     global_buffer
      - .offset:         16
        .size:           8
        .value_kind:     by_value
      - .address_space:  global
        .offset:         24
        .size:           8
        .value_kind:     global_buffer
      - .offset:         32
        .size:           8
        .value_kind:     by_value
      - .offset:         40
        .size:           8
        .value_kind:     by_value
      - .offset:         48
        .size:           8
        .value_kind:     by_value
      - .address_space:  global
        .offset:         56
        .size:           8
        .value_kind:     global_buffer
      - .offset:         64
        .size:           8
        .value_kind:     by_value
      - .offset:         72
        .size:           8
        .value_kind:     by_value
      - .offset:         80
        .size:           8
        .value_kind:     by_value
      - .address_space:  global
        .offset:         88
        .size:           8
        .value_kind:     global_buffer
      - .offset:         96
        .size:           8
        .value_kind:     by_value
      - .address_space:  global
        .offset:         104
        .size:           8
        .value_kind:     global_buffer
      - .offset:         112
        .size:           8
        .value_kind:     by_value
      - .offset:         120
        .size:           8
        .value_kind:     by_value
      - .offset:         128
        .size:           8
        .value_kind:     by_value
      - .offset:         136
        .size:           4
        .value_kind:     by_value
      - .offset:         144
        .size:           4
        .value_kind:     hidden_block_count_x
      - .offset:         148
        .size:           4
        .value_kind:     hidden_block_count_y
      - .offset:         152
        .size:           4
        .value_kind:     hidden_block_count_z
      - .offset:         156
        .size:           2
        .value_kind:     hidden_group_size_x
      - .offset:         158
        .size:           2
        .value_kind:     hidden_group_size_y
      - .offset:         160
        .size:           2
        .value_kind:     hidden_group_size_z
      - .offset:         162
        .size:           2
        .value_kind:     hidden_remainder_x
      - .offset:         164
        .size:           2
        .value_kind:     hidden_remainder_y
      - .offset:         166
        .size:           2
        .value_kind:     hidden_remainder_z
      - .offset:         184
        .size:           8
        .value_kind:     hidden_global_offset_x
      - .offset:         192
        .size:           8
        .value_kind:     hidden_global_offset_y
      - .offset:         200
        .size:           8
        .value_kind:     hidden_global_offset_z
      - .offset:         208
        .size:           2
        .value_kind:     hidden_grid_dims
    .group_segment_fixed_size: 4096
    .kernarg_segment_align: 8
    .kernarg_segment_size: 400
    .language:       OpenCL C
    .language_version:
      - 2
      - 0
    .max_flat_workgroup_size: 256
    .name:           _ZL20rocblas_gemvn_kernelILi64ELi4El19rocblas_complex_numIdEPKS1_S1_EviiT3_lPKT2_lT1_lS7_lS8_lS4_lPT4_lS8_li
    .private_segment_fixed_size: 0
    .sgpr_count:     54
    .sgpr_spill_count: 0
    .symbol:         _ZL20rocblas_gemvn_kernelILi64ELi4El19rocblas_complex_numIdEPKS1_S1_EviiT3_lPKT2_lT1_lS7_lS8_lS4_lPT4_lS8_li.kd
    .uniform_work_group_size: 1
    .uses_dynamic_stack: false
    .vgpr_count:     40
    .vgpr_spill_count: 0
    .wavefront_size: 32
  - .args:
      - .offset:         0
        .size:           4
        .value_kind:     by_value
      - .offset:         4
        .size:           4
        .value_kind:     by_value
      - .offset:         8
        .size:           16
        .value_kind:     by_value
      - .offset:         24
        .size:           8
        .value_kind:     by_value
      - .address_space:  global
        .offset:         32
        .size:           8
        .value_kind:     global_buffer
      - .offset:         40
        .size:           8
        .value_kind:     by_value
      - .offset:         48
        .size:           4
        .value_kind:     by_value
      - .offset:         56
        .size:           8
        .value_kind:     by_value
      - .address_space:  global
        .offset:         64
        .size:           8
        .value_kind:     global_buffer
      - .offset:         72
        .size:           8
        .value_kind:     by_value
      - .offset:         80
        .size:           4
        .value_kind:     by_value
      - .offset:         88
        .size:           8
        .value_kind:     by_value
      - .offset:         96
        .size:           16
        .value_kind:     by_value
      - .offset:         112
        .size:           8
        .value_kind:     by_value
      - .address_space:  global
        .offset:         120
        .size:           8
        .value_kind:     global_buffer
      - .offset:         128
        .size:           8
        .value_kind:     by_value
      - .offset:         136
        .size:           4
        .value_kind:     by_value
      - .offset:         144
        .size:           8
        .value_kind:     by_value
      - .offset:         152
        .size:           4
        .value_kind:     by_value
      - .offset:         160
        .size:           4
        .value_kind:     hidden_block_count_x
      - .offset:         164
        .size:           4
        .value_kind:     hidden_block_count_y
      - .offset:         168
        .size:           4
        .value_kind:     hidden_block_count_z
      - .offset:         172
        .size:           2
        .value_kind:     hidden_group_size_x
      - .offset:         174
        .size:           2
        .value_kind:     hidden_group_size_y
      - .offset:         176
        .size:           2
        .value_kind:     hidden_group_size_z
      - .offset:         178
        .size:           2
        .value_kind:     hidden_remainder_x
      - .offset:         180
        .size:           2
        .value_kind:     hidden_remainder_y
      - .offset:         182
        .size:           2
        .value_kind:     hidden_remainder_z
      - .offset:         200
        .size:           8
        .value_kind:     hidden_global_offset_x
      - .offset:         208
        .size:           8
        .value_kind:     hidden_global_offset_y
      - .offset:         216
        .size:           8
        .value_kind:     hidden_global_offset_z
      - .offset:         224
        .size:           2
        .value_kind:     hidden_grid_dims
    .group_segment_fixed_size: 4096
    .kernarg_segment_align: 8
    .kernarg_segment_size: 416
    .language:       OpenCL C
    .language_version:
      - 2
      - 0
    .max_flat_workgroup_size: 256
    .name:           _ZL20rocblas_gemvn_kernelILi64ELi4Ei19rocblas_complex_numIdES1_S1_EviiT3_lPKT2_lT1_lS5_lS6_lS2_lPT4_lS6_li
    .private_segment_fixed_size: 0
    .sgpr_count:     51
    .sgpr_spill_count: 0
    .symbol:         _ZL20rocblas_gemvn_kernelILi64ELi4Ei19rocblas_complex_numIdES1_S1_EviiT3_lPKT2_lT1_lS5_lS6_lS2_lPT4_lS6_li.kd
    .uniform_work_group_size: 1
    .uses_dynamic_stack: false
    .vgpr_count:     26
    .vgpr_spill_count: 0
    .wavefront_size: 32
  - .args:
      - .offset:         0
        .size:           4
        .value_kind:     by_value
      - .offset:         4
        .size:           4
        .value_kind:     by_value
      - .offset:         8
        .size:           16
        .value_kind:     by_value
      - .offset:         24
        .size:           8
        .value_kind:     by_value
      - .address_space:  global
        .offset:         32
        .size:           8
        .value_kind:     global_buffer
      - .offset:         40
        .size:           8
        .value_kind:     by_value
      - .offset:         48
        .size:           8
        .value_kind:     by_value
      - .offset:         56
        .size:           8
        .value_kind:     by_value
      - .address_space:  global
        .offset:         64
        .size:           8
        .value_kind:     global_buffer
      - .offset:         72
        .size:           8
        .value_kind:     by_value
      - .offset:         80
        .size:           8
        .value_kind:     by_value
      - .offset:         88
        .size:           8
        .value_kind:     by_value
      - .offset:         96
        .size:           16
        .value_kind:     by_value
      - .offset:         112
        .size:           8
        .value_kind:     by_value
      - .address_space:  global
        .offset:         120
        .size:           8
        .value_kind:     global_buffer
      - .offset:         128
        .size:           8
        .value_kind:     by_value
      - .offset:         136
        .size:           8
        .value_kind:     by_value
      - .offset:         144
        .size:           8
        .value_kind:     by_value
      - .offset:         152
        .size:           4
        .value_kind:     by_value
      - .offset:         160
        .size:           4
        .value_kind:     hidden_block_count_x
      - .offset:         164
        .size:           4
        .value_kind:     hidden_block_count_y
      - .offset:         168
        .size:           4
        .value_kind:     hidden_block_count_z
      - .offset:         172
        .size:           2
        .value_kind:     hidden_group_size_x
      - .offset:         174
        .size:           2
        .value_kind:     hidden_group_size_y
      - .offset:         176
        .size:           2
        .value_kind:     hidden_group_size_z
      - .offset:         178
        .size:           2
        .value_kind:     hidden_remainder_x
      - .offset:         180
        .size:           2
        .value_kind:     hidden_remainder_y
      - .offset:         182
        .size:           2
        .value_kind:     hidden_remainder_z
      - .offset:         200
        .size:           8
        .value_kind:     hidden_global_offset_x
      - .offset:         208
        .size:           8
        .value_kind:     hidden_global_offset_y
      - .offset:         216
        .size:           8
        .value_kind:     hidden_global_offset_z
      - .offset:         224
        .size:           2
        .value_kind:     hidden_grid_dims
    .group_segment_fixed_size: 4096
    .kernarg_segment_align: 8
    .kernarg_segment_size: 416
    .language:       OpenCL C
    .language_version:
      - 2
      - 0
    .max_flat_workgroup_size: 256
    .name:           _ZL20rocblas_gemvn_kernelILi64ELi4El19rocblas_complex_numIdES1_S1_EviiT3_lPKT2_lT1_lS5_lS6_lS2_lPT4_lS6_li
    .private_segment_fixed_size: 0
    .sgpr_count:     56
    .sgpr_spill_count: 0
    .symbol:         _ZL20rocblas_gemvn_kernelILi64ELi4El19rocblas_complex_numIdES1_S1_EviiT3_lPKT2_lT1_lS5_lS6_lS2_lPT4_lS6_li.kd
    .uniform_work_group_size: 1
    .uses_dynamic_stack: false
    .vgpr_count:     32
    .vgpr_spill_count: 0
    .wavefront_size: 32
  - .args:
      - .offset:         0
        .size:           4
        .value_kind:     by_value
      - .offset:         4
        .size:           4
        .value_kind:     by_value
      - .address_space:  global
        .offset:         8
        .size:           8
        .value_kind:     global_buffer
      - .offset:         16
        .size:           8
        .value_kind:     by_value
      - .address_space:  global
        .offset:         24
        .size:           8
        .value_kind:     global_buffer
      - .offset:         32
        .size:           8
        .value_kind:     by_value
      - .offset:         40
        .size:           4
        .value_kind:     by_value
      - .offset:         48
        .size:           8
        .value_kind:     by_value
      - .address_space:  global
        .offset:         56
        .size:           8
        .value_kind:     global_buffer
      - .offset:         64
        .size:           8
        .value_kind:     by_value
      - .offset:         72
        .size:           4
        .value_kind:     by_value
      - .offset:         80
        .size:           8
        .value_kind:     by_value
      - .address_space:  global
        .offset:         88
        .size:           8
        .value_kind:     global_buffer
      - .offset:         96
        .size:           8
        .value_kind:     by_value
      - .address_space:  global
        .offset:         104
        .size:           8
        .value_kind:     global_buffer
      - .offset:         112
        .size:           8
        .value_kind:     by_value
      - .offset:         120
        .size:           4
        .value_kind:     by_value
      - .offset:         128
        .size:           8
        .value_kind:     by_value
      - .offset:         136
        .size:           4
        .value_kind:     by_value
      - .offset:         144
        .size:           4
        .value_kind:     hidden_block_count_x
      - .offset:         148
        .size:           4
        .value_kind:     hidden_block_count_y
      - .offset:         152
        .size:           4
        .value_kind:     hidden_block_count_z
      - .offset:         156
        .size:           2
        .value_kind:     hidden_group_size_x
      - .offset:         158
        .size:           2
        .value_kind:     hidden_group_size_y
      - .offset:         160
        .size:           2
        .value_kind:     hidden_group_size_z
      - .offset:         162
        .size:           2
        .value_kind:     hidden_remainder_x
      - .offset:         164
        .size:           2
        .value_kind:     hidden_remainder_y
      - .offset:         166
        .size:           2
        .value_kind:     hidden_remainder_z
      - .offset:         184
        .size:           8
        .value_kind:     hidden_global_offset_x
      - .offset:         192
        .size:           8
        .value_kind:     hidden_global_offset_y
      - .offset:         200
        .size:           8
        .value_kind:     hidden_global_offset_z
      - .offset:         208
        .size:           2
        .value_kind:     hidden_grid_dims
    .group_segment_fixed_size: 8192
    .kernarg_segment_align: 8
    .kernarg_segment_size: 400
    .language:       OpenCL C
    .language_version:
      - 2
      - 0
    .max_flat_workgroup_size: 512
    .name:           _ZL20rocblas_gemvn_kernelILi32ELi16Ei19rocblas_complex_numIdEPKS1_S1_EviiT3_lPKT2_lT1_lS7_lS8_lS4_lPT4_lS8_li
    .private_segment_fixed_size: 0
    .sgpr_count:     48
    .sgpr_spill_count: 0
    .symbol:         _ZL20rocblas_gemvn_kernelILi32ELi16Ei19rocblas_complex_numIdEPKS1_S1_EviiT3_lPKT2_lT1_lS7_lS8_lS4_lPT4_lS8_li.kd
    .uniform_work_group_size: 1
    .uses_dynamic_stack: false
    .vgpr_count:     36
    .vgpr_spill_count: 0
    .wavefront_size: 32
  - .args:
      - .offset:         0
        .size:           4
        .value_kind:     by_value
      - .offset:         4
        .size:           4
        .value_kind:     by_value
      - .address_space:  global
        .offset:         8
        .size:           8
        .value_kind:     global_buffer
      - .offset:         16
        .size:           8
        .value_kind:     by_value
      - .address_space:  global
        .offset:         24
        .size:           8
        .value_kind:     global_buffer
      - .offset:         32
        .size:           8
        .value_kind:     by_value
      - .offset:         40
        .size:           8
        .value_kind:     by_value
      - .offset:         48
        .size:           8
        .value_kind:     by_value
      - .address_space:  global
        .offset:         56
        .size:           8
        .value_kind:     global_buffer
      - .offset:         64
        .size:           8
        .value_kind:     by_value
      - .offset:         72
        .size:           8
        .value_kind:     by_value
      - .offset:         80
        .size:           8
        .value_kind:     by_value
      - .address_space:  global
        .offset:         88
        .size:           8
        .value_kind:     global_buffer
      - .offset:         96
        .size:           8
        .value_kind:     by_value
      - .address_space:  global
        .offset:         104
        .size:           8
        .value_kind:     global_buffer
      - .offset:         112
        .size:           8
        .value_kind:     by_value
      - .offset:         120
        .size:           8
        .value_kind:     by_value
      - .offset:         128
        .size:           8
        .value_kind:     by_value
      - .offset:         136
        .size:           4
        .value_kind:     by_value
      - .offset:         144
        .size:           4
        .value_kind:     hidden_block_count_x
      - .offset:         148
        .size:           4
        .value_kind:     hidden_block_count_y
      - .offset:         152
        .size:           4
        .value_kind:     hidden_block_count_z
      - .offset:         156
        .size:           2
        .value_kind:     hidden_group_size_x
      - .offset:         158
        .size:           2
        .value_kind:     hidden_group_size_y
      - .offset:         160
        .size:           2
        .value_kind:     hidden_group_size_z
      - .offset:         162
        .size:           2
        .value_kind:     hidden_remainder_x
      - .offset:         164
        .size:           2
        .value_kind:     hidden_remainder_y
      - .offset:         166
        .size:           2
        .value_kind:     hidden_remainder_z
      - .offset:         184
        .size:           8
        .value_kind:     hidden_global_offset_x
      - .offset:         192
        .size:           8
        .value_kind:     hidden_global_offset_y
      - .offset:         200
        .size:           8
        .value_kind:     hidden_global_offset_z
      - .offset:         208
        .size:           2
        .value_kind:     hidden_grid_dims
    .group_segment_fixed_size: 8192
    .kernarg_segment_align: 8
    .kernarg_segment_size: 400
    .language:       OpenCL C
    .language_version:
      - 2
      - 0
    .max_flat_workgroup_size: 512
    .name:           _ZL20rocblas_gemvn_kernelILi32ELi16El19rocblas_complex_numIdEPKS1_S1_EviiT3_lPKT2_lT1_lS7_lS8_lS4_lPT4_lS8_li
    .private_segment_fixed_size: 0
    .sgpr_count:     54
    .sgpr_spill_count: 0
    .symbol:         _ZL20rocblas_gemvn_kernelILi32ELi16El19rocblas_complex_numIdEPKS1_S1_EviiT3_lPKT2_lT1_lS7_lS8_lS4_lPT4_lS8_li.kd
    .uniform_work_group_size: 1
    .uses_dynamic_stack: false
    .vgpr_count:     40
    .vgpr_spill_count: 0
    .wavefront_size: 32
  - .args:
      - .offset:         0
        .size:           4
        .value_kind:     by_value
      - .offset:         4
        .size:           4
        .value_kind:     by_value
      - .offset:         8
        .size:           16
        .value_kind:     by_value
      - .offset:         24
        .size:           8
        .value_kind:     by_value
      - .address_space:  global
        .offset:         32
        .size:           8
        .value_kind:     global_buffer
      - .offset:         40
        .size:           8
        .value_kind:     by_value
      - .offset:         48
        .size:           4
        .value_kind:     by_value
      - .offset:         56
        .size:           8
        .value_kind:     by_value
      - .address_space:  global
        .offset:         64
        .size:           8
        .value_kind:     global_buffer
      - .offset:         72
        .size:           8
        .value_kind:     by_value
      - .offset:         80
        .size:           4
        .value_kind:     by_value
      - .offset:         88
        .size:           8
        .value_kind:     by_value
      - .offset:         96
        .size:           16
        .value_kind:     by_value
      - .offset:         112
        .size:           8
        .value_kind:     by_value
      - .address_space:  global
        .offset:         120
        .size:           8
        .value_kind:     global_buffer
      - .offset:         128
        .size:           8
        .value_kind:     by_value
      - .offset:         136
        .size:           4
        .value_kind:     by_value
      - .offset:         144
        .size:           8
        .value_kind:     by_value
      - .offset:         152
        .size:           4
        .value_kind:     by_value
      - .offset:         160
        .size:           4
        .value_kind:     hidden_block_count_x
      - .offset:         164
        .size:           4
        .value_kind:     hidden_block_count_y
      - .offset:         168
        .size:           4
        .value_kind:     hidden_block_count_z
      - .offset:         172
        .size:           2
        .value_kind:     hidden_group_size_x
      - .offset:         174
        .size:           2
        .value_kind:     hidden_group_size_y
      - .offset:         176
        .size:           2
        .value_kind:     hidden_group_size_z
      - .offset:         178
        .size:           2
        .value_kind:     hidden_remainder_x
      - .offset:         180
        .size:           2
        .value_kind:     hidden_remainder_y
      - .offset:         182
        .size:           2
        .value_kind:     hidden_remainder_z
      - .offset:         200
        .size:           8
        .value_kind:     hidden_global_offset_x
      - .offset:         208
        .size:           8
        .value_kind:     hidden_global_offset_y
      - .offset:         216
        .size:           8
        .value_kind:     hidden_global_offset_z
      - .offset:         224
        .size:           2
        .value_kind:     hidden_grid_dims
    .group_segment_fixed_size: 8192
    .kernarg_segment_align: 8
    .kernarg_segment_size: 416
    .language:       OpenCL C
    .language_version:
      - 2
      - 0
    .max_flat_workgroup_size: 512
    .name:           _ZL20rocblas_gemvn_kernelILi32ELi16Ei19rocblas_complex_numIdES1_S1_EviiT3_lPKT2_lT1_lS5_lS6_lS2_lPT4_lS6_li
    .private_segment_fixed_size: 0
    .sgpr_count:     51
    .sgpr_spill_count: 0
    .symbol:         _ZL20rocblas_gemvn_kernelILi32ELi16Ei19rocblas_complex_numIdES1_S1_EviiT3_lPKT2_lT1_lS5_lS6_lS2_lPT4_lS6_li.kd
    .uniform_work_group_size: 1
    .uses_dynamic_stack: false
    .vgpr_count:     26
    .vgpr_spill_count: 0
    .wavefront_size: 32
  - .args:
      - .offset:         0
        .size:           4
        .value_kind:     by_value
      - .offset:         4
        .size:           4
        .value_kind:     by_value
      - .offset:         8
        .size:           16
        .value_kind:     by_value
      - .offset:         24
        .size:           8
        .value_kind:     by_value
      - .address_space:  global
        .offset:         32
        .size:           8
        .value_kind:     global_buffer
      - .offset:         40
        .size:           8
        .value_kind:     by_value
      - .offset:         48
        .size:           8
        .value_kind:     by_value
      - .offset:         56
        .size:           8
        .value_kind:     by_value
      - .address_space:  global
        .offset:         64
        .size:           8
        .value_kind:     global_buffer
      - .offset:         72
        .size:           8
        .value_kind:     by_value
      - .offset:         80
        .size:           8
        .value_kind:     by_value
      - .offset:         88
        .size:           8
        .value_kind:     by_value
      - .offset:         96
        .size:           16
        .value_kind:     by_value
      - .offset:         112
        .size:           8
        .value_kind:     by_value
      - .address_space:  global
        .offset:         120
        .size:           8
        .value_kind:     global_buffer
      - .offset:         128
        .size:           8
        .value_kind:     by_value
      - .offset:         136
        .size:           8
        .value_kind:     by_value
      - .offset:         144
        .size:           8
        .value_kind:     by_value
      - .offset:         152
        .size:           4
        .value_kind:     by_value
      - .offset:         160
        .size:           4
        .value_kind:     hidden_block_count_x
      - .offset:         164
        .size:           4
        .value_kind:     hidden_block_count_y
      - .offset:         168
        .size:           4
        .value_kind:     hidden_block_count_z
      - .offset:         172
        .size:           2
        .value_kind:     hidden_group_size_x
      - .offset:         174
        .size:           2
        .value_kind:     hidden_group_size_y
      - .offset:         176
        .size:           2
        .value_kind:     hidden_group_size_z
      - .offset:         178
        .size:           2
        .value_kind:     hidden_remainder_x
      - .offset:         180
        .size:           2
        .value_kind:     hidden_remainder_y
      - .offset:         182
        .size:           2
        .value_kind:     hidden_remainder_z
      - .offset:         200
        .size:           8
        .value_kind:     hidden_global_offset_x
      - .offset:         208
        .size:           8
        .value_kind:     hidden_global_offset_y
      - .offset:         216
        .size:           8
        .value_kind:     hidden_global_offset_z
      - .offset:         224
        .size:           2
        .value_kind:     hidden_grid_dims
    .group_segment_fixed_size: 8192
    .kernarg_segment_align: 8
    .kernarg_segment_size: 416
    .language:       OpenCL C
    .language_version:
      - 2
      - 0
    .max_flat_workgroup_size: 512
    .name:           _ZL20rocblas_gemvn_kernelILi32ELi16El19rocblas_complex_numIdES1_S1_EviiT3_lPKT2_lT1_lS5_lS6_lS2_lPT4_lS6_li
    .private_segment_fixed_size: 0
    .sgpr_count:     56
    .sgpr_spill_count: 0
    .symbol:         _ZL20rocblas_gemvn_kernelILi32ELi16El19rocblas_complex_numIdES1_S1_EviiT3_lPKT2_lT1_lS5_lS6_lS2_lPT4_lS6_li.kd
    .uniform_work_group_size: 1
    .uses_dynamic_stack: false
    .vgpr_count:     32
    .vgpr_spill_count: 0
    .wavefront_size: 32
  - .args:
      - .offset:         0
        .size:           4
        .value_kind:     by_value
      - .offset:         4
        .size:           4
        .value_kind:     by_value
      - .address_space:  global
        .offset:         8
        .size:           8
        .value_kind:     global_buffer
      - .offset:         16
        .size:           8
        .value_kind:     by_value
      - .address_space:  global
        .offset:         24
        .size:           8
        .value_kind:     global_buffer
      - .offset:         32
        .size:           8
        .value_kind:     by_value
      - .offset:         40
        .size:           4
        .value_kind:     by_value
      - .offset:         48
        .size:           8
        .value_kind:     by_value
      - .address_space:  global
        .offset:         56
        .size:           8
        .value_kind:     global_buffer
      - .offset:         64
        .size:           8
        .value_kind:     by_value
      - .offset:         72
        .size:           4
        .value_kind:     by_value
      - .offset:         80
        .size:           8
        .value_kind:     by_value
      - .address_space:  global
        .offset:         88
        .size:           8
        .value_kind:     global_buffer
      - .offset:         96
        .size:           8
        .value_kind:     by_value
      - .address_space:  global
        .offset:         104
        .size:           8
        .value_kind:     global_buffer
      - .offset:         112
        .size:           8
        .value_kind:     by_value
      - .offset:         120
        .size:           4
        .value_kind:     by_value
      - .offset:         128
        .size:           8
        .value_kind:     by_value
      - .offset:         136
        .size:           4
        .value_kind:     by_value
      - .offset:         144
        .size:           4
        .value_kind:     hidden_block_count_x
      - .offset:         148
        .size:           4
        .value_kind:     hidden_block_count_y
      - .offset:         152
        .size:           4
        .value_kind:     hidden_block_count_z
      - .offset:         156
        .size:           2
        .value_kind:     hidden_group_size_x
      - .offset:         158
        .size:           2
        .value_kind:     hidden_group_size_y
      - .offset:         160
        .size:           2
        .value_kind:     hidden_group_size_z
      - .offset:         162
        .size:           2
        .value_kind:     hidden_remainder_x
      - .offset:         164
        .size:           2
        .value_kind:     hidden_remainder_y
      - .offset:         166
        .size:           2
        .value_kind:     hidden_remainder_z
      - .offset:         184
        .size:           8
        .value_kind:     hidden_global_offset_x
      - .offset:         192
        .size:           8
        .value_kind:     hidden_global_offset_y
      - .offset:         200
        .size:           8
        .value_kind:     hidden_global_offset_z
      - .offset:         208
        .size:           2
        .value_kind:     hidden_grid_dims
    .group_segment_fixed_size: 16384
    .kernarg_segment_align: 8
    .kernarg_segment_size: 400
    .language:       OpenCL C
    .language_version:
      - 2
      - 0
    .max_flat_workgroup_size: 1024
    .name:           _ZL20rocblas_gemvn_kernelILi64ELi16Ei19rocblas_complex_numIdEPKS1_S1_EviiT3_lPKT2_lT1_lS7_lS8_lS4_lPT4_lS8_li
    .private_segment_fixed_size: 0
    .sgpr_count:     48
    .sgpr_spill_count: 0
    .symbol:         _ZL20rocblas_gemvn_kernelILi64ELi16Ei19rocblas_complex_numIdEPKS1_S1_EviiT3_lPKT2_lT1_lS7_lS8_lS4_lPT4_lS8_li.kd
    .uniform_work_group_size: 1
    .uses_dynamic_stack: false
    .vgpr_count:     36
    .vgpr_spill_count: 0
    .wavefront_size: 32
  - .args:
      - .offset:         0
        .size:           4
        .value_kind:     by_value
      - .offset:         4
        .size:           4
        .value_kind:     by_value
      - .address_space:  global
        .offset:         8
        .size:           8
        .value_kind:     global_buffer
      - .offset:         16
        .size:           8
        .value_kind:     by_value
      - .address_space:  global
        .offset:         24
        .size:           8
        .value_kind:     global_buffer
      - .offset:         32
        .size:           8
        .value_kind:     by_value
      - .offset:         40
        .size:           8
        .value_kind:     by_value
      - .offset:         48
        .size:           8
        .value_kind:     by_value
      - .address_space:  global
        .offset:         56
        .size:           8
        .value_kind:     global_buffer
      - .offset:         64
        .size:           8
        .value_kind:     by_value
      - .offset:         72
        .size:           8
        .value_kind:     by_value
      - .offset:         80
        .size:           8
        .value_kind:     by_value
      - .address_space:  global
        .offset:         88
        .size:           8
        .value_kind:     global_buffer
      - .offset:         96
        .size:           8
        .value_kind:     by_value
      - .address_space:  global
        .offset:         104
        .size:           8
        .value_kind:     global_buffer
      - .offset:         112
        .size:           8
        .value_kind:     by_value
      - .offset:         120
        .size:           8
        .value_kind:     by_value
      - .offset:         128
        .size:           8
        .value_kind:     by_value
      - .offset:         136
        .size:           4
        .value_kind:     by_value
      - .offset:         144
        .size:           4
        .value_kind:     hidden_block_count_x
      - .offset:         148
        .size:           4
        .value_kind:     hidden_block_count_y
      - .offset:         152
        .size:           4
        .value_kind:     hidden_block_count_z
      - .offset:         156
        .size:           2
        .value_kind:     hidden_group_size_x
      - .offset:         158
        .size:           2
        .value_kind:     hidden_group_size_y
      - .offset:         160
        .size:           2
        .value_kind:     hidden_group_size_z
      - .offset:         162
        .size:           2
        .value_kind:     hidden_remainder_x
      - .offset:         164
        .size:           2
        .value_kind:     hidden_remainder_y
      - .offset:         166
        .size:           2
        .value_kind:     hidden_remainder_z
      - .offset:         184
        .size:           8
        .value_kind:     hidden_global_offset_x
      - .offset:         192
        .size:           8
        .value_kind:     hidden_global_offset_y
      - .offset:         200
        .size:           8
        .value_kind:     hidden_global_offset_z
      - .offset:         208
        .size:           2
        .value_kind:     hidden_grid_dims
    .group_segment_fixed_size: 16384
    .kernarg_segment_align: 8
    .kernarg_segment_size: 400
    .language:       OpenCL C
    .language_version:
      - 2
      - 0
    .max_flat_workgroup_size: 1024
    .name:           _ZL20rocblas_gemvn_kernelILi64ELi16El19rocblas_complex_numIdEPKS1_S1_EviiT3_lPKT2_lT1_lS7_lS8_lS4_lPT4_lS8_li
    .private_segment_fixed_size: 0
    .sgpr_count:     54
    .sgpr_spill_count: 0
    .symbol:         _ZL20rocblas_gemvn_kernelILi64ELi16El19rocblas_complex_numIdEPKS1_S1_EviiT3_lPKT2_lT1_lS7_lS8_lS4_lPT4_lS8_li.kd
    .uniform_work_group_size: 1
    .uses_dynamic_stack: false
    .vgpr_count:     40
    .vgpr_spill_count: 0
    .wavefront_size: 32
  - .args:
      - .offset:         0
        .size:           4
        .value_kind:     by_value
      - .offset:         4
        .size:           4
        .value_kind:     by_value
      - .offset:         8
        .size:           16
        .value_kind:     by_value
      - .offset:         24
        .size:           8
        .value_kind:     by_value
      - .address_space:  global
        .offset:         32
        .size:           8
        .value_kind:     global_buffer
      - .offset:         40
        .size:           8
        .value_kind:     by_value
      - .offset:         48
        .size:           4
        .value_kind:     by_value
      - .offset:         56
        .size:           8
        .value_kind:     by_value
      - .address_space:  global
        .offset:         64
        .size:           8
        .value_kind:     global_buffer
      - .offset:         72
        .size:           8
        .value_kind:     by_value
      - .offset:         80
        .size:           4
        .value_kind:     by_value
      - .offset:         88
        .size:           8
        .value_kind:     by_value
      - .offset:         96
        .size:           16
        .value_kind:     by_value
      - .offset:         112
        .size:           8
        .value_kind:     by_value
      - .address_space:  global
        .offset:         120
        .size:           8
        .value_kind:     global_buffer
      - .offset:         128
        .size:           8
        .value_kind:     by_value
      - .offset:         136
        .size:           4
        .value_kind:     by_value
      - .offset:         144
        .size:           8
        .value_kind:     by_value
      - .offset:         152
        .size:           4
        .value_kind:     by_value
      - .offset:         160
        .size:           4
        .value_kind:     hidden_block_count_x
      - .offset:         164
        .size:           4
        .value_kind:     hidden_block_count_y
      - .offset:         168
        .size:           4
        .value_kind:     hidden_block_count_z
      - .offset:         172
        .size:           2
        .value_kind:     hidden_group_size_x
      - .offset:         174
        .size:           2
        .value_kind:     hidden_group_size_y
      - .offset:         176
        .size:           2
        .value_kind:     hidden_group_size_z
      - .offset:         178
        .size:           2
        .value_kind:     hidden_remainder_x
      - .offset:         180
        .size:           2
        .value_kind:     hidden_remainder_y
      - .offset:         182
        .size:           2
        .value_kind:     hidden_remainder_z
      - .offset:         200
        .size:           8
        .value_kind:     hidden_global_offset_x
      - .offset:         208
        .size:           8
        .value_kind:     hidden_global_offset_y
      - .offset:         216
        .size:           8
        .value_kind:     hidden_global_offset_z
      - .offset:         224
        .size:           2
        .value_kind:     hidden_grid_dims
    .group_segment_fixed_size: 16384
    .kernarg_segment_align: 8
    .kernarg_segment_size: 416
    .language:       OpenCL C
    .language_version:
      - 2
      - 0
    .max_flat_workgroup_size: 1024
    .name:           _ZL20rocblas_gemvn_kernelILi64ELi16Ei19rocblas_complex_numIdES1_S1_EviiT3_lPKT2_lT1_lS5_lS6_lS2_lPT4_lS6_li
    .private_segment_fixed_size: 0
    .sgpr_count:     51
    .sgpr_spill_count: 0
    .symbol:         _ZL20rocblas_gemvn_kernelILi64ELi16Ei19rocblas_complex_numIdES1_S1_EviiT3_lPKT2_lT1_lS5_lS6_lS2_lPT4_lS6_li.kd
    .uniform_work_group_size: 1
    .uses_dynamic_stack: false
    .vgpr_count:     26
    .vgpr_spill_count: 0
    .wavefront_size: 32
  - .args:
      - .offset:         0
        .size:           4
        .value_kind:     by_value
      - .offset:         4
        .size:           4
        .value_kind:     by_value
      - .offset:         8
        .size:           16
        .value_kind:     by_value
      - .offset:         24
        .size:           8
        .value_kind:     by_value
      - .address_space:  global
        .offset:         32
        .size:           8
        .value_kind:     global_buffer
      - .offset:         40
        .size:           8
        .value_kind:     by_value
      - .offset:         48
        .size:           8
        .value_kind:     by_value
      - .offset:         56
        .size:           8
        .value_kind:     by_value
      - .address_space:  global
        .offset:         64
        .size:           8
        .value_kind:     global_buffer
      - .offset:         72
        .size:           8
        .value_kind:     by_value
      - .offset:         80
        .size:           8
        .value_kind:     by_value
      - .offset:         88
        .size:           8
        .value_kind:     by_value
      - .offset:         96
        .size:           16
        .value_kind:     by_value
      - .offset:         112
        .size:           8
        .value_kind:     by_value
      - .address_space:  global
        .offset:         120
        .size:           8
        .value_kind:     global_buffer
      - .offset:         128
        .size:           8
        .value_kind:     by_value
      - .offset:         136
        .size:           8
        .value_kind:     by_value
      - .offset:         144
        .size:           8
        .value_kind:     by_value
      - .offset:         152
        .size:           4
        .value_kind:     by_value
      - .offset:         160
        .size:           4
        .value_kind:     hidden_block_count_x
      - .offset:         164
        .size:           4
        .value_kind:     hidden_block_count_y
      - .offset:         168
        .size:           4
        .value_kind:     hidden_block_count_z
      - .offset:         172
        .size:           2
        .value_kind:     hidden_group_size_x
      - .offset:         174
        .size:           2
        .value_kind:     hidden_group_size_y
      - .offset:         176
        .size:           2
        .value_kind:     hidden_group_size_z
      - .offset:         178
        .size:           2
        .value_kind:     hidden_remainder_x
      - .offset:         180
        .size:           2
        .value_kind:     hidden_remainder_y
      - .offset:         182
        .size:           2
        .value_kind:     hidden_remainder_z
      - .offset:         200
        .size:           8
        .value_kind:     hidden_global_offset_x
      - .offset:         208
        .size:           8
        .value_kind:     hidden_global_offset_y
      - .offset:         216
        .size:           8
        .value_kind:     hidden_global_offset_z
      - .offset:         224
        .size:           2
        .value_kind:     hidden_grid_dims
    .group_segment_fixed_size: 16384
    .kernarg_segment_align: 8
    .kernarg_segment_size: 416
    .language:       OpenCL C
    .language_version:
      - 2
      - 0
    .max_flat_workgroup_size: 1024
    .name:           _ZL20rocblas_gemvn_kernelILi64ELi16El19rocblas_complex_numIdES1_S1_EviiT3_lPKT2_lT1_lS5_lS6_lS2_lPT4_lS6_li
    .private_segment_fixed_size: 0
    .sgpr_count:     56
    .sgpr_spill_count: 0
    .symbol:         _ZL20rocblas_gemvn_kernelILi64ELi16El19rocblas_complex_numIdES1_S1_EviiT3_lPKT2_lT1_lS5_lS6_lS2_lPT4_lS6_li.kd
    .uniform_work_group_size: 1
    .uses_dynamic_stack: false
    .vgpr_count:     32
    .vgpr_spill_count: 0
    .wavefront_size: 32
  - .args:
      - .offset:         0
        .size:           4
        .value_kind:     by_value
      - .offset:         4
        .size:           4
        .value_kind:     by_value
      - .address_space:  global
        .offset:         8
        .size:           8
        .value_kind:     global_buffer
      - .offset:         16
        .size:           8
        .value_kind:     by_value
      - .address_space:  global
        .offset:         24
        .size:           8
        .value_kind:     global_buffer
      - .offset:         32
        .size:           8
        .value_kind:     by_value
      - .offset:         40
        .size:           4
        .value_kind:     by_value
      - .offset:         48
        .size:           8
        .value_kind:     by_value
      - .address_space:  global
        .offset:         56
        .size:           8
        .value_kind:     global_buffer
      - .offset:         64
        .size:           8
        .value_kind:     by_value
      - .offset:         72
        .size:           4
        .value_kind:     by_value
      - .offset:         80
        .size:           8
        .value_kind:     by_value
      - .address_space:  global
        .offset:         88
        .size:           8
        .value_kind:     global_buffer
      - .offset:         96
        .size:           8
        .value_kind:     by_value
      - .address_space:  global
        .offset:         104
        .size:           8
        .value_kind:     global_buffer
      - .offset:         112
        .size:           8
        .value_kind:     by_value
      - .offset:         120
        .size:           4
        .value_kind:     by_value
      - .offset:         128
        .size:           8
        .value_kind:     by_value
    .group_segment_fixed_size: 1024
    .kernarg_segment_align: 8
    .kernarg_segment_size: 136
    .language:       OpenCL C
    .language_version:
      - 2
      - 0
    .max_flat_workgroup_size: 256
    .name:           _ZL22rocblas_gemvtsm_kernelILb0ELi256E19rocblas_complex_numIdEPKS1_S1_EviiT2_lPKT1_lilS7_lilS4_lPT3_lil
    .private_segment_fixed_size: 0
    .sgpr_count:     40
    .sgpr_spill_count: 0
    .symbol:         _ZL22rocblas_gemvtsm_kernelILb0ELi256E19rocblas_complex_numIdEPKS1_S1_EviiT2_lPKT1_lilS7_lilS4_lPT3_lil.kd
    .uniform_work_group_size: 1
    .uses_dynamic_stack: false
    .vgpr_count:     66
    .vgpr_spill_count: 0
    .wavefront_size: 32
  - .args:
      - .offset:         0
        .size:           4
        .value_kind:     by_value
      - .offset:         4
        .size:           4
        .value_kind:     by_value
      - .offset:         8
        .size:           16
        .value_kind:     by_value
      - .offset:         24
        .size:           8
        .value_kind:     by_value
      - .address_space:  global
        .offset:         32
        .size:           8
        .value_kind:     global_buffer
      - .offset:         40
        .size:           8
        .value_kind:     by_value
      - .offset:         48
        .size:           4
        .value_kind:     by_value
      - .offset:         56
        .size:           8
        .value_kind:     by_value
      - .address_space:  global
        .offset:         64
        .size:           8
        .value_kind:     global_buffer
      - .offset:         72
        .size:           8
        .value_kind:     by_value
      - .offset:         80
        .size:           4
        .value_kind:     by_value
      - .offset:         88
        .size:           8
        .value_kind:     by_value
      - .offset:         96
        .size:           16
        .value_kind:     by_value
      - .offset:         112
        .size:           8
        .value_kind:     by_value
      - .address_space:  global
        .offset:         120
        .size:           8
        .value_kind:     global_buffer
      - .offset:         128
        .size:           8
        .value_kind:     by_value
      - .offset:         136
        .size:           4
        .value_kind:     by_value
      - .offset:         144
        .size:           8
        .value_kind:     by_value
    .group_segment_fixed_size: 1024
    .kernarg_segment_align: 8
    .kernarg_segment_size: 152
    .language:       OpenCL C
    .language_version:
      - 2
      - 0
    .max_flat_workgroup_size: 256
    .name:           _ZL22rocblas_gemvtsm_kernelILb0ELi256E19rocblas_complex_numIdES1_S1_EviiT2_lPKT1_lilS5_lilS2_lPT3_lil
    .private_segment_fixed_size: 0
    .sgpr_count:     34
    .sgpr_spill_count: 0
    .symbol:         _ZL22rocblas_gemvtsm_kernelILb0ELi256E19rocblas_complex_numIdES1_S1_EviiT2_lPKT1_lilS5_lilS2_lPT3_lil.kd
    .uniform_work_group_size: 1
    .uses_dynamic_stack: false
    .vgpr_count:     66
    .vgpr_spill_count: 0
    .wavefront_size: 32
  - .args:
      - .offset:         0
        .size:           4
        .value_kind:     by_value
      - .offset:         4
        .size:           4
        .value_kind:     by_value
      - .address_space:  global
        .offset:         8
        .size:           8
        .value_kind:     global_buffer
      - .offset:         16
        .size:           8
        .value_kind:     by_value
      - .address_space:  global
        .offset:         24
        .size:           8
        .value_kind:     global_buffer
      - .offset:         32
        .size:           8
        .value_kind:     by_value
      - .offset:         40
        .size:           4
        .value_kind:     by_value
      - .offset:         48
        .size:           8
        .value_kind:     by_value
      - .address_space:  global
        .offset:         56
        .size:           8
        .value_kind:     global_buffer
      - .offset:         64
        .size:           8
        .value_kind:     by_value
      - .offset:         72
        .size:           4
        .value_kind:     by_value
      - .offset:         80
        .size:           8
        .value_kind:     by_value
      - .address_space:  global
        .offset:         88
        .size:           8
        .value_kind:     global_buffer
      - .offset:         96
        .size:           4
        .value_kind:     by_value
      - .offset:         104
        .size:           4
        .value_kind:     hidden_block_count_x
      - .offset:         108
        .size:           4
        .value_kind:     hidden_block_count_y
      - .offset:         112
        .size:           4
        .value_kind:     hidden_block_count_z
      - .offset:         116
        .size:           2
        .value_kind:     hidden_group_size_x
      - .offset:         118
        .size:           2
        .value_kind:     hidden_group_size_y
      - .offset:         120
        .size:           2
        .value_kind:     hidden_group_size_z
      - .offset:         122
        .size:           2
        .value_kind:     hidden_remainder_x
      - .offset:         124
        .size:           2
        .value_kind:     hidden_remainder_y
      - .offset:         126
        .size:           2
        .value_kind:     hidden_remainder_z
      - .offset:         144
        .size:           8
        .value_kind:     hidden_global_offset_x
      - .offset:         152
        .size:           8
        .value_kind:     hidden_global_offset_y
      - .offset:         160
        .size:           8
        .value_kind:     hidden_global_offset_z
      - .offset:         168
        .size:           2
        .value_kind:     hidden_grid_dims
    .group_segment_fixed_size: 512
    .kernarg_segment_align: 8
    .kernarg_segment_size: 360
    .language:       OpenCL C
    .language_version:
      - 2
      - 0
    .max_flat_workgroup_size: 256
    .name:           _ZL23rocblas_gemvt_sn_kernelILb0ELi256ELi4Ei19rocblas_complex_numIdEPKS1_S1_EviiT4_lPKT3_lilS7_lilPT5_i
    .private_segment_fixed_size: 80
    .sgpr_count:     74
    .sgpr_spill_count: 0
    .symbol:         _ZL23rocblas_gemvt_sn_kernelILb0ELi256ELi4Ei19rocblas_complex_numIdEPKS1_S1_EviiT4_lPKT3_lilS7_lilPT5_i.kd
    .uniform_work_group_size: 1
    .uses_dynamic_stack: false
    .vgpr_count:     114
    .vgpr_spill_count: 0
    .wavefront_size: 32
  - .args:
      - .offset:         0
        .size:           4
        .value_kind:     by_value
      - .offset:         4
        .size:           4
        .value_kind:     by_value
      - .address_space:  global
        .offset:         8
        .size:           8
        .value_kind:     global_buffer
      - .offset:         16
        .size:           8
        .value_kind:     by_value
      - .address_space:  global
        .offset:         24
        .size:           8
        .value_kind:     global_buffer
      - .offset:         32
        .size:           8
        .value_kind:     by_value
      - .offset:         40
        .size:           4
        .value_kind:     by_value
      - .offset:         48
        .size:           8
        .value_kind:     by_value
      - .address_space:  global
        .offset:         56
        .size:           8
        .value_kind:     global_buffer
      - .offset:         64
        .size:           8
        .value_kind:     by_value
      - .offset:         72
        .size:           4
        .value_kind:     by_value
      - .offset:         80
        .size:           8
        .value_kind:     by_value
      - .address_space:  global
        .offset:         88
        .size:           8
        .value_kind:     global_buffer
      - .offset:         96
        .size:           4
        .value_kind:     by_value
      - .offset:         104
        .size:           4
        .value_kind:     hidden_block_count_x
      - .offset:         108
        .size:           4
        .value_kind:     hidden_block_count_y
      - .offset:         112
        .size:           4
        .value_kind:     hidden_block_count_z
      - .offset:         116
        .size:           2
        .value_kind:     hidden_group_size_x
      - .offset:         118
        .size:           2
        .value_kind:     hidden_group_size_y
      - .offset:         120
        .size:           2
        .value_kind:     hidden_group_size_z
      - .offset:         122
        .size:           2
        .value_kind:     hidden_remainder_x
      - .offset:         124
        .size:           2
        .value_kind:     hidden_remainder_y
      - .offset:         126
        .size:           2
        .value_kind:     hidden_remainder_z
      - .offset:         144
        .size:           8
        .value_kind:     hidden_global_offset_x
      - .offset:         152
        .size:           8
        .value_kind:     hidden_global_offset_y
      - .offset:         160
        .size:           8
        .value_kind:     hidden_global_offset_z
      - .offset:         168
        .size:           2
        .value_kind:     hidden_grid_dims
    .group_segment_fixed_size: 512
    .kernarg_segment_align: 8
    .kernarg_segment_size: 360
    .language:       OpenCL C
    .language_version:
      - 2
      - 0
    .max_flat_workgroup_size: 256
    .name:           _ZL23rocblas_gemvt_sn_kernelILb0ELi256ELi4El19rocblas_complex_numIdEPKS1_S1_EviiT4_lPKT3_lilS7_lilPT5_i
    .private_segment_fixed_size: 80
    .sgpr_count:     76
    .sgpr_spill_count: 0
    .symbol:         _ZL23rocblas_gemvt_sn_kernelILb0ELi256ELi4El19rocblas_complex_numIdEPKS1_S1_EviiT4_lPKT3_lilS7_lilPT5_i.kd
    .uniform_work_group_size: 1
    .uses_dynamic_stack: false
    .vgpr_count:     112
    .vgpr_spill_count: 0
    .wavefront_size: 32
  - .args:
      - .offset:         0
        .size:           4
        .value_kind:     by_value
      - .address_space:  global
        .offset:         8
        .size:           8
        .value_kind:     global_buffer
      - .offset:         16
        .size:           8
        .value_kind:     by_value
      - .address_space:  global
        .offset:         24
        .size:           8
        .value_kind:     global_buffer
      - .offset:         32
        .size:           8
        .value_kind:     by_value
      - .offset:         40
        .size:           4
        .value_kind:     by_value
      - .offset:         48
        .size:           8
        .value_kind:     by_value
      - .actual_access:  read_only
        .address_space:  global
        .offset:         56
        .size:           8
        .value_kind:     global_buffer
      - .offset:         64
        .size:           4
        .value_kind:     by_value
      - .offset:         72
        .size:           4
        .value_kind:     hidden_block_count_x
      - .offset:         76
        .size:           4
        .value_kind:     hidden_block_count_y
      - .offset:         80
        .size:           4
        .value_kind:     hidden_block_count_z
      - .offset:         84
        .size:           2
        .value_kind:     hidden_group_size_x
      - .offset:         86
        .size:           2
        .value_kind:     hidden_group_size_y
      - .offset:         88
        .size:           2
        .value_kind:     hidden_group_size_z
      - .offset:         90
        .size:           2
        .value_kind:     hidden_remainder_x
      - .offset:         92
        .size:           2
        .value_kind:     hidden_remainder_y
      - .offset:         94
        .size:           2
        .value_kind:     hidden_remainder_z
      - .offset:         112
        .size:           8
        .value_kind:     hidden_global_offset_x
      - .offset:         120
        .size:           8
        .value_kind:     hidden_global_offset_y
      - .offset:         128
        .size:           8
        .value_kind:     hidden_global_offset_z
      - .offset:         136
        .size:           2
        .value_kind:     hidden_grid_dims
    .group_segment_fixed_size: 512
    .kernarg_segment_align: 8
    .kernarg_segment_size: 328
    .language:       OpenCL C
    .language_version:
      - 2
      - 0
    .max_flat_workgroup_size: 256
    .name:           _ZL23rocblas_gemvt_sn_reduceILi256ELi8E19rocblas_complex_numIdEPKS1_S1_EviT2_lPT3_lilPT1_i
    .private_segment_fixed_size: 0
    .sgpr_count:     40
    .sgpr_spill_count: 0
    .symbol:         _ZL23rocblas_gemvt_sn_reduceILi256ELi8E19rocblas_complex_numIdEPKS1_S1_EviT2_lPT3_lilPT1_i.kd
    .uniform_work_group_size: 1
    .uses_dynamic_stack: false
    .vgpr_count:     58
    .vgpr_spill_count: 0
    .wavefront_size: 32
  - .args:
      - .offset:         0
        .size:           4
        .value_kind:     by_value
      - .offset:         4
        .size:           4
        .value_kind:     by_value
      - .offset:         8
        .size:           16
        .value_kind:     by_value
      - .offset:         24
        .size:           8
        .value_kind:     by_value
      - .address_space:  global
        .offset:         32
        .size:           8
        .value_kind:     global_buffer
      - .offset:         40
        .size:           8
        .value_kind:     by_value
      - .offset:         48
        .size:           4
        .value_kind:     by_value
      - .offset:         56
        .size:           8
        .value_kind:     by_value
      - .address_space:  global
        .offset:         64
        .size:           8
        .value_kind:     global_buffer
      - .offset:         72
        .size:           8
        .value_kind:     by_value
      - .offset:         80
        .size:           4
        .value_kind:     by_value
      - .offset:         88
        .size:           8
        .value_kind:     by_value
      - .address_space:  global
        .offset:         96
        .size:           8
        .value_kind:     global_buffer
      - .offset:         104
        .size:           4
        .value_kind:     by_value
      - .offset:         112
        .size:           4
        .value_kind:     hidden_block_count_x
      - .offset:         116
        .size:           4
        .value_kind:     hidden_block_count_y
      - .offset:         120
        .size:           4
        .value_kind:     hidden_block_count_z
      - .offset:         124
        .size:           2
        .value_kind:     hidden_group_size_x
      - .offset:         126
        .size:           2
        .value_kind:     hidden_group_size_y
      - .offset:         128
        .size:           2
        .value_kind:     hidden_group_size_z
      - .offset:         130
        .size:           2
        .value_kind:     hidden_remainder_x
      - .offset:         132
        .size:           2
        .value_kind:     hidden_remainder_y
      - .offset:         134
        .size:           2
        .value_kind:     hidden_remainder_z
      - .offset:         152
        .size:           8
        .value_kind:     hidden_global_offset_x
      - .offset:         160
        .size:           8
        .value_kind:     hidden_global_offset_y
      - .offset:         168
        .size:           8
        .value_kind:     hidden_global_offset_z
      - .offset:         176
        .size:           2
        .value_kind:     hidden_grid_dims
    .group_segment_fixed_size: 512
    .kernarg_segment_align: 8
    .kernarg_segment_size: 368
    .language:       OpenCL C
    .language_version:
      - 2
      - 0
    .max_flat_workgroup_size: 256
    .name:           _ZL23rocblas_gemvt_sn_kernelILb0ELi256ELi4Ei19rocblas_complex_numIdES1_S1_EviiT4_lPKT3_lilS5_lilPT5_i
    .private_segment_fixed_size: 80
    .sgpr_count:     75
    .sgpr_spill_count: 0
    .symbol:         _ZL23rocblas_gemvt_sn_kernelILb0ELi256ELi4Ei19rocblas_complex_numIdES1_S1_EviiT4_lPKT3_lilS5_lilPT5_i.kd
    .uniform_work_group_size: 1
    .uses_dynamic_stack: false
    .vgpr_count:     124
    .vgpr_spill_count: 0
    .wavefront_size: 32
  - .args:
      - .offset:         0
        .size:           4
        .value_kind:     by_value
      - .offset:         4
        .size:           4
        .value_kind:     by_value
      - .offset:         8
        .size:           16
        .value_kind:     by_value
      - .offset:         24
        .size:           8
        .value_kind:     by_value
      - .address_space:  global
        .offset:         32
        .size:           8
        .value_kind:     global_buffer
      - .offset:         40
        .size:           8
        .value_kind:     by_value
      - .offset:         48
        .size:           4
        .value_kind:     by_value
      - .offset:         56
        .size:           8
        .value_kind:     by_value
      - .address_space:  global
        .offset:         64
        .size:           8
        .value_kind:     global_buffer
      - .offset:         72
        .size:           8
        .value_kind:     by_value
      - .offset:         80
        .size:           4
        .value_kind:     by_value
      - .offset:         88
        .size:           8
        .value_kind:     by_value
      - .address_space:  global
        .offset:         96
        .size:           8
        .value_kind:     global_buffer
      - .offset:         104
        .size:           4
        .value_kind:     by_value
      - .offset:         112
        .size:           4
        .value_kind:     hidden_block_count_x
      - .offset:         116
        .size:           4
        .value_kind:     hidden_block_count_y
      - .offset:         120
        .size:           4
        .value_kind:     hidden_block_count_z
      - .offset:         124
        .size:           2
        .value_kind:     hidden_group_size_x
      - .offset:         126
        .size:           2
        .value_kind:     hidden_group_size_y
      - .offset:         128
        .size:           2
        .value_kind:     hidden_group_size_z
      - .offset:         130
        .size:           2
        .value_kind:     hidden_remainder_x
      - .offset:         132
        .size:           2
        .value_kind:     hidden_remainder_y
      - .offset:         134
        .size:           2
        .value_kind:     hidden_remainder_z
      - .offset:         152
        .size:           8
        .value_kind:     hidden_global_offset_x
      - .offset:         160
        .size:           8
        .value_kind:     hidden_global_offset_y
      - .offset:         168
        .size:           8
        .value_kind:     hidden_global_offset_z
      - .offset:         176
        .size:           2
        .value_kind:     hidden_grid_dims
    .group_segment_fixed_size: 512
    .kernarg_segment_align: 8
    .kernarg_segment_size: 368
    .language:       OpenCL C
    .language_version:
      - 2
      - 0
    .max_flat_workgroup_size: 256
    .name:           _ZL23rocblas_gemvt_sn_kernelILb0ELi256ELi4El19rocblas_complex_numIdES1_S1_EviiT4_lPKT3_lilS5_lilPT5_i
    .private_segment_fixed_size: 80
    .sgpr_count:     76
    .sgpr_spill_count: 0
    .symbol:         _ZL23rocblas_gemvt_sn_kernelILb0ELi256ELi4El19rocblas_complex_numIdES1_S1_EviiT4_lPKT3_lilS5_lilPT5_i.kd
    .uniform_work_group_size: 1
    .uses_dynamic_stack: false
    .vgpr_count:     134
    .vgpr_spill_count: 0
    .wavefront_size: 32
  - .args:
      - .offset:         0
        .size:           4
        .value_kind:     by_value
      - .offset:         8
        .size:           16
        .value_kind:     by_value
      - .offset:         24
        .size:           8
        .value_kind:     by_value
      - .address_space:  global
        .offset:         32
        .size:           8
        .value_kind:     global_buffer
      - .offset:         40
        .size:           8
        .value_kind:     by_value
      - .offset:         48
        .size:           4
        .value_kind:     by_value
      - .offset:         56
        .size:           8
        .value_kind:     by_value
      - .actual_access:  read_only
        .address_space:  global
        .offset:         64
        .size:           8
        .value_kind:     global_buffer
      - .offset:         72
        .size:           4
        .value_kind:     by_value
      - .offset:         80
        .size:           4
        .value_kind:     hidden_block_count_x
      - .offset:         84
        .size:           4
        .value_kind:     hidden_block_count_y
      - .offset:         88
        .size:           4
        .value_kind:     hidden_block_count_z
      - .offset:         92
        .size:           2
        .value_kind:     hidden_group_size_x
      - .offset:         94
        .size:           2
        .value_kind:     hidden_group_size_y
      - .offset:         96
        .size:           2
        .value_kind:     hidden_group_size_z
      - .offset:         98
        .size:           2
        .value_kind:     hidden_remainder_x
      - .offset:         100
        .size:           2
        .value_kind:     hidden_remainder_y
      - .offset:         102
        .size:           2
        .value_kind:     hidden_remainder_z
      - .offset:         120
        .size:           8
        .value_kind:     hidden_global_offset_x
      - .offset:         128
        .size:           8
        .value_kind:     hidden_global_offset_y
      - .offset:         136
        .size:           8
        .value_kind:     hidden_global_offset_z
      - .offset:         144
        .size:           2
        .value_kind:     hidden_grid_dims
    .group_segment_fixed_size: 512
    .kernarg_segment_align: 8
    .kernarg_segment_size: 336
    .language:       OpenCL C
    .language_version:
      - 2
      - 0
    .max_flat_workgroup_size: 256
    .name:           _ZL23rocblas_gemvt_sn_reduceILi256ELi8E19rocblas_complex_numIdES1_S1_EviT2_lPT3_lilPT1_i
    .private_segment_fixed_size: 0
    .sgpr_count:     42
    .sgpr_spill_count: 0
    .symbol:         _ZL23rocblas_gemvt_sn_reduceILi256ELi8E19rocblas_complex_numIdES1_S1_EviT2_lPT3_lilPT1_i.kd
    .uniform_work_group_size: 1
    .uses_dynamic_stack: false
    .vgpr_count:     54
    .vgpr_spill_count: 0
    .wavefront_size: 32
  - .args:
      - .offset:         0
        .size:           4
        .value_kind:     by_value
      - .offset:         4
        .size:           4
        .value_kind:     by_value
      - .address_space:  global
        .offset:         8
        .size:           8
        .value_kind:     global_buffer
      - .offset:         16
        .size:           8
        .value_kind:     by_value
      - .address_space:  global
        .offset:         24
        .size:           8
        .value_kind:     global_buffer
      - .offset:         32
        .size:           8
        .value_kind:     by_value
      - .offset:         40
        .size:           4
        .value_kind:     by_value
      - .offset:         48
        .size:           8
        .value_kind:     by_value
      - .address_space:  global
        .offset:         56
        .size:           8
        .value_kind:     global_buffer
      - .offset:         64
        .size:           8
        .value_kind:     by_value
      - .offset:         72
        .size:           4
        .value_kind:     by_value
      - .offset:         80
        .size:           8
        .value_kind:     by_value
      - .address_space:  global
        .offset:         88
        .size:           8
        .value_kind:     global_buffer
      - .offset:         96
        .size:           8
        .value_kind:     by_value
      - .address_space:  global
        .offset:         104
        .size:           8
        .value_kind:     global_buffer
      - .offset:         112
        .size:           8
        .value_kind:     by_value
      - .offset:         120
        .size:           4
        .value_kind:     by_value
      - .offset:         128
        .size:           8
        .value_kind:     by_value
      - .offset:         136
        .size:           4
        .value_kind:     by_value
    .group_segment_fixed_size: 512
    .kernarg_segment_align: 8
    .kernarg_segment_size: 140
    .language:       OpenCL C
    .language_version:
      - 2
      - 0
    .max_flat_workgroup_size: 256
    .name:           _ZL32rocblas_gemvt_warp_reduce_kernelILb0ELi256Ei19rocblas_complex_numIdEPKS1_S1_EviiT3_lPKT2_lT1_lS7_lS8_lS4_lPT4_lS8_li
    .private_segment_fixed_size: 0
    .sgpr_count:     46
    .sgpr_spill_count: 0
    .symbol:         _ZL32rocblas_gemvt_warp_reduce_kernelILb0ELi256Ei19rocblas_complex_numIdEPKS1_S1_EviiT3_lPKT2_lT1_lS7_lS8_lS4_lPT4_lS8_li.kd
    .uniform_work_group_size: 1
    .uses_dynamic_stack: false
    .vgpr_count:     40
    .vgpr_spill_count: 0
    .wavefront_size: 32
  - .args:
      - .offset:         0
        .size:           4
        .value_kind:     by_value
      - .offset:         4
        .size:           4
        .value_kind:     by_value
      - .address_space:  global
        .offset:         8
        .size:           8
        .value_kind:     global_buffer
      - .offset:         16
        .size:           8
        .value_kind:     by_value
      - .address_space:  global
        .offset:         24
        .size:           8
        .value_kind:     global_buffer
      - .offset:         32
        .size:           8
        .value_kind:     by_value
      - .offset:         40
        .size:           8
        .value_kind:     by_value
      - .offset:         48
        .size:           8
        .value_kind:     by_value
      - .address_space:  global
        .offset:         56
        .size:           8
        .value_kind:     global_buffer
      - .offset:         64
        .size:           8
        .value_kind:     by_value
      - .offset:         72
        .size:           8
        .value_kind:     by_value
      - .offset:         80
        .size:           8
        .value_kind:     by_value
      - .address_space:  global
        .offset:         88
        .size:           8
        .value_kind:     global_buffer
      - .offset:         96
        .size:           8
        .value_kind:     by_value
      - .address_space:  global
        .offset:         104
        .size:           8
        .value_kind:     global_buffer
      - .offset:         112
        .size:           8
        .value_kind:     by_value
      - .offset:         120
        .size:           8
        .value_kind:     by_value
      - .offset:         128
        .size:           8
        .value_kind:     by_value
      - .offset:         136
        .size:           4
        .value_kind:     by_value
    .group_segment_fixed_size: 512
    .kernarg_segment_align: 8
    .kernarg_segment_size: 140
    .language:       OpenCL C
    .language_version:
      - 2
      - 0
    .max_flat_workgroup_size: 256
    .name:           _ZL32rocblas_gemvt_warp_reduce_kernelILb0ELi256El19rocblas_complex_numIdEPKS1_S1_EviiT3_lPKT2_lT1_lS7_lS8_lS4_lPT4_lS8_li
    .private_segment_fixed_size: 0
    .sgpr_count:     54
    .sgpr_spill_count: 0
    .symbol:         _ZL32rocblas_gemvt_warp_reduce_kernelILb0ELi256El19rocblas_complex_numIdEPKS1_S1_EviiT3_lPKT2_lT1_lS7_lS8_lS4_lPT4_lS8_li.kd
    .uniform_work_group_size: 1
    .uses_dynamic_stack: false
    .vgpr_count:     40
    .vgpr_spill_count: 0
    .wavefront_size: 32
  - .args:
      - .offset:         0
        .size:           4
        .value_kind:     by_value
      - .offset:         4
        .size:           4
        .value_kind:     by_value
      - .offset:         8
        .size:           16
        .value_kind:     by_value
      - .offset:         24
        .size:           8
        .value_kind:     by_value
      - .address_space:  global
        .offset:         32
        .size:           8
        .value_kind:     global_buffer
      - .offset:         40
        .size:           8
        .value_kind:     by_value
      - .offset:         48
        .size:           4
        .value_kind:     by_value
      - .offset:         56
        .size:           8
        .value_kind:     by_value
      - .address_space:  global
        .offset:         64
        .size:           8
        .value_kind:     global_buffer
      - .offset:         72
        .size:           8
        .value_kind:     by_value
      - .offset:         80
        .size:           4
        .value_kind:     by_value
      - .offset:         88
        .size:           8
        .value_kind:     by_value
      - .offset:         96
        .size:           16
        .value_kind:     by_value
      - .offset:         112
        .size:           8
        .value_kind:     by_value
      - .address_space:  global
        .offset:         120
        .size:           8
        .value_kind:     global_buffer
      - .offset:         128
        .size:           8
        .value_kind:     by_value
      - .offset:         136
        .size:           4
        .value_kind:     by_value
      - .offset:         144
        .size:           8
        .value_kind:     by_value
      - .offset:         152
        .size:           4
        .value_kind:     by_value
    .group_segment_fixed_size: 512
    .kernarg_segment_align: 8
    .kernarg_segment_size: 156
    .language:       OpenCL C
    .language_version:
      - 2
      - 0
    .max_flat_workgroup_size: 256
    .name:           _ZL32rocblas_gemvt_warp_reduce_kernelILb0ELi256Ei19rocblas_complex_numIdES1_S1_EviiT3_lPKT2_lT1_lS5_lS6_lS2_lPT4_lS6_li
    .private_segment_fixed_size: 0
    .sgpr_count:     50
    .sgpr_spill_count: 0
    .symbol:         _ZL32rocblas_gemvt_warp_reduce_kernelILb0ELi256Ei19rocblas_complex_numIdES1_S1_EviiT3_lPKT2_lT1_lS5_lS6_lS2_lPT4_lS6_li.kd
    .uniform_work_group_size: 1
    .uses_dynamic_stack: false
    .vgpr_count:     32
    .vgpr_spill_count: 0
    .wavefront_size: 32
  - .args:
      - .offset:         0
        .size:           4
        .value_kind:     by_value
      - .offset:         4
        .size:           4
        .value_kind:     by_value
      - .offset:         8
        .size:           16
        .value_kind:     by_value
      - .offset:         24
        .size:           8
        .value_kind:     by_value
      - .address_space:  global
        .offset:         32
        .size:           8
        .value_kind:     global_buffer
      - .offset:         40
        .size:           8
        .value_kind:     by_value
      - .offset:         48
        .size:           8
        .value_kind:     by_value
      - .offset:         56
        .size:           8
        .value_kind:     by_value
      - .address_space:  global
        .offset:         64
        .size:           8
        .value_kind:     global_buffer
      - .offset:         72
        .size:           8
        .value_kind:     by_value
      - .offset:         80
        .size:           8
        .value_kind:     by_value
      - .offset:         88
        .size:           8
        .value_kind:     by_value
      - .offset:         96
        .size:           16
        .value_kind:     by_value
      - .offset:         112
        .size:           8
        .value_kind:     by_value
      - .address_space:  global
        .offset:         120
        .size:           8
        .value_kind:     global_buffer
      - .offset:         128
        .size:           8
        .value_kind:     by_value
      - .offset:         136
        .size:           8
        .value_kind:     by_value
      - .offset:         144
        .size:           8
        .value_kind:     by_value
      - .offset:         152
        .size:           4
        .value_kind:     by_value
    .group_segment_fixed_size: 512
    .kernarg_segment_align: 8
    .kernarg_segment_size: 156
    .language:       OpenCL C
    .language_version:
      - 2
      - 0
    .max_flat_workgroup_size: 256
    .name:           _ZL32rocblas_gemvt_warp_reduce_kernelILb0ELi256El19rocblas_complex_numIdES1_S1_EviiT3_lPKT2_lT1_lS5_lS6_lS2_lPT4_lS6_li
    .private_segment_fixed_size: 0
    .sgpr_count:     52
    .sgpr_spill_count: 0
    .symbol:         _ZL32rocblas_gemvt_warp_reduce_kernelILb0ELi256El19rocblas_complex_numIdES1_S1_EviiT3_lPKT2_lT1_lS5_lS6_lS2_lPT4_lS6_li.kd
    .uniform_work_group_size: 1
    .uses_dynamic_stack: false
    .vgpr_count:     32
    .vgpr_spill_count: 0
    .wavefront_size: 32
  - .args:
      - .offset:         0
        .size:           4
        .value_kind:     by_value
      - .offset:         4
        .size:           4
        .value_kind:     by_value
      - .address_space:  global
        .offset:         8
        .size:           8
        .value_kind:     global_buffer
      - .offset:         16
        .size:           8
        .value_kind:     by_value
      - .address_space:  global
        .offset:         24
        .size:           8
        .value_kind:     global_buffer
      - .offset:         32
        .size:           8
        .value_kind:     by_value
      - .offset:         40
        .size:           4
        .value_kind:     by_value
      - .offset:         48
        .size:           8
        .value_kind:     by_value
      - .address_space:  global
        .offset:         56
        .size:           8
        .value_kind:     global_buffer
      - .offset:         64
        .size:           8
        .value_kind:     by_value
      - .offset:         72
        .size:           4
        .value_kind:     by_value
      - .offset:         80
        .size:           8
        .value_kind:     by_value
      - .address_space:  global
        .offset:         88
        .size:           8
        .value_kind:     global_buffer
      - .offset:         96
        .size:           8
        .value_kind:     by_value
      - .address_space:  global
        .offset:         104
        .size:           8
        .value_kind:     global_buffer
      - .offset:         112
        .size:           8
        .value_kind:     by_value
      - .offset:         120
        .size:           4
        .value_kind:     by_value
      - .offset:         128
        .size:           8
        .value_kind:     by_value
      - .offset:         136
        .size:           4
        .value_kind:     by_value
    .group_segment_fixed_size: 4096
    .kernarg_segment_align: 8
    .kernarg_segment_size: 140
    .language:       OpenCL C
    .language_version:
      - 2
      - 0
    .max_flat_workgroup_size: 256
    .name:           _ZL20rocblas_gemvt_kernelILb0ELi256E19rocblas_complex_numIdEPKS1_S1_EviiT2_lPKT1_lilS7_lilS4_lPT3_lili
    .private_segment_fixed_size: 0
    .sgpr_count:     52
    .sgpr_spill_count: 0
    .symbol:         _ZL20rocblas_gemvt_kernelILb0ELi256E19rocblas_complex_numIdEPKS1_S1_EviiT2_lPKT1_lilS7_lilS4_lPT3_lili.kd
    .uniform_work_group_size: 1
    .uses_dynamic_stack: false
    .vgpr_count:     38
    .vgpr_spill_count: 0
    .wavefront_size: 32
  - .args:
      - .offset:         0
        .size:           4
        .value_kind:     by_value
      - .offset:         4
        .size:           4
        .value_kind:     by_value
      - .offset:         8
        .size:           16
        .value_kind:     by_value
      - .offset:         24
        .size:           8
        .value_kind:     by_value
      - .address_space:  global
        .offset:         32
        .size:           8
        .value_kind:     global_buffer
      - .offset:         40
        .size:           8
        .value_kind:     by_value
      - .offset:         48
        .size:           4
        .value_kind:     by_value
      - .offset:         56
        .size:           8
        .value_kind:     by_value
      - .address_space:  global
        .offset:         64
        .size:           8
        .value_kind:     global_buffer
      - .offset:         72
        .size:           8
        .value_kind:     by_value
      - .offset:         80
        .size:           4
        .value_kind:     by_value
      - .offset:         88
        .size:           8
        .value_kind:     by_value
      - .offset:         96
        .size:           16
        .value_kind:     by_value
      - .offset:         112
        .size:           8
        .value_kind:     by_value
      - .address_space:  global
        .offset:         120
        .size:           8
        .value_kind:     global_buffer
      - .offset:         128
        .size:           8
        .value_kind:     by_value
      - .offset:         136
        .size:           4
        .value_kind:     by_value
      - .offset:         144
        .size:           8
        .value_kind:     by_value
      - .offset:         152
        .size:           4
        .value_kind:     by_value
    .group_segment_fixed_size: 4096
    .kernarg_segment_align: 8
    .kernarg_segment_size: 156
    .language:       OpenCL C
    .language_version:
      - 2
      - 0
    .max_flat_workgroup_size: 256
    .name:           _ZL20rocblas_gemvt_kernelILb0ELi256E19rocblas_complex_numIdES1_S1_EviiT2_lPKT1_lilS5_lilS2_lPT3_lili
    .private_segment_fixed_size: 0
    .sgpr_count:     56
    .sgpr_spill_count: 0
    .symbol:         _ZL20rocblas_gemvt_kernelILb0ELi256E19rocblas_complex_numIdES1_S1_EviiT2_lPKT1_lilS5_lilS2_lPT3_lili.kd
    .uniform_work_group_size: 1
    .uses_dynamic_stack: false
    .vgpr_count:     30
    .vgpr_spill_count: 0
    .wavefront_size: 32
  - .args:
      - .offset:         0
        .size:           4
        .value_kind:     by_value
      - .offset:         4
        .size:           4
        .value_kind:     by_value
      - .address_space:  global
        .offset:         8
        .size:           8
        .value_kind:     global_buffer
      - .offset:         16
        .size:           8
        .value_kind:     by_value
      - .address_space:  global
        .offset:         24
        .size:           8
        .value_kind:     global_buffer
      - .offset:         32
        .size:           8
        .value_kind:     by_value
      - .offset:         40
        .size:           4
        .value_kind:     by_value
      - .offset:         48
        .size:           8
        .value_kind:     by_value
      - .address_space:  global
        .offset:         56
        .size:           8
        .value_kind:     global_buffer
      - .offset:         64
        .size:           8
        .value_kind:     by_value
      - .offset:         72
        .size:           4
        .value_kind:     by_value
      - .offset:         80
        .size:           8
        .value_kind:     by_value
      - .address_space:  global
        .offset:         88
        .size:           8
        .value_kind:     global_buffer
      - .offset:         96
        .size:           8
        .value_kind:     by_value
      - .address_space:  global
        .offset:         104
        .size:           8
        .value_kind:     global_buffer
      - .offset:         112
        .size:           8
        .value_kind:     by_value
      - .offset:         120
        .size:           4
        .value_kind:     by_value
      - .offset:         128
        .size:           8
        .value_kind:     by_value
      - .offset:         136
        .size:           4
        .value_kind:     by_value
    .group_segment_fixed_size: 512
    .kernarg_segment_align: 8
    .kernarg_segment_size: 140
    .language:       OpenCL C
    .language_version:
      - 2
      - 0
    .max_flat_workgroup_size: 1024
    .name:           _ZL32rocblas_gemvt_warp_reduce_kernelILb0ELi1024Ei19rocblas_complex_numIdEPKS1_S1_EviiT3_lPKT2_lT1_lS7_lS8_lS4_lPT4_lS8_li
    .private_segment_fixed_size: 0
    .sgpr_count:     44
    .sgpr_spill_count: 0
    .symbol:         _ZL32rocblas_gemvt_warp_reduce_kernelILb0ELi1024Ei19rocblas_complex_numIdEPKS1_S1_EviiT3_lPKT2_lT1_lS7_lS8_lS4_lPT4_lS8_li.kd
    .uniform_work_group_size: 1
    .uses_dynamic_stack: false
    .vgpr_count:     40
    .vgpr_spill_count: 0
    .wavefront_size: 32
  - .args:
      - .offset:         0
        .size:           4
        .value_kind:     by_value
      - .offset:         4
        .size:           4
        .value_kind:     by_value
      - .address_space:  global
        .offset:         8
        .size:           8
        .value_kind:     global_buffer
      - .offset:         16
        .size:           8
        .value_kind:     by_value
      - .address_space:  global
        .offset:         24
        .size:           8
        .value_kind:     global_buffer
      - .offset:         32
        .size:           8
        .value_kind:     by_value
      - .offset:         40
        .size:           8
        .value_kind:     by_value
      - .offset:         48
        .size:           8
        .value_kind:     by_value
      - .address_space:  global
        .offset:         56
        .size:           8
        .value_kind:     global_buffer
      - .offset:         64
        .size:           8
        .value_kind:     by_value
      - .offset:         72
        .size:           8
        .value_kind:     by_value
      - .offset:         80
        .size:           8
        .value_kind:     by_value
      - .address_space:  global
        .offset:         88
        .size:           8
        .value_kind:     global_buffer
      - .offset:         96
        .size:           8
        .value_kind:     by_value
      - .address_space:  global
        .offset:         104
        .size:           8
        .value_kind:     global_buffer
      - .offset:         112
        .size:           8
        .value_kind:     by_value
      - .offset:         120
        .size:           8
        .value_kind:     by_value
      - .offset:         128
        .size:           8
        .value_kind:     by_value
      - .offset:         136
        .size:           4
        .value_kind:     by_value
    .group_segment_fixed_size: 512
    .kernarg_segment_align: 8
    .kernarg_segment_size: 140
    .language:       OpenCL C
    .language_version:
      - 2
      - 0
    .max_flat_workgroup_size: 1024
    .name:           _ZL32rocblas_gemvt_warp_reduce_kernelILb0ELi1024El19rocblas_complex_numIdEPKS1_S1_EviiT3_lPKT2_lT1_lS7_lS8_lS4_lPT4_lS8_li
    .private_segment_fixed_size: 0
    .sgpr_count:     54
    .sgpr_spill_count: 0
    .symbol:         _ZL32rocblas_gemvt_warp_reduce_kernelILb0ELi1024El19rocblas_complex_numIdEPKS1_S1_EviiT3_lPKT2_lT1_lS7_lS8_lS4_lPT4_lS8_li.kd
    .uniform_work_group_size: 1
    .uses_dynamic_stack: false
    .vgpr_count:     40
    .vgpr_spill_count: 0
    .wavefront_size: 32
  - .args:
      - .offset:         0
        .size:           4
        .value_kind:     by_value
      - .offset:         4
        .size:           4
        .value_kind:     by_value
      - .offset:         8
        .size:           16
        .value_kind:     by_value
      - .offset:         24
        .size:           8
        .value_kind:     by_value
      - .address_space:  global
        .offset:         32
        .size:           8
        .value_kind:     global_buffer
      - .offset:         40
        .size:           8
        .value_kind:     by_value
      - .offset:         48
        .size:           4
        .value_kind:     by_value
      - .offset:         56
        .size:           8
        .value_kind:     by_value
      - .address_space:  global
        .offset:         64
        .size:           8
        .value_kind:     global_buffer
      - .offset:         72
        .size:           8
        .value_kind:     by_value
      - .offset:         80
        .size:           4
        .value_kind:     by_value
      - .offset:         88
        .size:           8
        .value_kind:     by_value
      - .offset:         96
        .size:           16
        .value_kind:     by_value
      - .offset:         112
        .size:           8
        .value_kind:     by_value
      - .address_space:  global
        .offset:         120
        .size:           8
        .value_kind:     global_buffer
      - .offset:         128
        .size:           8
        .value_kind:     by_value
      - .offset:         136
        .size:           4
        .value_kind:     by_value
      - .offset:         144
        .size:           8
        .value_kind:     by_value
      - .offset:         152
        .size:           4
        .value_kind:     by_value
    .group_segment_fixed_size: 512
    .kernarg_segment_align: 8
    .kernarg_segment_size: 156
    .language:       OpenCL C
    .language_version:
      - 2
      - 0
    .max_flat_workgroup_size: 1024
    .name:           _ZL32rocblas_gemvt_warp_reduce_kernelILb0ELi1024Ei19rocblas_complex_numIdES1_S1_EviiT3_lPKT2_lT1_lS5_lS6_lS2_lPT4_lS6_li
    .private_segment_fixed_size: 0
    .sgpr_count:     49
    .sgpr_spill_count: 0
    .symbol:         _ZL32rocblas_gemvt_warp_reduce_kernelILb0ELi1024Ei19rocblas_complex_numIdES1_S1_EviiT3_lPKT2_lT1_lS5_lS6_lS2_lPT4_lS6_li.kd
    .uniform_work_group_size: 1
    .uses_dynamic_stack: false
    .vgpr_count:     32
    .vgpr_spill_count: 0
    .wavefront_size: 32
  - .args:
      - .offset:         0
        .size:           4
        .value_kind:     by_value
      - .offset:         4
        .size:           4
        .value_kind:     by_value
      - .offset:         8
        .size:           16
        .value_kind:     by_value
      - .offset:         24
        .size:           8
        .value_kind:     by_value
      - .address_space:  global
        .offset:         32
        .size:           8
        .value_kind:     global_buffer
      - .offset:         40
        .size:           8
        .value_kind:     by_value
      - .offset:         48
        .size:           8
        .value_kind:     by_value
      - .offset:         56
        .size:           8
        .value_kind:     by_value
      - .address_space:  global
        .offset:         64
        .size:           8
        .value_kind:     global_buffer
      - .offset:         72
        .size:           8
        .value_kind:     by_value
      - .offset:         80
        .size:           8
        .value_kind:     by_value
      - .offset:         88
        .size:           8
        .value_kind:     by_value
      - .offset:         96
        .size:           16
        .value_kind:     by_value
      - .offset:         112
        .size:           8
        .value_kind:     by_value
      - .address_space:  global
        .offset:         120
        .size:           8
        .value_kind:     global_buffer
      - .offset:         128
        .size:           8
        .value_kind:     by_value
      - .offset:         136
        .size:           8
        .value_kind:     by_value
      - .offset:         144
        .size:           8
        .value_kind:     by_value
      - .offset:         152
        .size:           4
        .value_kind:     by_value
    .group_segment_fixed_size: 512
    .kernarg_segment_align: 8
    .kernarg_segment_size: 156
    .language:       OpenCL C
    .language_version:
      - 2
      - 0
    .max_flat_workgroup_size: 1024
    .name:           _ZL32rocblas_gemvt_warp_reduce_kernelILb0ELi1024El19rocblas_complex_numIdES1_S1_EviiT3_lPKT2_lT1_lS5_lS6_lS2_lPT4_lS6_li
    .private_segment_fixed_size: 0
    .sgpr_count:     50
    .sgpr_spill_count: 0
    .symbol:         _ZL32rocblas_gemvt_warp_reduce_kernelILb0ELi1024El19rocblas_complex_numIdES1_S1_EviiT3_lPKT2_lT1_lS5_lS6_lS2_lPT4_lS6_li.kd
    .uniform_work_group_size: 1
    .uses_dynamic_stack: false
    .vgpr_count:     32
    .vgpr_spill_count: 0
    .wavefront_size: 32
  - .args:
      - .offset:         0
        .size:           4
        .value_kind:     by_value
      - .offset:         4
        .size:           4
        .value_kind:     by_value
      - .address_space:  global
        .offset:         8
        .size:           8
        .value_kind:     global_buffer
      - .offset:         16
        .size:           8
        .value_kind:     by_value
      - .address_space:  global
        .offset:         24
        .size:           8
        .value_kind:     global_buffer
      - .offset:         32
        .size:           8
        .value_kind:     by_value
      - .offset:         40
        .size:           4
        .value_kind:     by_value
      - .offset:         48
        .size:           8
        .value_kind:     by_value
      - .address_space:  global
        .offset:         56
        .size:           8
        .value_kind:     global_buffer
      - .offset:         64
        .size:           8
        .value_kind:     by_value
      - .offset:         72
        .size:           4
        .value_kind:     by_value
      - .offset:         80
        .size:           8
        .value_kind:     by_value
      - .address_space:  global
        .offset:         88
        .size:           8
        .value_kind:     global_buffer
      - .offset:         96
        .size:           8
        .value_kind:     by_value
      - .address_space:  global
        .offset:         104
        .size:           8
        .value_kind:     global_buffer
      - .offset:         112
        .size:           8
        .value_kind:     by_value
      - .offset:         120
        .size:           4
        .value_kind:     by_value
      - .offset:         128
        .size:           8
        .value_kind:     by_value
    .group_segment_fixed_size: 1024
    .kernarg_segment_align: 8
    .kernarg_segment_size: 136
    .language:       OpenCL C
    .language_version:
      - 2
      - 0
    .max_flat_workgroup_size: 256
    .name:           _ZL22rocblas_gemvtsm_kernelILb1ELi256E19rocblas_complex_numIdEPKS1_S1_EviiT2_lPKT1_lilS7_lilS4_lPT3_lil
    .private_segment_fixed_size: 0
    .sgpr_count:     40
    .sgpr_spill_count: 0
    .symbol:         _ZL22rocblas_gemvtsm_kernelILb1ELi256E19rocblas_complex_numIdEPKS1_S1_EviiT2_lPKT1_lilS7_lilS4_lPT3_lil.kd
    .uniform_work_group_size: 1
    .uses_dynamic_stack: false
    .vgpr_count:     64
    .vgpr_spill_count: 0
    .wavefront_size: 32
  - .args:
      - .offset:         0
        .size:           4
        .value_kind:     by_value
      - .offset:         4
        .size:           4
        .value_kind:     by_value
      - .offset:         8
        .size:           16
        .value_kind:     by_value
      - .offset:         24
        .size:           8
        .value_kind:     by_value
      - .address_space:  global
        .offset:         32
        .size:           8
        .value_kind:     global_buffer
      - .offset:         40
        .size:           8
        .value_kind:     by_value
      - .offset:         48
        .size:           4
        .value_kind:     by_value
      - .offset:         56
        .size:           8
        .value_kind:     by_value
      - .address_space:  global
        .offset:         64
        .size:           8
        .value_kind:     global_buffer
      - .offset:         72
        .size:           8
        .value_kind:     by_value
      - .offset:         80
        .size:           4
        .value_kind:     by_value
      - .offset:         88
        .size:           8
        .value_kind:     by_value
      - .offset:         96
        .size:           16
        .value_kind:     by_value
      - .offset:         112
        .size:           8
        .value_kind:     by_value
      - .address_space:  global
        .offset:         120
        .size:           8
        .value_kind:     global_buffer
      - .offset:         128
        .size:           8
        .value_kind:     by_value
      - .offset:         136
        .size:           4
        .value_kind:     by_value
      - .offset:         144
        .size:           8
        .value_kind:     by_value
    .group_segment_fixed_size: 1024
    .kernarg_segment_align: 8
    .kernarg_segment_size: 152
    .language:       OpenCL C
    .language_version:
      - 2
      - 0
    .max_flat_workgroup_size: 256
    .name:           _ZL22rocblas_gemvtsm_kernelILb1ELi256E19rocblas_complex_numIdES1_S1_EviiT2_lPKT1_lilS5_lilS2_lPT3_lil
    .private_segment_fixed_size: 0
    .sgpr_count:     34
    .sgpr_spill_count: 0
    .symbol:         _ZL22rocblas_gemvtsm_kernelILb1ELi256E19rocblas_complex_numIdES1_S1_EviiT2_lPKT1_lilS5_lilS2_lPT3_lil.kd
    .uniform_work_group_size: 1
    .uses_dynamic_stack: false
    .vgpr_count:     64
    .vgpr_spill_count: 0
    .wavefront_size: 32
  - .args:
      - .offset:         0
        .size:           4
        .value_kind:     by_value
      - .offset:         4
        .size:           4
        .value_kind:     by_value
      - .address_space:  global
        .offset:         8
        .size:           8
        .value_kind:     global_buffer
      - .offset:         16
        .size:           8
        .value_kind:     by_value
      - .address_space:  global
        .offset:         24
        .size:           8
        .value_kind:     global_buffer
      - .offset:         32
        .size:           8
        .value_kind:     by_value
      - .offset:         40
        .size:           4
        .value_kind:     by_value
      - .offset:         48
        .size:           8
        .value_kind:     by_value
      - .address_space:  global
        .offset:         56
        .size:           8
        .value_kind:     global_buffer
      - .offset:         64
        .size:           8
        .value_kind:     by_value
      - .offset:         72
        .size:           4
        .value_kind:     by_value
      - .offset:         80
        .size:           8
        .value_kind:     by_value
      - .address_space:  global
        .offset:         88
        .size:           8
        .value_kind:     global_buffer
      - .offset:         96
        .size:           4
        .value_kind:     by_value
      - .offset:         104
        .size:           4
        .value_kind:     hidden_block_count_x
      - .offset:         108
        .size:           4
        .value_kind:     hidden_block_count_y
      - .offset:         112
        .size:           4
        .value_kind:     hidden_block_count_z
      - .offset:         116
        .size:           2
        .value_kind:     hidden_group_size_x
      - .offset:         118
        .size:           2
        .value_kind:     hidden_group_size_y
      - .offset:         120
        .size:           2
        .value_kind:     hidden_group_size_z
      - .offset:         122
        .size:           2
        .value_kind:     hidden_remainder_x
      - .offset:         124
        .size:           2
        .value_kind:     hidden_remainder_y
      - .offset:         126
        .size:           2
        .value_kind:     hidden_remainder_z
      - .offset:         144
        .size:           8
        .value_kind:     hidden_global_offset_x
      - .offset:         152
        .size:           8
        .value_kind:     hidden_global_offset_y
      - .offset:         160
        .size:           8
        .value_kind:     hidden_global_offset_z
      - .offset:         168
        .size:           2
        .value_kind:     hidden_grid_dims
    .group_segment_fixed_size: 512
    .kernarg_segment_align: 8
    .kernarg_segment_size: 360
    .language:       OpenCL C
    .language_version:
      - 2
      - 0
    .max_flat_workgroup_size: 256
    .name:           _ZL23rocblas_gemvt_sn_kernelILb1ELi256ELi4Ei19rocblas_complex_numIdEPKS1_S1_EviiT4_lPKT3_lilS7_lilPT5_i
    .private_segment_fixed_size: 80
    .sgpr_count:     74
    .sgpr_spill_count: 0
    .symbol:         _ZL23rocblas_gemvt_sn_kernelILb1ELi256ELi4Ei19rocblas_complex_numIdEPKS1_S1_EviiT4_lPKT3_lilS7_lilPT5_i.kd
    .uniform_work_group_size: 1
    .uses_dynamic_stack: false
    .vgpr_count:     114
    .vgpr_spill_count: 0
    .wavefront_size: 32
  - .args:
      - .offset:         0
        .size:           4
        .value_kind:     by_value
      - .offset:         4
        .size:           4
        .value_kind:     by_value
      - .address_space:  global
        .offset:         8
        .size:           8
        .value_kind:     global_buffer
      - .offset:         16
        .size:           8
        .value_kind:     by_value
      - .address_space:  global
        .offset:         24
        .size:           8
        .value_kind:     global_buffer
      - .offset:         32
        .size:           8
        .value_kind:     by_value
      - .offset:         40
        .size:           4
        .value_kind:     by_value
      - .offset:         48
        .size:           8
        .value_kind:     by_value
      - .address_space:  global
        .offset:         56
        .size:           8
        .value_kind:     global_buffer
      - .offset:         64
        .size:           8
        .value_kind:     by_value
      - .offset:         72
        .size:           4
        .value_kind:     by_value
      - .offset:         80
        .size:           8
        .value_kind:     by_value
      - .address_space:  global
        .offset:         88
        .size:           8
        .value_kind:     global_buffer
      - .offset:         96
        .size:           4
        .value_kind:     by_value
      - .offset:         104
        .size:           4
        .value_kind:     hidden_block_count_x
      - .offset:         108
        .size:           4
        .value_kind:     hidden_block_count_y
      - .offset:         112
        .size:           4
        .value_kind:     hidden_block_count_z
      - .offset:         116
        .size:           2
        .value_kind:     hidden_group_size_x
      - .offset:         118
        .size:           2
        .value_kind:     hidden_group_size_y
      - .offset:         120
        .size:           2
        .value_kind:     hidden_group_size_z
      - .offset:         122
        .size:           2
        .value_kind:     hidden_remainder_x
      - .offset:         124
        .size:           2
        .value_kind:     hidden_remainder_y
      - .offset:         126
        .size:           2
        .value_kind:     hidden_remainder_z
      - .offset:         144
        .size:           8
        .value_kind:     hidden_global_offset_x
      - .offset:         152
        .size:           8
        .value_kind:     hidden_global_offset_y
      - .offset:         160
        .size:           8
        .value_kind:     hidden_global_offset_z
      - .offset:         168
        .size:           2
        .value_kind:     hidden_grid_dims
    .group_segment_fixed_size: 512
    .kernarg_segment_align: 8
    .kernarg_segment_size: 360
    .language:       OpenCL C
    .language_version:
      - 2
      - 0
    .max_flat_workgroup_size: 256
    .name:           _ZL23rocblas_gemvt_sn_kernelILb1ELi256ELi4El19rocblas_complex_numIdEPKS1_S1_EviiT4_lPKT3_lilS7_lilPT5_i
    .private_segment_fixed_size: 80
    .sgpr_count:     76
    .sgpr_spill_count: 0
    .symbol:         _ZL23rocblas_gemvt_sn_kernelILb1ELi256ELi4El19rocblas_complex_numIdEPKS1_S1_EviiT4_lPKT3_lilS7_lilPT5_i.kd
    .uniform_work_group_size: 1
    .uses_dynamic_stack: false
    .vgpr_count:     112
    .vgpr_spill_count: 0
    .wavefront_size: 32
  - .args:
      - .offset:         0
        .size:           4
        .value_kind:     by_value
      - .offset:         4
        .size:           4
        .value_kind:     by_value
      - .offset:         8
        .size:           16
        .value_kind:     by_value
      - .offset:         24
        .size:           8
        .value_kind:     by_value
      - .address_space:  global
        .offset:         32
        .size:           8
        .value_kind:     global_buffer
      - .offset:         40
        .size:           8
        .value_kind:     by_value
      - .offset:         48
        .size:           4
        .value_kind:     by_value
      - .offset:         56
        .size:           8
        .value_kind:     by_value
      - .address_space:  global
        .offset:         64
        .size:           8
        .value_kind:     global_buffer
      - .offset:         72
        .size:           8
        .value_kind:     by_value
      - .offset:         80
        .size:           4
        .value_kind:     by_value
      - .offset:         88
        .size:           8
        .value_kind:     by_value
      - .address_space:  global
        .offset:         96
        .size:           8
        .value_kind:     global_buffer
      - .offset:         104
        .size:           4
        .value_kind:     by_value
      - .offset:         112
        .size:           4
        .value_kind:     hidden_block_count_x
      - .offset:         116
        .size:           4
        .value_kind:     hidden_block_count_y
      - .offset:         120
        .size:           4
        .value_kind:     hidden_block_count_z
      - .offset:         124
        .size:           2
        .value_kind:     hidden_group_size_x
      - .offset:         126
        .size:           2
        .value_kind:     hidden_group_size_y
      - .offset:         128
        .size:           2
        .value_kind:     hidden_group_size_z
      - .offset:         130
        .size:           2
        .value_kind:     hidden_remainder_x
      - .offset:         132
        .size:           2
        .value_kind:     hidden_remainder_y
      - .offset:         134
        .size:           2
        .value_kind:     hidden_remainder_z
      - .offset:         152
        .size:           8
        .value_kind:     hidden_global_offset_x
      - .offset:         160
        .size:           8
        .value_kind:     hidden_global_offset_y
      - .offset:         168
        .size:           8
        .value_kind:     hidden_global_offset_z
      - .offset:         176
        .size:           2
        .value_kind:     hidden_grid_dims
    .group_segment_fixed_size: 512
    .kernarg_segment_align: 8
    .kernarg_segment_size: 368
    .language:       OpenCL C
    .language_version:
      - 2
      - 0
    .max_flat_workgroup_size: 256
    .name:           _ZL23rocblas_gemvt_sn_kernelILb1ELi256ELi4Ei19rocblas_complex_numIdES1_S1_EviiT4_lPKT3_lilS5_lilPT5_i
    .private_segment_fixed_size: 80
    .sgpr_count:     75
    .sgpr_spill_count: 0
    .symbol:         _ZL23rocblas_gemvt_sn_kernelILb1ELi256ELi4Ei19rocblas_complex_numIdES1_S1_EviiT4_lPKT3_lilS5_lilPT5_i.kd
    .uniform_work_group_size: 1
    .uses_dynamic_stack: false
    .vgpr_count:     124
    .vgpr_spill_count: 0
    .wavefront_size: 32
  - .args:
      - .offset:         0
        .size:           4
        .value_kind:     by_value
      - .offset:         4
        .size:           4
        .value_kind:     by_value
      - .offset:         8
        .size:           16
        .value_kind:     by_value
      - .offset:         24
        .size:           8
        .value_kind:     by_value
      - .address_space:  global
        .offset:         32
        .size:           8
        .value_kind:     global_buffer
      - .offset:         40
        .size:           8
        .value_kind:     by_value
      - .offset:         48
        .size:           4
        .value_kind:     by_value
      - .offset:         56
        .size:           8
        .value_kind:     by_value
      - .address_space:  global
        .offset:         64
        .size:           8
        .value_kind:     global_buffer
      - .offset:         72
        .size:           8
        .value_kind:     by_value
      - .offset:         80
        .size:           4
        .value_kind:     by_value
      - .offset:         88
        .size:           8
        .value_kind:     by_value
      - .address_space:  global
        .offset:         96
        .size:           8
        .value_kind:     global_buffer
      - .offset:         104
        .size:           4
        .value_kind:     by_value
      - .offset:         112
        .size:           4
        .value_kind:     hidden_block_count_x
      - .offset:         116
        .size:           4
        .value_kind:     hidden_block_count_y
      - .offset:         120
        .size:           4
        .value_kind:     hidden_block_count_z
      - .offset:         124
        .size:           2
        .value_kind:     hidden_group_size_x
      - .offset:         126
        .size:           2
        .value_kind:     hidden_group_size_y
      - .offset:         128
        .size:           2
        .value_kind:     hidden_group_size_z
      - .offset:         130
        .size:           2
        .value_kind:     hidden_remainder_x
      - .offset:         132
        .size:           2
        .value_kind:     hidden_remainder_y
      - .offset:         134
        .size:           2
        .value_kind:     hidden_remainder_z
      - .offset:         152
        .size:           8
        .value_kind:     hidden_global_offset_x
      - .offset:         160
        .size:           8
        .value_kind:     hidden_global_offset_y
      - .offset:         168
        .size:           8
        .value_kind:     hidden_global_offset_z
      - .offset:         176
        .size:           2
        .value_kind:     hidden_grid_dims
    .group_segment_fixed_size: 512
    .kernarg_segment_align: 8
    .kernarg_segment_size: 368
    .language:       OpenCL C
    .language_version:
      - 2
      - 0
    .max_flat_workgroup_size: 256
    .name:           _ZL23rocblas_gemvt_sn_kernelILb1ELi256ELi4El19rocblas_complex_numIdES1_S1_EviiT4_lPKT3_lilS5_lilPT5_i
    .private_segment_fixed_size: 80
    .sgpr_count:     76
    .sgpr_spill_count: 0
    .symbol:         _ZL23rocblas_gemvt_sn_kernelILb1ELi256ELi4El19rocblas_complex_numIdES1_S1_EviiT4_lPKT3_lilS5_lilPT5_i.kd
    .uniform_work_group_size: 1
    .uses_dynamic_stack: false
    .vgpr_count:     134
    .vgpr_spill_count: 0
    .wavefront_size: 32
  - .args:
      - .offset:         0
        .size:           4
        .value_kind:     by_value
      - .offset:         4
        .size:           4
        .value_kind:     by_value
      - .address_space:  global
        .offset:         8
        .size:           8
        .value_kind:     global_buffer
      - .offset:         16
        .size:           8
        .value_kind:     by_value
      - .address_space:  global
        .offset:         24
        .size:           8
        .value_kind:     global_buffer
      - .offset:         32
        .size:           8
        .value_kind:     by_value
      - .offset:         40
        .size:           4
        .value_kind:     by_value
      - .offset:         48
        .size:           8
        .value_kind:     by_value
      - .address_space:  global
        .offset:         56
        .size:           8
        .value_kind:     global_buffer
      - .offset:         64
        .size:           8
        .value_kind:     by_value
      - .offset:         72
        .size:           4
        .value_kind:     by_value
      - .offset:         80
        .size:           8
        .value_kind:     by_value
      - .address_space:  global
        .offset:         88
        .size:           8
        .value_kind:     global_buffer
      - .offset:         96
        .size:           8
        .value_kind:     by_value
      - .address_space:  global
        .offset:         104
        .size:           8
        .value_kind:     global_buffer
      - .offset:         112
        .size:           8
        .value_kind:     by_value
      - .offset:         120
        .size:           4
        .value_kind:     by_value
      - .offset:         128
        .size:           8
        .value_kind:     by_value
      - .offset:         136
        .size:           4
        .value_kind:     by_value
    .group_segment_fixed_size: 4096
    .kernarg_segment_align: 8
    .kernarg_segment_size: 140
    .language:       OpenCL C
    .language_version:
      - 2
      - 0
    .max_flat_workgroup_size: 256
    .name:           _ZL20rocblas_gemvt_kernelILb1ELi256E19rocblas_complex_numIdEPKS1_S1_EviiT2_lPKT1_lilS7_lilS4_lPT3_lili
    .private_segment_fixed_size: 0
    .sgpr_count:     52
    .sgpr_spill_count: 0
    .symbol:         _ZL20rocblas_gemvt_kernelILb1ELi256E19rocblas_complex_numIdEPKS1_S1_EviiT2_lPKT1_lilS7_lilS4_lPT3_lili.kd
    .uniform_work_group_size: 1
    .uses_dynamic_stack: false
    .vgpr_count:     38
    .vgpr_spill_count: 0
    .wavefront_size: 32
  - .args:
      - .offset:         0
        .size:           4
        .value_kind:     by_value
      - .offset:         4
        .size:           4
        .value_kind:     by_value
      - .offset:         8
        .size:           16
        .value_kind:     by_value
      - .offset:         24
        .size:           8
        .value_kind:     by_value
      - .address_space:  global
        .offset:         32
        .size:           8
        .value_kind:     global_buffer
      - .offset:         40
        .size:           8
        .value_kind:     by_value
      - .offset:         48
        .size:           4
        .value_kind:     by_value
      - .offset:         56
        .size:           8
        .value_kind:     by_value
      - .address_space:  global
        .offset:         64
        .size:           8
        .value_kind:     global_buffer
      - .offset:         72
        .size:           8
        .value_kind:     by_value
      - .offset:         80
        .size:           4
        .value_kind:     by_value
      - .offset:         88
        .size:           8
        .value_kind:     by_value
      - .offset:         96
        .size:           16
        .value_kind:     by_value
      - .offset:         112
        .size:           8
        .value_kind:     by_value
      - .address_space:  global
        .offset:         120
        .size:           8
        .value_kind:     global_buffer
      - .offset:         128
        .size:           8
        .value_kind:     by_value
      - .offset:         136
        .size:           4
        .value_kind:     by_value
      - .offset:         144
        .size:           8
        .value_kind:     by_value
      - .offset:         152
        .size:           4
        .value_kind:     by_value
    .group_segment_fixed_size: 4096
    .kernarg_segment_align: 8
    .kernarg_segment_size: 156
    .language:       OpenCL C
    .language_version:
      - 2
      - 0
    .max_flat_workgroup_size: 256
    .name:           _ZL20rocblas_gemvt_kernelILb1ELi256E19rocblas_complex_numIdES1_S1_EviiT2_lPKT1_lilS5_lilS2_lPT3_lili
    .private_segment_fixed_size: 0
    .sgpr_count:     56
    .sgpr_spill_count: 0
    .symbol:         _ZL20rocblas_gemvt_kernelILb1ELi256E19rocblas_complex_numIdES1_S1_EviiT2_lPKT1_lilS5_lilS2_lPT3_lili.kd
    .uniform_work_group_size: 1
    .uses_dynamic_stack: false
    .vgpr_count:     30
    .vgpr_spill_count: 0
    .wavefront_size: 32
  - .args:
      - .offset:         0
        .size:           4
        .value_kind:     by_value
      - .offset:         4
        .size:           4
        .value_kind:     by_value
      - .address_space:  global
        .offset:         8
        .size:           8
        .value_kind:     global_buffer
      - .offset:         16
        .size:           8
        .value_kind:     by_value
      - .address_space:  global
        .offset:         24
        .size:           8
        .value_kind:     global_buffer
      - .offset:         32
        .size:           8
        .value_kind:     by_value
      - .offset:         40
        .size:           4
        .value_kind:     by_value
      - .offset:         48
        .size:           8
        .value_kind:     by_value
      - .address_space:  global
        .offset:         56
        .size:           8
        .value_kind:     global_buffer
      - .offset:         64
        .size:           8
        .value_kind:     by_value
      - .offset:         72
        .size:           4
        .value_kind:     by_value
      - .offset:         80
        .size:           8
        .value_kind:     by_value
      - .address_space:  global
        .offset:         88
        .size:           8
        .value_kind:     global_buffer
      - .offset:         96
        .size:           8
        .value_kind:     by_value
      - .address_space:  global
        .offset:         104
        .size:           8
        .value_kind:     global_buffer
      - .offset:         112
        .size:           8
        .value_kind:     by_value
      - .offset:         120
        .size:           4
        .value_kind:     by_value
      - .offset:         128
        .size:           8
        .value_kind:     by_value
      - .offset:         136
        .size:           4
        .value_kind:     by_value
    .group_segment_fixed_size: 512
    .kernarg_segment_align: 8
    .kernarg_segment_size: 140
    .language:       OpenCL C
    .language_version:
      - 2
      - 0
    .max_flat_workgroup_size: 1024
    .name:           _ZL32rocblas_gemvt_warp_reduce_kernelILb1ELi1024Ei19rocblas_complex_numIdEPKS1_S1_EviiT3_lPKT2_lT1_lS7_lS8_lS4_lPT4_lS8_li
    .private_segment_fixed_size: 0
    .sgpr_count:     44
    .sgpr_spill_count: 0
    .symbol:         _ZL32rocblas_gemvt_warp_reduce_kernelILb1ELi1024Ei19rocblas_complex_numIdEPKS1_S1_EviiT3_lPKT2_lT1_lS7_lS8_lS4_lPT4_lS8_li.kd
    .uniform_work_group_size: 1
    .uses_dynamic_stack: false
    .vgpr_count:     40
    .vgpr_spill_count: 0
    .wavefront_size: 32
  - .args:
      - .offset:         0
        .size:           4
        .value_kind:     by_value
      - .offset:         4
        .size:           4
        .value_kind:     by_value
      - .address_space:  global
        .offset:         8
        .size:           8
        .value_kind:     global_buffer
      - .offset:         16
        .size:           8
        .value_kind:     by_value
      - .address_space:  global
        .offset:         24
        .size:           8
        .value_kind:     global_buffer
      - .offset:         32
        .size:           8
        .value_kind:     by_value
      - .offset:         40
        .size:           8
        .value_kind:     by_value
      - .offset:         48
        .size:           8
        .value_kind:     by_value
      - .address_space:  global
        .offset:         56
        .size:           8
        .value_kind:     global_buffer
      - .offset:         64
        .size:           8
        .value_kind:     by_value
      - .offset:         72
        .size:           8
        .value_kind:     by_value
      - .offset:         80
        .size:           8
        .value_kind:     by_value
      - .address_space:  global
        .offset:         88
        .size:           8
        .value_kind:     global_buffer
      - .offset:         96
        .size:           8
        .value_kind:     by_value
      - .address_space:  global
        .offset:         104
        .size:           8
        .value_kind:     global_buffer
      - .offset:         112
        .size:           8
        .value_kind:     by_value
      - .offset:         120
        .size:           8
        .value_kind:     by_value
      - .offset:         128
        .size:           8
        .value_kind:     by_value
      - .offset:         136
        .size:           4
        .value_kind:     by_value
    .group_segment_fixed_size: 512
    .kernarg_segment_align: 8
    .kernarg_segment_size: 140
    .language:       OpenCL C
    .language_version:
      - 2
      - 0
    .max_flat_workgroup_size: 1024
    .name:           _ZL32rocblas_gemvt_warp_reduce_kernelILb1ELi1024El19rocblas_complex_numIdEPKS1_S1_EviiT3_lPKT2_lT1_lS7_lS8_lS4_lPT4_lS8_li
    .private_segment_fixed_size: 0
    .sgpr_count:     54
    .sgpr_spill_count: 0
    .symbol:         _ZL32rocblas_gemvt_warp_reduce_kernelILb1ELi1024El19rocblas_complex_numIdEPKS1_S1_EviiT3_lPKT2_lT1_lS7_lS8_lS4_lPT4_lS8_li.kd
    .uniform_work_group_size: 1
    .uses_dynamic_stack: false
    .vgpr_count:     40
    .vgpr_spill_count: 0
    .wavefront_size: 32
  - .args:
      - .offset:         0
        .size:           4
        .value_kind:     by_value
      - .offset:         4
        .size:           4
        .value_kind:     by_value
      - .offset:         8
        .size:           16
        .value_kind:     by_value
      - .offset:         24
        .size:           8
        .value_kind:     by_value
      - .address_space:  global
        .offset:         32
        .size:           8
        .value_kind:     global_buffer
      - .offset:         40
        .size:           8
        .value_kind:     by_value
      - .offset:         48
        .size:           4
        .value_kind:     by_value
      - .offset:         56
        .size:           8
        .value_kind:     by_value
      - .address_space:  global
        .offset:         64
        .size:           8
        .value_kind:     global_buffer
      - .offset:         72
        .size:           8
        .value_kind:     by_value
      - .offset:         80
        .size:           4
        .value_kind:     by_value
      - .offset:         88
        .size:           8
        .value_kind:     by_value
      - .offset:         96
        .size:           16
        .value_kind:     by_value
      - .offset:         112
        .size:           8
        .value_kind:     by_value
      - .address_space:  global
        .offset:         120
        .size:           8
        .value_kind:     global_buffer
      - .offset:         128
        .size:           8
        .value_kind:     by_value
      - .offset:         136
        .size:           4
        .value_kind:     by_value
      - .offset:         144
        .size:           8
        .value_kind:     by_value
      - .offset:         152
        .size:           4
        .value_kind:     by_value
    .group_segment_fixed_size: 512
    .kernarg_segment_align: 8
    .kernarg_segment_size: 156
    .language:       OpenCL C
    .language_version:
      - 2
      - 0
    .max_flat_workgroup_size: 1024
    .name:           _ZL32rocblas_gemvt_warp_reduce_kernelILb1ELi1024Ei19rocblas_complex_numIdES1_S1_EviiT3_lPKT2_lT1_lS5_lS6_lS2_lPT4_lS6_li
    .private_segment_fixed_size: 0
    .sgpr_count:     49
    .sgpr_spill_count: 0
    .symbol:         _ZL32rocblas_gemvt_warp_reduce_kernelILb1ELi1024Ei19rocblas_complex_numIdES1_S1_EviiT3_lPKT2_lT1_lS5_lS6_lS2_lPT4_lS6_li.kd
    .uniform_work_group_size: 1
    .uses_dynamic_stack: false
    .vgpr_count:     32
    .vgpr_spill_count: 0
    .wavefront_size: 32
  - .args:
      - .offset:         0
        .size:           4
        .value_kind:     by_value
      - .offset:         4
        .size:           4
        .value_kind:     by_value
      - .offset:         8
        .size:           16
        .value_kind:     by_value
      - .offset:         24
        .size:           8
        .value_kind:     by_value
      - .address_space:  global
        .offset:         32
        .size:           8
        .value_kind:     global_buffer
      - .offset:         40
        .size:           8
        .value_kind:     by_value
      - .offset:         48
        .size:           8
        .value_kind:     by_value
      - .offset:         56
        .size:           8
        .value_kind:     by_value
      - .address_space:  global
        .offset:         64
        .size:           8
        .value_kind:     global_buffer
      - .offset:         72
        .size:           8
        .value_kind:     by_value
      - .offset:         80
        .size:           8
        .value_kind:     by_value
      - .offset:         88
        .size:           8
        .value_kind:     by_value
      - .offset:         96
        .size:           16
        .value_kind:     by_value
      - .offset:         112
        .size:           8
        .value_kind:     by_value
      - .address_space:  global
        .offset:         120
        .size:           8
        .value_kind:     global_buffer
      - .offset:         128
        .size:           8
        .value_kind:     by_value
      - .offset:         136
        .size:           8
        .value_kind:     by_value
      - .offset:         144
        .size:           8
        .value_kind:     by_value
      - .offset:         152
        .size:           4
        .value_kind:     by_value
    .group_segment_fixed_size: 512
    .kernarg_segment_align: 8
    .kernarg_segment_size: 156
    .language:       OpenCL C
    .language_version:
      - 2
      - 0
    .max_flat_workgroup_size: 1024
    .name:           _ZL32rocblas_gemvt_warp_reduce_kernelILb1ELi1024El19rocblas_complex_numIdES1_S1_EviiT3_lPKT2_lT1_lS5_lS6_lS2_lPT4_lS6_li
    .private_segment_fixed_size: 0
    .sgpr_count:     50
    .sgpr_spill_count: 0
    .symbol:         _ZL32rocblas_gemvt_warp_reduce_kernelILb1ELi1024El19rocblas_complex_numIdES1_S1_EviiT3_lPKT2_lT1_lS5_lS6_lS2_lPT4_lS6_li.kd
    .uniform_work_group_size: 1
    .uses_dynamic_stack: false
    .vgpr_count:     32
    .vgpr_spill_count: 0
    .wavefront_size: 32
  - .args:
      - .offset:         0
        .size:           4
        .value_kind:     by_value
      - .offset:         4
        .size:           4
        .value_kind:     by_value
      - .address_space:  global
        .offset:         8
        .size:           8
        .value_kind:     global_buffer
      - .offset:         16
        .size:           8
        .value_kind:     by_value
      - .address_space:  global
        .offset:         24
        .size:           8
        .value_kind:     global_buffer
      - .offset:         32
        .size:           8
        .value_kind:     by_value
      - .offset:         40
        .size:           4
        .value_kind:     by_value
      - .offset:         48
        .size:           8
        .value_kind:     by_value
      - .address_space:  global
        .offset:         56
        .size:           8
        .value_kind:     global_buffer
      - .offset:         64
        .size:           8
        .value_kind:     by_value
      - .offset:         72
        .size:           4
        .value_kind:     by_value
      - .offset:         80
        .size:           8
        .value_kind:     by_value
      - .address_space:  global
        .offset:         88
        .size:           8
        .value_kind:     global_buffer
      - .offset:         96
        .size:           8
        .value_kind:     by_value
      - .address_space:  global
        .offset:         104
        .size:           8
        .value_kind:     global_buffer
      - .offset:         112
        .size:           8
        .value_kind:     by_value
      - .offset:         120
        .size:           4
        .value_kind:     by_value
      - .offset:         128
        .size:           8
        .value_kind:     by_value
      - .offset:         136
        .size:           4
        .value_kind:     by_value
    .group_segment_fixed_size: 0
    .kernarg_segment_align: 8
    .kernarg_segment_size: 140
    .language:       OpenCL C
    .language_version:
      - 2
      - 0
    .max_flat_workgroup_size: 768
    .name:           _ZL34rocblas_gemvn_sm_mn_batched_kernelILi32ELi24EPKfS1_KPfEviiT2_lPKT1_lilS7_lilS4_lPT3_lili
    .private_segment_fixed_size: 0
    .sgpr_count:     0
    .sgpr_spill_count: 0
    .symbol:         _ZL34rocblas_gemvn_sm_mn_batched_kernelILi32ELi24EPKfS1_KPfEviiT2_lPKT1_lilS7_lilS4_lPT3_lili.kd
    .uniform_work_group_size: 1
    .uses_dynamic_stack: false
    .vgpr_count:     0
    .vgpr_spill_count: 0
    .wavefront_size: 32
  - .args:
      - .offset:         0
        .size:           4
        .value_kind:     by_value
      - .offset:         4
        .size:           4
        .value_kind:     by_value
      - .offset:         8
        .size:           4
        .value_kind:     by_value
      - .offset:         16
        .size:           8
        .value_kind:     by_value
      - .address_space:  global
        .offset:         24
        .size:           8
        .value_kind:     global_buffer
      - .offset:         32
        .size:           8
        .value_kind:     by_value
      - .offset:         40
        .size:           4
        .value_kind:     by_value
      - .offset:         48
        .size:           8
        .value_kind:     by_value
      - .address_space:  global
        .offset:         56
        .size:           8
        .value_kind:     global_buffer
      - .offset:         64
        .size:           8
        .value_kind:     by_value
      - .offset:         72
        .size:           4
        .value_kind:     by_value
      - .offset:         80
        .size:           8
        .value_kind:     by_value
      - .offset:         88
        .size:           4
        .value_kind:     by_value
      - .offset:         96
        .size:           8
        .value_kind:     by_value
      - .address_space:  global
        .offset:         104
        .size:           8
        .value_kind:     global_buffer
      - .offset:         112
        .size:           8
        .value_kind:     by_value
      - .offset:         120
        .size:           4
        .value_kind:     by_value
      - .offset:         128
        .size:           8
        .value_kind:     by_value
      - .offset:         136
        .size:           4
        .value_kind:     by_value
    .group_segment_fixed_size: 0
    .kernarg_segment_align: 8
    .kernarg_segment_size: 140
    .language:       OpenCL C
    .language_version:
      - 2
      - 0
    .max_flat_workgroup_size: 768
    .name:           _ZL34rocblas_gemvn_sm_mn_batched_kernelILi32ELi24EPKffKPfEviiT2_lPKT1_lilS7_lilS4_lPT3_lili
    .private_segment_fixed_size: 0
    .sgpr_count:     0
    .sgpr_spill_count: 0
    .symbol:         _ZL34rocblas_gemvn_sm_mn_batched_kernelILi32ELi24EPKffKPfEviiT2_lPKT1_lilS7_lilS4_lPT3_lili.kd
    .uniform_work_group_size: 1
    .uses_dynamic_stack: false
    .vgpr_count:     0
    .vgpr_spill_count: 0
    .wavefront_size: 32
  - .args:
      - .offset:         0
        .size:           4
        .value_kind:     by_value
      - .offset:         4
        .size:           4
        .value_kind:     by_value
      - .address_space:  global
        .offset:         8
        .size:           8
        .value_kind:     global_buffer
      - .offset:         16
        .size:           8
        .value_kind:     by_value
      - .address_space:  global
        .offset:         24
        .size:           8
        .value_kind:     global_buffer
      - .offset:         32
        .size:           8
        .value_kind:     by_value
      - .offset:         40
        .size:           4
        .value_kind:     by_value
      - .offset:         48
        .size:           8
        .value_kind:     by_value
      - .address_space:  global
        .offset:         56
        .size:           8
        .value_kind:     global_buffer
      - .offset:         64
        .size:           8
        .value_kind:     by_value
      - .offset:         72
        .size:           4
        .value_kind:     by_value
      - .offset:         80
        .size:           8
        .value_kind:     by_value
      - .address_space:  global
        .offset:         88
        .size:           8
        .value_kind:     global_buffer
      - .offset:         96
        .size:           8
        .value_kind:     by_value
      - .address_space:  global
        .offset:         104
        .size:           8
        .value_kind:     global_buffer
      - .offset:         112
        .size:           8
        .value_kind:     by_value
      - .offset:         120
        .size:           4
        .value_kind:     by_value
      - .offset:         128
        .size:           8
        .value_kind:     by_value
      - .offset:         136
        .size:           4
        .value_kind:     by_value
      - .offset:         144
        .size:           4
        .value_kind:     hidden_block_count_x
      - .offset:         148
        .size:           4
        .value_kind:     hidden_block_count_y
      - .offset:         152
        .size:           4
        .value_kind:     hidden_block_count_z
      - .offset:         156
        .size:           2
        .value_kind:     hidden_group_size_x
      - .offset:         158
        .size:           2
        .value_kind:     hidden_group_size_y
      - .offset:         160
        .size:           2
        .value_kind:     hidden_group_size_z
      - .offset:         162
        .size:           2
        .value_kind:     hidden_remainder_x
      - .offset:         164
        .size:           2
        .value_kind:     hidden_remainder_y
      - .offset:         166
        .size:           2
        .value_kind:     hidden_remainder_z
      - .offset:         184
        .size:           8
        .value_kind:     hidden_global_offset_x
      - .offset:         192
        .size:           8
        .value_kind:     hidden_global_offset_y
      - .offset:         200
        .size:           8
        .value_kind:     hidden_global_offset_z
      - .offset:         208
        .size:           2
        .value_kind:     hidden_grid_dims
    .group_segment_fixed_size: 4096
    .kernarg_segment_align: 8
    .kernarg_segment_size: 400
    .language:       OpenCL C
    .language_version:
      - 2
      - 0
    .max_flat_workgroup_size: 256
    .name:           _ZL20rocblas_gemvn_kernelILi64ELi4EiPKfS1_KPfEviiT3_lPKT2_lT1_lS7_lS8_lS4_lPT4_lS8_li
    .private_segment_fixed_size: 0
    .sgpr_count:     52
    .sgpr_spill_count: 0
    .symbol:         _ZL20rocblas_gemvn_kernelILi64ELi4EiPKfS1_KPfEviiT3_lPKT2_lT1_lS7_lS8_lS4_lPT4_lS8_li.kd
    .uniform_work_group_size: 1
    .uses_dynamic_stack: false
    .vgpr_count:     62
    .vgpr_spill_count: 0
    .wavefront_size: 32
  - .args:
      - .offset:         0
        .size:           4
        .value_kind:     by_value
      - .offset:         4
        .size:           4
        .value_kind:     by_value
      - .address_space:  global
        .offset:         8
        .size:           8
        .value_kind:     global_buffer
      - .offset:         16
        .size:           8
        .value_kind:     by_value
      - .address_space:  global
        .offset:         24
        .size:           8
        .value_kind:     global_buffer
      - .offset:         32
        .size:           8
        .value_kind:     by_value
      - .offset:         40
        .size:           8
        .value_kind:     by_value
      - .offset:         48
        .size:           8
        .value_kind:     by_value
      - .address_space:  global
        .offset:         56
        .size:           8
        .value_kind:     global_buffer
      - .offset:         64
        .size:           8
        .value_kind:     by_value
      - .offset:         72
        .size:           8
        .value_kind:     by_value
      - .offset:         80
        .size:           8
        .value_kind:     by_value
      - .address_space:  global
        .offset:         88
        .size:           8
        .value_kind:     global_buffer
      - .offset:         96
        .size:           8
        .value_kind:     by_value
      - .address_space:  global
        .offset:         104
        .size:           8
        .value_kind:     global_buffer
      - .offset:         112
        .size:           8
        .value_kind:     by_value
      - .offset:         120
        .size:           8
        .value_kind:     by_value
      - .offset:         128
        .size:           8
        .value_kind:     by_value
      - .offset:         136
        .size:           4
        .value_kind:     by_value
      - .offset:         144
        .size:           4
        .value_kind:     hidden_block_count_x
      - .offset:         148
        .size:           4
        .value_kind:     hidden_block_count_y
      - .offset:         152
        .size:           4
        .value_kind:     hidden_block_count_z
      - .offset:         156
        .size:           2
        .value_kind:     hidden_group_size_x
      - .offset:         158
        .size:           2
        .value_kind:     hidden_group_size_y
      - .offset:         160
        .size:           2
        .value_kind:     hidden_group_size_z
      - .offset:         162
        .size:           2
        .value_kind:     hidden_remainder_x
      - .offset:         164
        .size:           2
        .value_kind:     hidden_remainder_y
      - .offset:         166
        .size:           2
        .value_kind:     hidden_remainder_z
      - .offset:         184
        .size:           8
        .value_kind:     hidden_global_offset_x
      - .offset:         192
        .size:           8
        .value_kind:     hidden_global_offset_y
      - .offset:         200
        .size:           8
        .value_kind:     hidden_global_offset_z
      - .offset:         208
        .size:           2
        .value_kind:     hidden_grid_dims
    .group_segment_fixed_size: 4096
    .kernarg_segment_align: 8
    .kernarg_segment_size: 400
    .language:       OpenCL C
    .language_version:
      - 2
      - 0
    .max_flat_workgroup_size: 256
    .name:           _ZL20rocblas_gemvn_kernelILi64ELi4ElPKfS1_KPfEviiT3_lPKT2_lT1_lS7_lS8_lS4_lPT4_lS8_li
    .private_segment_fixed_size: 0
    .sgpr_count:     53
    .sgpr_spill_count: 0
    .symbol:         _ZL20rocblas_gemvn_kernelILi64ELi4ElPKfS1_KPfEviiT3_lPKT2_lT1_lS7_lS8_lS4_lPT4_lS8_li.kd
    .uniform_work_group_size: 1
    .uses_dynamic_stack: false
    .vgpr_count:     76
    .vgpr_spill_count: 0
    .wavefront_size: 32
  - .args:
      - .offset:         0
        .size:           4
        .value_kind:     by_value
      - .offset:         4
        .size:           4
        .value_kind:     by_value
      - .offset:         8
        .size:           4
        .value_kind:     by_value
      - .offset:         16
        .size:           8
        .value_kind:     by_value
      - .address_space:  global
        .offset:         24
        .size:           8
        .value_kind:     global_buffer
      - .offset:         32
        .size:           8
        .value_kind:     by_value
      - .offset:         40
        .size:           4
        .value_kind:     by_value
      - .offset:         48
        .size:           8
        .value_kind:     by_value
      - .address_space:  global
        .offset:         56
        .size:           8
        .value_kind:     global_buffer
      - .offset:         64
        .size:           8
        .value_kind:     by_value
      - .offset:         72
        .size:           4
        .value_kind:     by_value
      - .offset:         80
        .size:           8
        .value_kind:     by_value
      - .offset:         88
        .size:           4
        .value_kind:     by_value
      - .offset:         96
        .size:           8
        .value_kind:     by_value
      - .address_space:  global
        .offset:         104
        .size:           8
        .value_kind:     global_buffer
      - .offset:         112
        .size:           8
        .value_kind:     by_value
      - .offset:         120
        .size:           4
        .value_kind:     by_value
      - .offset:         128
        .size:           8
        .value_kind:     by_value
      - .offset:         136
        .size:           4
        .value_kind:     by_value
      - .offset:         144
        .size:           4
        .value_kind:     hidden_block_count_x
      - .offset:         148
        .size:           4
        .value_kind:     hidden_block_count_y
      - .offset:         152
        .size:           4
        .value_kind:     hidden_block_count_z
      - .offset:         156
        .size:           2
        .value_kind:     hidden_group_size_x
      - .offset:         158
        .size:           2
        .value_kind:     hidden_group_size_y
      - .offset:         160
        .size:           2
        .value_kind:     hidden_group_size_z
      - .offset:         162
        .size:           2
        .value_kind:     hidden_remainder_x
      - .offset:         164
        .size:           2
        .value_kind:     hidden_remainder_y
      - .offset:         166
        .size:           2
        .value_kind:     hidden_remainder_z
      - .offset:         184
        .size:           8
        .value_kind:     hidden_global_offset_x
      - .offset:         192
        .size:           8
        .value_kind:     hidden_global_offset_y
      - .offset:         200
        .size:           8
        .value_kind:     hidden_global_offset_z
      - .offset:         208
        .size:           2
        .value_kind:     hidden_grid_dims
    .group_segment_fixed_size: 4096
    .kernarg_segment_align: 8
    .kernarg_segment_size: 400
    .language:       OpenCL C
    .language_version:
      - 2
      - 0
    .max_flat_workgroup_size: 256
    .name:           _ZL20rocblas_gemvn_kernelILi64ELi4EiPKffKPfEviiT3_lPKT2_lT1_lS7_lS8_lS4_lPT4_lS8_li
    .private_segment_fixed_size: 0
    .sgpr_count:     48
    .sgpr_spill_count: 0
    .symbol:         _ZL20rocblas_gemvn_kernelILi64ELi4EiPKffKPfEviiT3_lPKT2_lT1_lS7_lS8_lS4_lPT4_lS8_li.kd
    .uniform_work_group_size: 1
    .uses_dynamic_stack: false
    .vgpr_count:     62
    .vgpr_spill_count: 0
    .wavefront_size: 32
  - .args:
      - .offset:         0
        .size:           4
        .value_kind:     by_value
      - .offset:         4
        .size:           4
        .value_kind:     by_value
      - .offset:         8
        .size:           4
        .value_kind:     by_value
      - .offset:         16
        .size:           8
        .value_kind:     by_value
      - .address_space:  global
        .offset:         24
        .size:           8
        .value_kind:     global_buffer
      - .offset:         32
        .size:           8
        .value_kind:     by_value
      - .offset:         40
        .size:           8
        .value_kind:     by_value
      - .offset:         48
        .size:           8
        .value_kind:     by_value
      - .address_space:  global
        .offset:         56
        .size:           8
        .value_kind:     global_buffer
      - .offset:         64
        .size:           8
        .value_kind:     by_value
      - .offset:         72
        .size:           8
        .value_kind:     by_value
      - .offset:         80
        .size:           8
        .value_kind:     by_value
      - .offset:         88
        .size:           4
        .value_kind:     by_value
      - .offset:         96
        .size:           8
        .value_kind:     by_value
      - .address_space:  global
        .offset:         104
        .size:           8
        .value_kind:     global_buffer
      - .offset:         112
        .size:           8
        .value_kind:     by_value
      - .offset:         120
        .size:           8
        .value_kind:     by_value
      - .offset:         128
        .size:           8
        .value_kind:     by_value
      - .offset:         136
        .size:           4
        .value_kind:     by_value
      - .offset:         144
        .size:           4
        .value_kind:     hidden_block_count_x
      - .offset:         148
        .size:           4
        .value_kind:     hidden_block_count_y
      - .offset:         152
        .size:           4
        .value_kind:     hidden_block_count_z
      - .offset:         156
        .size:           2
        .value_kind:     hidden_group_size_x
      - .offset:         158
        .size:           2
        .value_kind:     hidden_group_size_y
      - .offset:         160
        .size:           2
        .value_kind:     hidden_group_size_z
      - .offset:         162
        .size:           2
        .value_kind:     hidden_remainder_x
      - .offset:         164
        .size:           2
        .value_kind:     hidden_remainder_y
      - .offset:         166
        .size:           2
        .value_kind:     hidden_remainder_z
      - .offset:         184
        .size:           8
        .value_kind:     hidden_global_offset_x
      - .offset:         192
        .size:           8
        .value_kind:     hidden_global_offset_y
      - .offset:         200
        .size:           8
        .value_kind:     hidden_global_offset_z
      - .offset:         208
        .size:           2
        .value_kind:     hidden_grid_dims
    .group_segment_fixed_size: 4096
    .kernarg_segment_align: 8
    .kernarg_segment_size: 400
    .language:       OpenCL C
    .language_version:
      - 2
      - 0
    .max_flat_workgroup_size: 256
    .name:           _ZL20rocblas_gemvn_kernelILi64ELi4ElPKffKPfEviiT3_lPKT2_lT1_lS7_lS8_lS4_lPT4_lS8_li
    .private_segment_fixed_size: 0
    .sgpr_count:     49
    .sgpr_spill_count: 0
    .symbol:         _ZL20rocblas_gemvn_kernelILi64ELi4ElPKffKPfEviiT3_lPKT2_lT1_lS7_lS8_lS4_lPT4_lS8_li.kd
    .uniform_work_group_size: 1
    .uses_dynamic_stack: false
    .vgpr_count:     76
    .vgpr_spill_count: 0
    .wavefront_size: 32
  - .args:
      - .offset:         0
        .size:           4
        .value_kind:     by_value
      - .address_space:  global
        .offset:         8
        .size:           8
        .value_kind:     global_buffer
      - .offset:         16
        .size:           8
        .value_kind:     by_value
      - .address_space:  global
        .offset:         24
        .size:           8
        .value_kind:     global_buffer
      - .offset:         32
        .size:           8
        .value_kind:     by_value
      - .offset:         40
        .size:           4
        .value_kind:     by_value
      - .offset:         48
        .size:           8
        .value_kind:     by_value
      - .offset:         56
        .size:           4
        .value_kind:     by_value
      - .offset:         64
        .size:           4
        .value_kind:     hidden_block_count_x
      - .offset:         68
        .size:           4
        .value_kind:     hidden_block_count_y
      - .offset:         72
        .size:           4
        .value_kind:     hidden_block_count_z
      - .offset:         76
        .size:           2
        .value_kind:     hidden_group_size_x
      - .offset:         78
        .size:           2
        .value_kind:     hidden_group_size_y
      - .offset:         80
        .size:           2
        .value_kind:     hidden_group_size_z
      - .offset:         82
        .size:           2
        .value_kind:     hidden_remainder_x
      - .offset:         84
        .size:           2
        .value_kind:     hidden_remainder_y
      - .offset:         86
        .size:           2
        .value_kind:     hidden_remainder_z
      - .offset:         104
        .size:           8
        .value_kind:     hidden_global_offset_x
      - .offset:         112
        .size:           8
        .value_kind:     hidden_global_offset_y
      - .offset:         120
        .size:           8
        .value_kind:     hidden_global_offset_z
      - .offset:         128
        .size:           2
        .value_kind:     hidden_grid_dims
    .group_segment_fixed_size: 0
    .kernarg_segment_align: 8
    .kernarg_segment_size: 320
    .language:       OpenCL C
    .language_version:
      - 2
      - 0
    .max_flat_workgroup_size: 256
    .name:           _ZL24rocblas_gemv_scal_kernelILi256EPKfPKPfEviT0_lT1_lili
    .private_segment_fixed_size: 0
    .sgpr_count:     24
    .sgpr_spill_count: 0
    .symbol:         _ZL24rocblas_gemv_scal_kernelILi256EPKfPKPfEviT0_lT1_lili.kd
    .uniform_work_group_size: 1
    .uses_dynamic_stack: false
    .vgpr_count:     6
    .vgpr_spill_count: 0
    .wavefront_size: 32
  - .args:
      - .offset:         0
        .size:           4
        .value_kind:     by_value
      - .offset:         4
        .size:           4
        .value_kind:     by_value
      - .offset:         8
        .size:           8
        .value_kind:     by_value
      - .address_space:  global
        .offset:         16
        .size:           8
        .value_kind:     global_buffer
      - .offset:         24
        .size:           8
        .value_kind:     by_value
      - .offset:         32
        .size:           4
        .value_kind:     by_value
      - .offset:         40
        .size:           8
        .value_kind:     by_value
      - .offset:         48
        .size:           4
        .value_kind:     by_value
      - .offset:         56
        .size:           4
        .value_kind:     hidden_block_count_x
      - .offset:         60
        .size:           4
        .value_kind:     hidden_block_count_y
      - .offset:         64
        .size:           4
        .value_kind:     hidden_block_count_z
      - .offset:         68
        .size:           2
        .value_kind:     hidden_group_size_x
      - .offset:         70
        .size:           2
        .value_kind:     hidden_group_size_y
      - .offset:         72
        .size:           2
        .value_kind:     hidden_group_size_z
      - .offset:         74
        .size:           2
        .value_kind:     hidden_remainder_x
      - .offset:         76
        .size:           2
        .value_kind:     hidden_remainder_y
      - .offset:         78
        .size:           2
        .value_kind:     hidden_remainder_z
      - .offset:         96
        .size:           8
        .value_kind:     hidden_global_offset_x
      - .offset:         104
        .size:           8
        .value_kind:     hidden_global_offset_y
      - .offset:         112
        .size:           8
        .value_kind:     hidden_global_offset_z
      - .offset:         120
        .size:           2
        .value_kind:     hidden_grid_dims
    .group_segment_fixed_size: 0
    .kernarg_segment_align: 8
    .kernarg_segment_size: 312
    .language:       OpenCL C
    .language_version:
      - 2
      - 0
    .max_flat_workgroup_size: 256
    .name:           _ZL24rocblas_gemv_scal_kernelILi256EfPKPfEviT0_lT1_lili
    .private_segment_fixed_size: 0
    .sgpr_count:     22
    .sgpr_spill_count: 0
    .symbol:         _ZL24rocblas_gemv_scal_kernelILi256EfPKPfEviT0_lT1_lili.kd
    .uniform_work_group_size: 1
    .uses_dynamic_stack: false
    .vgpr_count:     6
    .vgpr_spill_count: 0
    .wavefront_size: 32
  - .args:
      - .offset:         0
        .size:           4
        .value_kind:     by_value
      - .offset:         4
        .size:           4
        .value_kind:     by_value
      - .address_space:  global
        .offset:         8
        .size:           8
        .value_kind:     global_buffer
      - .offset:         16
        .size:           8
        .value_kind:     by_value
      - .address_space:  global
        .offset:         24
        .size:           8
        .value_kind:     global_buffer
      - .offset:         32
        .size:           8
        .value_kind:     by_value
      - .offset:         40
        .size:           4
        .value_kind:     by_value
      - .offset:         48
        .size:           8
        .value_kind:     by_value
      - .address_space:  global
        .offset:         56
        .size:           8
        .value_kind:     global_buffer
      - .offset:         64
        .size:           8
        .value_kind:     by_value
      - .offset:         72
        .size:           4
        .value_kind:     by_value
      - .offset:         80
        .size:           8
        .value_kind:     by_value
      - .address_space:  global
        .offset:         88
        .size:           8
        .value_kind:     global_buffer
      - .offset:         96
        .size:           8
        .value_kind:     by_value
      - .offset:         104
        .size:           4
        .value_kind:     by_value
      - .offset:         112
        .size:           8
        .value_kind:     by_value
      - .offset:         120
        .size:           4
        .value_kind:     by_value
      - .offset:         128
        .size:           4
        .value_kind:     hidden_block_count_x
      - .offset:         132
        .size:           4
        .value_kind:     hidden_block_count_y
      - .offset:         136
        .size:           4
        .value_kind:     hidden_block_count_z
      - .offset:         140
        .size:           2
        .value_kind:     hidden_group_size_x
      - .offset:         142
        .size:           2
        .value_kind:     hidden_group_size_y
      - .offset:         144
        .size:           2
        .value_kind:     hidden_group_size_z
      - .offset:         146
        .size:           2
        .value_kind:     hidden_remainder_x
      - .offset:         148
        .size:           2
        .value_kind:     hidden_remainder_y
      - .offset:         150
        .size:           2
        .value_kind:     hidden_remainder_z
      - .offset:         168
        .size:           8
        .value_kind:     hidden_global_offset_x
      - .offset:         176
        .size:           8
        .value_kind:     hidden_global_offset_y
      - .offset:         184
        .size:           8
        .value_kind:     hidden_global_offset_z
      - .offset:         192
        .size:           2
        .value_kind:     hidden_grid_dims
    .group_segment_fixed_size: 8192
    .kernarg_segment_align: 8
    .kernarg_segment_size: 384
    .language:       OpenCL C
    .language_version:
      - 2
      - 0
    .max_flat_workgroup_size: 1024
    .name:           _ZL36rocblas_gemvn_double_buffered_kernelILi128ELi8ELi8EPKfS1_KPfEviiT3_lPKT2_lilS7_lilPT4_lili
    .private_segment_fixed_size: 0
    .sgpr_count:     56
    .sgpr_spill_count: 0
    .symbol:         _ZL36rocblas_gemvn_double_buffered_kernelILi128ELi8ELi8EPKfS1_KPfEviiT3_lPKT2_lilS7_lilPT4_lili.kd
    .uniform_work_group_size: 1
    .uses_dynamic_stack: false
    .vgpr_count:     82
    .vgpr_spill_count: 0
    .wavefront_size: 32
  - .args:
      - .offset:         0
        .size:           4
        .value_kind:     by_value
      - .offset:         4
        .size:           4
        .value_kind:     by_value
      - .offset:         8
        .size:           4
        .value_kind:     by_value
      - .offset:         16
        .size:           8
        .value_kind:     by_value
      - .address_space:  global
        .offset:         24
        .size:           8
        .value_kind:     global_buffer
      - .offset:         32
        .size:           8
        .value_kind:     by_value
      - .offset:         40
        .size:           4
        .value_kind:     by_value
      - .offset:         48
        .size:           8
        .value_kind:     by_value
      - .address_space:  global
        .offset:         56
        .size:           8
        .value_kind:     global_buffer
      - .offset:         64
        .size:           8
        .value_kind:     by_value
      - .offset:         72
        .size:           4
        .value_kind:     by_value
      - .offset:         80
        .size:           8
        .value_kind:     by_value
      - .address_space:  global
        .offset:         88
        .size:           8
        .value_kind:     global_buffer
      - .offset:         96
        .size:           8
        .value_kind:     by_value
      - .offset:         104
        .size:           4
        .value_kind:     by_value
      - .offset:         112
        .size:           8
        .value_kind:     by_value
      - .offset:         120
        .size:           4
        .value_kind:     by_value
      - .offset:         128
        .size:           4
        .value_kind:     hidden_block_count_x
      - .offset:         132
        .size:           4
        .value_kind:     hidden_block_count_y
      - .offset:         136
        .size:           4
        .value_kind:     hidden_block_count_z
      - .offset:         140
        .size:           2
        .value_kind:     hidden_group_size_x
      - .offset:         142
        .size:           2
        .value_kind:     hidden_group_size_y
      - .offset:         144
        .size:           2
        .value_kind:     hidden_group_size_z
      - .offset:         146
        .size:           2
        .value_kind:     hidden_remainder_x
      - .offset:         148
        .size:           2
        .value_kind:     hidden_remainder_y
      - .offset:         150
        .size:           2
        .value_kind:     hidden_remainder_z
      - .offset:         168
        .size:           8
        .value_kind:     hidden_global_offset_x
      - .offset:         176
        .size:           8
        .value_kind:     hidden_global_offset_y
      - .offset:         184
        .size:           8
        .value_kind:     hidden_global_offset_z
      - .offset:         192
        .size:           2
        .value_kind:     hidden_grid_dims
    .group_segment_fixed_size: 8192
    .kernarg_segment_align: 8
    .kernarg_segment_size: 384
    .language:       OpenCL C
    .language_version:
      - 2
      - 0
    .max_flat_workgroup_size: 1024
    .name:           _ZL36rocblas_gemvn_double_buffered_kernelILi128ELi8ELi8EPKffKPfEviiT3_lPKT2_lilS7_lilPT4_lili
    .private_segment_fixed_size: 0
    .sgpr_count:     54
    .sgpr_spill_count: 0
    .symbol:         _ZL36rocblas_gemvn_double_buffered_kernelILi128ELi8ELi8EPKffKPfEviiT3_lPKT2_lilS7_lilPT4_lili.kd
    .uniform_work_group_size: 1
    .uses_dynamic_stack: false
    .vgpr_count:     82
    .vgpr_spill_count: 0
    .wavefront_size: 32
  - .args:
      - .offset:         0
        .size:           4
        .value_kind:     by_value
      - .offset:         4
        .size:           4
        .value_kind:     by_value
      - .address_space:  global
        .offset:         8
        .size:           8
        .value_kind:     global_buffer
      - .offset:         16
        .size:           8
        .value_kind:     by_value
      - .address_space:  global
        .offset:         24
        .size:           8
        .value_kind:     global_buffer
      - .offset:         32
        .size:           8
        .value_kind:     by_value
      - .offset:         40
        .size:           4
        .value_kind:     by_value
      - .offset:         48
        .size:           8
        .value_kind:     by_value
      - .address_space:  global
        .offset:         56
        .size:           8
        .value_kind:     global_buffer
      - .offset:         64
        .size:           8
        .value_kind:     by_value
      - .offset:         72
        .size:           4
        .value_kind:     by_value
      - .offset:         80
        .size:           8
        .value_kind:     by_value
      - .address_space:  global
        .offset:         88
        .size:           8
        .value_kind:     global_buffer
      - .offset:         96
        .size:           8
        .value_kind:     by_value
      - .address_space:  global
        .offset:         104
        .size:           8
        .value_kind:     global_buffer
      - .offset:         112
        .size:           8
        .value_kind:     by_value
      - .offset:         120
        .size:           4
        .value_kind:     by_value
      - .offset:         128
        .size:           8
        .value_kind:     by_value
      - .offset:         136
        .size:           4
        .value_kind:     by_value
      - .offset:         144
        .size:           4
        .value_kind:     hidden_block_count_x
      - .offset:         148
        .size:           4
        .value_kind:     hidden_block_count_y
      - .offset:         152
        .size:           4
        .value_kind:     hidden_block_count_z
      - .offset:         156
        .size:           2
        .value_kind:     hidden_group_size_x
      - .offset:         158
        .size:           2
        .value_kind:     hidden_group_size_y
      - .offset:         160
        .size:           2
        .value_kind:     hidden_group_size_z
      - .offset:         162
        .size:           2
        .value_kind:     hidden_remainder_x
      - .offset:         164
        .size:           2
        .value_kind:     hidden_remainder_y
      - .offset:         166
        .size:           2
        .value_kind:     hidden_remainder_z
      - .offset:         184
        .size:           8
        .value_kind:     hidden_global_offset_x
      - .offset:         192
        .size:           8
        .value_kind:     hidden_global_offset_y
      - .offset:         200
        .size:           8
        .value_kind:     hidden_global_offset_z
      - .offset:         208
        .size:           2
        .value_kind:     hidden_grid_dims
    .group_segment_fixed_size: 8192
    .kernarg_segment_align: 8
    .kernarg_segment_size: 400
    .language:       OpenCL C
    .language_version:
      - 2
      - 0
    .max_flat_workgroup_size: 512
    .name:           _ZL20rocblas_gemvn_kernelILi32ELi16EiPKfS1_KPfEviiT3_lPKT2_lT1_lS7_lS8_lS4_lPT4_lS8_li
    .private_segment_fixed_size: 0
    .sgpr_count:     52
    .sgpr_spill_count: 0
    .symbol:         _ZL20rocblas_gemvn_kernelILi32ELi16EiPKfS1_KPfEviiT3_lPKT2_lT1_lS7_lS8_lS4_lPT4_lS8_li.kd
    .uniform_work_group_size: 1
    .uses_dynamic_stack: false
    .vgpr_count:     62
    .vgpr_spill_count: 0
    .wavefront_size: 32
  - .args:
      - .offset:         0
        .size:           4
        .value_kind:     by_value
      - .offset:         4
        .size:           4
        .value_kind:     by_value
      - .address_space:  global
        .offset:         8
        .size:           8
        .value_kind:     global_buffer
      - .offset:         16
        .size:           8
        .value_kind:     by_value
      - .address_space:  global
        .offset:         24
        .size:           8
        .value_kind:     global_buffer
      - .offset:         32
        .size:           8
        .value_kind:     by_value
      - .offset:         40
        .size:           8
        .value_kind:     by_value
      - .offset:         48
        .size:           8
        .value_kind:     by_value
      - .address_space:  global
        .offset:         56
        .size:           8
        .value_kind:     global_buffer
      - .offset:         64
        .size:           8
        .value_kind:     by_value
      - .offset:         72
        .size:           8
        .value_kind:     by_value
      - .offset:         80
        .size:           8
        .value_kind:     by_value
      - .address_space:  global
        .offset:         88
        .size:           8
        .value_kind:     global_buffer
      - .offset:         96
        .size:           8
        .value_kind:     by_value
      - .address_space:  global
        .offset:         104
        .size:           8
        .value_kind:     global_buffer
      - .offset:         112
        .size:           8
        .value_kind:     by_value
      - .offset:         120
        .size:           8
        .value_kind:     by_value
      - .offset:         128
        .size:           8
        .value_kind:     by_value
      - .offset:         136
        .size:           4
        .value_kind:     by_value
      - .offset:         144
        .size:           4
        .value_kind:     hidden_block_count_x
      - .offset:         148
        .size:           4
        .value_kind:     hidden_block_count_y
      - .offset:         152
        .size:           4
        .value_kind:     hidden_block_count_z
      - .offset:         156
        .size:           2
        .value_kind:     hidden_group_size_x
      - .offset:         158
        .size:           2
        .value_kind:     hidden_group_size_y
      - .offset:         160
        .size:           2
        .value_kind:     hidden_group_size_z
      - .offset:         162
        .size:           2
        .value_kind:     hidden_remainder_x
      - .offset:         164
        .size:           2
        .value_kind:     hidden_remainder_y
      - .offset:         166
        .size:           2
        .value_kind:     hidden_remainder_z
      - .offset:         184
        .size:           8
        .value_kind:     hidden_global_offset_x
      - .offset:         192
        .size:           8
        .value_kind:     hidden_global_offset_y
      - .offset:         200
        .size:           8
        .value_kind:     hidden_global_offset_z
      - .offset:         208
        .size:           2
        .value_kind:     hidden_grid_dims
    .group_segment_fixed_size: 8192
    .kernarg_segment_align: 8
    .kernarg_segment_size: 400
    .language:       OpenCL C
    .language_version:
      - 2
      - 0
    .max_flat_workgroup_size: 512
    .name:           _ZL20rocblas_gemvn_kernelILi32ELi16ElPKfS1_KPfEviiT3_lPKT2_lT1_lS7_lS8_lS4_lPT4_lS8_li
    .private_segment_fixed_size: 0
    .sgpr_count:     53
    .sgpr_spill_count: 0
    .symbol:         _ZL20rocblas_gemvn_kernelILi32ELi16ElPKfS1_KPfEviiT3_lPKT2_lT1_lS7_lS8_lS4_lPT4_lS8_li.kd
    .uniform_work_group_size: 1
    .uses_dynamic_stack: false
    .vgpr_count:     76
    .vgpr_spill_count: 0
    .wavefront_size: 32
  - .args:
      - .offset:         0
        .size:           4
        .value_kind:     by_value
      - .offset:         4
        .size:           4
        .value_kind:     by_value
      - .offset:         8
        .size:           4
        .value_kind:     by_value
      - .offset:         16
        .size:           8
        .value_kind:     by_value
      - .address_space:  global
        .offset:         24
        .size:           8
        .value_kind:     global_buffer
      - .offset:         32
        .size:           8
        .value_kind:     by_value
      - .offset:         40
        .size:           4
        .value_kind:     by_value
      - .offset:         48
        .size:           8
        .value_kind:     by_value
      - .address_space:  global
        .offset:         56
        .size:           8
        .value_kind:     global_buffer
      - .offset:         64
        .size:           8
        .value_kind:     by_value
      - .offset:         72
        .size:           4
        .value_kind:     by_value
      - .offset:         80
        .size:           8
        .value_kind:     by_value
      - .offset:         88
        .size:           4
        .value_kind:     by_value
      - .offset:         96
        .size:           8
        .value_kind:     by_value
      - .address_space:  global
        .offset:         104
        .size:           8
        .value_kind:     global_buffer
      - .offset:         112
        .size:           8
        .value_kind:     by_value
      - .offset:         120
        .size:           4
        .value_kind:     by_value
      - .offset:         128
        .size:           8
        .value_kind:     by_value
      - .offset:         136
        .size:           4
        .value_kind:     by_value
      - .offset:         144
        .size:           4
        .value_kind:     hidden_block_count_x
      - .offset:         148
        .size:           4
        .value_kind:     hidden_block_count_y
      - .offset:         152
        .size:           4
        .value_kind:     hidden_block_count_z
      - .offset:         156
        .size:           2
        .value_kind:     hidden_group_size_x
      - .offset:         158
        .size:           2
        .value_kind:     hidden_group_size_y
      - .offset:         160
        .size:           2
        .value_kind:     hidden_group_size_z
      - .offset:         162
        .size:           2
        .value_kind:     hidden_remainder_x
      - .offset:         164
        .size:           2
        .value_kind:     hidden_remainder_y
      - .offset:         166
        .size:           2
        .value_kind:     hidden_remainder_z
      - .offset:         184
        .size:           8
        .value_kind:     hidden_global_offset_x
      - .offset:         192
        .size:           8
        .value_kind:     hidden_global_offset_y
      - .offset:         200
        .size:           8
        .value_kind:     hidden_global_offset_z
      - .offset:         208
        .size:           2
        .value_kind:     hidden_grid_dims
    .group_segment_fixed_size: 8192
    .kernarg_segment_align: 8
    .kernarg_segment_size: 400
    .language:       OpenCL C
    .language_version:
      - 2
      - 0
    .max_flat_workgroup_size: 512
    .name:           _ZL20rocblas_gemvn_kernelILi32ELi16EiPKffKPfEviiT3_lPKT2_lT1_lS7_lS8_lS4_lPT4_lS8_li
    .private_segment_fixed_size: 0
    .sgpr_count:     48
    .sgpr_spill_count: 0
    .symbol:         _ZL20rocblas_gemvn_kernelILi32ELi16EiPKffKPfEviiT3_lPKT2_lT1_lS7_lS8_lS4_lPT4_lS8_li.kd
    .uniform_work_group_size: 1
    .uses_dynamic_stack: false
    .vgpr_count:     62
    .vgpr_spill_count: 0
    .wavefront_size: 32
  - .args:
      - .offset:         0
        .size:           4
        .value_kind:     by_value
      - .offset:         4
        .size:           4
        .value_kind:     by_value
      - .offset:         8
        .size:           4
        .value_kind:     by_value
      - .offset:         16
        .size:           8
        .value_kind:     by_value
      - .address_space:  global
        .offset:         24
        .size:           8
        .value_kind:     global_buffer
      - .offset:         32
        .size:           8
        .value_kind:     by_value
      - .offset:         40
        .size:           8
        .value_kind:     by_value
      - .offset:         48
        .size:           8
        .value_kind:     by_value
      - .address_space:  global
        .offset:         56
        .size:           8
        .value_kind:     global_buffer
      - .offset:         64
        .size:           8
        .value_kind:     by_value
      - .offset:         72
        .size:           8
        .value_kind:     by_value
      - .offset:         80
        .size:           8
        .value_kind:     by_value
      - .offset:         88
        .size:           4
        .value_kind:     by_value
      - .offset:         96
        .size:           8
        .value_kind:     by_value
      - .address_space:  global
        .offset:         104
        .size:           8
        .value_kind:     global_buffer
      - .offset:         112
        .size:           8
        .value_kind:     by_value
      - .offset:         120
        .size:           8
        .value_kind:     by_value
      - .offset:         128
        .size:           8
        .value_kind:     by_value
      - .offset:         136
        .size:           4
        .value_kind:     by_value
      - .offset:         144
        .size:           4
        .value_kind:     hidden_block_count_x
      - .offset:         148
        .size:           4
        .value_kind:     hidden_block_count_y
      - .offset:         152
        .size:           4
        .value_kind:     hidden_block_count_z
      - .offset:         156
        .size:           2
        .value_kind:     hidden_group_size_x
      - .offset:         158
        .size:           2
        .value_kind:     hidden_group_size_y
      - .offset:         160
        .size:           2
        .value_kind:     hidden_group_size_z
      - .offset:         162
        .size:           2
        .value_kind:     hidden_remainder_x
      - .offset:         164
        .size:           2
        .value_kind:     hidden_remainder_y
      - .offset:         166
        .size:           2
        .value_kind:     hidden_remainder_z
      - .offset:         184
        .size:           8
        .value_kind:     hidden_global_offset_x
      - .offset:         192
        .size:           8
        .value_kind:     hidden_global_offset_y
      - .offset:         200
        .size:           8
        .value_kind:     hidden_global_offset_z
      - .offset:         208
        .size:           2
        .value_kind:     hidden_grid_dims
    .group_segment_fixed_size: 8192
    .kernarg_segment_align: 8
    .kernarg_segment_size: 400
    .language:       OpenCL C
    .language_version:
      - 2
      - 0
    .max_flat_workgroup_size: 512
    .name:           _ZL20rocblas_gemvn_kernelILi32ELi16ElPKffKPfEviiT3_lPKT2_lT1_lS7_lS8_lS4_lPT4_lS8_li
    .private_segment_fixed_size: 0
    .sgpr_count:     49
    .sgpr_spill_count: 0
    .symbol:         _ZL20rocblas_gemvn_kernelILi32ELi16ElPKffKPfEviiT3_lPKT2_lT1_lS7_lS8_lS4_lPT4_lS8_li.kd
    .uniform_work_group_size: 1
    .uses_dynamic_stack: false
    .vgpr_count:     76
    .vgpr_spill_count: 0
    .wavefront_size: 32
  - .args:
      - .offset:         0
        .size:           4
        .value_kind:     by_value
      - .offset:         4
        .size:           4
        .value_kind:     by_value
      - .address_space:  global
        .offset:         8
        .size:           8
        .value_kind:     global_buffer
      - .offset:         16
        .size:           8
        .value_kind:     by_value
      - .address_space:  global
        .offset:         24
        .size:           8
        .value_kind:     global_buffer
      - .offset:         32
        .size:           8
        .value_kind:     by_value
      - .offset:         40
        .size:           4
        .value_kind:     by_value
      - .offset:         48
        .size:           8
        .value_kind:     by_value
      - .address_space:  global
        .offset:         56
        .size:           8
        .value_kind:     global_buffer
      - .offset:         64
        .size:           8
        .value_kind:     by_value
      - .offset:         72
        .size:           4
        .value_kind:     by_value
      - .offset:         80
        .size:           8
        .value_kind:     by_value
      - .address_space:  global
        .offset:         88
        .size:           8
        .value_kind:     global_buffer
      - .offset:         96
        .size:           8
        .value_kind:     by_value
      - .address_space:  global
        .offset:         104
        .size:           8
        .value_kind:     global_buffer
      - .offset:         112
        .size:           8
        .value_kind:     by_value
      - .offset:         120
        .size:           4
        .value_kind:     by_value
      - .offset:         128
        .size:           8
        .value_kind:     by_value
      - .offset:         136
        .size:           4
        .value_kind:     by_value
      - .offset:         144
        .size:           4
        .value_kind:     hidden_block_count_x
      - .offset:         148
        .size:           4
        .value_kind:     hidden_block_count_y
      - .offset:         152
        .size:           4
        .value_kind:     hidden_block_count_z
      - .offset:         156
        .size:           2
        .value_kind:     hidden_group_size_x
      - .offset:         158
        .size:           2
        .value_kind:     hidden_group_size_y
      - .offset:         160
        .size:           2
        .value_kind:     hidden_group_size_z
      - .offset:         162
        .size:           2
        .value_kind:     hidden_remainder_x
      - .offset:         164
        .size:           2
        .value_kind:     hidden_remainder_y
      - .offset:         166
        .size:           2
        .value_kind:     hidden_remainder_z
      - .offset:         184
        .size:           8
        .value_kind:     hidden_global_offset_x
      - .offset:         192
        .size:           8
        .value_kind:     hidden_global_offset_y
      - .offset:         200
        .size:           8
        .value_kind:     hidden_global_offset_z
      - .offset:         208
        .size:           2
        .value_kind:     hidden_grid_dims
    .group_segment_fixed_size: 16384
    .kernarg_segment_align: 8
    .kernarg_segment_size: 400
    .language:       OpenCL C
    .language_version:
      - 2
      - 0
    .max_flat_workgroup_size: 1024
    .name:           _ZL20rocblas_gemvn_kernelILi64ELi16EiPKfS1_KPfEviiT3_lPKT2_lT1_lS7_lS8_lS4_lPT4_lS8_li
    .private_segment_fixed_size: 0
    .sgpr_count:     52
    .sgpr_spill_count: 0
    .symbol:         _ZL20rocblas_gemvn_kernelILi64ELi16EiPKfS1_KPfEviiT3_lPKT2_lT1_lS7_lS8_lS4_lPT4_lS8_li.kd
    .uniform_work_group_size: 1
    .uses_dynamic_stack: false
    .vgpr_count:     62
    .vgpr_spill_count: 0
    .wavefront_size: 32
  - .args:
      - .offset:         0
        .size:           4
        .value_kind:     by_value
      - .offset:         4
        .size:           4
        .value_kind:     by_value
      - .address_space:  global
        .offset:         8
        .size:           8
        .value_kind:     global_buffer
      - .offset:         16
        .size:           8
        .value_kind:     by_value
      - .address_space:  global
        .offset:         24
        .size:           8
        .value_kind:     global_buffer
      - .offset:         32
        .size:           8
        .value_kind:     by_value
      - .offset:         40
        .size:           8
        .value_kind:     by_value
      - .offset:         48
        .size:           8
        .value_kind:     by_value
      - .address_space:  global
        .offset:         56
        .size:           8
        .value_kind:     global_buffer
      - .offset:         64
        .size:           8
        .value_kind:     by_value
      - .offset:         72
        .size:           8
        .value_kind:     by_value
      - .offset:         80
        .size:           8
        .value_kind:     by_value
      - .address_space:  global
        .offset:         88
        .size:           8
        .value_kind:     global_buffer
      - .offset:         96
        .size:           8
        .value_kind:     by_value
      - .address_space:  global
        .offset:         104
        .size:           8
        .value_kind:     global_buffer
      - .offset:         112
        .size:           8
        .value_kind:     by_value
      - .offset:         120
        .size:           8
        .value_kind:     by_value
      - .offset:         128
        .size:           8
        .value_kind:     by_value
      - .offset:         136
        .size:           4
        .value_kind:     by_value
      - .offset:         144
        .size:           4
        .value_kind:     hidden_block_count_x
      - .offset:         148
        .size:           4
        .value_kind:     hidden_block_count_y
      - .offset:         152
        .size:           4
        .value_kind:     hidden_block_count_z
      - .offset:         156
        .size:           2
        .value_kind:     hidden_group_size_x
      - .offset:         158
        .size:           2
        .value_kind:     hidden_group_size_y
      - .offset:         160
        .size:           2
        .value_kind:     hidden_group_size_z
      - .offset:         162
        .size:           2
        .value_kind:     hidden_remainder_x
      - .offset:         164
        .size:           2
        .value_kind:     hidden_remainder_y
      - .offset:         166
        .size:           2
        .value_kind:     hidden_remainder_z
      - .offset:         184
        .size:           8
        .value_kind:     hidden_global_offset_x
      - .offset:         192
        .size:           8
        .value_kind:     hidden_global_offset_y
      - .offset:         200
        .size:           8
        .value_kind:     hidden_global_offset_z
      - .offset:         208
        .size:           2
        .value_kind:     hidden_grid_dims
    .group_segment_fixed_size: 16384
    .kernarg_segment_align: 8
    .kernarg_segment_size: 400
    .language:       OpenCL C
    .language_version:
      - 2
      - 0
    .max_flat_workgroup_size: 1024
    .name:           _ZL20rocblas_gemvn_kernelILi64ELi16ElPKfS1_KPfEviiT3_lPKT2_lT1_lS7_lS8_lS4_lPT4_lS8_li
    .private_segment_fixed_size: 0
    .sgpr_count:     53
    .sgpr_spill_count: 0
    .symbol:         _ZL20rocblas_gemvn_kernelILi64ELi16ElPKfS1_KPfEviiT3_lPKT2_lT1_lS7_lS8_lS4_lPT4_lS8_li.kd
    .uniform_work_group_size: 1
    .uses_dynamic_stack: false
    .vgpr_count:     72
    .vgpr_spill_count: 0
    .wavefront_size: 32
  - .args:
      - .offset:         0
        .size:           4
        .value_kind:     by_value
      - .offset:         4
        .size:           4
        .value_kind:     by_value
      - .offset:         8
        .size:           4
        .value_kind:     by_value
      - .offset:         16
        .size:           8
        .value_kind:     by_value
      - .address_space:  global
        .offset:         24
        .size:           8
        .value_kind:     global_buffer
      - .offset:         32
        .size:           8
        .value_kind:     by_value
      - .offset:         40
        .size:           4
        .value_kind:     by_value
      - .offset:         48
        .size:           8
        .value_kind:     by_value
      - .address_space:  global
        .offset:         56
        .size:           8
        .value_kind:     global_buffer
      - .offset:         64
        .size:           8
        .value_kind:     by_value
      - .offset:         72
        .size:           4
        .value_kind:     by_value
      - .offset:         80
        .size:           8
        .value_kind:     by_value
      - .offset:         88
        .size:           4
        .value_kind:     by_value
      - .offset:         96
        .size:           8
        .value_kind:     by_value
      - .address_space:  global
        .offset:         104
        .size:           8
        .value_kind:     global_buffer
      - .offset:         112
        .size:           8
        .value_kind:     by_value
      - .offset:         120
        .size:           4
        .value_kind:     by_value
      - .offset:         128
        .size:           8
        .value_kind:     by_value
      - .offset:         136
        .size:           4
        .value_kind:     by_value
      - .offset:         144
        .size:           4
        .value_kind:     hidden_block_count_x
      - .offset:         148
        .size:           4
        .value_kind:     hidden_block_count_y
      - .offset:         152
        .size:           4
        .value_kind:     hidden_block_count_z
      - .offset:         156
        .size:           2
        .value_kind:     hidden_group_size_x
      - .offset:         158
        .size:           2
        .value_kind:     hidden_group_size_y
      - .offset:         160
        .size:           2
        .value_kind:     hidden_group_size_z
      - .offset:         162
        .size:           2
        .value_kind:     hidden_remainder_x
      - .offset:         164
        .size:           2
        .value_kind:     hidden_remainder_y
      - .offset:         166
        .size:           2
        .value_kind:     hidden_remainder_z
      - .offset:         184
        .size:           8
        .value_kind:     hidden_global_offset_x
      - .offset:         192
        .size:           8
        .value_kind:     hidden_global_offset_y
      - .offset:         200
        .size:           8
        .value_kind:     hidden_global_offset_z
      - .offset:         208
        .size:           2
        .value_kind:     hidden_grid_dims
    .group_segment_fixed_size: 16384
    .kernarg_segment_align: 8
    .kernarg_segment_size: 400
    .language:       OpenCL C
    .language_version:
      - 2
      - 0
    .max_flat_workgroup_size: 1024
    .name:           _ZL20rocblas_gemvn_kernelILi64ELi16EiPKffKPfEviiT3_lPKT2_lT1_lS7_lS8_lS4_lPT4_lS8_li
    .private_segment_fixed_size: 0
    .sgpr_count:     48
    .sgpr_spill_count: 0
    .symbol:         _ZL20rocblas_gemvn_kernelILi64ELi16EiPKffKPfEviiT3_lPKT2_lT1_lS7_lS8_lS4_lPT4_lS8_li.kd
    .uniform_work_group_size: 1
    .uses_dynamic_stack: false
    .vgpr_count:     62
    .vgpr_spill_count: 0
    .wavefront_size: 32
  - .args:
      - .offset:         0
        .size:           4
        .value_kind:     by_value
      - .offset:         4
        .size:           4
        .value_kind:     by_value
      - .offset:         8
        .size:           4
        .value_kind:     by_value
      - .offset:         16
        .size:           8
        .value_kind:     by_value
      - .address_space:  global
        .offset:         24
        .size:           8
        .value_kind:     global_buffer
      - .offset:         32
        .size:           8
        .value_kind:     by_value
      - .offset:         40
        .size:           8
        .value_kind:     by_value
      - .offset:         48
        .size:           8
        .value_kind:     by_value
      - .address_space:  global
        .offset:         56
        .size:           8
        .value_kind:     global_buffer
      - .offset:         64
        .size:           8
        .value_kind:     by_value
      - .offset:         72
        .size:           8
        .value_kind:     by_value
      - .offset:         80
        .size:           8
        .value_kind:     by_value
      - .offset:         88
        .size:           4
        .value_kind:     by_value
      - .offset:         96
        .size:           8
        .value_kind:     by_value
      - .address_space:  global
        .offset:         104
        .size:           8
        .value_kind:     global_buffer
      - .offset:         112
        .size:           8
        .value_kind:     by_value
      - .offset:         120
        .size:           8
        .value_kind:     by_value
      - .offset:         128
        .size:           8
        .value_kind:     by_value
      - .offset:         136
        .size:           4
        .value_kind:     by_value
      - .offset:         144
        .size:           4
        .value_kind:     hidden_block_count_x
      - .offset:         148
        .size:           4
        .value_kind:     hidden_block_count_y
      - .offset:         152
        .size:           4
        .value_kind:     hidden_block_count_z
      - .offset:         156
        .size:           2
        .value_kind:     hidden_group_size_x
      - .offset:         158
        .size:           2
        .value_kind:     hidden_group_size_y
      - .offset:         160
        .size:           2
        .value_kind:     hidden_group_size_z
      - .offset:         162
        .size:           2
        .value_kind:     hidden_remainder_x
      - .offset:         164
        .size:           2
        .value_kind:     hidden_remainder_y
      - .offset:         166
        .size:           2
        .value_kind:     hidden_remainder_z
      - .offset:         184
        .size:           8
        .value_kind:     hidden_global_offset_x
      - .offset:         192
        .size:           8
        .value_kind:     hidden_global_offset_y
      - .offset:         200
        .size:           8
        .value_kind:     hidden_global_offset_z
      - .offset:         208
        .size:           2
        .value_kind:     hidden_grid_dims
    .group_segment_fixed_size: 16384
    .kernarg_segment_align: 8
    .kernarg_segment_size: 400
    .language:       OpenCL C
    .language_version:
      - 2
      - 0
    .max_flat_workgroup_size: 1024
    .name:           _ZL20rocblas_gemvn_kernelILi64ELi16ElPKffKPfEviiT3_lPKT2_lT1_lS7_lS8_lS4_lPT4_lS8_li
    .private_segment_fixed_size: 0
    .sgpr_count:     49
    .sgpr_spill_count: 0
    .symbol:         _ZL20rocblas_gemvn_kernelILi64ELi16ElPKffKPfEviiT3_lPKT2_lT1_lS7_lS8_lS4_lPT4_lS8_li.kd
    .uniform_work_group_size: 1
    .uses_dynamic_stack: false
    .vgpr_count:     72
    .vgpr_spill_count: 0
    .wavefront_size: 32
  - .args:
      - .offset:         0
        .size:           4
        .value_kind:     by_value
      - .offset:         4
        .size:           4
        .value_kind:     by_value
      - .address_space:  global
        .offset:         8
        .size:           8
        .value_kind:     global_buffer
      - .offset:         16
        .size:           8
        .value_kind:     by_value
      - .address_space:  global
        .offset:         24
        .size:           8
        .value_kind:     global_buffer
      - .offset:         32
        .size:           8
        .value_kind:     by_value
      - .offset:         40
        .size:           4
        .value_kind:     by_value
      - .offset:         48
        .size:           8
        .value_kind:     by_value
      - .address_space:  global
        .offset:         56
        .size:           8
        .value_kind:     global_buffer
      - .offset:         64
        .size:           8
        .value_kind:     by_value
      - .offset:         72
        .size:           4
        .value_kind:     by_value
      - .offset:         80
        .size:           8
        .value_kind:     by_value
      - .address_space:  global
        .offset:         88
        .size:           8
        .value_kind:     global_buffer
      - .offset:         96
        .size:           8
        .value_kind:     by_value
      - .address_space:  global
        .offset:         104
        .size:           8
        .value_kind:     global_buffer
      - .offset:         112
        .size:           8
        .value_kind:     by_value
      - .offset:         120
        .size:           4
        .value_kind:     by_value
      - .offset:         128
        .size:           8
        .value_kind:     by_value
    .group_segment_fixed_size: 256
    .kernarg_segment_align: 8
    .kernarg_segment_size: 136
    .language:       OpenCL C
    .language_version:
      - 2
      - 0
    .max_flat_workgroup_size: 256
    .name:           _ZL22rocblas_gemvtsm_kernelILb0ELi256EPKfS1_KPfEviiT2_lPKT1_lilS7_lilS4_lPT3_lil
    .private_segment_fixed_size: 0
    .sgpr_count:     24
    .sgpr_spill_count: 0
    .symbol:         _ZL22rocblas_gemvtsm_kernelILb0ELi256EPKfS1_KPfEviiT2_lPKT1_lilS7_lilS4_lPT3_lil.kd
    .uniform_work_group_size: 1
    .uses_dynamic_stack: false
    .vgpr_count:     28
    .vgpr_spill_count: 0
    .wavefront_size: 32
  - .args:
      - .offset:         0
        .size:           4
        .value_kind:     by_value
      - .offset:         4
        .size:           4
        .value_kind:     by_value
      - .offset:         8
        .size:           4
        .value_kind:     by_value
      - .offset:         16
        .size:           8
        .value_kind:     by_value
      - .address_space:  global
        .offset:         24
        .size:           8
        .value_kind:     global_buffer
      - .offset:         32
        .size:           8
        .value_kind:     by_value
      - .offset:         40
        .size:           4
        .value_kind:     by_value
      - .offset:         48
        .size:           8
        .value_kind:     by_value
      - .address_space:  global
        .offset:         56
        .size:           8
        .value_kind:     global_buffer
      - .offset:         64
        .size:           8
        .value_kind:     by_value
      - .offset:         72
        .size:           4
        .value_kind:     by_value
      - .offset:         80
        .size:           8
        .value_kind:     by_value
      - .offset:         88
        .size:           4
        .value_kind:     by_value
      - .offset:         96
        .size:           8
        .value_kind:     by_value
      - .address_space:  global
        .offset:         104
        .size:           8
        .value_kind:     global_buffer
      - .offset:         112
        .size:           8
        .value_kind:     by_value
      - .offset:         120
        .size:           4
        .value_kind:     by_value
      - .offset:         128
        .size:           8
        .value_kind:     by_value
    .group_segment_fixed_size: 256
    .kernarg_segment_align: 8
    .kernarg_segment_size: 136
    .language:       OpenCL C
    .language_version:
      - 2
      - 0
    .max_flat_workgroup_size: 256
    .name:           _ZL22rocblas_gemvtsm_kernelILb0ELi256EPKffKPfEviiT2_lPKT1_lilS7_lilS4_lPT3_lil
    .private_segment_fixed_size: 0
    .sgpr_count:     26
    .sgpr_spill_count: 0
    .symbol:         _ZL22rocblas_gemvtsm_kernelILb0ELi256EPKffKPfEviiT2_lPKT1_lilS7_lilS4_lPT3_lil.kd
    .uniform_work_group_size: 1
    .uses_dynamic_stack: false
    .vgpr_count:     28
    .vgpr_spill_count: 0
    .wavefront_size: 32
  - .args:
      - .offset:         0
        .size:           4
        .value_kind:     by_value
      - .offset:         4
        .size:           4
        .value_kind:     by_value
      - .address_space:  global
        .offset:         8
        .size:           8
        .value_kind:     global_buffer
      - .offset:         16
        .size:           8
        .value_kind:     by_value
      - .address_space:  global
        .offset:         24
        .size:           8
        .value_kind:     global_buffer
      - .offset:         32
        .size:           8
        .value_kind:     by_value
      - .offset:         40
        .size:           4
        .value_kind:     by_value
      - .offset:         48
        .size:           8
        .value_kind:     by_value
      - .address_space:  global
        .offset:         56
        .size:           8
        .value_kind:     global_buffer
      - .offset:         64
        .size:           8
        .value_kind:     by_value
      - .offset:         72
        .size:           4
        .value_kind:     by_value
      - .offset:         80
        .size:           8
        .value_kind:     by_value
      - .address_space:  global
        .offset:         88
        .size:           8
        .value_kind:     global_buffer
      - .offset:         96
        .size:           4
        .value_kind:     by_value
      - .offset:         104
        .size:           4
        .value_kind:     hidden_block_count_x
      - .offset:         108
        .size:           4
        .value_kind:     hidden_block_count_y
      - .offset:         112
        .size:           4
        .value_kind:     hidden_block_count_z
      - .offset:         116
        .size:           2
        .value_kind:     hidden_group_size_x
      - .offset:         118
        .size:           2
        .value_kind:     hidden_group_size_y
      - .offset:         120
        .size:           2
        .value_kind:     hidden_group_size_z
      - .offset:         122
        .size:           2
        .value_kind:     hidden_remainder_x
      - .offset:         124
        .size:           2
        .value_kind:     hidden_remainder_y
      - .offset:         126
        .size:           2
        .value_kind:     hidden_remainder_z
      - .offset:         144
        .size:           8
        .value_kind:     hidden_global_offset_x
      - .offset:         152
        .size:           8
        .value_kind:     hidden_global_offset_y
      - .offset:         160
        .size:           8
        .value_kind:     hidden_global_offset_z
      - .offset:         168
        .size:           2
        .value_kind:     hidden_grid_dims
    .group_segment_fixed_size: 128
    .kernarg_segment_align: 8
    .kernarg_segment_size: 360
    .language:       OpenCL C
    .language_version:
      - 2
      - 0
    .max_flat_workgroup_size: 256
    .name:           _ZL23rocblas_gemvt_sn_kernelILb0ELi256ELi4EiPKfS1_fEviiT4_lPKT3_lilS5_lilPT5_i
    .private_segment_fixed_size: 0
    .sgpr_count:     82
    .sgpr_spill_count: 0
    .symbol:         _ZL23rocblas_gemvt_sn_kernelILb0ELi256ELi4EiPKfS1_fEviiT4_lPKT3_lilS5_lilPT5_i.kd
    .uniform_work_group_size: 1
    .uses_dynamic_stack: false
    .vgpr_count:     68
    .vgpr_spill_count: 0
    .wavefront_size: 32
  - .args:
      - .offset:         0
        .size:           4
        .value_kind:     by_value
      - .offset:         4
        .size:           4
        .value_kind:     by_value
      - .address_space:  global
        .offset:         8
        .size:           8
        .value_kind:     global_buffer
      - .offset:         16
        .size:           8
        .value_kind:     by_value
      - .address_space:  global
        .offset:         24
        .size:           8
        .value_kind:     global_buffer
      - .offset:         32
        .size:           8
        .value_kind:     by_value
      - .offset:         40
        .size:           4
        .value_kind:     by_value
      - .offset:         48
        .size:           8
        .value_kind:     by_value
      - .address_space:  global
        .offset:         56
        .size:           8
        .value_kind:     global_buffer
      - .offset:         64
        .size:           8
        .value_kind:     by_value
      - .offset:         72
        .size:           4
        .value_kind:     by_value
      - .offset:         80
        .size:           8
        .value_kind:     by_value
      - .address_space:  global
        .offset:         88
        .size:           8
        .value_kind:     global_buffer
      - .offset:         96
        .size:           4
        .value_kind:     by_value
      - .offset:         104
        .size:           4
        .value_kind:     hidden_block_count_x
      - .offset:         108
        .size:           4
        .value_kind:     hidden_block_count_y
      - .offset:         112
        .size:           4
        .value_kind:     hidden_block_count_z
      - .offset:         116
        .size:           2
        .value_kind:     hidden_group_size_x
      - .offset:         118
        .size:           2
        .value_kind:     hidden_group_size_y
      - .offset:         120
        .size:           2
        .value_kind:     hidden_group_size_z
      - .offset:         122
        .size:           2
        .value_kind:     hidden_remainder_x
      - .offset:         124
        .size:           2
        .value_kind:     hidden_remainder_y
      - .offset:         126
        .size:           2
        .value_kind:     hidden_remainder_z
      - .offset:         144
        .size:           8
        .value_kind:     hidden_global_offset_x
      - .offset:         152
        .size:           8
        .value_kind:     hidden_global_offset_y
      - .offset:         160
        .size:           8
        .value_kind:     hidden_global_offset_z
      - .offset:         168
        .size:           2
        .value_kind:     hidden_grid_dims
    .group_segment_fixed_size: 128
    .kernarg_segment_align: 8
    .kernarg_segment_size: 360
    .language:       OpenCL C
    .language_version:
      - 2
      - 0
    .max_flat_workgroup_size: 256
    .name:           _ZL23rocblas_gemvt_sn_kernelILb0ELi256ELi4ElPKfS1_fEviiT4_lPKT3_lilS5_lilPT5_i
    .private_segment_fixed_size: 0
    .sgpr_count:     74
    .sgpr_spill_count: 0
    .symbol:         _ZL23rocblas_gemvt_sn_kernelILb0ELi256ELi4ElPKfS1_fEviiT4_lPKT3_lilS5_lilPT5_i.kd
    .uniform_work_group_size: 1
    .uses_dynamic_stack: false
    .vgpr_count:     74
    .vgpr_spill_count: 0
    .wavefront_size: 32
  - .args:
      - .offset:         0
        .size:           4
        .value_kind:     by_value
      - .offset:         4
        .size:           4
        .value_kind:     by_value
      - .offset:         8
        .size:           4
        .value_kind:     by_value
      - .offset:         16
        .size:           8
        .value_kind:     by_value
      - .address_space:  global
        .offset:         24
        .size:           8
        .value_kind:     global_buffer
      - .offset:         32
        .size:           8
        .value_kind:     by_value
      - .offset:         40
        .size:           4
        .value_kind:     by_value
      - .offset:         48
        .size:           8
        .value_kind:     by_value
      - .address_space:  global
        .offset:         56
        .size:           8
        .value_kind:     global_buffer
      - .offset:         64
        .size:           8
        .value_kind:     by_value
      - .offset:         72
        .size:           4
        .value_kind:     by_value
      - .offset:         80
        .size:           8
        .value_kind:     by_value
      - .address_space:  global
        .offset:         88
        .size:           8
        .value_kind:     global_buffer
      - .offset:         96
        .size:           4
        .value_kind:     by_value
      - .offset:         104
        .size:           4
        .value_kind:     hidden_block_count_x
      - .offset:         108
        .size:           4
        .value_kind:     hidden_block_count_y
      - .offset:         112
        .size:           4
        .value_kind:     hidden_block_count_z
      - .offset:         116
        .size:           2
        .value_kind:     hidden_group_size_x
      - .offset:         118
        .size:           2
        .value_kind:     hidden_group_size_y
      - .offset:         120
        .size:           2
        .value_kind:     hidden_group_size_z
      - .offset:         122
        .size:           2
        .value_kind:     hidden_remainder_x
      - .offset:         124
        .size:           2
        .value_kind:     hidden_remainder_y
      - .offset:         126
        .size:           2
        .value_kind:     hidden_remainder_z
      - .offset:         144
        .size:           8
        .value_kind:     hidden_global_offset_x
      - .offset:         152
        .size:           8
        .value_kind:     hidden_global_offset_y
      - .offset:         160
        .size:           8
        .value_kind:     hidden_global_offset_z
      - .offset:         168
        .size:           2
        .value_kind:     hidden_grid_dims
    .group_segment_fixed_size: 128
    .kernarg_segment_align: 8
    .kernarg_segment_size: 360
    .language:       OpenCL C
    .language_version:
      - 2
      - 0
    .max_flat_workgroup_size: 256
    .name:           _ZL23rocblas_gemvt_sn_kernelILb0ELi256ELi4EiPKfffEviiT4_lPKT3_lilS5_lilPT5_i
    .private_segment_fixed_size: 0
    .sgpr_count:     80
    .sgpr_spill_count: 0
    .symbol:         _ZL23rocblas_gemvt_sn_kernelILb0ELi256ELi4EiPKfffEviiT4_lPKT3_lilS5_lilPT5_i.kd
    .uniform_work_group_size: 1
    .uses_dynamic_stack: false
    .vgpr_count:     64
    .vgpr_spill_count: 0
    .wavefront_size: 32
  - .args:
      - .offset:         0
        .size:           4
        .value_kind:     by_value
      - .offset:         4
        .size:           4
        .value_kind:     by_value
      - .offset:         8
        .size:           4
        .value_kind:     by_value
      - .offset:         16
        .size:           8
        .value_kind:     by_value
      - .address_space:  global
        .offset:         24
        .size:           8
        .value_kind:     global_buffer
      - .offset:         32
        .size:           8
        .value_kind:     by_value
      - .offset:         40
        .size:           4
        .value_kind:     by_value
      - .offset:         48
        .size:           8
        .value_kind:     by_value
      - .address_space:  global
        .offset:         56
        .size:           8
        .value_kind:     global_buffer
      - .offset:         64
        .size:           8
        .value_kind:     by_value
      - .offset:         72
        .size:           4
        .value_kind:     by_value
      - .offset:         80
        .size:           8
        .value_kind:     by_value
      - .address_space:  global
        .offset:         88
        .size:           8
        .value_kind:     global_buffer
      - .offset:         96
        .size:           4
        .value_kind:     by_value
      - .offset:         104
        .size:           4
        .value_kind:     hidden_block_count_x
      - .offset:         108
        .size:           4
        .value_kind:     hidden_block_count_y
      - .offset:         112
        .size:           4
        .value_kind:     hidden_block_count_z
      - .offset:         116
        .size:           2
        .value_kind:     hidden_group_size_x
      - .offset:         118
        .size:           2
        .value_kind:     hidden_group_size_y
      - .offset:         120
        .size:           2
        .value_kind:     hidden_group_size_z
      - .offset:         122
        .size:           2
        .value_kind:     hidden_remainder_x
      - .offset:         124
        .size:           2
        .value_kind:     hidden_remainder_y
      - .offset:         126
        .size:           2
        .value_kind:     hidden_remainder_z
      - .offset:         144
        .size:           8
        .value_kind:     hidden_global_offset_x
      - .offset:         152
        .size:           8
        .value_kind:     hidden_global_offset_y
      - .offset:         160
        .size:           8
        .value_kind:     hidden_global_offset_z
      - .offset:         168
        .size:           2
        .value_kind:     hidden_grid_dims
    .group_segment_fixed_size: 128
    .kernarg_segment_align: 8
    .kernarg_segment_size: 360
    .language:       OpenCL C
    .language_version:
      - 2
      - 0
    .max_flat_workgroup_size: 256
    .name:           _ZL23rocblas_gemvt_sn_kernelILb0ELi256ELi4ElPKfffEviiT4_lPKT3_lilS5_lilPT5_i
    .private_segment_fixed_size: 0
    .sgpr_count:     70
    .sgpr_spill_count: 0
    .symbol:         _ZL23rocblas_gemvt_sn_kernelILb0ELi256ELi4ElPKfffEviiT4_lPKT3_lilS5_lilPT5_i.kd
    .uniform_work_group_size: 1
    .uses_dynamic_stack: false
    .vgpr_count:     72
    .vgpr_spill_count: 0
    .wavefront_size: 32
  - .args:
      - .offset:         0
        .size:           4
        .value_kind:     by_value
      - .offset:         4
        .size:           4
        .value_kind:     by_value
      - .address_space:  global
        .offset:         8
        .size:           8
        .value_kind:     global_buffer
      - .offset:         16
        .size:           8
        .value_kind:     by_value
      - .address_space:  global
        .offset:         24
        .size:           8
        .value_kind:     global_buffer
      - .offset:         32
        .size:           8
        .value_kind:     by_value
      - .offset:         40
        .size:           4
        .value_kind:     by_value
      - .offset:         48
        .size:           8
        .value_kind:     by_value
      - .address_space:  global
        .offset:         56
        .size:           8
        .value_kind:     global_buffer
      - .offset:         64
        .size:           8
        .value_kind:     by_value
      - .offset:         72
        .size:           4
        .value_kind:     by_value
      - .offset:         80
        .size:           8
        .value_kind:     by_value
      - .address_space:  global
        .offset:         88
        .size:           8
        .value_kind:     global_buffer
      - .offset:         96
        .size:           8
        .value_kind:     by_value
      - .offset:         104
        .size:           4
        .value_kind:     by_value
      - .offset:         112
        .size:           8
        .value_kind:     by_value
      - .offset:         120
        .size:           4
        .value_kind:     by_value
      - .offset:         128
        .size:           4
        .value_kind:     hidden_block_count_x
      - .offset:         132
        .size:           4
        .value_kind:     hidden_block_count_y
      - .offset:         136
        .size:           4
        .value_kind:     hidden_block_count_z
      - .offset:         140
        .size:           2
        .value_kind:     hidden_group_size_x
      - .offset:         142
        .size:           2
        .value_kind:     hidden_group_size_y
      - .offset:         144
        .size:           2
        .value_kind:     hidden_group_size_z
      - .offset:         146
        .size:           2
        .value_kind:     hidden_remainder_x
      - .offset:         148
        .size:           2
        .value_kind:     hidden_remainder_y
      - .offset:         150
        .size:           2
        .value_kind:     hidden_remainder_z
      - .offset:         168
        .size:           8
        .value_kind:     hidden_global_offset_x
      - .offset:         176
        .size:           8
        .value_kind:     hidden_global_offset_y
      - .offset:         184
        .size:           8
        .value_kind:     hidden_global_offset_z
      - .offset:         192
        .size:           2
        .value_kind:     hidden_grid_dims
    .group_segment_fixed_size: 32768
    .kernarg_segment_align: 8
    .kernarg_segment_size: 384
    .language:       OpenCL C
    .language_version:
      - 2
      - 0
    .max_flat_workgroup_size: 1024
    .name:           _ZL36rocblas_gemvt_double_buffered_kernelILb0ELi128ELi8ELi8EPKfS1_KPfEviiT4_lPKT3_lilS7_lilPT5_lili
    .private_segment_fixed_size: 84
    .sgpr_count:     48
    .sgpr_spill_count: 0
    .symbol:         _ZL36rocblas_gemvt_double_buffered_kernelILb0ELi128ELi8ELi8EPKfS1_KPfEviiT4_lPKT3_lilS7_lilPT5_lili.kd
    .uniform_work_group_size: 1
    .uses_dynamic_stack: false
    .vgpr_count:     128
    .vgpr_spill_count: 20
    .wavefront_size: 32
  - .args:
      - .offset:         0
        .size:           4
        .value_kind:     by_value
      - .offset:         4
        .size:           4
        .value_kind:     by_value
      - .offset:         8
        .size:           4
        .value_kind:     by_value
      - .offset:         16
        .size:           8
        .value_kind:     by_value
      - .address_space:  global
        .offset:         24
        .size:           8
        .value_kind:     global_buffer
      - .offset:         32
        .size:           8
        .value_kind:     by_value
      - .offset:         40
        .size:           4
        .value_kind:     by_value
      - .offset:         48
        .size:           8
        .value_kind:     by_value
      - .address_space:  global
        .offset:         56
        .size:           8
        .value_kind:     global_buffer
      - .offset:         64
        .size:           8
        .value_kind:     by_value
      - .offset:         72
        .size:           4
        .value_kind:     by_value
      - .offset:         80
        .size:           8
        .value_kind:     by_value
      - .address_space:  global
        .offset:         88
        .size:           8
        .value_kind:     global_buffer
      - .offset:         96
        .size:           8
        .value_kind:     by_value
      - .offset:         104
        .size:           4
        .value_kind:     by_value
      - .offset:         112
        .size:           8
        .value_kind:     by_value
      - .offset:         120
        .size:           4
        .value_kind:     by_value
      - .offset:         128
        .size:           4
        .value_kind:     hidden_block_count_x
      - .offset:         132
        .size:           4
        .value_kind:     hidden_block_count_y
      - .offset:         136
        .size:           4
        .value_kind:     hidden_block_count_z
      - .offset:         140
        .size:           2
        .value_kind:     hidden_group_size_x
      - .offset:         142
        .size:           2
        .value_kind:     hidden_group_size_y
      - .offset:         144
        .size:           2
        .value_kind:     hidden_group_size_z
      - .offset:         146
        .size:           2
        .value_kind:     hidden_remainder_x
      - .offset:         148
        .size:           2
        .value_kind:     hidden_remainder_y
      - .offset:         150
        .size:           2
        .value_kind:     hidden_remainder_z
      - .offset:         168
        .size:           8
        .value_kind:     hidden_global_offset_x
      - .offset:         176
        .size:           8
        .value_kind:     hidden_global_offset_y
      - .offset:         184
        .size:           8
        .value_kind:     hidden_global_offset_z
      - .offset:         192
        .size:           2
        .value_kind:     hidden_grid_dims
    .group_segment_fixed_size: 32768
    .kernarg_segment_align: 8
    .kernarg_segment_size: 384
    .language:       OpenCL C
    .language_version:
      - 2
      - 0
    .max_flat_workgroup_size: 1024
    .name:           _ZL36rocblas_gemvt_double_buffered_kernelILb0ELi128ELi8ELi8EPKffKPfEviiT4_lPKT3_lilS7_lilPT5_lili
    .private_segment_fixed_size: 80
    .sgpr_count:     48
    .sgpr_spill_count: 0
    .symbol:         _ZL36rocblas_gemvt_double_buffered_kernelILb0ELi128ELi8ELi8EPKffKPfEviiT4_lPKT3_lilS7_lilPT5_lili.kd
    .uniform_work_group_size: 1
    .uses_dynamic_stack: false
    .vgpr_count:     128
    .vgpr_spill_count: 19
    .wavefront_size: 32
  - .args:
      - .offset:         0
        .size:           4
        .value_kind:     by_value
      - .offset:         4
        .size:           4
        .value_kind:     by_value
      - .address_space:  global
        .offset:         8
        .size:           8
        .value_kind:     global_buffer
      - .offset:         16
        .size:           8
        .value_kind:     by_value
      - .address_space:  global
        .offset:         24
        .size:           8
        .value_kind:     global_buffer
      - .offset:         32
        .size:           8
        .value_kind:     by_value
      - .offset:         40
        .size:           4
        .value_kind:     by_value
      - .offset:         48
        .size:           8
        .value_kind:     by_value
      - .address_space:  global
        .offset:         56
        .size:           8
        .value_kind:     global_buffer
      - .offset:         64
        .size:           8
        .value_kind:     by_value
      - .offset:         72
        .size:           4
        .value_kind:     by_value
      - .offset:         80
        .size:           8
        .value_kind:     by_value
      - .address_space:  global
        .offset:         88
        .size:           8
        .value_kind:     global_buffer
      - .offset:         96
        .size:           8
        .value_kind:     by_value
      - .address_space:  global
        .offset:         104
        .size:           8
        .value_kind:     global_buffer
      - .offset:         112
        .size:           8
        .value_kind:     by_value
      - .offset:         120
        .size:           4
        .value_kind:     by_value
      - .offset:         128
        .size:           8
        .value_kind:     by_value
      - .offset:         136
        .size:           4
        .value_kind:     by_value
    .group_segment_fixed_size: 128
    .kernarg_segment_align: 8
    .kernarg_segment_size: 140
    .language:       OpenCL C
    .language_version:
      - 2
      - 0
    .max_flat_workgroup_size: 256
    .name:           _ZL32rocblas_gemvt_warp_reduce_kernelILb0ELi256EiPKfS1_KPfEviiT3_lPKT2_lT1_lS7_lS8_lS4_lPT4_lS8_li
    .private_segment_fixed_size: 0
    .sgpr_count:     46
    .sgpr_spill_count: 0
    .symbol:         _ZL32rocblas_gemvt_warp_reduce_kernelILb0ELi256EiPKfS1_KPfEviiT3_lPKT2_lT1_lS7_lS8_lS4_lPT4_lS8_li.kd
    .uniform_work_group_size: 1
    .uses_dynamic_stack: false
    .vgpr_count:     24
    .vgpr_spill_count: 0
    .wavefront_size: 32
  - .args:
      - .offset:         0
        .size:           4
        .value_kind:     by_value
      - .offset:         4
        .size:           4
        .value_kind:     by_value
      - .address_space:  global
        .offset:         8
        .size:           8
        .value_kind:     global_buffer
      - .offset:         16
        .size:           8
        .value_kind:     by_value
      - .address_space:  global
        .offset:         24
        .size:           8
        .value_kind:     global_buffer
      - .offset:         32
        .size:           8
        .value_kind:     by_value
      - .offset:         40
        .size:           8
        .value_kind:     by_value
      - .offset:         48
        .size:           8
        .value_kind:     by_value
      - .address_space:  global
        .offset:         56
        .size:           8
        .value_kind:     global_buffer
      - .offset:         64
        .size:           8
        .value_kind:     by_value
      - .offset:         72
        .size:           8
        .value_kind:     by_value
      - .offset:         80
        .size:           8
        .value_kind:     by_value
      - .address_space:  global
        .offset:         88
        .size:           8
        .value_kind:     global_buffer
      - .offset:         96
        .size:           8
        .value_kind:     by_value
      - .address_space:  global
        .offset:         104
        .size:           8
        .value_kind:     global_buffer
      - .offset:         112
        .size:           8
        .value_kind:     by_value
      - .offset:         120
        .size:           8
        .value_kind:     by_value
      - .offset:         128
        .size:           8
        .value_kind:     by_value
      - .offset:         136
        .size:           4
        .value_kind:     by_value
    .group_segment_fixed_size: 128
    .kernarg_segment_align: 8
    .kernarg_segment_size: 140
    .language:       OpenCL C
    .language_version:
      - 2
      - 0
    .max_flat_workgroup_size: 256
    .name:           _ZL32rocblas_gemvt_warp_reduce_kernelILb0ELi256ElPKfS1_KPfEviiT3_lPKT2_lT1_lS7_lS8_lS4_lPT4_lS8_li
    .private_segment_fixed_size: 0
    .sgpr_count:     46
    .sgpr_spill_count: 0
    .symbol:         _ZL32rocblas_gemvt_warp_reduce_kernelILb0ELi256ElPKfS1_KPfEviiT3_lPKT2_lT1_lS7_lS8_lS4_lPT4_lS8_li.kd
    .uniform_work_group_size: 1
    .uses_dynamic_stack: false
    .vgpr_count:     26
    .vgpr_spill_count: 0
    .wavefront_size: 32
  - .args:
      - .offset:         0
        .size:           4
        .value_kind:     by_value
      - .offset:         4
        .size:           4
        .value_kind:     by_value
      - .offset:         8
        .size:           4
        .value_kind:     by_value
      - .offset:         16
        .size:           8
        .value_kind:     by_value
      - .address_space:  global
        .offset:         24
        .size:           8
        .value_kind:     global_buffer
      - .offset:         32
        .size:           8
        .value_kind:     by_value
      - .offset:         40
        .size:           4
        .value_kind:     by_value
      - .offset:         48
        .size:           8
        .value_kind:     by_value
      - .address_space:  global
        .offset:         56
        .size:           8
        .value_kind:     global_buffer
      - .offset:         64
        .size:           8
        .value_kind:     by_value
      - .offset:         72
        .size:           4
        .value_kind:     by_value
      - .offset:         80
        .size:           8
        .value_kind:     by_value
      - .offset:         88
        .size:           4
        .value_kind:     by_value
      - .offset:         96
        .size:           8
        .value_kind:     by_value
      - .address_space:  global
        .offset:         104
        .size:           8
        .value_kind:     global_buffer
      - .offset:         112
        .size:           8
        .value_kind:     by_value
      - .offset:         120
        .size:           4
        .value_kind:     by_value
      - .offset:         128
        .size:           8
        .value_kind:     by_value
      - .offset:         136
        .size:           4
        .value_kind:     by_value
    .group_segment_fixed_size: 128
    .kernarg_segment_align: 8
    .kernarg_segment_size: 140
    .language:       OpenCL C
    .language_version:
      - 2
      - 0
    .max_flat_workgroup_size: 256
    .name:           _ZL32rocblas_gemvt_warp_reduce_kernelILb0ELi256EiPKffKPfEviiT3_lPKT2_lT1_lS7_lS8_lS4_lPT4_lS8_li
    .private_segment_fixed_size: 0
    .sgpr_count:     42
    .sgpr_spill_count: 0
    .symbol:         _ZL32rocblas_gemvt_warp_reduce_kernelILb0ELi256EiPKffKPfEviiT3_lPKT2_lT1_lS7_lS8_lS4_lPT4_lS8_li.kd
    .uniform_work_group_size: 1
    .uses_dynamic_stack: false
    .vgpr_count:     24
    .vgpr_spill_count: 0
    .wavefront_size: 32
  - .args:
      - .offset:         0
        .size:           4
        .value_kind:     by_value
      - .offset:         4
        .size:           4
        .value_kind:     by_value
      - .offset:         8
        .size:           4
        .value_kind:     by_value
      - .offset:         16
        .size:           8
        .value_kind:     by_value
      - .address_space:  global
        .offset:         24
        .size:           8
        .value_kind:     global_buffer
      - .offset:         32
        .size:           8
        .value_kind:     by_value
      - .offset:         40
        .size:           8
        .value_kind:     by_value
      - .offset:         48
        .size:           8
        .value_kind:     by_value
      - .address_space:  global
        .offset:         56
        .size:           8
        .value_kind:     global_buffer
      - .offset:         64
        .size:           8
        .value_kind:     by_value
      - .offset:         72
        .size:           8
        .value_kind:     by_value
      - .offset:         80
        .size:           8
        .value_kind:     by_value
      - .offset:         88
        .size:           4
        .value_kind:     by_value
      - .offset:         96
        .size:           8
        .value_kind:     by_value
      - .address_space:  global
        .offset:         104
        .size:           8
        .value_kind:     global_buffer
      - .offset:         112
        .size:           8
        .value_kind:     by_value
      - .offset:         120
        .size:           8
        .value_kind:     by_value
      - .offset:         128
        .size:           8
        .value_kind:     by_value
      - .offset:         136
        .size:           4
        .value_kind:     by_value
    .group_segment_fixed_size: 128
    .kernarg_segment_align: 8
    .kernarg_segment_size: 140
    .language:       OpenCL C
    .language_version:
      - 2
      - 0
    .max_flat_workgroup_size: 256
    .name:           _ZL32rocblas_gemvt_warp_reduce_kernelILb0ELi256ElPKffKPfEviiT3_lPKT2_lT1_lS7_lS8_lS4_lPT4_lS8_li
    .private_segment_fixed_size: 0
    .sgpr_count:     40
    .sgpr_spill_count: 0
    .symbol:         _ZL32rocblas_gemvt_warp_reduce_kernelILb0ELi256ElPKffKPfEviiT3_lPKT2_lT1_lS7_lS8_lS4_lPT4_lS8_li.kd
    .uniform_work_group_size: 1
    .uses_dynamic_stack: false
    .vgpr_count:     26
    .vgpr_spill_count: 0
    .wavefront_size: 32
  - .args:
      - .offset:         0
        .size:           4
        .value_kind:     by_value
      - .offset:         4
        .size:           4
        .value_kind:     by_value
      - .address_space:  global
        .offset:         8
        .size:           8
        .value_kind:     global_buffer
      - .offset:         16
        .size:           8
        .value_kind:     by_value
      - .address_space:  global
        .offset:         24
        .size:           8
        .value_kind:     global_buffer
      - .offset:         32
        .size:           8
        .value_kind:     by_value
      - .offset:         40
        .size:           4
        .value_kind:     by_value
      - .offset:         48
        .size:           8
        .value_kind:     by_value
      - .address_space:  global
        .offset:         56
        .size:           8
        .value_kind:     global_buffer
      - .offset:         64
        .size:           8
        .value_kind:     by_value
      - .offset:         72
        .size:           4
        .value_kind:     by_value
      - .offset:         80
        .size:           8
        .value_kind:     by_value
      - .address_space:  global
        .offset:         88
        .size:           8
        .value_kind:     global_buffer
      - .offset:         96
        .size:           8
        .value_kind:     by_value
      - .address_space:  global
        .offset:         104
        .size:           8
        .value_kind:     global_buffer
      - .offset:         112
        .size:           8
        .value_kind:     by_value
      - .offset:         120
        .size:           4
        .value_kind:     by_value
      - .offset:         128
        .size:           8
        .value_kind:     by_value
      - .offset:         136
        .size:           4
        .value_kind:     by_value
    .group_segment_fixed_size: 1024
    .kernarg_segment_align: 8
    .kernarg_segment_size: 140
    .language:       OpenCL C
    .language_version:
      - 2
      - 0
    .max_flat_workgroup_size: 256
    .name:           _ZL20rocblas_gemvt_kernelILb0ELi256EPKfS1_KPfEviiT2_lPKT1_lilS7_lilS4_lPT3_lili
    .private_segment_fixed_size: 0
    .sgpr_count:     50
    .sgpr_spill_count: 0
    .symbol:         _ZL20rocblas_gemvt_kernelILb0ELi256EPKfS1_KPfEviiT2_lPKT1_lilS7_lilS4_lPT3_lili.kd
    .uniform_work_group_size: 1
    .uses_dynamic_stack: false
    .vgpr_count:     21
    .vgpr_spill_count: 0
    .wavefront_size: 32
  - .args:
      - .offset:         0
        .size:           4
        .value_kind:     by_value
      - .offset:         4
        .size:           4
        .value_kind:     by_value
      - .offset:         8
        .size:           4
        .value_kind:     by_value
      - .offset:         16
        .size:           8
        .value_kind:     by_value
      - .address_space:  global
        .offset:         24
        .size:           8
        .value_kind:     global_buffer
      - .offset:         32
        .size:           8
        .value_kind:     by_value
      - .offset:         40
        .size:           4
        .value_kind:     by_value
      - .offset:         48
        .size:           8
        .value_kind:     by_value
      - .address_space:  global
        .offset:         56
        .size:           8
        .value_kind:     global_buffer
      - .offset:         64
        .size:           8
        .value_kind:     by_value
      - .offset:         72
        .size:           4
        .value_kind:     by_value
      - .offset:         80
        .size:           8
        .value_kind:     by_value
      - .offset:         88
        .size:           4
        .value_kind:     by_value
      - .offset:         96
        .size:           8
        .value_kind:     by_value
      - .address_space:  global
        .offset:         104
        .size:           8
        .value_kind:     global_buffer
      - .offset:         112
        .size:           8
        .value_kind:     by_value
      - .offset:         120
        .size:           4
        .value_kind:     by_value
      - .offset:         128
        .size:           8
        .value_kind:     by_value
      - .offset:         136
        .size:           4
        .value_kind:     by_value
    .group_segment_fixed_size: 1024
    .kernarg_segment_align: 8
    .kernarg_segment_size: 140
    .language:       OpenCL C
    .language_version:
      - 2
      - 0
    .max_flat_workgroup_size: 256
    .name:           _ZL20rocblas_gemvt_kernelILb0ELi256EPKffKPfEviiT2_lPKT1_lilS7_lilS4_lPT3_lili
    .private_segment_fixed_size: 0
    .sgpr_count:     44
    .sgpr_spill_count: 0
    .symbol:         _ZL20rocblas_gemvt_kernelILb0ELi256EPKffKPfEviiT2_lPKT1_lilS7_lilS4_lPT3_lili.kd
    .uniform_work_group_size: 1
    .uses_dynamic_stack: false
    .vgpr_count:     21
    .vgpr_spill_count: 0
    .wavefront_size: 32
  - .args:
      - .offset:         0
        .size:           4
        .value_kind:     by_value
      - .offset:         4
        .size:           4
        .value_kind:     by_value
      - .address_space:  global
        .offset:         8
        .size:           8
        .value_kind:     global_buffer
      - .offset:         16
        .size:           8
        .value_kind:     by_value
      - .address_space:  global
        .offset:         24
        .size:           8
        .value_kind:     global_buffer
      - .offset:         32
        .size:           8
        .value_kind:     by_value
      - .offset:         40
        .size:           4
        .value_kind:     by_value
      - .offset:         48
        .size:           8
        .value_kind:     by_value
      - .address_space:  global
        .offset:         56
        .size:           8
        .value_kind:     global_buffer
      - .offset:         64
        .size:           8
        .value_kind:     by_value
      - .offset:         72
        .size:           4
        .value_kind:     by_value
      - .offset:         80
        .size:           8
        .value_kind:     by_value
      - .address_space:  global
        .offset:         88
        .size:           8
        .value_kind:     global_buffer
      - .offset:         96
        .size:           8
        .value_kind:     by_value
      - .address_space:  global
        .offset:         104
        .size:           8
        .value_kind:     global_buffer
      - .offset:         112
        .size:           8
        .value_kind:     by_value
      - .offset:         120
        .size:           4
        .value_kind:     by_value
      - .offset:         128
        .size:           8
        .value_kind:     by_value
      - .offset:         136
        .size:           4
        .value_kind:     by_value
    .group_segment_fixed_size: 128
    .kernarg_segment_align: 8
    .kernarg_segment_size: 140
    .language:       OpenCL C
    .language_version:
      - 2
      - 0
    .max_flat_workgroup_size: 1024
    .name:           _ZL32rocblas_gemvt_warp_reduce_kernelILb0ELi1024EiPKfS1_KPfEviiT3_lPKT2_lT1_lS7_lS8_lS4_lPT4_lS8_li
    .private_segment_fixed_size: 0
    .sgpr_count:     44
    .sgpr_spill_count: 0
    .symbol:         _ZL32rocblas_gemvt_warp_reduce_kernelILb0ELi1024EiPKfS1_KPfEviiT3_lPKT2_lT1_lS7_lS8_lS4_lPT4_lS8_li.kd
    .uniform_work_group_size: 1
    .uses_dynamic_stack: false
    .vgpr_count:     24
    .vgpr_spill_count: 0
    .wavefront_size: 32
  - .args:
      - .offset:         0
        .size:           4
        .value_kind:     by_value
      - .offset:         4
        .size:           4
        .value_kind:     by_value
      - .address_space:  global
        .offset:         8
        .size:           8
        .value_kind:     global_buffer
      - .offset:         16
        .size:           8
        .value_kind:     by_value
      - .address_space:  global
        .offset:         24
        .size:           8
        .value_kind:     global_buffer
      - .offset:         32
        .size:           8
        .value_kind:     by_value
      - .offset:         40
        .size:           8
        .value_kind:     by_value
      - .offset:         48
        .size:           8
        .value_kind:     by_value
      - .address_space:  global
        .offset:         56
        .size:           8
        .value_kind:     global_buffer
      - .offset:         64
        .size:           8
        .value_kind:     by_value
      - .offset:         72
        .size:           8
        .value_kind:     by_value
      - .offset:         80
        .size:           8
        .value_kind:     by_value
      - .address_space:  global
        .offset:         88
        .size:           8
        .value_kind:     global_buffer
      - .offset:         96
        .size:           8
        .value_kind:     by_value
      - .address_space:  global
        .offset:         104
        .size:           8
        .value_kind:     global_buffer
      - .offset:         112
        .size:           8
        .value_kind:     by_value
      - .offset:         120
        .size:           8
        .value_kind:     by_value
      - .offset:         128
        .size:           8
        .value_kind:     by_value
      - .offset:         136
        .size:           4
        .value_kind:     by_value
    .group_segment_fixed_size: 128
    .kernarg_segment_align: 8
    .kernarg_segment_size: 140
    .language:       OpenCL C
    .language_version:
      - 2
      - 0
    .max_flat_workgroup_size: 1024
    .name:           _ZL32rocblas_gemvt_warp_reduce_kernelILb0ELi1024ElPKfS1_KPfEviiT3_lPKT2_lT1_lS7_lS8_lS4_lPT4_lS8_li
    .private_segment_fixed_size: 0
    .sgpr_count:     46
    .sgpr_spill_count: 0
    .symbol:         _ZL32rocblas_gemvt_warp_reduce_kernelILb0ELi1024ElPKfS1_KPfEviiT3_lPKT2_lT1_lS7_lS8_lS4_lPT4_lS8_li.kd
    .uniform_work_group_size: 1
    .uses_dynamic_stack: false
    .vgpr_count:     26
    .vgpr_spill_count: 0
    .wavefront_size: 32
  - .args:
      - .offset:         0
        .size:           4
        .value_kind:     by_value
      - .offset:         4
        .size:           4
        .value_kind:     by_value
      - .offset:         8
        .size:           4
        .value_kind:     by_value
      - .offset:         16
        .size:           8
        .value_kind:     by_value
      - .address_space:  global
        .offset:         24
        .size:           8
        .value_kind:     global_buffer
      - .offset:         32
        .size:           8
        .value_kind:     by_value
      - .offset:         40
        .size:           4
        .value_kind:     by_value
      - .offset:         48
        .size:           8
        .value_kind:     by_value
      - .address_space:  global
        .offset:         56
        .size:           8
        .value_kind:     global_buffer
      - .offset:         64
        .size:           8
        .value_kind:     by_value
      - .offset:         72
        .size:           4
        .value_kind:     by_value
      - .offset:         80
        .size:           8
        .value_kind:     by_value
      - .offset:         88
        .size:           4
        .value_kind:     by_value
      - .offset:         96
        .size:           8
        .value_kind:     by_value
      - .address_space:  global
        .offset:         104
        .size:           8
        .value_kind:     global_buffer
      - .offset:         112
        .size:           8
        .value_kind:     by_value
      - .offset:         120
        .size:           4
        .value_kind:     by_value
      - .offset:         128
        .size:           8
        .value_kind:     by_value
      - .offset:         136
        .size:           4
        .value_kind:     by_value
    .group_segment_fixed_size: 128
    .kernarg_segment_align: 8
    .kernarg_segment_size: 140
    .language:       OpenCL C
    .language_version:
      - 2
      - 0
    .max_flat_workgroup_size: 1024
    .name:           _ZL32rocblas_gemvt_warp_reduce_kernelILb0ELi1024EiPKffKPfEviiT3_lPKT2_lT1_lS7_lS8_lS4_lPT4_lS8_li
    .private_segment_fixed_size: 0
    .sgpr_count:     40
    .sgpr_spill_count: 0
    .symbol:         _ZL32rocblas_gemvt_warp_reduce_kernelILb0ELi1024EiPKffKPfEviiT3_lPKT2_lT1_lS7_lS8_lS4_lPT4_lS8_li.kd
    .uniform_work_group_size: 1
    .uses_dynamic_stack: false
    .vgpr_count:     24
    .vgpr_spill_count: 0
    .wavefront_size: 32
  - .args:
      - .offset:         0
        .size:           4
        .value_kind:     by_value
      - .offset:         4
        .size:           4
        .value_kind:     by_value
      - .offset:         8
        .size:           4
        .value_kind:     by_value
      - .offset:         16
        .size:           8
        .value_kind:     by_value
      - .address_space:  global
        .offset:         24
        .size:           8
        .value_kind:     global_buffer
      - .offset:         32
        .size:           8
        .value_kind:     by_value
      - .offset:         40
        .size:           8
        .value_kind:     by_value
      - .offset:         48
        .size:           8
        .value_kind:     by_value
      - .address_space:  global
        .offset:         56
        .size:           8
        .value_kind:     global_buffer
      - .offset:         64
        .size:           8
        .value_kind:     by_value
      - .offset:         72
        .size:           8
        .value_kind:     by_value
      - .offset:         80
        .size:           8
        .value_kind:     by_value
      - .offset:         88
        .size:           4
        .value_kind:     by_value
      - .offset:         96
        .size:           8
        .value_kind:     by_value
      - .address_space:  global
        .offset:         104
        .size:           8
        .value_kind:     global_buffer
      - .offset:         112
        .size:           8
        .value_kind:     by_value
      - .offset:         120
        .size:           8
        .value_kind:     by_value
      - .offset:         128
        .size:           8
        .value_kind:     by_value
      - .offset:         136
        .size:           4
        .value_kind:     by_value
    .group_segment_fixed_size: 128
    .kernarg_segment_align: 8
    .kernarg_segment_size: 140
    .language:       OpenCL C
    .language_version:
      - 2
      - 0
    .max_flat_workgroup_size: 1024
    .name:           _ZL32rocblas_gemvt_warp_reduce_kernelILb0ELi1024ElPKffKPfEviiT3_lPKT2_lT1_lS7_lS8_lS4_lPT4_lS8_li
    .private_segment_fixed_size: 0
    .sgpr_count:     39
    .sgpr_spill_count: 0
    .symbol:         _ZL32rocblas_gemvt_warp_reduce_kernelILb0ELi1024ElPKffKPfEviiT3_lPKT2_lT1_lS7_lS8_lS4_lPT4_lS8_li.kd
    .uniform_work_group_size: 1
    .uses_dynamic_stack: false
    .vgpr_count:     26
    .vgpr_spill_count: 0
    .wavefront_size: 32
  - .args:
      - .offset:         0
        .size:           4
        .value_kind:     by_value
      - .offset:         4
        .size:           4
        .value_kind:     by_value
      - .address_space:  global
        .offset:         8
        .size:           8
        .value_kind:     global_buffer
      - .offset:         16
        .size:           8
        .value_kind:     by_value
      - .address_space:  global
        .offset:         24
        .size:           8
        .value_kind:     global_buffer
      - .offset:         32
        .size:           8
        .value_kind:     by_value
      - .offset:         40
        .size:           4
        .value_kind:     by_value
      - .offset:         48
        .size:           8
        .value_kind:     by_value
      - .address_space:  global
        .offset:         56
        .size:           8
        .value_kind:     global_buffer
      - .offset:         64
        .size:           8
        .value_kind:     by_value
      - .offset:         72
        .size:           4
        .value_kind:     by_value
      - .offset:         80
        .size:           8
        .value_kind:     by_value
      - .address_space:  global
        .offset:         88
        .size:           8
        .value_kind:     global_buffer
      - .offset:         96
        .size:           8
        .value_kind:     by_value
      - .address_space:  global
        .offset:         104
        .size:           8
        .value_kind:     global_buffer
      - .offset:         112
        .size:           8
        .value_kind:     by_value
      - .offset:         120
        .size:           4
        .value_kind:     by_value
      - .offset:         128
        .size:           8
        .value_kind:     by_value
    .group_segment_fixed_size: 256
    .kernarg_segment_align: 8
    .kernarg_segment_size: 136
    .language:       OpenCL C
    .language_version:
      - 2
      - 0
    .max_flat_workgroup_size: 256
    .name:           _ZL22rocblas_gemvtsm_kernelILb1ELi256EPKfS1_KPfEviiT2_lPKT1_lilS7_lilS4_lPT3_lil
    .private_segment_fixed_size: 0
    .sgpr_count:     24
    .sgpr_spill_count: 0
    .symbol:         _ZL22rocblas_gemvtsm_kernelILb1ELi256EPKfS1_KPfEviiT2_lPKT1_lilS7_lilS4_lPT3_lil.kd
    .uniform_work_group_size: 1
    .uses_dynamic_stack: false
    .vgpr_count:     28
    .vgpr_spill_count: 0
    .wavefront_size: 32
  - .args:
      - .offset:         0
        .size:           4
        .value_kind:     by_value
      - .offset:         4
        .size:           4
        .value_kind:     by_value
      - .offset:         8
        .size:           4
        .value_kind:     by_value
      - .offset:         16
        .size:           8
        .value_kind:     by_value
      - .address_space:  global
        .offset:         24
        .size:           8
        .value_kind:     global_buffer
      - .offset:         32
        .size:           8
        .value_kind:     by_value
      - .offset:         40
        .size:           4
        .value_kind:     by_value
      - .offset:         48
        .size:           8
        .value_kind:     by_value
      - .address_space:  global
        .offset:         56
        .size:           8
        .value_kind:     global_buffer
      - .offset:         64
        .size:           8
        .value_kind:     by_value
      - .offset:         72
        .size:           4
        .value_kind:     by_value
      - .offset:         80
        .size:           8
        .value_kind:     by_value
      - .offset:         88
        .size:           4
        .value_kind:     by_value
      - .offset:         96
        .size:           8
        .value_kind:     by_value
      - .address_space:  global
        .offset:         104
        .size:           8
        .value_kind:     global_buffer
      - .offset:         112
        .size:           8
        .value_kind:     by_value
      - .offset:         120
        .size:           4
        .value_kind:     by_value
      - .offset:         128
        .size:           8
        .value_kind:     by_value
    .group_segment_fixed_size: 256
    .kernarg_segment_align: 8
    .kernarg_segment_size: 136
    .language:       OpenCL C
    .language_version:
      - 2
      - 0
    .max_flat_workgroup_size: 256
    .name:           _ZL22rocblas_gemvtsm_kernelILb1ELi256EPKffKPfEviiT2_lPKT1_lilS7_lilS4_lPT3_lil
    .private_segment_fixed_size: 0
    .sgpr_count:     26
    .sgpr_spill_count: 0
    .symbol:         _ZL22rocblas_gemvtsm_kernelILb1ELi256EPKffKPfEviiT2_lPKT1_lilS7_lilS4_lPT3_lil.kd
    .uniform_work_group_size: 1
    .uses_dynamic_stack: false
    .vgpr_count:     28
    .vgpr_spill_count: 0
    .wavefront_size: 32
  - .args:
      - .offset:         0
        .size:           4
        .value_kind:     by_value
      - .offset:         4
        .size:           4
        .value_kind:     by_value
      - .address_space:  global
        .offset:         8
        .size:           8
        .value_kind:     global_buffer
      - .offset:         16
        .size:           8
        .value_kind:     by_value
      - .address_space:  global
        .offset:         24
        .size:           8
        .value_kind:     global_buffer
      - .offset:         32
        .size:           8
        .value_kind:     by_value
      - .offset:         40
        .size:           4
        .value_kind:     by_value
      - .offset:         48
        .size:           8
        .value_kind:     by_value
      - .address_space:  global
        .offset:         56
        .size:           8
        .value_kind:     global_buffer
      - .offset:         64
        .size:           8
        .value_kind:     by_value
      - .offset:         72
        .size:           4
        .value_kind:     by_value
      - .offset:         80
        .size:           8
        .value_kind:     by_value
      - .address_space:  global
        .offset:         88
        .size:           8
        .value_kind:     global_buffer
      - .offset:         96
        .size:           4
        .value_kind:     by_value
      - .offset:         104
        .size:           4
        .value_kind:     hidden_block_count_x
      - .offset:         108
        .size:           4
        .value_kind:     hidden_block_count_y
      - .offset:         112
        .size:           4
        .value_kind:     hidden_block_count_z
      - .offset:         116
        .size:           2
        .value_kind:     hidden_group_size_x
      - .offset:         118
        .size:           2
        .value_kind:     hidden_group_size_y
      - .offset:         120
        .size:           2
        .value_kind:     hidden_group_size_z
      - .offset:         122
        .size:           2
        .value_kind:     hidden_remainder_x
      - .offset:         124
        .size:           2
        .value_kind:     hidden_remainder_y
      - .offset:         126
        .size:           2
        .value_kind:     hidden_remainder_z
      - .offset:         144
        .size:           8
        .value_kind:     hidden_global_offset_x
      - .offset:         152
        .size:           8
        .value_kind:     hidden_global_offset_y
      - .offset:         160
        .size:           8
        .value_kind:     hidden_global_offset_z
      - .offset:         168
        .size:           2
        .value_kind:     hidden_grid_dims
    .group_segment_fixed_size: 128
    .kernarg_segment_align: 8
    .kernarg_segment_size: 360
    .language:       OpenCL C
    .language_version:
      - 2
      - 0
    .max_flat_workgroup_size: 256
    .name:           _ZL23rocblas_gemvt_sn_kernelILb1ELi256ELi4EiPKfS1_fEviiT4_lPKT3_lilS5_lilPT5_i
    .private_segment_fixed_size: 0
    .sgpr_count:     82
    .sgpr_spill_count: 0
    .symbol:         _ZL23rocblas_gemvt_sn_kernelILb1ELi256ELi4EiPKfS1_fEviiT4_lPKT3_lilS5_lilPT5_i.kd
    .uniform_work_group_size: 1
    .uses_dynamic_stack: false
    .vgpr_count:     68
    .vgpr_spill_count: 0
    .wavefront_size: 32
  - .args:
      - .offset:         0
        .size:           4
        .value_kind:     by_value
      - .offset:         4
        .size:           4
        .value_kind:     by_value
      - .address_space:  global
        .offset:         8
        .size:           8
        .value_kind:     global_buffer
      - .offset:         16
        .size:           8
        .value_kind:     by_value
      - .address_space:  global
        .offset:         24
        .size:           8
        .value_kind:     global_buffer
      - .offset:         32
        .size:           8
        .value_kind:     by_value
      - .offset:         40
        .size:           4
        .value_kind:     by_value
      - .offset:         48
        .size:           8
        .value_kind:     by_value
      - .address_space:  global
        .offset:         56
        .size:           8
        .value_kind:     global_buffer
      - .offset:         64
        .size:           8
        .value_kind:     by_value
      - .offset:         72
        .size:           4
        .value_kind:     by_value
      - .offset:         80
        .size:           8
        .value_kind:     by_value
      - .address_space:  global
        .offset:         88
        .size:           8
        .value_kind:     global_buffer
      - .offset:         96
        .size:           4
        .value_kind:     by_value
      - .offset:         104
        .size:           4
        .value_kind:     hidden_block_count_x
      - .offset:         108
        .size:           4
        .value_kind:     hidden_block_count_y
      - .offset:         112
        .size:           4
        .value_kind:     hidden_block_count_z
      - .offset:         116
        .size:           2
        .value_kind:     hidden_group_size_x
      - .offset:         118
        .size:           2
        .value_kind:     hidden_group_size_y
      - .offset:         120
        .size:           2
        .value_kind:     hidden_group_size_z
      - .offset:         122
        .size:           2
        .value_kind:     hidden_remainder_x
      - .offset:         124
        .size:           2
        .value_kind:     hidden_remainder_y
      - .offset:         126
        .size:           2
        .value_kind:     hidden_remainder_z
      - .offset:         144
        .size:           8
        .value_kind:     hidden_global_offset_x
      - .offset:         152
        .size:           8
        .value_kind:     hidden_global_offset_y
      - .offset:         160
        .size:           8
        .value_kind:     hidden_global_offset_z
      - .offset:         168
        .size:           2
        .value_kind:     hidden_grid_dims
    .group_segment_fixed_size: 128
    .kernarg_segment_align: 8
    .kernarg_segment_size: 360
    .language:       OpenCL C
    .language_version:
      - 2
      - 0
    .max_flat_workgroup_size: 256
    .name:           _ZL23rocblas_gemvt_sn_kernelILb1ELi256ELi4ElPKfS1_fEviiT4_lPKT3_lilS5_lilPT5_i
    .private_segment_fixed_size: 0
    .sgpr_count:     74
    .sgpr_spill_count: 0
    .symbol:         _ZL23rocblas_gemvt_sn_kernelILb1ELi256ELi4ElPKfS1_fEviiT4_lPKT3_lilS5_lilPT5_i.kd
    .uniform_work_group_size: 1
    .uses_dynamic_stack: false
    .vgpr_count:     74
    .vgpr_spill_count: 0
    .wavefront_size: 32
  - .args:
      - .offset:         0
        .size:           4
        .value_kind:     by_value
      - .offset:         4
        .size:           4
        .value_kind:     by_value
      - .offset:         8
        .size:           4
        .value_kind:     by_value
      - .offset:         16
        .size:           8
        .value_kind:     by_value
      - .address_space:  global
        .offset:         24
        .size:           8
        .value_kind:     global_buffer
      - .offset:         32
        .size:           8
        .value_kind:     by_value
      - .offset:         40
        .size:           4
        .value_kind:     by_value
      - .offset:         48
        .size:           8
        .value_kind:     by_value
      - .address_space:  global
        .offset:         56
        .size:           8
        .value_kind:     global_buffer
      - .offset:         64
        .size:           8
        .value_kind:     by_value
      - .offset:         72
        .size:           4
        .value_kind:     by_value
      - .offset:         80
        .size:           8
        .value_kind:     by_value
      - .address_space:  global
        .offset:         88
        .size:           8
        .value_kind:     global_buffer
      - .offset:         96
        .size:           4
        .value_kind:     by_value
      - .offset:         104
        .size:           4
        .value_kind:     hidden_block_count_x
      - .offset:         108
        .size:           4
        .value_kind:     hidden_block_count_y
      - .offset:         112
        .size:           4
        .value_kind:     hidden_block_count_z
      - .offset:         116
        .size:           2
        .value_kind:     hidden_group_size_x
      - .offset:         118
        .size:           2
        .value_kind:     hidden_group_size_y
      - .offset:         120
        .size:           2
        .value_kind:     hidden_group_size_z
      - .offset:         122
        .size:           2
        .value_kind:     hidden_remainder_x
      - .offset:         124
        .size:           2
        .value_kind:     hidden_remainder_y
      - .offset:         126
        .size:           2
        .value_kind:     hidden_remainder_z
      - .offset:         144
        .size:           8
        .value_kind:     hidden_global_offset_x
      - .offset:         152
        .size:           8
        .value_kind:     hidden_global_offset_y
      - .offset:         160
        .size:           8
        .value_kind:     hidden_global_offset_z
      - .offset:         168
        .size:           2
        .value_kind:     hidden_grid_dims
    .group_segment_fixed_size: 128
    .kernarg_segment_align: 8
    .kernarg_segment_size: 360
    .language:       OpenCL C
    .language_version:
      - 2
      - 0
    .max_flat_workgroup_size: 256
    .name:           _ZL23rocblas_gemvt_sn_kernelILb1ELi256ELi4EiPKfffEviiT4_lPKT3_lilS5_lilPT5_i
    .private_segment_fixed_size: 0
    .sgpr_count:     80
    .sgpr_spill_count: 0
    .symbol:         _ZL23rocblas_gemvt_sn_kernelILb1ELi256ELi4EiPKfffEviiT4_lPKT3_lilS5_lilPT5_i.kd
    .uniform_work_group_size: 1
    .uses_dynamic_stack: false
    .vgpr_count:     64
    .vgpr_spill_count: 0
    .wavefront_size: 32
  - .args:
      - .offset:         0
        .size:           4
        .value_kind:     by_value
      - .offset:         4
        .size:           4
        .value_kind:     by_value
      - .offset:         8
        .size:           4
        .value_kind:     by_value
      - .offset:         16
        .size:           8
        .value_kind:     by_value
      - .address_space:  global
        .offset:         24
        .size:           8
        .value_kind:     global_buffer
      - .offset:         32
        .size:           8
        .value_kind:     by_value
      - .offset:         40
        .size:           4
        .value_kind:     by_value
      - .offset:         48
        .size:           8
        .value_kind:     by_value
      - .address_space:  global
        .offset:         56
        .size:           8
        .value_kind:     global_buffer
      - .offset:         64
        .size:           8
        .value_kind:     by_value
      - .offset:         72
        .size:           4
        .value_kind:     by_value
      - .offset:         80
        .size:           8
        .value_kind:     by_value
      - .address_space:  global
        .offset:         88
        .size:           8
        .value_kind:     global_buffer
      - .offset:         96
        .size:           4
        .value_kind:     by_value
      - .offset:         104
        .size:           4
        .value_kind:     hidden_block_count_x
      - .offset:         108
        .size:           4
        .value_kind:     hidden_block_count_y
      - .offset:         112
        .size:           4
        .value_kind:     hidden_block_count_z
      - .offset:         116
        .size:           2
        .value_kind:     hidden_group_size_x
      - .offset:         118
        .size:           2
        .value_kind:     hidden_group_size_y
      - .offset:         120
        .size:           2
        .value_kind:     hidden_group_size_z
      - .offset:         122
        .size:           2
        .value_kind:     hidden_remainder_x
      - .offset:         124
        .size:           2
        .value_kind:     hidden_remainder_y
      - .offset:         126
        .size:           2
        .value_kind:     hidden_remainder_z
      - .offset:         144
        .size:           8
        .value_kind:     hidden_global_offset_x
      - .offset:         152
        .size:           8
        .value_kind:     hidden_global_offset_y
      - .offset:         160
        .size:           8
        .value_kind:     hidden_global_offset_z
      - .offset:         168
        .size:           2
        .value_kind:     hidden_grid_dims
    .group_segment_fixed_size: 128
    .kernarg_segment_align: 8
    .kernarg_segment_size: 360
    .language:       OpenCL C
    .language_version:
      - 2
      - 0
    .max_flat_workgroup_size: 256
    .name:           _ZL23rocblas_gemvt_sn_kernelILb1ELi256ELi4ElPKfffEviiT4_lPKT3_lilS5_lilPT5_i
    .private_segment_fixed_size: 0
    .sgpr_count:     70
    .sgpr_spill_count: 0
    .symbol:         _ZL23rocblas_gemvt_sn_kernelILb1ELi256ELi4ElPKfffEviiT4_lPKT3_lilS5_lilPT5_i.kd
    .uniform_work_group_size: 1
    .uses_dynamic_stack: false
    .vgpr_count:     72
    .vgpr_spill_count: 0
    .wavefront_size: 32
  - .args:
      - .offset:         0
        .size:           4
        .value_kind:     by_value
      - .offset:         4
        .size:           4
        .value_kind:     by_value
      - .address_space:  global
        .offset:         8
        .size:           8
        .value_kind:     global_buffer
      - .offset:         16
        .size:           8
        .value_kind:     by_value
      - .address_space:  global
        .offset:         24
        .size:           8
        .value_kind:     global_buffer
      - .offset:         32
        .size:           8
        .value_kind:     by_value
      - .offset:         40
        .size:           4
        .value_kind:     by_value
      - .offset:         48
        .size:           8
        .value_kind:     by_value
      - .address_space:  global
        .offset:         56
        .size:           8
        .value_kind:     global_buffer
      - .offset:         64
        .size:           8
        .value_kind:     by_value
      - .offset:         72
        .size:           4
        .value_kind:     by_value
      - .offset:         80
        .size:           8
        .value_kind:     by_value
      - .address_space:  global
        .offset:         88
        .size:           8
        .value_kind:     global_buffer
      - .offset:         96
        .size:           8
        .value_kind:     by_value
      - .offset:         104
        .size:           4
        .value_kind:     by_value
      - .offset:         112
        .size:           8
        .value_kind:     by_value
      - .offset:         120
        .size:           4
        .value_kind:     by_value
      - .offset:         128
        .size:           4
        .value_kind:     hidden_block_count_x
      - .offset:         132
        .size:           4
        .value_kind:     hidden_block_count_y
      - .offset:         136
        .size:           4
        .value_kind:     hidden_block_count_z
      - .offset:         140
        .size:           2
        .value_kind:     hidden_group_size_x
      - .offset:         142
        .size:           2
        .value_kind:     hidden_group_size_y
      - .offset:         144
        .size:           2
        .value_kind:     hidden_group_size_z
      - .offset:         146
        .size:           2
        .value_kind:     hidden_remainder_x
      - .offset:         148
        .size:           2
        .value_kind:     hidden_remainder_y
      - .offset:         150
        .size:           2
        .value_kind:     hidden_remainder_z
      - .offset:         168
        .size:           8
        .value_kind:     hidden_global_offset_x
      - .offset:         176
        .size:           8
        .value_kind:     hidden_global_offset_y
      - .offset:         184
        .size:           8
        .value_kind:     hidden_global_offset_z
      - .offset:         192
        .size:           2
        .value_kind:     hidden_grid_dims
    .group_segment_fixed_size: 32768
    .kernarg_segment_align: 8
    .kernarg_segment_size: 384
    .language:       OpenCL C
    .language_version:
      - 2
      - 0
    .max_flat_workgroup_size: 1024
    .name:           _ZL36rocblas_gemvt_double_buffered_kernelILb1ELi128ELi8ELi8EPKfS1_KPfEviiT4_lPKT3_lilS7_lilPT5_lili
    .private_segment_fixed_size: 84
    .sgpr_count:     48
    .sgpr_spill_count: 0
    .symbol:         _ZL36rocblas_gemvt_double_buffered_kernelILb1ELi128ELi8ELi8EPKfS1_KPfEviiT4_lPKT3_lilS7_lilPT5_lili.kd
    .uniform_work_group_size: 1
    .uses_dynamic_stack: false
    .vgpr_count:     128
    .vgpr_spill_count: 20
    .wavefront_size: 32
  - .args:
      - .offset:         0
        .size:           4
        .value_kind:     by_value
      - .offset:         4
        .size:           4
        .value_kind:     by_value
      - .offset:         8
        .size:           4
        .value_kind:     by_value
      - .offset:         16
        .size:           8
        .value_kind:     by_value
      - .address_space:  global
        .offset:         24
        .size:           8
        .value_kind:     global_buffer
      - .offset:         32
        .size:           8
        .value_kind:     by_value
      - .offset:         40
        .size:           4
        .value_kind:     by_value
      - .offset:         48
        .size:           8
        .value_kind:     by_value
      - .address_space:  global
        .offset:         56
        .size:           8
        .value_kind:     global_buffer
      - .offset:         64
        .size:           8
        .value_kind:     by_value
      - .offset:         72
        .size:           4
        .value_kind:     by_value
      - .offset:         80
        .size:           8
        .value_kind:     by_value
      - .address_space:  global
        .offset:         88
        .size:           8
        .value_kind:     global_buffer
      - .offset:         96
        .size:           8
        .value_kind:     by_value
      - .offset:         104
        .size:           4
        .value_kind:     by_value
      - .offset:         112
        .size:           8
        .value_kind:     by_value
      - .offset:         120
        .size:           4
        .value_kind:     by_value
      - .offset:         128
        .size:           4
        .value_kind:     hidden_block_count_x
      - .offset:         132
        .size:           4
        .value_kind:     hidden_block_count_y
      - .offset:         136
        .size:           4
        .value_kind:     hidden_block_count_z
      - .offset:         140
        .size:           2
        .value_kind:     hidden_group_size_x
      - .offset:         142
        .size:           2
        .value_kind:     hidden_group_size_y
      - .offset:         144
        .size:           2
        .value_kind:     hidden_group_size_z
      - .offset:         146
        .size:           2
        .value_kind:     hidden_remainder_x
      - .offset:         148
        .size:           2
        .value_kind:     hidden_remainder_y
      - .offset:         150
        .size:           2
        .value_kind:     hidden_remainder_z
      - .offset:         168
        .size:           8
        .value_kind:     hidden_global_offset_x
      - .offset:         176
        .size:           8
        .value_kind:     hidden_global_offset_y
      - .offset:         184
        .size:           8
        .value_kind:     hidden_global_offset_z
      - .offset:         192
        .size:           2
        .value_kind:     hidden_grid_dims
    .group_segment_fixed_size: 32768
    .kernarg_segment_align: 8
    .kernarg_segment_size: 384
    .language:       OpenCL C
    .language_version:
      - 2
      - 0
    .max_flat_workgroup_size: 1024
    .name:           _ZL36rocblas_gemvt_double_buffered_kernelILb1ELi128ELi8ELi8EPKffKPfEviiT4_lPKT3_lilS7_lilPT5_lili
    .private_segment_fixed_size: 80
    .sgpr_count:     48
    .sgpr_spill_count: 0
    .symbol:         _ZL36rocblas_gemvt_double_buffered_kernelILb1ELi128ELi8ELi8EPKffKPfEviiT4_lPKT3_lilS7_lilPT5_lili.kd
    .uniform_work_group_size: 1
    .uses_dynamic_stack: false
    .vgpr_count:     128
    .vgpr_spill_count: 19
    .wavefront_size: 32
  - .args:
      - .offset:         0
        .size:           4
        .value_kind:     by_value
      - .offset:         4
        .size:           4
        .value_kind:     by_value
      - .address_space:  global
        .offset:         8
        .size:           8
        .value_kind:     global_buffer
      - .offset:         16
        .size:           8
        .value_kind:     by_value
      - .address_space:  global
        .offset:         24
        .size:           8
        .value_kind:     global_buffer
      - .offset:         32
        .size:           8
        .value_kind:     by_value
      - .offset:         40
        .size:           4
        .value_kind:     by_value
      - .offset:         48
        .size:           8
        .value_kind:     by_value
      - .address_space:  global
        .offset:         56
        .size:           8
        .value_kind:     global_buffer
      - .offset:         64
        .size:           8
        .value_kind:     by_value
      - .offset:         72
        .size:           4
        .value_kind:     by_value
      - .offset:         80
        .size:           8
        .value_kind:     by_value
      - .address_space:  global
        .offset:         88
        .size:           8
        .value_kind:     global_buffer
      - .offset:         96
        .size:           8
        .value_kind:     by_value
      - .address_space:  global
        .offset:         104
        .size:           8
        .value_kind:     global_buffer
      - .offset:         112
        .size:           8
        .value_kind:     by_value
      - .offset:         120
        .size:           4
        .value_kind:     by_value
      - .offset:         128
        .size:           8
        .value_kind:     by_value
      - .offset:         136
        .size:           4
        .value_kind:     by_value
    .group_segment_fixed_size: 1024
    .kernarg_segment_align: 8
    .kernarg_segment_size: 140
    .language:       OpenCL C
    .language_version:
      - 2
      - 0
    .max_flat_workgroup_size: 256
    .name:           _ZL20rocblas_gemvt_kernelILb1ELi256EPKfS1_KPfEviiT2_lPKT1_lilS7_lilS4_lPT3_lili
    .private_segment_fixed_size: 0
    .sgpr_count:     50
    .sgpr_spill_count: 0
    .symbol:         _ZL20rocblas_gemvt_kernelILb1ELi256EPKfS1_KPfEviiT2_lPKT1_lilS7_lilS4_lPT3_lili.kd
    .uniform_work_group_size: 1
    .uses_dynamic_stack: false
    .vgpr_count:     21
    .vgpr_spill_count: 0
    .wavefront_size: 32
  - .args:
      - .offset:         0
        .size:           4
        .value_kind:     by_value
      - .offset:         4
        .size:           4
        .value_kind:     by_value
      - .offset:         8
        .size:           4
        .value_kind:     by_value
      - .offset:         16
        .size:           8
        .value_kind:     by_value
      - .address_space:  global
        .offset:         24
        .size:           8
        .value_kind:     global_buffer
      - .offset:         32
        .size:           8
        .value_kind:     by_value
      - .offset:         40
        .size:           4
        .value_kind:     by_value
      - .offset:         48
        .size:           8
        .value_kind:     by_value
      - .address_space:  global
        .offset:         56
        .size:           8
        .value_kind:     global_buffer
      - .offset:         64
        .size:           8
        .value_kind:     by_value
      - .offset:         72
        .size:           4
        .value_kind:     by_value
      - .offset:         80
        .size:           8
        .value_kind:     by_value
      - .offset:         88
        .size:           4
        .value_kind:     by_value
      - .offset:         96
        .size:           8
        .value_kind:     by_value
      - .address_space:  global
        .offset:         104
        .size:           8
        .value_kind:     global_buffer
      - .offset:         112
        .size:           8
        .value_kind:     by_value
      - .offset:         120
        .size:           4
        .value_kind:     by_value
      - .offset:         128
        .size:           8
        .value_kind:     by_value
      - .offset:         136
        .size:           4
        .value_kind:     by_value
    .group_segment_fixed_size: 1024
    .kernarg_segment_align: 8
    .kernarg_segment_size: 140
    .language:       OpenCL C
    .language_version:
      - 2
      - 0
    .max_flat_workgroup_size: 256
    .name:           _ZL20rocblas_gemvt_kernelILb1ELi256EPKffKPfEviiT2_lPKT1_lilS7_lilS4_lPT3_lili
    .private_segment_fixed_size: 0
    .sgpr_count:     44
    .sgpr_spill_count: 0
    .symbol:         _ZL20rocblas_gemvt_kernelILb1ELi256EPKffKPfEviiT2_lPKT1_lilS7_lilS4_lPT3_lili.kd
    .uniform_work_group_size: 1
    .uses_dynamic_stack: false
    .vgpr_count:     21
    .vgpr_spill_count: 0
    .wavefront_size: 32
  - .args:
      - .offset:         0
        .size:           4
        .value_kind:     by_value
      - .offset:         4
        .size:           4
        .value_kind:     by_value
      - .address_space:  global
        .offset:         8
        .size:           8
        .value_kind:     global_buffer
      - .offset:         16
        .size:           8
        .value_kind:     by_value
      - .address_space:  global
        .offset:         24
        .size:           8
        .value_kind:     global_buffer
      - .offset:         32
        .size:           8
        .value_kind:     by_value
      - .offset:         40
        .size:           4
        .value_kind:     by_value
      - .offset:         48
        .size:           8
        .value_kind:     by_value
      - .address_space:  global
        .offset:         56
        .size:           8
        .value_kind:     global_buffer
      - .offset:         64
        .size:           8
        .value_kind:     by_value
      - .offset:         72
        .size:           4
        .value_kind:     by_value
      - .offset:         80
        .size:           8
        .value_kind:     by_value
      - .address_space:  global
        .offset:         88
        .size:           8
        .value_kind:     global_buffer
      - .offset:         96
        .size:           8
        .value_kind:     by_value
      - .address_space:  global
        .offset:         104
        .size:           8
        .value_kind:     global_buffer
      - .offset:         112
        .size:           8
        .value_kind:     by_value
      - .offset:         120
        .size:           4
        .value_kind:     by_value
      - .offset:         128
        .size:           8
        .value_kind:     by_value
      - .offset:         136
        .size:           4
        .value_kind:     by_value
    .group_segment_fixed_size: 128
    .kernarg_segment_align: 8
    .kernarg_segment_size: 140
    .language:       OpenCL C
    .language_version:
      - 2
      - 0
    .max_flat_workgroup_size: 1024
    .name:           _ZL32rocblas_gemvt_warp_reduce_kernelILb1ELi1024EiPKfS1_KPfEviiT3_lPKT2_lT1_lS7_lS8_lS4_lPT4_lS8_li
    .private_segment_fixed_size: 0
    .sgpr_count:     44
    .sgpr_spill_count: 0
    .symbol:         _ZL32rocblas_gemvt_warp_reduce_kernelILb1ELi1024EiPKfS1_KPfEviiT3_lPKT2_lT1_lS7_lS8_lS4_lPT4_lS8_li.kd
    .uniform_work_group_size: 1
    .uses_dynamic_stack: false
    .vgpr_count:     24
    .vgpr_spill_count: 0
    .wavefront_size: 32
  - .args:
      - .offset:         0
        .size:           4
        .value_kind:     by_value
      - .offset:         4
        .size:           4
        .value_kind:     by_value
      - .address_space:  global
        .offset:         8
        .size:           8
        .value_kind:     global_buffer
      - .offset:         16
        .size:           8
        .value_kind:     by_value
      - .address_space:  global
        .offset:         24
        .size:           8
        .value_kind:     global_buffer
      - .offset:         32
        .size:           8
        .value_kind:     by_value
      - .offset:         40
        .size:           8
        .value_kind:     by_value
      - .offset:         48
        .size:           8
        .value_kind:     by_value
      - .address_space:  global
        .offset:         56
        .size:           8
        .value_kind:     global_buffer
      - .offset:         64
        .size:           8
        .value_kind:     by_value
      - .offset:         72
        .size:           8
        .value_kind:     by_value
      - .offset:         80
        .size:           8
        .value_kind:     by_value
      - .address_space:  global
        .offset:         88
        .size:           8
        .value_kind:     global_buffer
      - .offset:         96
        .size:           8
        .value_kind:     by_value
      - .address_space:  global
        .offset:         104
        .size:           8
        .value_kind:     global_buffer
      - .offset:         112
        .size:           8
        .value_kind:     by_value
      - .offset:         120
        .size:           8
        .value_kind:     by_value
      - .offset:         128
        .size:           8
        .value_kind:     by_value
      - .offset:         136
        .size:           4
        .value_kind:     by_value
    .group_segment_fixed_size: 128
    .kernarg_segment_align: 8
    .kernarg_segment_size: 140
    .language:       OpenCL C
    .language_version:
      - 2
      - 0
    .max_flat_workgroup_size: 1024
    .name:           _ZL32rocblas_gemvt_warp_reduce_kernelILb1ELi1024ElPKfS1_KPfEviiT3_lPKT2_lT1_lS7_lS8_lS4_lPT4_lS8_li
    .private_segment_fixed_size: 0
    .sgpr_count:     46
    .sgpr_spill_count: 0
    .symbol:         _ZL32rocblas_gemvt_warp_reduce_kernelILb1ELi1024ElPKfS1_KPfEviiT3_lPKT2_lT1_lS7_lS8_lS4_lPT4_lS8_li.kd
    .uniform_work_group_size: 1
    .uses_dynamic_stack: false
    .vgpr_count:     26
    .vgpr_spill_count: 0
    .wavefront_size: 32
  - .args:
      - .offset:         0
        .size:           4
        .value_kind:     by_value
      - .offset:         4
        .size:           4
        .value_kind:     by_value
      - .offset:         8
        .size:           4
        .value_kind:     by_value
      - .offset:         16
        .size:           8
        .value_kind:     by_value
      - .address_space:  global
        .offset:         24
        .size:           8
        .value_kind:     global_buffer
      - .offset:         32
        .size:           8
        .value_kind:     by_value
      - .offset:         40
        .size:           4
        .value_kind:     by_value
      - .offset:         48
        .size:           8
        .value_kind:     by_value
      - .address_space:  global
        .offset:         56
        .size:           8
        .value_kind:     global_buffer
      - .offset:         64
        .size:           8
        .value_kind:     by_value
      - .offset:         72
        .size:           4
        .value_kind:     by_value
      - .offset:         80
        .size:           8
        .value_kind:     by_value
      - .offset:         88
        .size:           4
        .value_kind:     by_value
      - .offset:         96
        .size:           8
        .value_kind:     by_value
      - .address_space:  global
        .offset:         104
        .size:           8
        .value_kind:     global_buffer
      - .offset:         112
        .size:           8
        .value_kind:     by_value
      - .offset:         120
        .size:           4
        .value_kind:     by_value
      - .offset:         128
        .size:           8
        .value_kind:     by_value
      - .offset:         136
        .size:           4
        .value_kind:     by_value
    .group_segment_fixed_size: 128
    .kernarg_segment_align: 8
    .kernarg_segment_size: 140
    .language:       OpenCL C
    .language_version:
      - 2
      - 0
    .max_flat_workgroup_size: 1024
    .name:           _ZL32rocblas_gemvt_warp_reduce_kernelILb1ELi1024EiPKffKPfEviiT3_lPKT2_lT1_lS7_lS8_lS4_lPT4_lS8_li
    .private_segment_fixed_size: 0
    .sgpr_count:     40
    .sgpr_spill_count: 0
    .symbol:         _ZL32rocblas_gemvt_warp_reduce_kernelILb1ELi1024EiPKffKPfEviiT3_lPKT2_lT1_lS7_lS8_lS4_lPT4_lS8_li.kd
    .uniform_work_group_size: 1
    .uses_dynamic_stack: false
    .vgpr_count:     24
    .vgpr_spill_count: 0
    .wavefront_size: 32
  - .args:
      - .offset:         0
        .size:           4
        .value_kind:     by_value
      - .offset:         4
        .size:           4
        .value_kind:     by_value
      - .offset:         8
        .size:           4
        .value_kind:     by_value
      - .offset:         16
        .size:           8
        .value_kind:     by_value
      - .address_space:  global
        .offset:         24
        .size:           8
        .value_kind:     global_buffer
      - .offset:         32
        .size:           8
        .value_kind:     by_value
      - .offset:         40
        .size:           8
        .value_kind:     by_value
      - .offset:         48
        .size:           8
        .value_kind:     by_value
      - .address_space:  global
        .offset:         56
        .size:           8
        .value_kind:     global_buffer
      - .offset:         64
        .size:           8
        .value_kind:     by_value
      - .offset:         72
        .size:           8
        .value_kind:     by_value
      - .offset:         80
        .size:           8
        .value_kind:     by_value
      - .offset:         88
        .size:           4
        .value_kind:     by_value
      - .offset:         96
        .size:           8
        .value_kind:     by_value
      - .address_space:  global
        .offset:         104
        .size:           8
        .value_kind:     global_buffer
      - .offset:         112
        .size:           8
        .value_kind:     by_value
      - .offset:         120
        .size:           8
        .value_kind:     by_value
      - .offset:         128
        .size:           8
        .value_kind:     by_value
      - .offset:         136
        .size:           4
        .value_kind:     by_value
    .group_segment_fixed_size: 128
    .kernarg_segment_align: 8
    .kernarg_segment_size: 140
    .language:       OpenCL C
    .language_version:
      - 2
      - 0
    .max_flat_workgroup_size: 1024
    .name:           _ZL32rocblas_gemvt_warp_reduce_kernelILb1ELi1024ElPKffKPfEviiT3_lPKT2_lT1_lS7_lS8_lS4_lPT4_lS8_li
    .private_segment_fixed_size: 0
    .sgpr_count:     39
    .sgpr_spill_count: 0
    .symbol:         _ZL32rocblas_gemvt_warp_reduce_kernelILb1ELi1024ElPKffKPfEviiT3_lPKT2_lT1_lS7_lS8_lS4_lPT4_lS8_li.kd
    .uniform_work_group_size: 1
    .uses_dynamic_stack: false
    .vgpr_count:     26
    .vgpr_spill_count: 0
    .wavefront_size: 32
  - .args:
      - .offset:         0
        .size:           4
        .value_kind:     by_value
      - .offset:         4
        .size:           4
        .value_kind:     by_value
      - .address_space:  global
        .offset:         8
        .size:           8
        .value_kind:     global_buffer
      - .offset:         16
        .size:           8
        .value_kind:     by_value
      - .address_space:  global
        .offset:         24
        .size:           8
        .value_kind:     global_buffer
      - .offset:         32
        .size:           8
        .value_kind:     by_value
      - .offset:         40
        .size:           4
        .value_kind:     by_value
      - .offset:         48
        .size:           8
        .value_kind:     by_value
      - .address_space:  global
        .offset:         56
        .size:           8
        .value_kind:     global_buffer
      - .offset:         64
        .size:           8
        .value_kind:     by_value
      - .offset:         72
        .size:           4
        .value_kind:     by_value
      - .offset:         80
        .size:           8
        .value_kind:     by_value
      - .address_space:  global
        .offset:         88
        .size:           8
        .value_kind:     global_buffer
      - .offset:         96
        .size:           8
        .value_kind:     by_value
      - .address_space:  global
        .offset:         104
        .size:           8
        .value_kind:     global_buffer
      - .offset:         112
        .size:           8
        .value_kind:     by_value
      - .offset:         120
        .size:           4
        .value_kind:     by_value
      - .offset:         128
        .size:           8
        .value_kind:     by_value
      - .offset:         136
        .size:           4
        .value_kind:     by_value
    .group_segment_fixed_size: 0
    .kernarg_segment_align: 8
    .kernarg_segment_size: 140
    .language:       OpenCL C
    .language_version:
      - 2
      - 0
    .max_flat_workgroup_size: 768
    .name:           _ZL34rocblas_gemvn_sm_mn_batched_kernelILi32ELi24EPKdS1_KPdEviiT2_lPKT1_lilS7_lilS4_lPT3_lili
    .private_segment_fixed_size: 0
    .sgpr_count:     0
    .sgpr_spill_count: 0
    .symbol:         _ZL34rocblas_gemvn_sm_mn_batched_kernelILi32ELi24EPKdS1_KPdEviiT2_lPKT1_lilS7_lilS4_lPT3_lili.kd
    .uniform_work_group_size: 1
    .uses_dynamic_stack: false
    .vgpr_count:     0
    .vgpr_spill_count: 0
    .wavefront_size: 32
  - .args:
      - .offset:         0
        .size:           4
        .value_kind:     by_value
      - .offset:         4
        .size:           4
        .value_kind:     by_value
      - .offset:         8
        .size:           8
        .value_kind:     by_value
      - .offset:         16
        .size:           8
        .value_kind:     by_value
      - .address_space:  global
        .offset:         24
        .size:           8
        .value_kind:     global_buffer
      - .offset:         32
        .size:           8
        .value_kind:     by_value
      - .offset:         40
        .size:           4
        .value_kind:     by_value
      - .offset:         48
        .size:           8
        .value_kind:     by_value
      - .address_space:  global
        .offset:         56
        .size:           8
        .value_kind:     global_buffer
      - .offset:         64
        .size:           8
        .value_kind:     by_value
      - .offset:         72
        .size:           4
        .value_kind:     by_value
      - .offset:         80
        .size:           8
        .value_kind:     by_value
      - .offset:         88
        .size:           8
        .value_kind:     by_value
      - .offset:         96
        .size:           8
        .value_kind:     by_value
      - .address_space:  global
        .offset:         104
        .size:           8
        .value_kind:     global_buffer
      - .offset:         112
        .size:           8
        .value_kind:     by_value
      - .offset:         120
        .size:           4
        .value_kind:     by_value
      - .offset:         128
        .size:           8
        .value_kind:     by_value
      - .offset:         136
        .size:           4
        .value_kind:     by_value
    .group_segment_fixed_size: 0
    .kernarg_segment_align: 8
    .kernarg_segment_size: 140
    .language:       OpenCL C
    .language_version:
      - 2
      - 0
    .max_flat_workgroup_size: 768
    .name:           _ZL34rocblas_gemvn_sm_mn_batched_kernelILi32ELi24EPKddKPdEviiT2_lPKT1_lilS7_lilS4_lPT3_lili
    .private_segment_fixed_size: 0
    .sgpr_count:     0
    .sgpr_spill_count: 0
    .symbol:         _ZL34rocblas_gemvn_sm_mn_batched_kernelILi32ELi24EPKddKPdEviiT2_lPKT1_lilS7_lilS4_lPT3_lili.kd
    .uniform_work_group_size: 1
    .uses_dynamic_stack: false
    .vgpr_count:     0
    .vgpr_spill_count: 0
    .wavefront_size: 32
  - .args:
      - .offset:         0
        .size:           4
        .value_kind:     by_value
      - .offset:         4
        .size:           4
        .value_kind:     by_value
      - .address_space:  global
        .offset:         8
        .size:           8
        .value_kind:     global_buffer
      - .offset:         16
        .size:           8
        .value_kind:     by_value
      - .address_space:  global
        .offset:         24
        .size:           8
        .value_kind:     global_buffer
      - .offset:         32
        .size:           8
        .value_kind:     by_value
      - .offset:         40
        .size:           4
        .value_kind:     by_value
      - .offset:         48
        .size:           8
        .value_kind:     by_value
      - .address_space:  global
        .offset:         56
        .size:           8
        .value_kind:     global_buffer
      - .offset:         64
        .size:           8
        .value_kind:     by_value
      - .offset:         72
        .size:           4
        .value_kind:     by_value
      - .offset:         80
        .size:           8
        .value_kind:     by_value
      - .address_space:  global
        .offset:         88
        .size:           8
        .value_kind:     global_buffer
      - .offset:         96
        .size:           8
        .value_kind:     by_value
      - .address_space:  global
        .offset:         104
        .size:           8
        .value_kind:     global_buffer
      - .offset:         112
        .size:           8
        .value_kind:     by_value
      - .offset:         120
        .size:           4
        .value_kind:     by_value
      - .offset:         128
        .size:           8
        .value_kind:     by_value
      - .offset:         136
        .size:           4
        .value_kind:     by_value
      - .offset:         144
        .size:           4
        .value_kind:     hidden_block_count_x
      - .offset:         148
        .size:           4
        .value_kind:     hidden_block_count_y
      - .offset:         152
        .size:           4
        .value_kind:     hidden_block_count_z
      - .offset:         156
        .size:           2
        .value_kind:     hidden_group_size_x
      - .offset:         158
        .size:           2
        .value_kind:     hidden_group_size_y
      - .offset:         160
        .size:           2
        .value_kind:     hidden_group_size_z
      - .offset:         162
        .size:           2
        .value_kind:     hidden_remainder_x
      - .offset:         164
        .size:           2
        .value_kind:     hidden_remainder_y
      - .offset:         166
        .size:           2
        .value_kind:     hidden_remainder_z
      - .offset:         184
        .size:           8
        .value_kind:     hidden_global_offset_x
      - .offset:         192
        .size:           8
        .value_kind:     hidden_global_offset_y
      - .offset:         200
        .size:           8
        .value_kind:     hidden_global_offset_z
      - .offset:         208
        .size:           2
        .value_kind:     hidden_grid_dims
    .group_segment_fixed_size: 8192
    .kernarg_segment_align: 8
    .kernarg_segment_size: 400
    .language:       OpenCL C
    .language_version:
      - 2
      - 0
    .max_flat_workgroup_size: 256
    .name:           _ZL20rocblas_gemvn_kernelILi64ELi4EiPKdS1_KPdEviiT3_lPKT2_lT1_lS7_lS8_lS4_lPT4_lS8_li
    .private_segment_fixed_size: 0
    .sgpr_count:     52
    .sgpr_spill_count: 0
    .symbol:         _ZL20rocblas_gemvn_kernelILi64ELi4EiPKdS1_KPdEviiT3_lPKT2_lT1_lS7_lS8_lS4_lPT4_lS8_li.kd
    .uniform_work_group_size: 1
    .uses_dynamic_stack: false
    .vgpr_count:     88
    .vgpr_spill_count: 0
    .wavefront_size: 32
  - .args:
      - .offset:         0
        .size:           4
        .value_kind:     by_value
      - .offset:         4
        .size:           4
        .value_kind:     by_value
      - .address_space:  global
        .offset:         8
        .size:           8
        .value_kind:     global_buffer
      - .offset:         16
        .size:           8
        .value_kind:     by_value
      - .address_space:  global
        .offset:         24
        .size:           8
        .value_kind:     global_buffer
      - .offset:         32
        .size:           8
        .value_kind:     by_value
      - .offset:         40
        .size:           8
        .value_kind:     by_value
      - .offset:         48
        .size:           8
        .value_kind:     by_value
      - .address_space:  global
        .offset:         56
        .size:           8
        .value_kind:     global_buffer
      - .offset:         64
        .size:           8
        .value_kind:     by_value
      - .offset:         72
        .size:           8
        .value_kind:     by_value
      - .offset:         80
        .size:           8
        .value_kind:     by_value
      - .address_space:  global
        .offset:         88
        .size:           8
        .value_kind:     global_buffer
      - .offset:         96
        .size:           8
        .value_kind:     by_value
      - .address_space:  global
        .offset:         104
        .size:           8
        .value_kind:     global_buffer
      - .offset:         112
        .size:           8
        .value_kind:     by_value
      - .offset:         120
        .size:           8
        .value_kind:     by_value
      - .offset:         128
        .size:           8
        .value_kind:     by_value
      - .offset:         136
        .size:           4
        .value_kind:     by_value
      - .offset:         144
        .size:           4
        .value_kind:     hidden_block_count_x
      - .offset:         148
        .size:           4
        .value_kind:     hidden_block_count_y
      - .offset:         152
        .size:           4
        .value_kind:     hidden_block_count_z
      - .offset:         156
        .size:           2
        .value_kind:     hidden_group_size_x
      - .offset:         158
        .size:           2
        .value_kind:     hidden_group_size_y
      - .offset:         160
        .size:           2
        .value_kind:     hidden_group_size_z
      - .offset:         162
        .size:           2
        .value_kind:     hidden_remainder_x
      - .offset:         164
        .size:           2
        .value_kind:     hidden_remainder_y
      - .offset:         166
        .size:           2
        .value_kind:     hidden_remainder_z
      - .offset:         184
        .size:           8
        .value_kind:     hidden_global_offset_x
      - .offset:         192
        .size:           8
        .value_kind:     hidden_global_offset_y
      - .offset:         200
        .size:           8
        .value_kind:     hidden_global_offset_z
      - .offset:         208
        .size:           2
        .value_kind:     hidden_grid_dims
    .group_segment_fixed_size: 8192
    .kernarg_segment_align: 8
    .kernarg_segment_size: 400
    .language:       OpenCL C
    .language_version:
      - 2
      - 0
    .max_flat_workgroup_size: 256
    .name:           _ZL20rocblas_gemvn_kernelILi64ELi4ElPKdS1_KPdEviiT3_lPKT2_lT1_lS7_lS8_lS4_lPT4_lS8_li
    .private_segment_fixed_size: 0
    .sgpr_count:     52
    .sgpr_spill_count: 0
    .symbol:         _ZL20rocblas_gemvn_kernelILi64ELi4ElPKdS1_KPdEviiT3_lPKT2_lT1_lS7_lS8_lS4_lPT4_lS8_li.kd
    .uniform_work_group_size: 1
    .uses_dynamic_stack: false
    .vgpr_count:     104
    .vgpr_spill_count: 0
    .wavefront_size: 32
  - .args:
      - .offset:         0
        .size:           4
        .value_kind:     by_value
      - .offset:         4
        .size:           4
        .value_kind:     by_value
      - .offset:         8
        .size:           8
        .value_kind:     by_value
      - .offset:         16
        .size:           8
        .value_kind:     by_value
      - .address_space:  global
        .offset:         24
        .size:           8
        .value_kind:     global_buffer
      - .offset:         32
        .size:           8
        .value_kind:     by_value
      - .offset:         40
        .size:           4
        .value_kind:     by_value
      - .offset:         48
        .size:           8
        .value_kind:     by_value
      - .address_space:  global
        .offset:         56
        .size:           8
        .value_kind:     global_buffer
      - .offset:         64
        .size:           8
        .value_kind:     by_value
      - .offset:         72
        .size:           4
        .value_kind:     by_value
      - .offset:         80
        .size:           8
        .value_kind:     by_value
      - .offset:         88
        .size:           8
        .value_kind:     by_value
      - .offset:         96
        .size:           8
        .value_kind:     by_value
      - .address_space:  global
        .offset:         104
        .size:           8
        .value_kind:     global_buffer
      - .offset:         112
        .size:           8
        .value_kind:     by_value
      - .offset:         120
        .size:           4
        .value_kind:     by_value
      - .offset:         128
        .size:           8
        .value_kind:     by_value
      - .offset:         136
        .size:           4
        .value_kind:     by_value
      - .offset:         144
        .size:           4
        .value_kind:     hidden_block_count_x
      - .offset:         148
        .size:           4
        .value_kind:     hidden_block_count_y
      - .offset:         152
        .size:           4
        .value_kind:     hidden_block_count_z
      - .offset:         156
        .size:           2
        .value_kind:     hidden_group_size_x
      - .offset:         158
        .size:           2
        .value_kind:     hidden_group_size_y
      - .offset:         160
        .size:           2
        .value_kind:     hidden_group_size_z
      - .offset:         162
        .size:           2
        .value_kind:     hidden_remainder_x
      - .offset:         164
        .size:           2
        .value_kind:     hidden_remainder_y
      - .offset:         166
        .size:           2
        .value_kind:     hidden_remainder_z
      - .offset:         184
        .size:           8
        .value_kind:     hidden_global_offset_x
      - .offset:         192
        .size:           8
        .value_kind:     hidden_global_offset_y
      - .offset:         200
        .size:           8
        .value_kind:     hidden_global_offset_z
      - .offset:         208
        .size:           2
        .value_kind:     hidden_grid_dims
    .group_segment_fixed_size: 8192
    .kernarg_segment_align: 8
    .kernarg_segment_size: 400
    .language:       OpenCL C
    .language_version:
      - 2
      - 0
    .max_flat_workgroup_size: 256
    .name:           _ZL20rocblas_gemvn_kernelILi64ELi4EiPKddKPdEviiT3_lPKT2_lT1_lS7_lS8_lS4_lPT4_lS8_li
    .private_segment_fixed_size: 0
    .sgpr_count:     50
    .sgpr_spill_count: 0
    .symbol:         _ZL20rocblas_gemvn_kernelILi64ELi4EiPKddKPdEviiT3_lPKT2_lT1_lS7_lS8_lS4_lPT4_lS8_li.kd
    .uniform_work_group_size: 1
    .uses_dynamic_stack: false
    .vgpr_count:     86
    .vgpr_spill_count: 0
    .wavefront_size: 32
  - .args:
      - .offset:         0
        .size:           4
        .value_kind:     by_value
      - .offset:         4
        .size:           4
        .value_kind:     by_value
      - .offset:         8
        .size:           8
        .value_kind:     by_value
      - .offset:         16
        .size:           8
        .value_kind:     by_value
      - .address_space:  global
        .offset:         24
        .size:           8
        .value_kind:     global_buffer
      - .offset:         32
        .size:           8
        .value_kind:     by_value
      - .offset:         40
        .size:           8
        .value_kind:     by_value
      - .offset:         48
        .size:           8
        .value_kind:     by_value
      - .address_space:  global
        .offset:         56
        .size:           8
        .value_kind:     global_buffer
      - .offset:         64
        .size:           8
        .value_kind:     by_value
      - .offset:         72
        .size:           8
        .value_kind:     by_value
      - .offset:         80
        .size:           8
        .value_kind:     by_value
      - .offset:         88
        .size:           8
        .value_kind:     by_value
      - .offset:         96
        .size:           8
        .value_kind:     by_value
      - .address_space:  global
        .offset:         104
        .size:           8
        .value_kind:     global_buffer
      - .offset:         112
        .size:           8
        .value_kind:     by_value
      - .offset:         120
        .size:           8
        .value_kind:     by_value
      - .offset:         128
        .size:           8
        .value_kind:     by_value
      - .offset:         136
        .size:           4
        .value_kind:     by_value
      - .offset:         144
        .size:           4
        .value_kind:     hidden_block_count_x
      - .offset:         148
        .size:           4
        .value_kind:     hidden_block_count_y
      - .offset:         152
        .size:           4
        .value_kind:     hidden_block_count_z
      - .offset:         156
        .size:           2
        .value_kind:     hidden_group_size_x
      - .offset:         158
        .size:           2
        .value_kind:     hidden_group_size_y
      - .offset:         160
        .size:           2
        .value_kind:     hidden_group_size_z
      - .offset:         162
        .size:           2
        .value_kind:     hidden_remainder_x
      - .offset:         164
        .size:           2
        .value_kind:     hidden_remainder_y
      - .offset:         166
        .size:           2
        .value_kind:     hidden_remainder_z
      - .offset:         184
        .size:           8
        .value_kind:     hidden_global_offset_x
      - .offset:         192
        .size:           8
        .value_kind:     hidden_global_offset_y
      - .offset:         200
        .size:           8
        .value_kind:     hidden_global_offset_z
      - .offset:         208
        .size:           2
        .value_kind:     hidden_grid_dims
    .group_segment_fixed_size: 8192
    .kernarg_segment_align: 8
    .kernarg_segment_size: 400
    .language:       OpenCL C
    .language_version:
      - 2
      - 0
    .max_flat_workgroup_size: 256
    .name:           _ZL20rocblas_gemvn_kernelILi64ELi4ElPKddKPdEviiT3_lPKT2_lT1_lS7_lS8_lS4_lPT4_lS8_li
    .private_segment_fixed_size: 0
    .sgpr_count:     51
    .sgpr_spill_count: 0
    .symbol:         _ZL20rocblas_gemvn_kernelILi64ELi4ElPKddKPdEviiT3_lPKT2_lT1_lS7_lS8_lS4_lPT4_lS8_li.kd
    .uniform_work_group_size: 1
    .uses_dynamic_stack: false
    .vgpr_count:     100
    .vgpr_spill_count: 0
    .wavefront_size: 32
  - .args:
      - .offset:         0
        .size:           4
        .value_kind:     by_value
      - .address_space:  global
        .offset:         8
        .size:           8
        .value_kind:     global_buffer
      - .offset:         16
        .size:           8
        .value_kind:     by_value
      - .address_space:  global
        .offset:         24
        .size:           8
        .value_kind:     global_buffer
      - .offset:         32
        .size:           8
        .value_kind:     by_value
      - .offset:         40
        .size:           4
        .value_kind:     by_value
      - .offset:         48
        .size:           8
        .value_kind:     by_value
      - .offset:         56
        .size:           4
        .value_kind:     by_value
      - .offset:         64
        .size:           4
        .value_kind:     hidden_block_count_x
      - .offset:         68
        .size:           4
        .value_kind:     hidden_block_count_y
      - .offset:         72
        .size:           4
        .value_kind:     hidden_block_count_z
      - .offset:         76
        .size:           2
        .value_kind:     hidden_group_size_x
      - .offset:         78
        .size:           2
        .value_kind:     hidden_group_size_y
      - .offset:         80
        .size:           2
        .value_kind:     hidden_group_size_z
      - .offset:         82
        .size:           2
        .value_kind:     hidden_remainder_x
      - .offset:         84
        .size:           2
        .value_kind:     hidden_remainder_y
      - .offset:         86
        .size:           2
        .value_kind:     hidden_remainder_z
      - .offset:         104
        .size:           8
        .value_kind:     hidden_global_offset_x
      - .offset:         112
        .size:           8
        .value_kind:     hidden_global_offset_y
      - .offset:         120
        .size:           8
        .value_kind:     hidden_global_offset_z
      - .offset:         128
        .size:           2
        .value_kind:     hidden_grid_dims
    .group_segment_fixed_size: 0
    .kernarg_segment_align: 8
    .kernarg_segment_size: 320
    .language:       OpenCL C
    .language_version:
      - 2
      - 0
    .max_flat_workgroup_size: 256
    .name:           _ZL24rocblas_gemv_scal_kernelILi256EPKdPKPdEviT0_lT1_lili
    .private_segment_fixed_size: 0
    .sgpr_count:     24
    .sgpr_spill_count: 0
    .symbol:         _ZL24rocblas_gemv_scal_kernelILi256EPKdPKPdEviT0_lT1_lili.kd
    .uniform_work_group_size: 1
    .uses_dynamic_stack: false
    .vgpr_count:     10
    .vgpr_spill_count: 0
    .wavefront_size: 32
  - .args:
      - .offset:         0
        .size:           4
        .value_kind:     by_value
      - .offset:         8
        .size:           8
        .value_kind:     by_value
      - .offset:         16
        .size:           8
        .value_kind:     by_value
      - .address_space:  global
        .offset:         24
        .size:           8
        .value_kind:     global_buffer
      - .offset:         32
        .size:           8
        .value_kind:     by_value
      - .offset:         40
        .size:           4
        .value_kind:     by_value
      - .offset:         48
        .size:           8
        .value_kind:     by_value
      - .offset:         56
        .size:           4
        .value_kind:     by_value
      - .offset:         64
        .size:           4
        .value_kind:     hidden_block_count_x
      - .offset:         68
        .size:           4
        .value_kind:     hidden_block_count_y
      - .offset:         72
        .size:           4
        .value_kind:     hidden_block_count_z
      - .offset:         76
        .size:           2
        .value_kind:     hidden_group_size_x
      - .offset:         78
        .size:           2
        .value_kind:     hidden_group_size_y
      - .offset:         80
        .size:           2
        .value_kind:     hidden_group_size_z
      - .offset:         82
        .size:           2
        .value_kind:     hidden_remainder_x
      - .offset:         84
        .size:           2
        .value_kind:     hidden_remainder_y
      - .offset:         86
        .size:           2
        .value_kind:     hidden_remainder_z
      - .offset:         104
        .size:           8
        .value_kind:     hidden_global_offset_x
      - .offset:         112
        .size:           8
        .value_kind:     hidden_global_offset_y
      - .offset:         120
        .size:           8
        .value_kind:     hidden_global_offset_z
      - .offset:         128
        .size:           2
        .value_kind:     hidden_grid_dims
    .group_segment_fixed_size: 0
    .kernarg_segment_align: 8
    .kernarg_segment_size: 320
    .language:       OpenCL C
    .language_version:
      - 2
      - 0
    .max_flat_workgroup_size: 256
    .name:           _ZL24rocblas_gemv_scal_kernelILi256EdPKPdEviT0_lT1_lili
    .private_segment_fixed_size: 0
    .sgpr_count:     22
    .sgpr_spill_count: 0
    .symbol:         _ZL24rocblas_gemv_scal_kernelILi256EdPKPdEviT0_lT1_lili.kd
    .uniform_work_group_size: 1
    .uses_dynamic_stack: false
    .vgpr_count:     8
    .vgpr_spill_count: 0
    .wavefront_size: 32
  - .args:
      - .offset:         0
        .size:           4
        .value_kind:     by_value
      - .offset:         4
        .size:           4
        .value_kind:     by_value
      - .address_space:  global
        .offset:         8
        .size:           8
        .value_kind:     global_buffer
      - .offset:         16
        .size:           8
        .value_kind:     by_value
      - .address_space:  global
        .offset:         24
        .size:           8
        .value_kind:     global_buffer
      - .offset:         32
        .size:           8
        .value_kind:     by_value
      - .offset:         40
        .size:           4
        .value_kind:     by_value
      - .offset:         48
        .size:           8
        .value_kind:     by_value
      - .address_space:  global
        .offset:         56
        .size:           8
        .value_kind:     global_buffer
      - .offset:         64
        .size:           8
        .value_kind:     by_value
      - .offset:         72
        .size:           4
        .value_kind:     by_value
      - .offset:         80
        .size:           8
        .value_kind:     by_value
      - .address_space:  global
        .offset:         88
        .size:           8
        .value_kind:     global_buffer
      - .offset:         96
        .size:           8
        .value_kind:     by_value
      - .offset:         104
        .size:           4
        .value_kind:     by_value
      - .offset:         112
        .size:           8
        .value_kind:     by_value
      - .offset:         120
        .size:           4
        .value_kind:     by_value
      - .offset:         128
        .size:           4
        .value_kind:     hidden_block_count_x
      - .offset:         132
        .size:           4
        .value_kind:     hidden_block_count_y
      - .offset:         136
        .size:           4
        .value_kind:     hidden_block_count_z
      - .offset:         140
        .size:           2
        .value_kind:     hidden_group_size_x
      - .offset:         142
        .size:           2
        .value_kind:     hidden_group_size_y
      - .offset:         144
        .size:           2
        .value_kind:     hidden_group_size_z
      - .offset:         146
        .size:           2
        .value_kind:     hidden_remainder_x
      - .offset:         148
        .size:           2
        .value_kind:     hidden_remainder_y
      - .offset:         150
        .size:           2
        .value_kind:     hidden_remainder_z
      - .offset:         168
        .size:           8
        .value_kind:     hidden_global_offset_x
      - .offset:         176
        .size:           8
        .value_kind:     hidden_global_offset_y
      - .offset:         184
        .size:           8
        .value_kind:     hidden_global_offset_z
      - .offset:         192
        .size:           2
        .value_kind:     hidden_grid_dims
    .group_segment_fixed_size: 8192
    .kernarg_segment_align: 8
    .kernarg_segment_size: 384
    .language:       OpenCL C
    .language_version:
      - 2
      - 0
    .max_flat_workgroup_size: 512
    .name:           _ZL36rocblas_gemvn_double_buffered_kernelILi128ELi4ELi16EPKdS1_KPdEviiT3_lPKT2_lilS7_lilPT4_lili
    .private_segment_fixed_size: 0
    .sgpr_count:     56
    .sgpr_spill_count: 0
    .symbol:         _ZL36rocblas_gemvn_double_buffered_kernelILi128ELi4ELi16EPKdS1_KPdEviiT3_lPKT2_lilS7_lilPT4_lili.kd
    .uniform_work_group_size: 1
    .uses_dynamic_stack: false
    .vgpr_count:     200
    .vgpr_spill_count: 0
    .wavefront_size: 32
  - .args:
      - .offset:         0
        .size:           4
        .value_kind:     by_value
      - .offset:         4
        .size:           4
        .value_kind:     by_value
      - .offset:         8
        .size:           8
        .value_kind:     by_value
      - .offset:         16
        .size:           8
        .value_kind:     by_value
      - .address_space:  global
        .offset:         24
        .size:           8
        .value_kind:     global_buffer
      - .offset:         32
        .size:           8
        .value_kind:     by_value
      - .offset:         40
        .size:           4
        .value_kind:     by_value
      - .offset:         48
        .size:           8
        .value_kind:     by_value
      - .address_space:  global
        .offset:         56
        .size:           8
        .value_kind:     global_buffer
      - .offset:         64
        .size:           8
        .value_kind:     by_value
      - .offset:         72
        .size:           4
        .value_kind:     by_value
      - .offset:         80
        .size:           8
        .value_kind:     by_value
      - .address_space:  global
        .offset:         88
        .size:           8
        .value_kind:     global_buffer
      - .offset:         96
        .size:           8
        .value_kind:     by_value
      - .offset:         104
        .size:           4
        .value_kind:     by_value
      - .offset:         112
        .size:           8
        .value_kind:     by_value
      - .offset:         120
        .size:           4
        .value_kind:     by_value
      - .offset:         128
        .size:           4
        .value_kind:     hidden_block_count_x
      - .offset:         132
        .size:           4
        .value_kind:     hidden_block_count_y
      - .offset:         136
        .size:           4
        .value_kind:     hidden_block_count_z
      - .offset:         140
        .size:           2
        .value_kind:     hidden_group_size_x
      - .offset:         142
        .size:           2
        .value_kind:     hidden_group_size_y
      - .offset:         144
        .size:           2
        .value_kind:     hidden_group_size_z
      - .offset:         146
        .size:           2
        .value_kind:     hidden_remainder_x
      - .offset:         148
        .size:           2
        .value_kind:     hidden_remainder_y
      - .offset:         150
        .size:           2
        .value_kind:     hidden_remainder_z
      - .offset:         168
        .size:           8
        .value_kind:     hidden_global_offset_x
      - .offset:         176
        .size:           8
        .value_kind:     hidden_global_offset_y
      - .offset:         184
        .size:           8
        .value_kind:     hidden_global_offset_z
      - .offset:         192
        .size:           2
        .value_kind:     hidden_grid_dims
    .group_segment_fixed_size: 8192
    .kernarg_segment_align: 8
    .kernarg_segment_size: 384
    .language:       OpenCL C
    .language_version:
      - 2
      - 0
    .max_flat_workgroup_size: 512
    .name:           _ZL36rocblas_gemvn_double_buffered_kernelILi128ELi4ELi16EPKddKPdEviiT3_lPKT2_lilS7_lilPT4_lili
    .private_segment_fixed_size: 0
    .sgpr_count:     56
    .sgpr_spill_count: 0
    .symbol:         _ZL36rocblas_gemvn_double_buffered_kernelILi128ELi4ELi16EPKddKPdEviiT3_lPKT2_lilS7_lilPT4_lili.kd
    .uniform_work_group_size: 1
    .uses_dynamic_stack: false
    .vgpr_count:     198
    .vgpr_spill_count: 0
    .wavefront_size: 32
  - .args:
      - .offset:         0
        .size:           4
        .value_kind:     by_value
      - .offset:         4
        .size:           4
        .value_kind:     by_value
      - .address_space:  global
        .offset:         8
        .size:           8
        .value_kind:     global_buffer
      - .offset:         16
        .size:           8
        .value_kind:     by_value
      - .address_space:  global
        .offset:         24
        .size:           8
        .value_kind:     global_buffer
      - .offset:         32
        .size:           8
        .value_kind:     by_value
      - .offset:         40
        .size:           4
        .value_kind:     by_value
      - .offset:         48
        .size:           8
        .value_kind:     by_value
      - .address_space:  global
        .offset:         56
        .size:           8
        .value_kind:     global_buffer
      - .offset:         64
        .size:           8
        .value_kind:     by_value
      - .offset:         72
        .size:           4
        .value_kind:     by_value
      - .offset:         80
        .size:           8
        .value_kind:     by_value
      - .address_space:  global
        .offset:         88
        .size:           8
        .value_kind:     global_buffer
      - .offset:         96
        .size:           8
        .value_kind:     by_value
      - .address_space:  global
        .offset:         104
        .size:           8
        .value_kind:     global_buffer
      - .offset:         112
        .size:           8
        .value_kind:     by_value
      - .offset:         120
        .size:           4
        .value_kind:     by_value
      - .offset:         128
        .size:           8
        .value_kind:     by_value
      - .offset:         136
        .size:           4
        .value_kind:     by_value
      - .offset:         144
        .size:           4
        .value_kind:     hidden_block_count_x
      - .offset:         148
        .size:           4
        .value_kind:     hidden_block_count_y
      - .offset:         152
        .size:           4
        .value_kind:     hidden_block_count_z
      - .offset:         156
        .size:           2
        .value_kind:     hidden_group_size_x
      - .offset:         158
        .size:           2
        .value_kind:     hidden_group_size_y
      - .offset:         160
        .size:           2
        .value_kind:     hidden_group_size_z
      - .offset:         162
        .size:           2
        .value_kind:     hidden_remainder_x
      - .offset:         164
        .size:           2
        .value_kind:     hidden_remainder_y
      - .offset:         166
        .size:           2
        .value_kind:     hidden_remainder_z
      - .offset:         184
        .size:           8
        .value_kind:     hidden_global_offset_x
      - .offset:         192
        .size:           8
        .value_kind:     hidden_global_offset_y
      - .offset:         200
        .size:           8
        .value_kind:     hidden_global_offset_z
      - .offset:         208
        .size:           2
        .value_kind:     hidden_grid_dims
    .group_segment_fixed_size: 16384
    .kernarg_segment_align: 8
    .kernarg_segment_size: 400
    .language:       OpenCL C
    .language_version:
      - 2
      - 0
    .max_flat_workgroup_size: 512
    .name:           _ZL20rocblas_gemvn_kernelILi32ELi16EiPKdS1_KPdEviiT3_lPKT2_lT1_lS7_lS8_lS4_lPT4_lS8_li
    .private_segment_fixed_size: 0
    .sgpr_count:     52
    .sgpr_spill_count: 0
    .symbol:         _ZL20rocblas_gemvn_kernelILi32ELi16EiPKdS1_KPdEviiT3_lPKT2_lT1_lS7_lS8_lS4_lPT4_lS8_li.kd
    .uniform_work_group_size: 1
    .uses_dynamic_stack: false
    .vgpr_count:     88
    .vgpr_spill_count: 0
    .wavefront_size: 32
  - .args:
      - .offset:         0
        .size:           4
        .value_kind:     by_value
      - .offset:         4
        .size:           4
        .value_kind:     by_value
      - .address_space:  global
        .offset:         8
        .size:           8
        .value_kind:     global_buffer
      - .offset:         16
        .size:           8
        .value_kind:     by_value
      - .address_space:  global
        .offset:         24
        .size:           8
        .value_kind:     global_buffer
      - .offset:         32
        .size:           8
        .value_kind:     by_value
      - .offset:         40
        .size:           8
        .value_kind:     by_value
      - .offset:         48
        .size:           8
        .value_kind:     by_value
      - .address_space:  global
        .offset:         56
        .size:           8
        .value_kind:     global_buffer
      - .offset:         64
        .size:           8
        .value_kind:     by_value
      - .offset:         72
        .size:           8
        .value_kind:     by_value
      - .offset:         80
        .size:           8
        .value_kind:     by_value
      - .address_space:  global
        .offset:         88
        .size:           8
        .value_kind:     global_buffer
      - .offset:         96
        .size:           8
        .value_kind:     by_value
      - .address_space:  global
        .offset:         104
        .size:           8
        .value_kind:     global_buffer
      - .offset:         112
        .size:           8
        .value_kind:     by_value
      - .offset:         120
        .size:           8
        .value_kind:     by_value
      - .offset:         128
        .size:           8
        .value_kind:     by_value
      - .offset:         136
        .size:           4
        .value_kind:     by_value
      - .offset:         144
        .size:           4
        .value_kind:     hidden_block_count_x
      - .offset:         148
        .size:           4
        .value_kind:     hidden_block_count_y
      - .offset:         152
        .size:           4
        .value_kind:     hidden_block_count_z
      - .offset:         156
        .size:           2
        .value_kind:     hidden_group_size_x
      - .offset:         158
        .size:           2
        .value_kind:     hidden_group_size_y
      - .offset:         160
        .size:           2
        .value_kind:     hidden_group_size_z
      - .offset:         162
        .size:           2
        .value_kind:     hidden_remainder_x
      - .offset:         164
        .size:           2
        .value_kind:     hidden_remainder_y
      - .offset:         166
        .size:           2
        .value_kind:     hidden_remainder_z
      - .offset:         184
        .size:           8
        .value_kind:     hidden_global_offset_x
      - .offset:         192
        .size:           8
        .value_kind:     hidden_global_offset_y
      - .offset:         200
        .size:           8
        .value_kind:     hidden_global_offset_z
      - .offset:         208
        .size:           2
        .value_kind:     hidden_grid_dims
    .group_segment_fixed_size: 16384
    .kernarg_segment_align: 8
    .kernarg_segment_size: 400
    .language:       OpenCL C
    .language_version:
      - 2
      - 0
    .max_flat_workgroup_size: 512
    .name:           _ZL20rocblas_gemvn_kernelILi32ELi16ElPKdS1_KPdEviiT3_lPKT2_lT1_lS7_lS8_lS4_lPT4_lS8_li
    .private_segment_fixed_size: 0
    .sgpr_count:     52
    .sgpr_spill_count: 0
    .symbol:         _ZL20rocblas_gemvn_kernelILi32ELi16ElPKdS1_KPdEviiT3_lPKT2_lT1_lS7_lS8_lS4_lPT4_lS8_li.kd
    .uniform_work_group_size: 1
    .uses_dynamic_stack: false
    .vgpr_count:     104
    .vgpr_spill_count: 0
    .wavefront_size: 32
  - .args:
      - .offset:         0
        .size:           4
        .value_kind:     by_value
      - .offset:         4
        .size:           4
        .value_kind:     by_value
      - .offset:         8
        .size:           8
        .value_kind:     by_value
      - .offset:         16
        .size:           8
        .value_kind:     by_value
      - .address_space:  global
        .offset:         24
        .size:           8
        .value_kind:     global_buffer
      - .offset:         32
        .size:           8
        .value_kind:     by_value
      - .offset:         40
        .size:           4
        .value_kind:     by_value
      - .offset:         48
        .size:           8
        .value_kind:     by_value
      - .address_space:  global
        .offset:         56
        .size:           8
        .value_kind:     global_buffer
      - .offset:         64
        .size:           8
        .value_kind:     by_value
      - .offset:         72
        .size:           4
        .value_kind:     by_value
      - .offset:         80
        .size:           8
        .value_kind:     by_value
      - .offset:         88
        .size:           8
        .value_kind:     by_value
      - .offset:         96
        .size:           8
        .value_kind:     by_value
      - .address_space:  global
        .offset:         104
        .size:           8
        .value_kind:     global_buffer
      - .offset:         112
        .size:           8
        .value_kind:     by_value
      - .offset:         120
        .size:           4
        .value_kind:     by_value
      - .offset:         128
        .size:           8
        .value_kind:     by_value
      - .offset:         136
        .size:           4
        .value_kind:     by_value
      - .offset:         144
        .size:           4
        .value_kind:     hidden_block_count_x
      - .offset:         148
        .size:           4
        .value_kind:     hidden_block_count_y
      - .offset:         152
        .size:           4
        .value_kind:     hidden_block_count_z
      - .offset:         156
        .size:           2
        .value_kind:     hidden_group_size_x
      - .offset:         158
        .size:           2
        .value_kind:     hidden_group_size_y
      - .offset:         160
        .size:           2
        .value_kind:     hidden_group_size_z
      - .offset:         162
        .size:           2
        .value_kind:     hidden_remainder_x
      - .offset:         164
        .size:           2
        .value_kind:     hidden_remainder_y
      - .offset:         166
        .size:           2
        .value_kind:     hidden_remainder_z
      - .offset:         184
        .size:           8
        .value_kind:     hidden_global_offset_x
      - .offset:         192
        .size:           8
        .value_kind:     hidden_global_offset_y
      - .offset:         200
        .size:           8
        .value_kind:     hidden_global_offset_z
      - .offset:         208
        .size:           2
        .value_kind:     hidden_grid_dims
    .group_segment_fixed_size: 16384
    .kernarg_segment_align: 8
    .kernarg_segment_size: 400
    .language:       OpenCL C
    .language_version:
      - 2
      - 0
    .max_flat_workgroup_size: 512
    .name:           _ZL20rocblas_gemvn_kernelILi32ELi16EiPKddKPdEviiT3_lPKT2_lT1_lS7_lS8_lS4_lPT4_lS8_li
    .private_segment_fixed_size: 0
    .sgpr_count:     50
    .sgpr_spill_count: 0
    .symbol:         _ZL20rocblas_gemvn_kernelILi32ELi16EiPKddKPdEviiT3_lPKT2_lT1_lS7_lS8_lS4_lPT4_lS8_li.kd
    .uniform_work_group_size: 1
    .uses_dynamic_stack: false
    .vgpr_count:     86
    .vgpr_spill_count: 0
    .wavefront_size: 32
  - .args:
      - .offset:         0
        .size:           4
        .value_kind:     by_value
      - .offset:         4
        .size:           4
        .value_kind:     by_value
      - .offset:         8
        .size:           8
        .value_kind:     by_value
      - .offset:         16
        .size:           8
        .value_kind:     by_value
      - .address_space:  global
        .offset:         24
        .size:           8
        .value_kind:     global_buffer
      - .offset:         32
        .size:           8
        .value_kind:     by_value
      - .offset:         40
        .size:           8
        .value_kind:     by_value
      - .offset:         48
        .size:           8
        .value_kind:     by_value
      - .address_space:  global
        .offset:         56
        .size:           8
        .value_kind:     global_buffer
      - .offset:         64
        .size:           8
        .value_kind:     by_value
      - .offset:         72
        .size:           8
        .value_kind:     by_value
      - .offset:         80
        .size:           8
        .value_kind:     by_value
      - .offset:         88
        .size:           8
        .value_kind:     by_value
      - .offset:         96
        .size:           8
        .value_kind:     by_value
      - .address_space:  global
        .offset:         104
        .size:           8
        .value_kind:     global_buffer
      - .offset:         112
        .size:           8
        .value_kind:     by_value
      - .offset:         120
        .size:           8
        .value_kind:     by_value
      - .offset:         128
        .size:           8
        .value_kind:     by_value
      - .offset:         136
        .size:           4
        .value_kind:     by_value
      - .offset:         144
        .size:           4
        .value_kind:     hidden_block_count_x
      - .offset:         148
        .size:           4
        .value_kind:     hidden_block_count_y
      - .offset:         152
        .size:           4
        .value_kind:     hidden_block_count_z
      - .offset:         156
        .size:           2
        .value_kind:     hidden_group_size_x
      - .offset:         158
        .size:           2
        .value_kind:     hidden_group_size_y
      - .offset:         160
        .size:           2
        .value_kind:     hidden_group_size_z
      - .offset:         162
        .size:           2
        .value_kind:     hidden_remainder_x
      - .offset:         164
        .size:           2
        .value_kind:     hidden_remainder_y
      - .offset:         166
        .size:           2
        .value_kind:     hidden_remainder_z
      - .offset:         184
        .size:           8
        .value_kind:     hidden_global_offset_x
      - .offset:         192
        .size:           8
        .value_kind:     hidden_global_offset_y
      - .offset:         200
        .size:           8
        .value_kind:     hidden_global_offset_z
      - .offset:         208
        .size:           2
        .value_kind:     hidden_grid_dims
    .group_segment_fixed_size: 16384
    .kernarg_segment_align: 8
    .kernarg_segment_size: 400
    .language:       OpenCL C
    .language_version:
      - 2
      - 0
    .max_flat_workgroup_size: 512
    .name:           _ZL20rocblas_gemvn_kernelILi32ELi16ElPKddKPdEviiT3_lPKT2_lT1_lS7_lS8_lS4_lPT4_lS8_li
    .private_segment_fixed_size: 0
    .sgpr_count:     51
    .sgpr_spill_count: 0
    .symbol:         _ZL20rocblas_gemvn_kernelILi32ELi16ElPKddKPdEviiT3_lPKT2_lT1_lS7_lS8_lS4_lPT4_lS8_li.kd
    .uniform_work_group_size: 1
    .uses_dynamic_stack: false
    .vgpr_count:     100
    .vgpr_spill_count: 0
    .wavefront_size: 32
  - .args:
      - .offset:         0
        .size:           4
        .value_kind:     by_value
      - .offset:         4
        .size:           4
        .value_kind:     by_value
      - .address_space:  global
        .offset:         8
        .size:           8
        .value_kind:     global_buffer
      - .offset:         16
        .size:           8
        .value_kind:     by_value
      - .address_space:  global
        .offset:         24
        .size:           8
        .value_kind:     global_buffer
      - .offset:         32
        .size:           8
        .value_kind:     by_value
      - .offset:         40
        .size:           4
        .value_kind:     by_value
      - .offset:         48
        .size:           8
        .value_kind:     by_value
      - .address_space:  global
        .offset:         56
        .size:           8
        .value_kind:     global_buffer
      - .offset:         64
        .size:           8
        .value_kind:     by_value
      - .offset:         72
        .size:           4
        .value_kind:     by_value
      - .offset:         80
        .size:           8
        .value_kind:     by_value
      - .address_space:  global
        .offset:         88
        .size:           8
        .value_kind:     global_buffer
      - .offset:         96
        .size:           8
        .value_kind:     by_value
      - .address_space:  global
        .offset:         104
        .size:           8
        .value_kind:     global_buffer
      - .offset:         112
        .size:           8
        .value_kind:     by_value
      - .offset:         120
        .size:           4
        .value_kind:     by_value
      - .offset:         128
        .size:           8
        .value_kind:     by_value
      - .offset:         136
        .size:           4
        .value_kind:     by_value
      - .offset:         144
        .size:           4
        .value_kind:     hidden_block_count_x
      - .offset:         148
        .size:           4
        .value_kind:     hidden_block_count_y
      - .offset:         152
        .size:           4
        .value_kind:     hidden_block_count_z
      - .offset:         156
        .size:           2
        .value_kind:     hidden_group_size_x
      - .offset:         158
        .size:           2
        .value_kind:     hidden_group_size_y
      - .offset:         160
        .size:           2
        .value_kind:     hidden_group_size_z
      - .offset:         162
        .size:           2
        .value_kind:     hidden_remainder_x
      - .offset:         164
        .size:           2
        .value_kind:     hidden_remainder_y
      - .offset:         166
        .size:           2
        .value_kind:     hidden_remainder_z
      - .offset:         184
        .size:           8
        .value_kind:     hidden_global_offset_x
      - .offset:         192
        .size:           8
        .value_kind:     hidden_global_offset_y
      - .offset:         200
        .size:           8
        .value_kind:     hidden_global_offset_z
      - .offset:         208
        .size:           2
        .value_kind:     hidden_grid_dims
    .group_segment_fixed_size: 32768
    .kernarg_segment_align: 8
    .kernarg_segment_size: 400
    .language:       OpenCL C
    .language_version:
      - 2
      - 0
    .max_flat_workgroup_size: 1024
    .name:           _ZL20rocblas_gemvn_kernelILi64ELi16EiPKdS1_KPdEviiT3_lPKT2_lT1_lS7_lS8_lS4_lPT4_lS8_li
    .private_segment_fixed_size: 0
    .sgpr_count:     52
    .sgpr_spill_count: 0
    .symbol:         _ZL20rocblas_gemvn_kernelILi64ELi16EiPKdS1_KPdEviiT3_lPKT2_lT1_lS7_lS8_lS4_lPT4_lS8_li.kd
    .uniform_work_group_size: 1
    .uses_dynamic_stack: false
    .vgpr_count:     80
    .vgpr_spill_count: 0
    .wavefront_size: 32
  - .args:
      - .offset:         0
        .size:           4
        .value_kind:     by_value
      - .offset:         4
        .size:           4
        .value_kind:     by_value
      - .address_space:  global
        .offset:         8
        .size:           8
        .value_kind:     global_buffer
      - .offset:         16
        .size:           8
        .value_kind:     by_value
      - .address_space:  global
        .offset:         24
        .size:           8
        .value_kind:     global_buffer
      - .offset:         32
        .size:           8
        .value_kind:     by_value
      - .offset:         40
        .size:           8
        .value_kind:     by_value
      - .offset:         48
        .size:           8
        .value_kind:     by_value
      - .address_space:  global
        .offset:         56
        .size:           8
        .value_kind:     global_buffer
      - .offset:         64
        .size:           8
        .value_kind:     by_value
      - .offset:         72
        .size:           8
        .value_kind:     by_value
      - .offset:         80
        .size:           8
        .value_kind:     by_value
      - .address_space:  global
        .offset:         88
        .size:           8
        .value_kind:     global_buffer
      - .offset:         96
        .size:           8
        .value_kind:     by_value
      - .address_space:  global
        .offset:         104
        .size:           8
        .value_kind:     global_buffer
      - .offset:         112
        .size:           8
        .value_kind:     by_value
      - .offset:         120
        .size:           8
        .value_kind:     by_value
      - .offset:         128
        .size:           8
        .value_kind:     by_value
      - .offset:         136
        .size:           4
        .value_kind:     by_value
      - .offset:         144
        .size:           4
        .value_kind:     hidden_block_count_x
      - .offset:         148
        .size:           4
        .value_kind:     hidden_block_count_y
      - .offset:         152
        .size:           4
        .value_kind:     hidden_block_count_z
      - .offset:         156
        .size:           2
        .value_kind:     hidden_group_size_x
      - .offset:         158
        .size:           2
        .value_kind:     hidden_group_size_y
      - .offset:         160
        .size:           2
        .value_kind:     hidden_group_size_z
      - .offset:         162
        .size:           2
        .value_kind:     hidden_remainder_x
      - .offset:         164
        .size:           2
        .value_kind:     hidden_remainder_y
      - .offset:         166
        .size:           2
        .value_kind:     hidden_remainder_z
      - .offset:         184
        .size:           8
        .value_kind:     hidden_global_offset_x
      - .offset:         192
        .size:           8
        .value_kind:     hidden_global_offset_y
      - .offset:         200
        .size:           8
        .value_kind:     hidden_global_offset_z
      - .offset:         208
        .size:           2
        .value_kind:     hidden_grid_dims
    .group_segment_fixed_size: 32768
    .kernarg_segment_align: 8
    .kernarg_segment_size: 400
    .language:       OpenCL C
    .language_version:
      - 2
      - 0
    .max_flat_workgroup_size: 1024
    .name:           _ZL20rocblas_gemvn_kernelILi64ELi16ElPKdS1_KPdEviiT3_lPKT2_lT1_lS7_lS8_lS4_lPT4_lS8_li
    .private_segment_fixed_size: 0
    .sgpr_count:     52
    .sgpr_spill_count: 0
    .symbol:         _ZL20rocblas_gemvn_kernelILi64ELi16ElPKdS1_KPdEviiT3_lPKT2_lT1_lS7_lS8_lS4_lPT4_lS8_li.kd
    .uniform_work_group_size: 1
    .uses_dynamic_stack: false
    .vgpr_count:     95
    .vgpr_spill_count: 0
    .wavefront_size: 32
  - .args:
      - .offset:         0
        .size:           4
        .value_kind:     by_value
      - .offset:         4
        .size:           4
        .value_kind:     by_value
      - .offset:         8
        .size:           8
        .value_kind:     by_value
      - .offset:         16
        .size:           8
        .value_kind:     by_value
      - .address_space:  global
        .offset:         24
        .size:           8
        .value_kind:     global_buffer
      - .offset:         32
        .size:           8
        .value_kind:     by_value
      - .offset:         40
        .size:           4
        .value_kind:     by_value
      - .offset:         48
        .size:           8
        .value_kind:     by_value
      - .address_space:  global
        .offset:         56
        .size:           8
        .value_kind:     global_buffer
      - .offset:         64
        .size:           8
        .value_kind:     by_value
      - .offset:         72
        .size:           4
        .value_kind:     by_value
      - .offset:         80
        .size:           8
        .value_kind:     by_value
      - .offset:         88
        .size:           8
        .value_kind:     by_value
      - .offset:         96
        .size:           8
        .value_kind:     by_value
      - .address_space:  global
        .offset:         104
        .size:           8
        .value_kind:     global_buffer
      - .offset:         112
        .size:           8
        .value_kind:     by_value
      - .offset:         120
        .size:           4
        .value_kind:     by_value
      - .offset:         128
        .size:           8
        .value_kind:     by_value
      - .offset:         136
        .size:           4
        .value_kind:     by_value
      - .offset:         144
        .size:           4
        .value_kind:     hidden_block_count_x
      - .offset:         148
        .size:           4
        .value_kind:     hidden_block_count_y
      - .offset:         152
        .size:           4
        .value_kind:     hidden_block_count_z
      - .offset:         156
        .size:           2
        .value_kind:     hidden_group_size_x
      - .offset:         158
        .size:           2
        .value_kind:     hidden_group_size_y
      - .offset:         160
        .size:           2
        .value_kind:     hidden_group_size_z
      - .offset:         162
        .size:           2
        .value_kind:     hidden_remainder_x
      - .offset:         164
        .size:           2
        .value_kind:     hidden_remainder_y
      - .offset:         166
        .size:           2
        .value_kind:     hidden_remainder_z
      - .offset:         184
        .size:           8
        .value_kind:     hidden_global_offset_x
      - .offset:         192
        .size:           8
        .value_kind:     hidden_global_offset_y
      - .offset:         200
        .size:           8
        .value_kind:     hidden_global_offset_z
      - .offset:         208
        .size:           2
        .value_kind:     hidden_grid_dims
    .group_segment_fixed_size: 32768
    .kernarg_segment_align: 8
    .kernarg_segment_size: 400
    .language:       OpenCL C
    .language_version:
      - 2
      - 0
    .max_flat_workgroup_size: 1024
    .name:           _ZL20rocblas_gemvn_kernelILi64ELi16EiPKddKPdEviiT3_lPKT2_lT1_lS7_lS8_lS4_lPT4_lS8_li
    .private_segment_fixed_size: 0
    .sgpr_count:     50
    .sgpr_spill_count: 0
    .symbol:         _ZL20rocblas_gemvn_kernelILi64ELi16EiPKddKPdEviiT3_lPKT2_lT1_lS7_lS8_lS4_lPT4_lS8_li.kd
    .uniform_work_group_size: 1
    .uses_dynamic_stack: false
    .vgpr_count:     77
    .vgpr_spill_count: 0
    .wavefront_size: 32
  - .args:
      - .offset:         0
        .size:           4
        .value_kind:     by_value
      - .offset:         4
        .size:           4
        .value_kind:     by_value
      - .offset:         8
        .size:           8
        .value_kind:     by_value
      - .offset:         16
        .size:           8
        .value_kind:     by_value
      - .address_space:  global
        .offset:         24
        .size:           8
        .value_kind:     global_buffer
      - .offset:         32
        .size:           8
        .value_kind:     by_value
      - .offset:         40
        .size:           8
        .value_kind:     by_value
      - .offset:         48
        .size:           8
        .value_kind:     by_value
      - .address_space:  global
        .offset:         56
        .size:           8
        .value_kind:     global_buffer
      - .offset:         64
        .size:           8
        .value_kind:     by_value
      - .offset:         72
        .size:           8
        .value_kind:     by_value
      - .offset:         80
        .size:           8
        .value_kind:     by_value
      - .offset:         88
        .size:           8
        .value_kind:     by_value
      - .offset:         96
        .size:           8
        .value_kind:     by_value
      - .address_space:  global
        .offset:         104
        .size:           8
        .value_kind:     global_buffer
      - .offset:         112
        .size:           8
        .value_kind:     by_value
      - .offset:         120
        .size:           8
        .value_kind:     by_value
      - .offset:         128
        .size:           8
        .value_kind:     by_value
      - .offset:         136
        .size:           4
        .value_kind:     by_value
      - .offset:         144
        .size:           4
        .value_kind:     hidden_block_count_x
      - .offset:         148
        .size:           4
        .value_kind:     hidden_block_count_y
      - .offset:         152
        .size:           4
        .value_kind:     hidden_block_count_z
      - .offset:         156
        .size:           2
        .value_kind:     hidden_group_size_x
      - .offset:         158
        .size:           2
        .value_kind:     hidden_group_size_y
      - .offset:         160
        .size:           2
        .value_kind:     hidden_group_size_z
      - .offset:         162
        .size:           2
        .value_kind:     hidden_remainder_x
      - .offset:         164
        .size:           2
        .value_kind:     hidden_remainder_y
      - .offset:         166
        .size:           2
        .value_kind:     hidden_remainder_z
      - .offset:         184
        .size:           8
        .value_kind:     hidden_global_offset_x
      - .offset:         192
        .size:           8
        .value_kind:     hidden_global_offset_y
      - .offset:         200
        .size:           8
        .value_kind:     hidden_global_offset_z
      - .offset:         208
        .size:           2
        .value_kind:     hidden_grid_dims
    .group_segment_fixed_size: 32768
    .kernarg_segment_align: 8
    .kernarg_segment_size: 400
    .language:       OpenCL C
    .language_version:
      - 2
      - 0
    .max_flat_workgroup_size: 1024
    .name:           _ZL20rocblas_gemvn_kernelILi64ELi16ElPKddKPdEviiT3_lPKT2_lT1_lS7_lS8_lS4_lPT4_lS8_li
    .private_segment_fixed_size: 0
    .sgpr_count:     51
    .sgpr_spill_count: 0
    .symbol:         _ZL20rocblas_gemvn_kernelILi64ELi16ElPKddKPdEviiT3_lPKT2_lT1_lS7_lS8_lS4_lPT4_lS8_li.kd
    .uniform_work_group_size: 1
    .uses_dynamic_stack: false
    .vgpr_count:     92
    .vgpr_spill_count: 0
    .wavefront_size: 32
  - .args:
      - .offset:         0
        .size:           4
        .value_kind:     by_value
      - .offset:         4
        .size:           4
        .value_kind:     by_value
      - .address_space:  global
        .offset:         8
        .size:           8
        .value_kind:     global_buffer
      - .offset:         16
        .size:           8
        .value_kind:     by_value
      - .address_space:  global
        .offset:         24
        .size:           8
        .value_kind:     global_buffer
      - .offset:         32
        .size:           8
        .value_kind:     by_value
      - .offset:         40
        .size:           4
        .value_kind:     by_value
      - .offset:         48
        .size:           8
        .value_kind:     by_value
      - .address_space:  global
        .offset:         56
        .size:           8
        .value_kind:     global_buffer
      - .offset:         64
        .size:           8
        .value_kind:     by_value
      - .offset:         72
        .size:           4
        .value_kind:     by_value
      - .offset:         80
        .size:           8
        .value_kind:     by_value
      - .address_space:  global
        .offset:         88
        .size:           8
        .value_kind:     global_buffer
      - .offset:         96
        .size:           8
        .value_kind:     by_value
      - .address_space:  global
        .offset:         104
        .size:           8
        .value_kind:     global_buffer
      - .offset:         112
        .size:           8
        .value_kind:     by_value
      - .offset:         120
        .size:           4
        .value_kind:     by_value
      - .offset:         128
        .size:           8
        .value_kind:     by_value
    .group_segment_fixed_size: 512
    .kernarg_segment_align: 8
    .kernarg_segment_size: 136
    .language:       OpenCL C
    .language_version:
      - 2
      - 0
    .max_flat_workgroup_size: 256
    .name:           _ZL22rocblas_gemvtsm_kernelILb0ELi256EPKdS1_KPdEviiT2_lPKT1_lilS7_lilS4_lPT3_lil
    .private_segment_fixed_size: 0
    .sgpr_count:     24
    .sgpr_spill_count: 0
    .symbol:         _ZL22rocblas_gemvtsm_kernelILb0ELi256EPKdS1_KPdEviiT2_lPKT1_lilS7_lilS4_lPT3_lil.kd
    .uniform_work_group_size: 1
    .uses_dynamic_stack: false
    .vgpr_count:     38
    .vgpr_spill_count: 0
    .wavefront_size: 32
  - .args:
      - .offset:         0
        .size:           4
        .value_kind:     by_value
      - .offset:         4
        .size:           4
        .value_kind:     by_value
      - .offset:         8
        .size:           8
        .value_kind:     by_value
      - .offset:         16
        .size:           8
        .value_kind:     by_value
      - .address_space:  global
        .offset:         24
        .size:           8
        .value_kind:     global_buffer
      - .offset:         32
        .size:           8
        .value_kind:     by_value
      - .offset:         40
        .size:           4
        .value_kind:     by_value
      - .offset:         48
        .size:           8
        .value_kind:     by_value
      - .address_space:  global
        .offset:         56
        .size:           8
        .value_kind:     global_buffer
      - .offset:         64
        .size:           8
        .value_kind:     by_value
      - .offset:         72
        .size:           4
        .value_kind:     by_value
      - .offset:         80
        .size:           8
        .value_kind:     by_value
      - .offset:         88
        .size:           8
        .value_kind:     by_value
      - .offset:         96
        .size:           8
        .value_kind:     by_value
      - .address_space:  global
        .offset:         104
        .size:           8
        .value_kind:     global_buffer
      - .offset:         112
        .size:           8
        .value_kind:     by_value
      - .offset:         120
        .size:           4
        .value_kind:     by_value
      - .offset:         128
        .size:           8
        .value_kind:     by_value
    .group_segment_fixed_size: 512
    .kernarg_segment_align: 8
    .kernarg_segment_size: 136
    .language:       OpenCL C
    .language_version:
      - 2
      - 0
    .max_flat_workgroup_size: 256
    .name:           _ZL22rocblas_gemvtsm_kernelILb0ELi256EPKddKPdEviiT2_lPKT1_lilS7_lilS4_lPT3_lil
    .private_segment_fixed_size: 0
    .sgpr_count:     30
    .sgpr_spill_count: 0
    .symbol:         _ZL22rocblas_gemvtsm_kernelILb0ELi256EPKddKPdEviiT2_lPKT1_lilS7_lilS4_lPT3_lil.kd
    .uniform_work_group_size: 1
    .uses_dynamic_stack: false
    .vgpr_count:     38
    .vgpr_spill_count: 0
    .wavefront_size: 32
  - .args:
      - .offset:         0
        .size:           4
        .value_kind:     by_value
      - .offset:         4
        .size:           4
        .value_kind:     by_value
      - .address_space:  global
        .offset:         8
        .size:           8
        .value_kind:     global_buffer
      - .offset:         16
        .size:           8
        .value_kind:     by_value
      - .address_space:  global
        .offset:         24
        .size:           8
        .value_kind:     global_buffer
      - .offset:         32
        .size:           8
        .value_kind:     by_value
      - .offset:         40
        .size:           4
        .value_kind:     by_value
      - .offset:         48
        .size:           8
        .value_kind:     by_value
      - .address_space:  global
        .offset:         56
        .size:           8
        .value_kind:     global_buffer
      - .offset:         64
        .size:           8
        .value_kind:     by_value
      - .offset:         72
        .size:           4
        .value_kind:     by_value
      - .offset:         80
        .size:           8
        .value_kind:     by_value
      - .address_space:  global
        .offset:         88
        .size:           8
        .value_kind:     global_buffer
      - .offset:         96
        .size:           4
        .value_kind:     by_value
      - .offset:         104
        .size:           4
        .value_kind:     hidden_block_count_x
      - .offset:         108
        .size:           4
        .value_kind:     hidden_block_count_y
      - .offset:         112
        .size:           4
        .value_kind:     hidden_block_count_z
      - .offset:         116
        .size:           2
        .value_kind:     hidden_group_size_x
      - .offset:         118
        .size:           2
        .value_kind:     hidden_group_size_y
      - .offset:         120
        .size:           2
        .value_kind:     hidden_group_size_z
      - .offset:         122
        .size:           2
        .value_kind:     hidden_remainder_x
      - .offset:         124
        .size:           2
        .value_kind:     hidden_remainder_y
      - .offset:         126
        .size:           2
        .value_kind:     hidden_remainder_z
      - .offset:         144
        .size:           8
        .value_kind:     hidden_global_offset_x
      - .offset:         152
        .size:           8
        .value_kind:     hidden_global_offset_y
      - .offset:         160
        .size:           8
        .value_kind:     hidden_global_offset_z
      - .offset:         168
        .size:           2
        .value_kind:     hidden_grid_dims
    .group_segment_fixed_size: 256
    .kernarg_segment_align: 8
    .kernarg_segment_size: 360
    .language:       OpenCL C
    .language_version:
      - 2
      - 0
    .max_flat_workgroup_size: 256
    .name:           _ZL23rocblas_gemvt_sn_kernelILb0ELi256ELi4EiPKdS1_dEviiT4_lPKT3_lilS5_lilPT5_i
    .private_segment_fixed_size: 0
    .sgpr_count:     78
    .sgpr_spill_count: 0
    .symbol:         _ZL23rocblas_gemvt_sn_kernelILb0ELi256ELi4EiPKdS1_dEviiT4_lPKT3_lilS5_lilPT5_i.kd
    .uniform_work_group_size: 1
    .uses_dynamic_stack: false
    .vgpr_count:     88
    .vgpr_spill_count: 0
    .wavefront_size: 32
  - .args:
      - .offset:         0
        .size:           4
        .value_kind:     by_value
      - .offset:         4
        .size:           4
        .value_kind:     by_value
      - .address_space:  global
        .offset:         8
        .size:           8
        .value_kind:     global_buffer
      - .offset:         16
        .size:           8
        .value_kind:     by_value
      - .address_space:  global
        .offset:         24
        .size:           8
        .value_kind:     global_buffer
      - .offset:         32
        .size:           8
        .value_kind:     by_value
      - .offset:         40
        .size:           4
        .value_kind:     by_value
      - .offset:         48
        .size:           8
        .value_kind:     by_value
      - .address_space:  global
        .offset:         56
        .size:           8
        .value_kind:     global_buffer
      - .offset:         64
        .size:           8
        .value_kind:     by_value
      - .offset:         72
        .size:           4
        .value_kind:     by_value
      - .offset:         80
        .size:           8
        .value_kind:     by_value
      - .address_space:  global
        .offset:         88
        .size:           8
        .value_kind:     global_buffer
      - .offset:         96
        .size:           4
        .value_kind:     by_value
      - .offset:         104
        .size:           4
        .value_kind:     hidden_block_count_x
      - .offset:         108
        .size:           4
        .value_kind:     hidden_block_count_y
      - .offset:         112
        .size:           4
        .value_kind:     hidden_block_count_z
      - .offset:         116
        .size:           2
        .value_kind:     hidden_group_size_x
      - .offset:         118
        .size:           2
        .value_kind:     hidden_group_size_y
      - .offset:         120
        .size:           2
        .value_kind:     hidden_group_size_z
      - .offset:         122
        .size:           2
        .value_kind:     hidden_remainder_x
      - .offset:         124
        .size:           2
        .value_kind:     hidden_remainder_y
      - .offset:         126
        .size:           2
        .value_kind:     hidden_remainder_z
      - .offset:         144
        .size:           8
        .value_kind:     hidden_global_offset_x
      - .offset:         152
        .size:           8
        .value_kind:     hidden_global_offset_y
      - .offset:         160
        .size:           8
        .value_kind:     hidden_global_offset_z
      - .offset:         168
        .size:           2
        .value_kind:     hidden_grid_dims
    .group_segment_fixed_size: 256
    .kernarg_segment_align: 8
    .kernarg_segment_size: 360
    .language:       OpenCL C
    .language_version:
      - 2
      - 0
    .max_flat_workgroup_size: 256
    .name:           _ZL23rocblas_gemvt_sn_kernelILb0ELi256ELi4ElPKdS1_dEviiT4_lPKT3_lilS5_lilPT5_i
    .private_segment_fixed_size: 0
    .sgpr_count:     72
    .sgpr_spill_count: 0
    .symbol:         _ZL23rocblas_gemvt_sn_kernelILb0ELi256ELi4ElPKdS1_dEviiT4_lPKT3_lilS5_lilPT5_i.kd
    .uniform_work_group_size: 1
    .uses_dynamic_stack: false
    .vgpr_count:     96
    .vgpr_spill_count: 0
    .wavefront_size: 32
  - .args:
      - .offset:         0
        .size:           4
        .value_kind:     by_value
      - .address_space:  global
        .offset:         8
        .size:           8
        .value_kind:     global_buffer
      - .offset:         16
        .size:           8
        .value_kind:     by_value
      - .address_space:  global
        .offset:         24
        .size:           8
        .value_kind:     global_buffer
      - .offset:         32
        .size:           8
        .value_kind:     by_value
      - .offset:         40
        .size:           4
        .value_kind:     by_value
      - .offset:         48
        .size:           8
        .value_kind:     by_value
      - .actual_access:  read_only
        .address_space:  global
        .offset:         56
        .size:           8
        .value_kind:     global_buffer
      - .offset:         64
        .size:           4
        .value_kind:     by_value
      - .offset:         72
        .size:           4
        .value_kind:     hidden_block_count_x
      - .offset:         76
        .size:           4
        .value_kind:     hidden_block_count_y
      - .offset:         80
        .size:           4
        .value_kind:     hidden_block_count_z
      - .offset:         84
        .size:           2
        .value_kind:     hidden_group_size_x
      - .offset:         86
        .size:           2
        .value_kind:     hidden_group_size_y
      - .offset:         88
        .size:           2
        .value_kind:     hidden_group_size_z
      - .offset:         90
        .size:           2
        .value_kind:     hidden_remainder_x
      - .offset:         92
        .size:           2
        .value_kind:     hidden_remainder_y
      - .offset:         94
        .size:           2
        .value_kind:     hidden_remainder_z
      - .offset:         112
        .size:           8
        .value_kind:     hidden_global_offset_x
      - .offset:         120
        .size:           8
        .value_kind:     hidden_global_offset_y
      - .offset:         128
        .size:           8
        .value_kind:     hidden_global_offset_z
      - .offset:         136
        .size:           2
        .value_kind:     hidden_grid_dims
    .group_segment_fixed_size: 256
    .kernarg_segment_align: 8
    .kernarg_segment_size: 328
    .language:       OpenCL C
    .language_version:
      - 2
      - 0
    .max_flat_workgroup_size: 256
    .name:           _ZL23rocblas_gemvt_sn_reduceILi256ELi8EdPKdKPdEviT2_lPT3_lilPT1_i
    .private_segment_fixed_size: 0
    .sgpr_count:     40
    .sgpr_spill_count: 0
    .symbol:         _ZL23rocblas_gemvt_sn_reduceILi256ELi8EdPKdKPdEviT2_lPT3_lilPT1_i.kd
    .uniform_work_group_size: 1
    .uses_dynamic_stack: false
    .vgpr_count:     40
    .vgpr_spill_count: 0
    .wavefront_size: 32
  - .args:
      - .offset:         0
        .size:           4
        .value_kind:     by_value
      - .offset:         4
        .size:           4
        .value_kind:     by_value
      - .offset:         8
        .size:           8
        .value_kind:     by_value
      - .offset:         16
        .size:           8
        .value_kind:     by_value
      - .address_space:  global
        .offset:         24
        .size:           8
        .value_kind:     global_buffer
      - .offset:         32
        .size:           8
        .value_kind:     by_value
      - .offset:         40
        .size:           4
        .value_kind:     by_value
      - .offset:         48
        .size:           8
        .value_kind:     by_value
      - .address_space:  global
        .offset:         56
        .size:           8
        .value_kind:     global_buffer
      - .offset:         64
        .size:           8
        .value_kind:     by_value
      - .offset:         72
        .size:           4
        .value_kind:     by_value
      - .offset:         80
        .size:           8
        .value_kind:     by_value
      - .address_space:  global
        .offset:         88
        .size:           8
        .value_kind:     global_buffer
      - .offset:         96
        .size:           4
        .value_kind:     by_value
      - .offset:         104
        .size:           4
        .value_kind:     hidden_block_count_x
      - .offset:         108
        .size:           4
        .value_kind:     hidden_block_count_y
      - .offset:         112
        .size:           4
        .value_kind:     hidden_block_count_z
      - .offset:         116
        .size:           2
        .value_kind:     hidden_group_size_x
      - .offset:         118
        .size:           2
        .value_kind:     hidden_group_size_y
      - .offset:         120
        .size:           2
        .value_kind:     hidden_group_size_z
      - .offset:         122
        .size:           2
        .value_kind:     hidden_remainder_x
      - .offset:         124
        .size:           2
        .value_kind:     hidden_remainder_y
      - .offset:         126
        .size:           2
        .value_kind:     hidden_remainder_z
      - .offset:         144
        .size:           8
        .value_kind:     hidden_global_offset_x
      - .offset:         152
        .size:           8
        .value_kind:     hidden_global_offset_y
      - .offset:         160
        .size:           8
        .value_kind:     hidden_global_offset_z
      - .offset:         168
        .size:           2
        .value_kind:     hidden_grid_dims
    .group_segment_fixed_size: 256
    .kernarg_segment_align: 8
    .kernarg_segment_size: 360
    .language:       OpenCL C
    .language_version:
      - 2
      - 0
    .max_flat_workgroup_size: 256
    .name:           _ZL23rocblas_gemvt_sn_kernelILb0ELi256ELi4EiPKdddEviiT4_lPKT3_lilS5_lilPT5_i
    .private_segment_fixed_size: 0
    .sgpr_count:     74
    .sgpr_spill_count: 0
    .symbol:         _ZL23rocblas_gemvt_sn_kernelILb0ELi256ELi4EiPKdddEviiT4_lPKT3_lilS5_lilPT5_i.kd
    .uniform_work_group_size: 1
    .uses_dynamic_stack: false
    .vgpr_count:     86
    .vgpr_spill_count: 0
    .wavefront_size: 32
  - .args:
      - .offset:         0
        .size:           4
        .value_kind:     by_value
      - .offset:         4
        .size:           4
        .value_kind:     by_value
      - .offset:         8
        .size:           8
        .value_kind:     by_value
      - .offset:         16
        .size:           8
        .value_kind:     by_value
      - .address_space:  global
        .offset:         24
        .size:           8
        .value_kind:     global_buffer
      - .offset:         32
        .size:           8
        .value_kind:     by_value
      - .offset:         40
        .size:           4
        .value_kind:     by_value
      - .offset:         48
        .size:           8
        .value_kind:     by_value
      - .address_space:  global
        .offset:         56
        .size:           8
        .value_kind:     global_buffer
      - .offset:         64
        .size:           8
        .value_kind:     by_value
      - .offset:         72
        .size:           4
        .value_kind:     by_value
      - .offset:         80
        .size:           8
        .value_kind:     by_value
      - .address_space:  global
        .offset:         88
        .size:           8
        .value_kind:     global_buffer
      - .offset:         96
        .size:           4
        .value_kind:     by_value
      - .offset:         104
        .size:           4
        .value_kind:     hidden_block_count_x
      - .offset:         108
        .size:           4
        .value_kind:     hidden_block_count_y
      - .offset:         112
        .size:           4
        .value_kind:     hidden_block_count_z
      - .offset:         116
        .size:           2
        .value_kind:     hidden_group_size_x
      - .offset:         118
        .size:           2
        .value_kind:     hidden_group_size_y
      - .offset:         120
        .size:           2
        .value_kind:     hidden_group_size_z
      - .offset:         122
        .size:           2
        .value_kind:     hidden_remainder_x
      - .offset:         124
        .size:           2
        .value_kind:     hidden_remainder_y
      - .offset:         126
        .size:           2
        .value_kind:     hidden_remainder_z
      - .offset:         144
        .size:           8
        .value_kind:     hidden_global_offset_x
      - .offset:         152
        .size:           8
        .value_kind:     hidden_global_offset_y
      - .offset:         160
        .size:           8
        .value_kind:     hidden_global_offset_z
      - .offset:         168
        .size:           2
        .value_kind:     hidden_grid_dims
    .group_segment_fixed_size: 256
    .kernarg_segment_align: 8
    .kernarg_segment_size: 360
    .language:       OpenCL C
    .language_version:
      - 2
      - 0
    .max_flat_workgroup_size: 256
    .name:           _ZL23rocblas_gemvt_sn_kernelILb0ELi256ELi4ElPKdddEviiT4_lPKT3_lilS5_lilPT5_i
    .private_segment_fixed_size: 0
    .sgpr_count:     68
    .sgpr_spill_count: 0
    .symbol:         _ZL23rocblas_gemvt_sn_kernelILb0ELi256ELi4ElPKdddEviiT4_lPKT3_lilS5_lilPT5_i.kd
    .uniform_work_group_size: 1
    .uses_dynamic_stack: false
    .vgpr_count:     94
    .vgpr_spill_count: 0
    .wavefront_size: 32
  - .args:
      - .offset:         0
        .size:           4
        .value_kind:     by_value
      - .offset:         8
        .size:           8
        .value_kind:     by_value
      - .offset:         16
        .size:           8
        .value_kind:     by_value
      - .address_space:  global
        .offset:         24
        .size:           8
        .value_kind:     global_buffer
      - .offset:         32
        .size:           8
        .value_kind:     by_value
      - .offset:         40
        .size:           4
        .value_kind:     by_value
      - .offset:         48
        .size:           8
        .value_kind:     by_value
      - .actual_access:  read_only
        .address_space:  global
        .offset:         56
        .size:           8
        .value_kind:     global_buffer
      - .offset:         64
        .size:           4
        .value_kind:     by_value
      - .offset:         72
        .size:           4
        .value_kind:     hidden_block_count_x
      - .offset:         76
        .size:           4
        .value_kind:     hidden_block_count_y
      - .offset:         80
        .size:           4
        .value_kind:     hidden_block_count_z
      - .offset:         84
        .size:           2
        .value_kind:     hidden_group_size_x
      - .offset:         86
        .size:           2
        .value_kind:     hidden_group_size_y
      - .offset:         88
        .size:           2
        .value_kind:     hidden_group_size_z
      - .offset:         90
        .size:           2
        .value_kind:     hidden_remainder_x
      - .offset:         92
        .size:           2
        .value_kind:     hidden_remainder_y
      - .offset:         94
        .size:           2
        .value_kind:     hidden_remainder_z
      - .offset:         112
        .size:           8
        .value_kind:     hidden_global_offset_x
      - .offset:         120
        .size:           8
        .value_kind:     hidden_global_offset_y
      - .offset:         128
        .size:           8
        .value_kind:     hidden_global_offset_z
      - .offset:         136
        .size:           2
        .value_kind:     hidden_grid_dims
    .group_segment_fixed_size: 256
    .kernarg_segment_align: 8
    .kernarg_segment_size: 328
    .language:       OpenCL C
    .language_version:
      - 2
      - 0
    .max_flat_workgroup_size: 256
    .name:           _ZL23rocblas_gemvt_sn_reduceILi256ELi8EddKPdEviT2_lPT3_lilPT1_i
    .private_segment_fixed_size: 0
    .sgpr_count:     40
    .sgpr_spill_count: 0
    .symbol:         _ZL23rocblas_gemvt_sn_reduceILi256ELi8EddKPdEviT2_lPT3_lilPT1_i.kd
    .uniform_work_group_size: 1
    .uses_dynamic_stack: false
    .vgpr_count:     38
    .vgpr_spill_count: 0
    .wavefront_size: 32
  - .args:
      - .offset:         0
        .size:           4
        .value_kind:     by_value
      - .offset:         4
        .size:           4
        .value_kind:     by_value
      - .address_space:  global
        .offset:         8
        .size:           8
        .value_kind:     global_buffer
      - .offset:         16
        .size:           8
        .value_kind:     by_value
      - .address_space:  global
        .offset:         24
        .size:           8
        .value_kind:     global_buffer
      - .offset:         32
        .size:           8
        .value_kind:     by_value
      - .offset:         40
        .size:           4
        .value_kind:     by_value
      - .offset:         48
        .size:           8
        .value_kind:     by_value
      - .address_space:  global
        .offset:         56
        .size:           8
        .value_kind:     global_buffer
      - .offset:         64
        .size:           8
        .value_kind:     by_value
      - .offset:         72
        .size:           4
        .value_kind:     by_value
      - .offset:         80
        .size:           8
        .value_kind:     by_value
      - .address_space:  global
        .offset:         88
        .size:           8
        .value_kind:     global_buffer
      - .offset:         96
        .size:           8
        .value_kind:     by_value
      - .offset:         104
        .size:           4
        .value_kind:     by_value
      - .offset:         112
        .size:           8
        .value_kind:     by_value
      - .offset:         120
        .size:           4
        .value_kind:     by_value
      - .offset:         128
        .size:           4
        .value_kind:     hidden_block_count_x
      - .offset:         132
        .size:           4
        .value_kind:     hidden_block_count_y
      - .offset:         136
        .size:           4
        .value_kind:     hidden_block_count_z
      - .offset:         140
        .size:           2
        .value_kind:     hidden_group_size_x
      - .offset:         142
        .size:           2
        .value_kind:     hidden_group_size_y
      - .offset:         144
        .size:           2
        .value_kind:     hidden_group_size_z
      - .offset:         146
        .size:           2
        .value_kind:     hidden_remainder_x
      - .offset:         148
        .size:           2
        .value_kind:     hidden_remainder_y
      - .offset:         150
        .size:           2
        .value_kind:     hidden_remainder_z
      - .offset:         168
        .size:           8
        .value_kind:     hidden_global_offset_x
      - .offset:         176
        .size:           8
        .value_kind:     hidden_global_offset_y
      - .offset:         184
        .size:           8
        .value_kind:     hidden_global_offset_z
      - .offset:         192
        .size:           2
        .value_kind:     hidden_grid_dims
    .group_segment_fixed_size: 65536
    .kernarg_segment_align: 8
    .kernarg_segment_size: 384
    .language:       OpenCL C
    .language_version:
      - 2
      - 0
    .max_flat_workgroup_size: 512
    .name:           _ZL36rocblas_gemvt_double_buffered_kernelILb0ELi128ELi4ELi16EPKdS1_KPdEviiT4_lPKT3_lilS7_lilPT5_lili
    .private_segment_fixed_size: 148
    .sgpr_count:     50
    .sgpr_spill_count: 0
    .symbol:         _ZL36rocblas_gemvt_double_buffered_kernelILb0ELi128ELi4ELi16EPKdS1_KPdEviiT4_lPKT3_lilS7_lilPT5_lili.kd
    .uniform_work_group_size: 1
    .uses_dynamic_stack: false
    .vgpr_count:     256
    .vgpr_spill_count: 36
    .wavefront_size: 32
  - .args:
      - .offset:         0
        .size:           4
        .value_kind:     by_value
      - .offset:         4
        .size:           4
        .value_kind:     by_value
      - .offset:         8
        .size:           8
        .value_kind:     by_value
      - .offset:         16
        .size:           8
        .value_kind:     by_value
      - .address_space:  global
        .offset:         24
        .size:           8
        .value_kind:     global_buffer
      - .offset:         32
        .size:           8
        .value_kind:     by_value
      - .offset:         40
        .size:           4
        .value_kind:     by_value
      - .offset:         48
        .size:           8
        .value_kind:     by_value
      - .address_space:  global
        .offset:         56
        .size:           8
        .value_kind:     global_buffer
      - .offset:         64
        .size:           8
        .value_kind:     by_value
      - .offset:         72
        .size:           4
        .value_kind:     by_value
      - .offset:         80
        .size:           8
        .value_kind:     by_value
      - .address_space:  global
        .offset:         88
        .size:           8
        .value_kind:     global_buffer
      - .offset:         96
        .size:           8
        .value_kind:     by_value
      - .offset:         104
        .size:           4
        .value_kind:     by_value
      - .offset:         112
        .size:           8
        .value_kind:     by_value
      - .offset:         120
        .size:           4
        .value_kind:     by_value
      - .offset:         128
        .size:           4
        .value_kind:     hidden_block_count_x
      - .offset:         132
        .size:           4
        .value_kind:     hidden_block_count_y
      - .offset:         136
        .size:           4
        .value_kind:     hidden_block_count_z
      - .offset:         140
        .size:           2
        .value_kind:     hidden_group_size_x
      - .offset:         142
        .size:           2
        .value_kind:     hidden_group_size_y
      - .offset:         144
        .size:           2
        .value_kind:     hidden_group_size_z
      - .offset:         146
        .size:           2
        .value_kind:     hidden_remainder_x
      - .offset:         148
        .size:           2
        .value_kind:     hidden_remainder_y
      - .offset:         150
        .size:           2
        .value_kind:     hidden_remainder_z
      - .offset:         168
        .size:           8
        .value_kind:     hidden_global_offset_x
      - .offset:         176
        .size:           8
        .value_kind:     hidden_global_offset_y
      - .offset:         184
        .size:           8
        .value_kind:     hidden_global_offset_z
      - .offset:         192
        .size:           2
        .value_kind:     hidden_grid_dims
    .group_segment_fixed_size: 65536
    .kernarg_segment_align: 8
    .kernarg_segment_size: 384
    .language:       OpenCL C
    .language_version:
      - 2
      - 0
    .max_flat_workgroup_size: 512
    .name:           _ZL36rocblas_gemvt_double_buffered_kernelILb0ELi128ELi4ELi16EPKddKPdEviiT4_lPKT3_lilS7_lilPT5_lili
    .private_segment_fixed_size: 140
    .sgpr_count:     50
    .sgpr_spill_count: 0
    .symbol:         _ZL36rocblas_gemvt_double_buffered_kernelILb0ELi128ELi4ELi16EPKddKPdEviiT4_lPKT3_lilS7_lilPT5_lili.kd
    .uniform_work_group_size: 1
    .uses_dynamic_stack: false
    .vgpr_count:     256
    .vgpr_spill_count: 34
    .wavefront_size: 32
  - .args:
      - .offset:         0
        .size:           4
        .value_kind:     by_value
      - .offset:         4
        .size:           4
        .value_kind:     by_value
      - .address_space:  global
        .offset:         8
        .size:           8
        .value_kind:     global_buffer
      - .offset:         16
        .size:           8
        .value_kind:     by_value
      - .address_space:  global
        .offset:         24
        .size:           8
        .value_kind:     global_buffer
      - .offset:         32
        .size:           8
        .value_kind:     by_value
      - .offset:         40
        .size:           4
        .value_kind:     by_value
      - .offset:         48
        .size:           8
        .value_kind:     by_value
      - .address_space:  global
        .offset:         56
        .size:           8
        .value_kind:     global_buffer
      - .offset:         64
        .size:           8
        .value_kind:     by_value
      - .offset:         72
        .size:           4
        .value_kind:     by_value
      - .offset:         80
        .size:           8
        .value_kind:     by_value
      - .address_space:  global
        .offset:         88
        .size:           8
        .value_kind:     global_buffer
      - .offset:         96
        .size:           8
        .value_kind:     by_value
      - .address_space:  global
        .offset:         104
        .size:           8
        .value_kind:     global_buffer
      - .offset:         112
        .size:           8
        .value_kind:     by_value
      - .offset:         120
        .size:           4
        .value_kind:     by_value
      - .offset:         128
        .size:           8
        .value_kind:     by_value
      - .offset:         136
        .size:           4
        .value_kind:     by_value
    .group_segment_fixed_size: 256
    .kernarg_segment_align: 8
    .kernarg_segment_size: 140
    .language:       OpenCL C
    .language_version:
      - 2
      - 0
    .max_flat_workgroup_size: 256
    .name:           _ZL32rocblas_gemvt_warp_reduce_kernelILb0ELi256EiPKdS1_KPdEviiT3_lPKT2_lT1_lS7_lS8_lS4_lPT4_lS8_li
    .private_segment_fixed_size: 0
    .sgpr_count:     44
    .sgpr_spill_count: 0
    .symbol:         _ZL32rocblas_gemvt_warp_reduce_kernelILb0ELi256EiPKdS1_KPdEviiT3_lPKT2_lT1_lS7_lS8_lS4_lPT4_lS8_li.kd
    .uniform_work_group_size: 1
    .uses_dynamic_stack: false
    .vgpr_count:     32
    .vgpr_spill_count: 0
    .wavefront_size: 32
  - .args:
      - .offset:         0
        .size:           4
        .value_kind:     by_value
      - .offset:         4
        .size:           4
        .value_kind:     by_value
      - .address_space:  global
        .offset:         8
        .size:           8
        .value_kind:     global_buffer
      - .offset:         16
        .size:           8
        .value_kind:     by_value
      - .address_space:  global
        .offset:         24
        .size:           8
        .value_kind:     global_buffer
      - .offset:         32
        .size:           8
        .value_kind:     by_value
      - .offset:         40
        .size:           8
        .value_kind:     by_value
      - .offset:         48
        .size:           8
        .value_kind:     by_value
      - .address_space:  global
        .offset:         56
        .size:           8
        .value_kind:     global_buffer
      - .offset:         64
        .size:           8
        .value_kind:     by_value
      - .offset:         72
        .size:           8
        .value_kind:     by_value
      - .offset:         80
        .size:           8
        .value_kind:     by_value
      - .address_space:  global
        .offset:         88
        .size:           8
        .value_kind:     global_buffer
      - .offset:         96
        .size:           8
        .value_kind:     by_value
      - .address_space:  global
        .offset:         104
        .size:           8
        .value_kind:     global_buffer
      - .offset:         112
        .size:           8
        .value_kind:     by_value
      - .offset:         120
        .size:           8
        .value_kind:     by_value
      - .offset:         128
        .size:           8
        .value_kind:     by_value
      - .offset:         136
        .size:           4
        .value_kind:     by_value
    .group_segment_fixed_size: 256
    .kernarg_segment_align: 8
    .kernarg_segment_size: 140
    .language:       OpenCL C
    .language_version:
      - 2
      - 0
    .max_flat_workgroup_size: 256
    .name:           _ZL32rocblas_gemvt_warp_reduce_kernelILb0ELi256ElPKdS1_KPdEviiT3_lPKT2_lT1_lS7_lS8_lS4_lPT4_lS8_li
    .private_segment_fixed_size: 0
    .sgpr_count:     44
    .sgpr_spill_count: 0
    .symbol:         _ZL32rocblas_gemvt_warp_reduce_kernelILb0ELi256ElPKdS1_KPdEviiT3_lPKT2_lT1_lS7_lS8_lS4_lPT4_lS8_li.kd
    .uniform_work_group_size: 1
    .uses_dynamic_stack: false
    .vgpr_count:     34
    .vgpr_spill_count: 0
    .wavefront_size: 32
  - .args:
      - .offset:         0
        .size:           4
        .value_kind:     by_value
      - .offset:         4
        .size:           4
        .value_kind:     by_value
      - .offset:         8
        .size:           8
        .value_kind:     by_value
      - .offset:         16
        .size:           8
        .value_kind:     by_value
      - .address_space:  global
        .offset:         24
        .size:           8
        .value_kind:     global_buffer
      - .offset:         32
        .size:           8
        .value_kind:     by_value
      - .offset:         40
        .size:           4
        .value_kind:     by_value
      - .offset:         48
        .size:           8
        .value_kind:     by_value
      - .address_space:  global
        .offset:         56
        .size:           8
        .value_kind:     global_buffer
      - .offset:         64
        .size:           8
        .value_kind:     by_value
      - .offset:         72
        .size:           4
        .value_kind:     by_value
      - .offset:         80
        .size:           8
        .value_kind:     by_value
      - .offset:         88
        .size:           8
        .value_kind:     by_value
      - .offset:         96
        .size:           8
        .value_kind:     by_value
      - .address_space:  global
        .offset:         104
        .size:           8
        .value_kind:     global_buffer
      - .offset:         112
        .size:           8
        .value_kind:     by_value
      - .offset:         120
        .size:           4
        .value_kind:     by_value
      - .offset:         128
        .size:           8
        .value_kind:     by_value
      - .offset:         136
        .size:           4
        .value_kind:     by_value
    .group_segment_fixed_size: 256
    .kernarg_segment_align: 8
    .kernarg_segment_size: 140
    .language:       OpenCL C
    .language_version:
      - 2
      - 0
    .max_flat_workgroup_size: 256
    .name:           _ZL32rocblas_gemvt_warp_reduce_kernelILb0ELi256EiPKddKPdEviiT3_lPKT2_lT1_lS7_lS8_lS4_lPT4_lS8_li
    .private_segment_fixed_size: 0
    .sgpr_count:     44
    .sgpr_spill_count: 0
    .symbol:         _ZL32rocblas_gemvt_warp_reduce_kernelILb0ELi256EiPKddKPdEviiT3_lPKT2_lT1_lS7_lS8_lS4_lPT4_lS8_li.kd
    .uniform_work_group_size: 1
    .uses_dynamic_stack: false
    .vgpr_count:     30
    .vgpr_spill_count: 0
    .wavefront_size: 32
  - .args:
      - .offset:         0
        .size:           4
        .value_kind:     by_value
      - .offset:         4
        .size:           4
        .value_kind:     by_value
      - .offset:         8
        .size:           8
        .value_kind:     by_value
      - .offset:         16
        .size:           8
        .value_kind:     by_value
      - .address_space:  global
        .offset:         24
        .size:           8
        .value_kind:     global_buffer
      - .offset:         32
        .size:           8
        .value_kind:     by_value
      - .offset:         40
        .size:           8
        .value_kind:     by_value
      - .offset:         48
        .size:           8
        .value_kind:     by_value
      - .address_space:  global
        .offset:         56
        .size:           8
        .value_kind:     global_buffer
      - .offset:         64
        .size:           8
        .value_kind:     by_value
      - .offset:         72
        .size:           8
        .value_kind:     by_value
      - .offset:         80
        .size:           8
        .value_kind:     by_value
      - .offset:         88
        .size:           8
        .value_kind:     by_value
      - .offset:         96
        .size:           8
        .value_kind:     by_value
      - .address_space:  global
        .offset:         104
        .size:           8
        .value_kind:     global_buffer
      - .offset:         112
        .size:           8
        .value_kind:     by_value
      - .offset:         120
        .size:           8
        .value_kind:     by_value
      - .offset:         128
        .size:           8
        .value_kind:     by_value
      - .offset:         136
        .size:           4
        .value_kind:     by_value
    .group_segment_fixed_size: 256
    .kernarg_segment_align: 8
    .kernarg_segment_size: 140
    .language:       OpenCL C
    .language_version:
      - 2
      - 0
    .max_flat_workgroup_size: 256
    .name:           _ZL32rocblas_gemvt_warp_reduce_kernelILb0ELi256ElPKddKPdEviiT3_lPKT2_lT1_lS7_lS8_lS4_lPT4_lS8_li
    .private_segment_fixed_size: 0
    .sgpr_count:     42
    .sgpr_spill_count: 0
    .symbol:         _ZL32rocblas_gemvt_warp_reduce_kernelILb0ELi256ElPKddKPdEviiT3_lPKT2_lT1_lS7_lS8_lS4_lPT4_lS8_li.kd
    .uniform_work_group_size: 1
    .uses_dynamic_stack: false
    .vgpr_count:     32
    .vgpr_spill_count: 0
    .wavefront_size: 32
  - .args:
      - .offset:         0
        .size:           4
        .value_kind:     by_value
      - .offset:         4
        .size:           4
        .value_kind:     by_value
      - .address_space:  global
        .offset:         8
        .size:           8
        .value_kind:     global_buffer
      - .offset:         16
        .size:           8
        .value_kind:     by_value
      - .address_space:  global
        .offset:         24
        .size:           8
        .value_kind:     global_buffer
      - .offset:         32
        .size:           8
        .value_kind:     by_value
      - .offset:         40
        .size:           4
        .value_kind:     by_value
      - .offset:         48
        .size:           8
        .value_kind:     by_value
      - .address_space:  global
        .offset:         56
        .size:           8
        .value_kind:     global_buffer
      - .offset:         64
        .size:           8
        .value_kind:     by_value
      - .offset:         72
        .size:           4
        .value_kind:     by_value
      - .offset:         80
        .size:           8
        .value_kind:     by_value
      - .address_space:  global
        .offset:         88
        .size:           8
        .value_kind:     global_buffer
      - .offset:         96
        .size:           8
        .value_kind:     by_value
      - .address_space:  global
        .offset:         104
        .size:           8
        .value_kind:     global_buffer
      - .offset:         112
        .size:           8
        .value_kind:     by_value
      - .offset:         120
        .size:           4
        .value_kind:     by_value
      - .offset:         128
        .size:           8
        .value_kind:     by_value
      - .offset:         136
        .size:           4
        .value_kind:     by_value
    .group_segment_fixed_size: 2048
    .kernarg_segment_align: 8
    .kernarg_segment_size: 140
    .language:       OpenCL C
    .language_version:
      - 2
      - 0
    .max_flat_workgroup_size: 256
    .name:           _ZL20rocblas_gemvt_kernelILb0ELi256EPKdS1_KPdEviiT2_lPKT1_lilS7_lilS4_lPT3_lili
    .private_segment_fixed_size: 0
    .sgpr_count:     50
    .sgpr_spill_count: 0
    .symbol:         _ZL20rocblas_gemvt_kernelILb0ELi256EPKdS1_KPdEviiT2_lPKT1_lilS7_lilS4_lPT3_lili.kd
    .uniform_work_group_size: 1
    .uses_dynamic_stack: false
    .vgpr_count:     28
    .vgpr_spill_count: 0
    .wavefront_size: 32
  - .args:
      - .offset:         0
        .size:           4
        .value_kind:     by_value
      - .offset:         4
        .size:           4
        .value_kind:     by_value
      - .offset:         8
        .size:           8
        .value_kind:     by_value
      - .offset:         16
        .size:           8
        .value_kind:     by_value
      - .address_space:  global
        .offset:         24
        .size:           8
        .value_kind:     global_buffer
      - .offset:         32
        .size:           8
        .value_kind:     by_value
      - .offset:         40
        .size:           4
        .value_kind:     by_value
      - .offset:         48
        .size:           8
        .value_kind:     by_value
      - .address_space:  global
        .offset:         56
        .size:           8
        .value_kind:     global_buffer
      - .offset:         64
        .size:           8
        .value_kind:     by_value
      - .offset:         72
        .size:           4
        .value_kind:     by_value
      - .offset:         80
        .size:           8
        .value_kind:     by_value
      - .offset:         88
        .size:           8
        .value_kind:     by_value
      - .offset:         96
        .size:           8
        .value_kind:     by_value
      - .address_space:  global
        .offset:         104
        .size:           8
        .value_kind:     global_buffer
      - .offset:         112
        .size:           8
        .value_kind:     by_value
      - .offset:         120
        .size:           4
        .value_kind:     by_value
      - .offset:         128
        .size:           8
        .value_kind:     by_value
      - .offset:         136
        .size:           4
        .value_kind:     by_value
    .group_segment_fixed_size: 2048
    .kernarg_segment_align: 8
    .kernarg_segment_size: 140
    .language:       OpenCL C
    .language_version:
      - 2
      - 0
    .max_flat_workgroup_size: 256
    .name:           _ZL20rocblas_gemvt_kernelILb0ELi256EPKddKPdEviiT2_lPKT1_lilS7_lilS4_lPT3_lili
    .private_segment_fixed_size: 0
    .sgpr_count:     46
    .sgpr_spill_count: 0
    .symbol:         _ZL20rocblas_gemvt_kernelILb0ELi256EPKddKPdEviiT2_lPKT1_lilS7_lilS4_lPT3_lili.kd
    .uniform_work_group_size: 1
    .uses_dynamic_stack: false
    .vgpr_count:     24
    .vgpr_spill_count: 0
    .wavefront_size: 32
  - .args:
      - .offset:         0
        .size:           4
        .value_kind:     by_value
      - .offset:         4
        .size:           4
        .value_kind:     by_value
      - .address_space:  global
        .offset:         8
        .size:           8
        .value_kind:     global_buffer
      - .offset:         16
        .size:           8
        .value_kind:     by_value
      - .address_space:  global
        .offset:         24
        .size:           8
        .value_kind:     global_buffer
      - .offset:         32
        .size:           8
        .value_kind:     by_value
      - .offset:         40
        .size:           4
        .value_kind:     by_value
      - .offset:         48
        .size:           8
        .value_kind:     by_value
      - .address_space:  global
        .offset:         56
        .size:           8
        .value_kind:     global_buffer
      - .offset:         64
        .size:           8
        .value_kind:     by_value
      - .offset:         72
        .size:           4
        .value_kind:     by_value
      - .offset:         80
        .size:           8
        .value_kind:     by_value
      - .address_space:  global
        .offset:         88
        .size:           8
        .value_kind:     global_buffer
      - .offset:         96
        .size:           8
        .value_kind:     by_value
      - .address_space:  global
        .offset:         104
        .size:           8
        .value_kind:     global_buffer
      - .offset:         112
        .size:           8
        .value_kind:     by_value
      - .offset:         120
        .size:           4
        .value_kind:     by_value
      - .offset:         128
        .size:           8
        .value_kind:     by_value
      - .offset:         136
        .size:           4
        .value_kind:     by_value
    .group_segment_fixed_size: 256
    .kernarg_segment_align: 8
    .kernarg_segment_size: 140
    .language:       OpenCL C
    .language_version:
      - 2
      - 0
    .max_flat_workgroup_size: 1024
    .name:           _ZL32rocblas_gemvt_warp_reduce_kernelILb0ELi1024EiPKdS1_KPdEviiT3_lPKT2_lT1_lS7_lS8_lS4_lPT4_lS8_li
    .private_segment_fixed_size: 0
    .sgpr_count:     44
    .sgpr_spill_count: 0
    .symbol:         _ZL32rocblas_gemvt_warp_reduce_kernelILb0ELi1024EiPKdS1_KPdEviiT3_lPKT2_lT1_lS7_lS8_lS4_lPT4_lS8_li.kd
    .uniform_work_group_size: 1
    .uses_dynamic_stack: false
    .vgpr_count:     32
    .vgpr_spill_count: 0
    .wavefront_size: 32
  - .args:
      - .offset:         0
        .size:           4
        .value_kind:     by_value
      - .offset:         4
        .size:           4
        .value_kind:     by_value
      - .address_space:  global
        .offset:         8
        .size:           8
        .value_kind:     global_buffer
      - .offset:         16
        .size:           8
        .value_kind:     by_value
      - .address_space:  global
        .offset:         24
        .size:           8
        .value_kind:     global_buffer
      - .offset:         32
        .size:           8
        .value_kind:     by_value
      - .offset:         40
        .size:           8
        .value_kind:     by_value
      - .offset:         48
        .size:           8
        .value_kind:     by_value
      - .address_space:  global
        .offset:         56
        .size:           8
        .value_kind:     global_buffer
      - .offset:         64
        .size:           8
        .value_kind:     by_value
      - .offset:         72
        .size:           8
        .value_kind:     by_value
      - .offset:         80
        .size:           8
        .value_kind:     by_value
      - .address_space:  global
        .offset:         88
        .size:           8
        .value_kind:     global_buffer
      - .offset:         96
        .size:           8
        .value_kind:     by_value
      - .address_space:  global
        .offset:         104
        .size:           8
        .value_kind:     global_buffer
      - .offset:         112
        .size:           8
        .value_kind:     by_value
      - .offset:         120
        .size:           8
        .value_kind:     by_value
      - .offset:         128
        .size:           8
        .value_kind:     by_value
      - .offset:         136
        .size:           4
        .value_kind:     by_value
    .group_segment_fixed_size: 256
    .kernarg_segment_align: 8
    .kernarg_segment_size: 140
    .language:       OpenCL C
    .language_version:
      - 2
      - 0
    .max_flat_workgroup_size: 1024
    .name:           _ZL32rocblas_gemvt_warp_reduce_kernelILb0ELi1024ElPKdS1_KPdEviiT3_lPKT2_lT1_lS7_lS8_lS4_lPT4_lS8_li
    .private_segment_fixed_size: 0
    .sgpr_count:     46
    .sgpr_spill_count: 0
    .symbol:         _ZL32rocblas_gemvt_warp_reduce_kernelILb0ELi1024ElPKdS1_KPdEviiT3_lPKT2_lT1_lS7_lS8_lS4_lPT4_lS8_li.kd
    .uniform_work_group_size: 1
    .uses_dynamic_stack: false
    .vgpr_count:     34
    .vgpr_spill_count: 0
    .wavefront_size: 32
  - .args:
      - .offset:         0
        .size:           4
        .value_kind:     by_value
      - .offset:         4
        .size:           4
        .value_kind:     by_value
      - .offset:         8
        .size:           8
        .value_kind:     by_value
      - .offset:         16
        .size:           8
        .value_kind:     by_value
      - .address_space:  global
        .offset:         24
        .size:           8
        .value_kind:     global_buffer
      - .offset:         32
        .size:           8
        .value_kind:     by_value
      - .offset:         40
        .size:           4
        .value_kind:     by_value
      - .offset:         48
        .size:           8
        .value_kind:     by_value
      - .address_space:  global
        .offset:         56
        .size:           8
        .value_kind:     global_buffer
      - .offset:         64
        .size:           8
        .value_kind:     by_value
      - .offset:         72
        .size:           4
        .value_kind:     by_value
      - .offset:         80
        .size:           8
        .value_kind:     by_value
      - .offset:         88
        .size:           8
        .value_kind:     by_value
      - .offset:         96
        .size:           8
        .value_kind:     by_value
      - .address_space:  global
        .offset:         104
        .size:           8
        .value_kind:     global_buffer
      - .offset:         112
        .size:           8
        .value_kind:     by_value
      - .offset:         120
        .size:           4
        .value_kind:     by_value
      - .offset:         128
        .size:           8
        .value_kind:     by_value
      - .offset:         136
        .size:           4
        .value_kind:     by_value
    .group_segment_fixed_size: 256
    .kernarg_segment_align: 8
    .kernarg_segment_size: 140
    .language:       OpenCL C
    .language_version:
      - 2
      - 0
    .max_flat_workgroup_size: 1024
    .name:           _ZL32rocblas_gemvt_warp_reduce_kernelILb0ELi1024EiPKddKPdEviiT3_lPKT2_lT1_lS7_lS8_lS4_lPT4_lS8_li
    .private_segment_fixed_size: 0
    .sgpr_count:     42
    .sgpr_spill_count: 0
    .symbol:         _ZL32rocblas_gemvt_warp_reduce_kernelILb0ELi1024EiPKddKPdEviiT3_lPKT2_lT1_lS7_lS8_lS4_lPT4_lS8_li.kd
    .uniform_work_group_size: 1
    .uses_dynamic_stack: false
    .vgpr_count:     30
    .vgpr_spill_count: 0
    .wavefront_size: 32
  - .args:
      - .offset:         0
        .size:           4
        .value_kind:     by_value
      - .offset:         4
        .size:           4
        .value_kind:     by_value
      - .offset:         8
        .size:           8
        .value_kind:     by_value
      - .offset:         16
        .size:           8
        .value_kind:     by_value
      - .address_space:  global
        .offset:         24
        .size:           8
        .value_kind:     global_buffer
      - .offset:         32
        .size:           8
        .value_kind:     by_value
      - .offset:         40
        .size:           8
        .value_kind:     by_value
      - .offset:         48
        .size:           8
        .value_kind:     by_value
      - .address_space:  global
        .offset:         56
        .size:           8
        .value_kind:     global_buffer
      - .offset:         64
        .size:           8
        .value_kind:     by_value
      - .offset:         72
        .size:           8
        .value_kind:     by_value
      - .offset:         80
        .size:           8
        .value_kind:     by_value
      - .offset:         88
        .size:           8
        .value_kind:     by_value
      - .offset:         96
        .size:           8
        .value_kind:     by_value
      - .address_space:  global
        .offset:         104
        .size:           8
        .value_kind:     global_buffer
      - .offset:         112
        .size:           8
        .value_kind:     by_value
      - .offset:         120
        .size:           8
        .value_kind:     by_value
      - .offset:         128
        .size:           8
        .value_kind:     by_value
      - .offset:         136
        .size:           4
        .value_kind:     by_value
    .group_segment_fixed_size: 256
    .kernarg_segment_align: 8
    .kernarg_segment_size: 140
    .language:       OpenCL C
    .language_version:
      - 2
      - 0
    .max_flat_workgroup_size: 1024
    .name:           _ZL32rocblas_gemvt_warp_reduce_kernelILb0ELi1024ElPKddKPdEviiT3_lPKT2_lT1_lS7_lS8_lS4_lPT4_lS8_li
    .private_segment_fixed_size: 0
    .sgpr_count:     41
    .sgpr_spill_count: 0
    .symbol:         _ZL32rocblas_gemvt_warp_reduce_kernelILb0ELi1024ElPKddKPdEviiT3_lPKT2_lT1_lS7_lS8_lS4_lPT4_lS8_li.kd
    .uniform_work_group_size: 1
    .uses_dynamic_stack: false
    .vgpr_count:     32
    .vgpr_spill_count: 0
    .wavefront_size: 32
  - .args:
      - .offset:         0
        .size:           4
        .value_kind:     by_value
      - .offset:         4
        .size:           4
        .value_kind:     by_value
      - .address_space:  global
        .offset:         8
        .size:           8
        .value_kind:     global_buffer
      - .offset:         16
        .size:           8
        .value_kind:     by_value
      - .address_space:  global
        .offset:         24
        .size:           8
        .value_kind:     global_buffer
      - .offset:         32
        .size:           8
        .value_kind:     by_value
      - .offset:         40
        .size:           4
        .value_kind:     by_value
      - .offset:         48
        .size:           8
        .value_kind:     by_value
      - .address_space:  global
        .offset:         56
        .size:           8
        .value_kind:     global_buffer
      - .offset:         64
        .size:           8
        .value_kind:     by_value
      - .offset:         72
        .size:           4
        .value_kind:     by_value
      - .offset:         80
        .size:           8
        .value_kind:     by_value
      - .address_space:  global
        .offset:         88
        .size:           8
        .value_kind:     global_buffer
      - .offset:         96
        .size:           8
        .value_kind:     by_value
      - .address_space:  global
        .offset:         104
        .size:           8
        .value_kind:     global_buffer
      - .offset:         112
        .size:           8
        .value_kind:     by_value
      - .offset:         120
        .size:           4
        .value_kind:     by_value
      - .offset:         128
        .size:           8
        .value_kind:     by_value
    .group_segment_fixed_size: 512
    .kernarg_segment_align: 8
    .kernarg_segment_size: 136
    .language:       OpenCL C
    .language_version:
      - 2
      - 0
    .max_flat_workgroup_size: 256
    .name:           _ZL22rocblas_gemvtsm_kernelILb1ELi256EPKdS1_KPdEviiT2_lPKT1_lilS7_lilS4_lPT3_lil
    .private_segment_fixed_size: 0
    .sgpr_count:     24
    .sgpr_spill_count: 0
    .symbol:         _ZL22rocblas_gemvtsm_kernelILb1ELi256EPKdS1_KPdEviiT2_lPKT1_lilS7_lilS4_lPT3_lil.kd
    .uniform_work_group_size: 1
    .uses_dynamic_stack: false
    .vgpr_count:     38
    .vgpr_spill_count: 0
    .wavefront_size: 32
  - .args:
      - .offset:         0
        .size:           4
        .value_kind:     by_value
      - .offset:         4
        .size:           4
        .value_kind:     by_value
      - .offset:         8
        .size:           8
        .value_kind:     by_value
      - .offset:         16
        .size:           8
        .value_kind:     by_value
      - .address_space:  global
        .offset:         24
        .size:           8
        .value_kind:     global_buffer
      - .offset:         32
        .size:           8
        .value_kind:     by_value
      - .offset:         40
        .size:           4
        .value_kind:     by_value
      - .offset:         48
        .size:           8
        .value_kind:     by_value
      - .address_space:  global
        .offset:         56
        .size:           8
        .value_kind:     global_buffer
      - .offset:         64
        .size:           8
        .value_kind:     by_value
      - .offset:         72
        .size:           4
        .value_kind:     by_value
      - .offset:         80
        .size:           8
        .value_kind:     by_value
      - .offset:         88
        .size:           8
        .value_kind:     by_value
      - .offset:         96
        .size:           8
        .value_kind:     by_value
      - .address_space:  global
        .offset:         104
        .size:           8
        .value_kind:     global_buffer
      - .offset:         112
        .size:           8
        .value_kind:     by_value
      - .offset:         120
        .size:           4
        .value_kind:     by_value
      - .offset:         128
        .size:           8
        .value_kind:     by_value
    .group_segment_fixed_size: 512
    .kernarg_segment_align: 8
    .kernarg_segment_size: 136
    .language:       OpenCL C
    .language_version:
      - 2
      - 0
    .max_flat_workgroup_size: 256
    .name:           _ZL22rocblas_gemvtsm_kernelILb1ELi256EPKddKPdEviiT2_lPKT1_lilS7_lilS4_lPT3_lil
    .private_segment_fixed_size: 0
    .sgpr_count:     30
    .sgpr_spill_count: 0
    .symbol:         _ZL22rocblas_gemvtsm_kernelILb1ELi256EPKddKPdEviiT2_lPKT1_lilS7_lilS4_lPT3_lil.kd
    .uniform_work_group_size: 1
    .uses_dynamic_stack: false
    .vgpr_count:     38
    .vgpr_spill_count: 0
    .wavefront_size: 32
  - .args:
      - .offset:         0
        .size:           4
        .value_kind:     by_value
      - .offset:         4
        .size:           4
        .value_kind:     by_value
      - .address_space:  global
        .offset:         8
        .size:           8
        .value_kind:     global_buffer
      - .offset:         16
        .size:           8
        .value_kind:     by_value
      - .address_space:  global
        .offset:         24
        .size:           8
        .value_kind:     global_buffer
      - .offset:         32
        .size:           8
        .value_kind:     by_value
      - .offset:         40
        .size:           4
        .value_kind:     by_value
      - .offset:         48
        .size:           8
        .value_kind:     by_value
      - .address_space:  global
        .offset:         56
        .size:           8
        .value_kind:     global_buffer
      - .offset:         64
        .size:           8
        .value_kind:     by_value
      - .offset:         72
        .size:           4
        .value_kind:     by_value
      - .offset:         80
        .size:           8
        .value_kind:     by_value
      - .address_space:  global
        .offset:         88
        .size:           8
        .value_kind:     global_buffer
      - .offset:         96
        .size:           4
        .value_kind:     by_value
      - .offset:         104
        .size:           4
        .value_kind:     hidden_block_count_x
      - .offset:         108
        .size:           4
        .value_kind:     hidden_block_count_y
      - .offset:         112
        .size:           4
        .value_kind:     hidden_block_count_z
      - .offset:         116
        .size:           2
        .value_kind:     hidden_group_size_x
      - .offset:         118
        .size:           2
        .value_kind:     hidden_group_size_y
      - .offset:         120
        .size:           2
        .value_kind:     hidden_group_size_z
      - .offset:         122
        .size:           2
        .value_kind:     hidden_remainder_x
      - .offset:         124
        .size:           2
        .value_kind:     hidden_remainder_y
      - .offset:         126
        .size:           2
        .value_kind:     hidden_remainder_z
      - .offset:         144
        .size:           8
        .value_kind:     hidden_global_offset_x
      - .offset:         152
        .size:           8
        .value_kind:     hidden_global_offset_y
      - .offset:         160
        .size:           8
        .value_kind:     hidden_global_offset_z
      - .offset:         168
        .size:           2
        .value_kind:     hidden_grid_dims
    .group_segment_fixed_size: 256
    .kernarg_segment_align: 8
    .kernarg_segment_size: 360
    .language:       OpenCL C
    .language_version:
      - 2
      - 0
    .max_flat_workgroup_size: 256
    .name:           _ZL23rocblas_gemvt_sn_kernelILb1ELi256ELi4EiPKdS1_dEviiT4_lPKT3_lilS5_lilPT5_i
    .private_segment_fixed_size: 0
    .sgpr_count:     78
    .sgpr_spill_count: 0
    .symbol:         _ZL23rocblas_gemvt_sn_kernelILb1ELi256ELi4EiPKdS1_dEviiT4_lPKT3_lilS5_lilPT5_i.kd
    .uniform_work_group_size: 1
    .uses_dynamic_stack: false
    .vgpr_count:     88
    .vgpr_spill_count: 0
    .wavefront_size: 32
  - .args:
      - .offset:         0
        .size:           4
        .value_kind:     by_value
      - .offset:         4
        .size:           4
        .value_kind:     by_value
      - .address_space:  global
        .offset:         8
        .size:           8
        .value_kind:     global_buffer
      - .offset:         16
        .size:           8
        .value_kind:     by_value
      - .address_space:  global
        .offset:         24
        .size:           8
        .value_kind:     global_buffer
      - .offset:         32
        .size:           8
        .value_kind:     by_value
      - .offset:         40
        .size:           4
        .value_kind:     by_value
      - .offset:         48
        .size:           8
        .value_kind:     by_value
      - .address_space:  global
        .offset:         56
        .size:           8
        .value_kind:     global_buffer
      - .offset:         64
        .size:           8
        .value_kind:     by_value
      - .offset:         72
        .size:           4
        .value_kind:     by_value
      - .offset:         80
        .size:           8
        .value_kind:     by_value
      - .address_space:  global
        .offset:         88
        .size:           8
        .value_kind:     global_buffer
      - .offset:         96
        .size:           4
        .value_kind:     by_value
      - .offset:         104
        .size:           4
        .value_kind:     hidden_block_count_x
      - .offset:         108
        .size:           4
        .value_kind:     hidden_block_count_y
      - .offset:         112
        .size:           4
        .value_kind:     hidden_block_count_z
      - .offset:         116
        .size:           2
        .value_kind:     hidden_group_size_x
      - .offset:         118
        .size:           2
        .value_kind:     hidden_group_size_y
      - .offset:         120
        .size:           2
        .value_kind:     hidden_group_size_z
      - .offset:         122
        .size:           2
        .value_kind:     hidden_remainder_x
      - .offset:         124
        .size:           2
        .value_kind:     hidden_remainder_y
      - .offset:         126
        .size:           2
        .value_kind:     hidden_remainder_z
      - .offset:         144
        .size:           8
        .value_kind:     hidden_global_offset_x
      - .offset:         152
        .size:           8
        .value_kind:     hidden_global_offset_y
      - .offset:         160
        .size:           8
        .value_kind:     hidden_global_offset_z
      - .offset:         168
        .size:           2
        .value_kind:     hidden_grid_dims
    .group_segment_fixed_size: 256
    .kernarg_segment_align: 8
    .kernarg_segment_size: 360
    .language:       OpenCL C
    .language_version:
      - 2
      - 0
    .max_flat_workgroup_size: 256
    .name:           _ZL23rocblas_gemvt_sn_kernelILb1ELi256ELi4ElPKdS1_dEviiT4_lPKT3_lilS5_lilPT5_i
    .private_segment_fixed_size: 0
    .sgpr_count:     72
    .sgpr_spill_count: 0
    .symbol:         _ZL23rocblas_gemvt_sn_kernelILb1ELi256ELi4ElPKdS1_dEviiT4_lPKT3_lilS5_lilPT5_i.kd
    .uniform_work_group_size: 1
    .uses_dynamic_stack: false
    .vgpr_count:     96
    .vgpr_spill_count: 0
    .wavefront_size: 32
  - .args:
      - .offset:         0
        .size:           4
        .value_kind:     by_value
      - .offset:         4
        .size:           4
        .value_kind:     by_value
      - .offset:         8
        .size:           8
        .value_kind:     by_value
      - .offset:         16
        .size:           8
        .value_kind:     by_value
      - .address_space:  global
        .offset:         24
        .size:           8
        .value_kind:     global_buffer
      - .offset:         32
        .size:           8
        .value_kind:     by_value
      - .offset:         40
        .size:           4
        .value_kind:     by_value
      - .offset:         48
        .size:           8
        .value_kind:     by_value
      - .address_space:  global
        .offset:         56
        .size:           8
        .value_kind:     global_buffer
      - .offset:         64
        .size:           8
        .value_kind:     by_value
      - .offset:         72
        .size:           4
        .value_kind:     by_value
      - .offset:         80
        .size:           8
        .value_kind:     by_value
      - .address_space:  global
        .offset:         88
        .size:           8
        .value_kind:     global_buffer
      - .offset:         96
        .size:           4
        .value_kind:     by_value
      - .offset:         104
        .size:           4
        .value_kind:     hidden_block_count_x
      - .offset:         108
        .size:           4
        .value_kind:     hidden_block_count_y
      - .offset:         112
        .size:           4
        .value_kind:     hidden_block_count_z
      - .offset:         116
        .size:           2
        .value_kind:     hidden_group_size_x
      - .offset:         118
        .size:           2
        .value_kind:     hidden_group_size_y
      - .offset:         120
        .size:           2
        .value_kind:     hidden_group_size_z
      - .offset:         122
        .size:           2
        .value_kind:     hidden_remainder_x
      - .offset:         124
        .size:           2
        .value_kind:     hidden_remainder_y
      - .offset:         126
        .size:           2
        .value_kind:     hidden_remainder_z
      - .offset:         144
        .size:           8
        .value_kind:     hidden_global_offset_x
      - .offset:         152
        .size:           8
        .value_kind:     hidden_global_offset_y
      - .offset:         160
        .size:           8
        .value_kind:     hidden_global_offset_z
      - .offset:         168
        .size:           2
        .value_kind:     hidden_grid_dims
    .group_segment_fixed_size: 256
    .kernarg_segment_align: 8
    .kernarg_segment_size: 360
    .language:       OpenCL C
    .language_version:
      - 2
      - 0
    .max_flat_workgroup_size: 256
    .name:           _ZL23rocblas_gemvt_sn_kernelILb1ELi256ELi4EiPKdddEviiT4_lPKT3_lilS5_lilPT5_i
    .private_segment_fixed_size: 0
    .sgpr_count:     74
    .sgpr_spill_count: 0
    .symbol:         _ZL23rocblas_gemvt_sn_kernelILb1ELi256ELi4EiPKdddEviiT4_lPKT3_lilS5_lilPT5_i.kd
    .uniform_work_group_size: 1
    .uses_dynamic_stack: false
    .vgpr_count:     86
    .vgpr_spill_count: 0
    .wavefront_size: 32
  - .args:
      - .offset:         0
        .size:           4
        .value_kind:     by_value
      - .offset:         4
        .size:           4
        .value_kind:     by_value
      - .offset:         8
        .size:           8
        .value_kind:     by_value
      - .offset:         16
        .size:           8
        .value_kind:     by_value
      - .address_space:  global
        .offset:         24
        .size:           8
        .value_kind:     global_buffer
      - .offset:         32
        .size:           8
        .value_kind:     by_value
      - .offset:         40
        .size:           4
        .value_kind:     by_value
      - .offset:         48
        .size:           8
        .value_kind:     by_value
      - .address_space:  global
        .offset:         56
        .size:           8
        .value_kind:     global_buffer
      - .offset:         64
        .size:           8
        .value_kind:     by_value
      - .offset:         72
        .size:           4
        .value_kind:     by_value
      - .offset:         80
        .size:           8
        .value_kind:     by_value
      - .address_space:  global
        .offset:         88
        .size:           8
        .value_kind:     global_buffer
      - .offset:         96
        .size:           4
        .value_kind:     by_value
      - .offset:         104
        .size:           4
        .value_kind:     hidden_block_count_x
      - .offset:         108
        .size:           4
        .value_kind:     hidden_block_count_y
      - .offset:         112
        .size:           4
        .value_kind:     hidden_block_count_z
      - .offset:         116
        .size:           2
        .value_kind:     hidden_group_size_x
      - .offset:         118
        .size:           2
        .value_kind:     hidden_group_size_y
      - .offset:         120
        .size:           2
        .value_kind:     hidden_group_size_z
      - .offset:         122
        .size:           2
        .value_kind:     hidden_remainder_x
      - .offset:         124
        .size:           2
        .value_kind:     hidden_remainder_y
      - .offset:         126
        .size:           2
        .value_kind:     hidden_remainder_z
      - .offset:         144
        .size:           8
        .value_kind:     hidden_global_offset_x
      - .offset:         152
        .size:           8
        .value_kind:     hidden_global_offset_y
      - .offset:         160
        .size:           8
        .value_kind:     hidden_global_offset_z
      - .offset:         168
        .size:           2
        .value_kind:     hidden_grid_dims
    .group_segment_fixed_size: 256
    .kernarg_segment_align: 8
    .kernarg_segment_size: 360
    .language:       OpenCL C
    .language_version:
      - 2
      - 0
    .max_flat_workgroup_size: 256
    .name:           _ZL23rocblas_gemvt_sn_kernelILb1ELi256ELi4ElPKdddEviiT4_lPKT3_lilS5_lilPT5_i
    .private_segment_fixed_size: 0
    .sgpr_count:     68
    .sgpr_spill_count: 0
    .symbol:         _ZL23rocblas_gemvt_sn_kernelILb1ELi256ELi4ElPKdddEviiT4_lPKT3_lilS5_lilPT5_i.kd
    .uniform_work_group_size: 1
    .uses_dynamic_stack: false
    .vgpr_count:     94
    .vgpr_spill_count: 0
    .wavefront_size: 32
  - .args:
      - .offset:         0
        .size:           4
        .value_kind:     by_value
      - .offset:         4
        .size:           4
        .value_kind:     by_value
      - .address_space:  global
        .offset:         8
        .size:           8
        .value_kind:     global_buffer
      - .offset:         16
        .size:           8
        .value_kind:     by_value
      - .address_space:  global
        .offset:         24
        .size:           8
        .value_kind:     global_buffer
      - .offset:         32
        .size:           8
        .value_kind:     by_value
      - .offset:         40
        .size:           4
        .value_kind:     by_value
      - .offset:         48
        .size:           8
        .value_kind:     by_value
      - .address_space:  global
        .offset:         56
        .size:           8
        .value_kind:     global_buffer
      - .offset:         64
        .size:           8
        .value_kind:     by_value
      - .offset:         72
        .size:           4
        .value_kind:     by_value
      - .offset:         80
        .size:           8
        .value_kind:     by_value
      - .address_space:  global
        .offset:         88
        .size:           8
        .value_kind:     global_buffer
      - .offset:         96
        .size:           8
        .value_kind:     by_value
      - .offset:         104
        .size:           4
        .value_kind:     by_value
      - .offset:         112
        .size:           8
        .value_kind:     by_value
      - .offset:         120
        .size:           4
        .value_kind:     by_value
      - .offset:         128
        .size:           4
        .value_kind:     hidden_block_count_x
      - .offset:         132
        .size:           4
        .value_kind:     hidden_block_count_y
      - .offset:         136
        .size:           4
        .value_kind:     hidden_block_count_z
      - .offset:         140
        .size:           2
        .value_kind:     hidden_group_size_x
      - .offset:         142
        .size:           2
        .value_kind:     hidden_group_size_y
      - .offset:         144
        .size:           2
        .value_kind:     hidden_group_size_z
      - .offset:         146
        .size:           2
        .value_kind:     hidden_remainder_x
      - .offset:         148
        .size:           2
        .value_kind:     hidden_remainder_y
      - .offset:         150
        .size:           2
        .value_kind:     hidden_remainder_z
      - .offset:         168
        .size:           8
        .value_kind:     hidden_global_offset_x
      - .offset:         176
        .size:           8
        .value_kind:     hidden_global_offset_y
      - .offset:         184
        .size:           8
        .value_kind:     hidden_global_offset_z
      - .offset:         192
        .size:           2
        .value_kind:     hidden_grid_dims
    .group_segment_fixed_size: 65536
    .kernarg_segment_align: 8
    .kernarg_segment_size: 384
    .language:       OpenCL C
    .language_version:
      - 2
      - 0
    .max_flat_workgroup_size: 512
    .name:           _ZL36rocblas_gemvt_double_buffered_kernelILb1ELi128ELi4ELi16EPKdS1_KPdEviiT4_lPKT3_lilS7_lilPT5_lili
    .private_segment_fixed_size: 148
    .sgpr_count:     50
    .sgpr_spill_count: 0
    .symbol:         _ZL36rocblas_gemvt_double_buffered_kernelILb1ELi128ELi4ELi16EPKdS1_KPdEviiT4_lPKT3_lilS7_lilPT5_lili.kd
    .uniform_work_group_size: 1
    .uses_dynamic_stack: false
    .vgpr_count:     256
    .vgpr_spill_count: 36
    .wavefront_size: 32
  - .args:
      - .offset:         0
        .size:           4
        .value_kind:     by_value
      - .offset:         4
        .size:           4
        .value_kind:     by_value
      - .offset:         8
        .size:           8
        .value_kind:     by_value
      - .offset:         16
        .size:           8
        .value_kind:     by_value
      - .address_space:  global
        .offset:         24
        .size:           8
        .value_kind:     global_buffer
      - .offset:         32
        .size:           8
        .value_kind:     by_value
      - .offset:         40
        .size:           4
        .value_kind:     by_value
      - .offset:         48
        .size:           8
        .value_kind:     by_value
      - .address_space:  global
        .offset:         56
        .size:           8
        .value_kind:     global_buffer
      - .offset:         64
        .size:           8
        .value_kind:     by_value
      - .offset:         72
        .size:           4
        .value_kind:     by_value
      - .offset:         80
        .size:           8
        .value_kind:     by_value
      - .address_space:  global
        .offset:         88
        .size:           8
        .value_kind:     global_buffer
      - .offset:         96
        .size:           8
        .value_kind:     by_value
      - .offset:         104
        .size:           4
        .value_kind:     by_value
      - .offset:         112
        .size:           8
        .value_kind:     by_value
      - .offset:         120
        .size:           4
        .value_kind:     by_value
      - .offset:         128
        .size:           4
        .value_kind:     hidden_block_count_x
      - .offset:         132
        .size:           4
        .value_kind:     hidden_block_count_y
      - .offset:         136
        .size:           4
        .value_kind:     hidden_block_count_z
      - .offset:         140
        .size:           2
        .value_kind:     hidden_group_size_x
      - .offset:         142
        .size:           2
        .value_kind:     hidden_group_size_y
      - .offset:         144
        .size:           2
        .value_kind:     hidden_group_size_z
      - .offset:         146
        .size:           2
        .value_kind:     hidden_remainder_x
      - .offset:         148
        .size:           2
        .value_kind:     hidden_remainder_y
      - .offset:         150
        .size:           2
        .value_kind:     hidden_remainder_z
      - .offset:         168
        .size:           8
        .value_kind:     hidden_global_offset_x
      - .offset:         176
        .size:           8
        .value_kind:     hidden_global_offset_y
      - .offset:         184
        .size:           8
        .value_kind:     hidden_global_offset_z
      - .offset:         192
        .size:           2
        .value_kind:     hidden_grid_dims
    .group_segment_fixed_size: 65536
    .kernarg_segment_align: 8
    .kernarg_segment_size: 384
    .language:       OpenCL C
    .language_version:
      - 2
      - 0
    .max_flat_workgroup_size: 512
    .name:           _ZL36rocblas_gemvt_double_buffered_kernelILb1ELi128ELi4ELi16EPKddKPdEviiT4_lPKT3_lilS7_lilPT5_lili
    .private_segment_fixed_size: 140
    .sgpr_count:     50
    .sgpr_spill_count: 0
    .symbol:         _ZL36rocblas_gemvt_double_buffered_kernelILb1ELi128ELi4ELi16EPKddKPdEviiT4_lPKT3_lilS7_lilPT5_lili.kd
    .uniform_work_group_size: 1
    .uses_dynamic_stack: false
    .vgpr_count:     256
    .vgpr_spill_count: 34
    .wavefront_size: 32
  - .args:
      - .offset:         0
        .size:           4
        .value_kind:     by_value
      - .offset:         4
        .size:           4
        .value_kind:     by_value
      - .address_space:  global
        .offset:         8
        .size:           8
        .value_kind:     global_buffer
      - .offset:         16
        .size:           8
        .value_kind:     by_value
      - .address_space:  global
        .offset:         24
        .size:           8
        .value_kind:     global_buffer
      - .offset:         32
        .size:           8
        .value_kind:     by_value
      - .offset:         40
        .size:           4
        .value_kind:     by_value
      - .offset:         48
        .size:           8
        .value_kind:     by_value
      - .address_space:  global
        .offset:         56
        .size:           8
        .value_kind:     global_buffer
      - .offset:         64
        .size:           8
        .value_kind:     by_value
      - .offset:         72
        .size:           4
        .value_kind:     by_value
      - .offset:         80
        .size:           8
        .value_kind:     by_value
      - .address_space:  global
        .offset:         88
        .size:           8
        .value_kind:     global_buffer
      - .offset:         96
        .size:           8
        .value_kind:     by_value
      - .address_space:  global
        .offset:         104
        .size:           8
        .value_kind:     global_buffer
      - .offset:         112
        .size:           8
        .value_kind:     by_value
      - .offset:         120
        .size:           4
        .value_kind:     by_value
      - .offset:         128
        .size:           8
        .value_kind:     by_value
      - .offset:         136
        .size:           4
        .value_kind:     by_value
    .group_segment_fixed_size: 2048
    .kernarg_segment_align: 8
    .kernarg_segment_size: 140
    .language:       OpenCL C
    .language_version:
      - 2
      - 0
    .max_flat_workgroup_size: 256
    .name:           _ZL20rocblas_gemvt_kernelILb1ELi256EPKdS1_KPdEviiT2_lPKT1_lilS7_lilS4_lPT3_lili
    .private_segment_fixed_size: 0
    .sgpr_count:     50
    .sgpr_spill_count: 0
    .symbol:         _ZL20rocblas_gemvt_kernelILb1ELi256EPKdS1_KPdEviiT2_lPKT1_lilS7_lilS4_lPT3_lili.kd
    .uniform_work_group_size: 1
    .uses_dynamic_stack: false
    .vgpr_count:     28
    .vgpr_spill_count: 0
    .wavefront_size: 32
  - .args:
      - .offset:         0
        .size:           4
        .value_kind:     by_value
      - .offset:         4
        .size:           4
        .value_kind:     by_value
      - .offset:         8
        .size:           8
        .value_kind:     by_value
      - .offset:         16
        .size:           8
        .value_kind:     by_value
      - .address_space:  global
        .offset:         24
        .size:           8
        .value_kind:     global_buffer
      - .offset:         32
        .size:           8
        .value_kind:     by_value
      - .offset:         40
        .size:           4
        .value_kind:     by_value
      - .offset:         48
        .size:           8
        .value_kind:     by_value
      - .address_space:  global
        .offset:         56
        .size:           8
        .value_kind:     global_buffer
      - .offset:         64
        .size:           8
        .value_kind:     by_value
      - .offset:         72
        .size:           4
        .value_kind:     by_value
      - .offset:         80
        .size:           8
        .value_kind:     by_value
      - .offset:         88
        .size:           8
        .value_kind:     by_value
      - .offset:         96
        .size:           8
        .value_kind:     by_value
      - .address_space:  global
        .offset:         104
        .size:           8
        .value_kind:     global_buffer
      - .offset:         112
        .size:           8
        .value_kind:     by_value
      - .offset:         120
        .size:           4
        .value_kind:     by_value
      - .offset:         128
        .size:           8
        .value_kind:     by_value
      - .offset:         136
        .size:           4
        .value_kind:     by_value
    .group_segment_fixed_size: 2048
    .kernarg_segment_align: 8
    .kernarg_segment_size: 140
    .language:       OpenCL C
    .language_version:
      - 2
      - 0
    .max_flat_workgroup_size: 256
    .name:           _ZL20rocblas_gemvt_kernelILb1ELi256EPKddKPdEviiT2_lPKT1_lilS7_lilS4_lPT3_lili
    .private_segment_fixed_size: 0
    .sgpr_count:     46
    .sgpr_spill_count: 0
    .symbol:         _ZL20rocblas_gemvt_kernelILb1ELi256EPKddKPdEviiT2_lPKT1_lilS7_lilS4_lPT3_lili.kd
    .uniform_work_group_size: 1
    .uses_dynamic_stack: false
    .vgpr_count:     24
    .vgpr_spill_count: 0
    .wavefront_size: 32
  - .args:
      - .offset:         0
        .size:           4
        .value_kind:     by_value
      - .offset:         4
        .size:           4
        .value_kind:     by_value
      - .address_space:  global
        .offset:         8
        .size:           8
        .value_kind:     global_buffer
      - .offset:         16
        .size:           8
        .value_kind:     by_value
      - .address_space:  global
        .offset:         24
        .size:           8
        .value_kind:     global_buffer
      - .offset:         32
        .size:           8
        .value_kind:     by_value
      - .offset:         40
        .size:           4
        .value_kind:     by_value
      - .offset:         48
        .size:           8
        .value_kind:     by_value
      - .address_space:  global
        .offset:         56
        .size:           8
        .value_kind:     global_buffer
      - .offset:         64
        .size:           8
        .value_kind:     by_value
      - .offset:         72
        .size:           4
        .value_kind:     by_value
      - .offset:         80
        .size:           8
        .value_kind:     by_value
      - .address_space:  global
        .offset:         88
        .size:           8
        .value_kind:     global_buffer
      - .offset:         96
        .size:           8
        .value_kind:     by_value
      - .address_space:  global
        .offset:         104
        .size:           8
        .value_kind:     global_buffer
      - .offset:         112
        .size:           8
        .value_kind:     by_value
      - .offset:         120
        .size:           4
        .value_kind:     by_value
      - .offset:         128
        .size:           8
        .value_kind:     by_value
      - .offset:         136
        .size:           4
        .value_kind:     by_value
    .group_segment_fixed_size: 256
    .kernarg_segment_align: 8
    .kernarg_segment_size: 140
    .language:       OpenCL C
    .language_version:
      - 2
      - 0
    .max_flat_workgroup_size: 1024
    .name:           _ZL32rocblas_gemvt_warp_reduce_kernelILb1ELi1024EiPKdS1_KPdEviiT3_lPKT2_lT1_lS7_lS8_lS4_lPT4_lS8_li
    .private_segment_fixed_size: 0
    .sgpr_count:     44
    .sgpr_spill_count: 0
    .symbol:         _ZL32rocblas_gemvt_warp_reduce_kernelILb1ELi1024EiPKdS1_KPdEviiT3_lPKT2_lT1_lS7_lS8_lS4_lPT4_lS8_li.kd
    .uniform_work_group_size: 1
    .uses_dynamic_stack: false
    .vgpr_count:     32
    .vgpr_spill_count: 0
    .wavefront_size: 32
  - .args:
      - .offset:         0
        .size:           4
        .value_kind:     by_value
      - .offset:         4
        .size:           4
        .value_kind:     by_value
      - .address_space:  global
        .offset:         8
        .size:           8
        .value_kind:     global_buffer
      - .offset:         16
        .size:           8
        .value_kind:     by_value
      - .address_space:  global
        .offset:         24
        .size:           8
        .value_kind:     global_buffer
      - .offset:         32
        .size:           8
        .value_kind:     by_value
      - .offset:         40
        .size:           8
        .value_kind:     by_value
      - .offset:         48
        .size:           8
        .value_kind:     by_value
      - .address_space:  global
        .offset:         56
        .size:           8
        .value_kind:     global_buffer
      - .offset:         64
        .size:           8
        .value_kind:     by_value
      - .offset:         72
        .size:           8
        .value_kind:     by_value
      - .offset:         80
        .size:           8
        .value_kind:     by_value
      - .address_space:  global
        .offset:         88
        .size:           8
        .value_kind:     global_buffer
      - .offset:         96
        .size:           8
        .value_kind:     by_value
      - .address_space:  global
        .offset:         104
        .size:           8
        .value_kind:     global_buffer
      - .offset:         112
        .size:           8
        .value_kind:     by_value
      - .offset:         120
        .size:           8
        .value_kind:     by_value
      - .offset:         128
        .size:           8
        .value_kind:     by_value
      - .offset:         136
        .size:           4
        .value_kind:     by_value
    .group_segment_fixed_size: 256
    .kernarg_segment_align: 8
    .kernarg_segment_size: 140
    .language:       OpenCL C
    .language_version:
      - 2
      - 0
    .max_flat_workgroup_size: 1024
    .name:           _ZL32rocblas_gemvt_warp_reduce_kernelILb1ELi1024ElPKdS1_KPdEviiT3_lPKT2_lT1_lS7_lS8_lS4_lPT4_lS8_li
    .private_segment_fixed_size: 0
    .sgpr_count:     46
    .sgpr_spill_count: 0
    .symbol:         _ZL32rocblas_gemvt_warp_reduce_kernelILb1ELi1024ElPKdS1_KPdEviiT3_lPKT2_lT1_lS7_lS8_lS4_lPT4_lS8_li.kd
    .uniform_work_group_size: 1
    .uses_dynamic_stack: false
    .vgpr_count:     34
    .vgpr_spill_count: 0
    .wavefront_size: 32
  - .args:
      - .offset:         0
        .size:           4
        .value_kind:     by_value
      - .offset:         4
        .size:           4
        .value_kind:     by_value
      - .offset:         8
        .size:           8
        .value_kind:     by_value
      - .offset:         16
        .size:           8
        .value_kind:     by_value
      - .address_space:  global
        .offset:         24
        .size:           8
        .value_kind:     global_buffer
      - .offset:         32
        .size:           8
        .value_kind:     by_value
      - .offset:         40
        .size:           4
        .value_kind:     by_value
      - .offset:         48
        .size:           8
        .value_kind:     by_value
      - .address_space:  global
        .offset:         56
        .size:           8
        .value_kind:     global_buffer
      - .offset:         64
        .size:           8
        .value_kind:     by_value
      - .offset:         72
        .size:           4
        .value_kind:     by_value
      - .offset:         80
        .size:           8
        .value_kind:     by_value
      - .offset:         88
        .size:           8
        .value_kind:     by_value
      - .offset:         96
        .size:           8
        .value_kind:     by_value
      - .address_space:  global
        .offset:         104
        .size:           8
        .value_kind:     global_buffer
      - .offset:         112
        .size:           8
        .value_kind:     by_value
      - .offset:         120
        .size:           4
        .value_kind:     by_value
      - .offset:         128
        .size:           8
        .value_kind:     by_value
      - .offset:         136
        .size:           4
        .value_kind:     by_value
    .group_segment_fixed_size: 256
    .kernarg_segment_align: 8
    .kernarg_segment_size: 140
    .language:       OpenCL C
    .language_version:
      - 2
      - 0
    .max_flat_workgroup_size: 1024
    .name:           _ZL32rocblas_gemvt_warp_reduce_kernelILb1ELi1024EiPKddKPdEviiT3_lPKT2_lT1_lS7_lS8_lS4_lPT4_lS8_li
    .private_segment_fixed_size: 0
    .sgpr_count:     42
    .sgpr_spill_count: 0
    .symbol:         _ZL32rocblas_gemvt_warp_reduce_kernelILb1ELi1024EiPKddKPdEviiT3_lPKT2_lT1_lS7_lS8_lS4_lPT4_lS8_li.kd
    .uniform_work_group_size: 1
    .uses_dynamic_stack: false
    .vgpr_count:     30
    .vgpr_spill_count: 0
    .wavefront_size: 32
  - .args:
      - .offset:         0
        .size:           4
        .value_kind:     by_value
      - .offset:         4
        .size:           4
        .value_kind:     by_value
      - .offset:         8
        .size:           8
        .value_kind:     by_value
      - .offset:         16
        .size:           8
        .value_kind:     by_value
      - .address_space:  global
        .offset:         24
        .size:           8
        .value_kind:     global_buffer
      - .offset:         32
        .size:           8
        .value_kind:     by_value
      - .offset:         40
        .size:           8
        .value_kind:     by_value
      - .offset:         48
        .size:           8
        .value_kind:     by_value
      - .address_space:  global
        .offset:         56
        .size:           8
        .value_kind:     global_buffer
      - .offset:         64
        .size:           8
        .value_kind:     by_value
      - .offset:         72
        .size:           8
        .value_kind:     by_value
      - .offset:         80
        .size:           8
        .value_kind:     by_value
      - .offset:         88
        .size:           8
        .value_kind:     by_value
      - .offset:         96
        .size:           8
        .value_kind:     by_value
      - .address_space:  global
        .offset:         104
        .size:           8
        .value_kind:     global_buffer
      - .offset:         112
        .size:           8
        .value_kind:     by_value
      - .offset:         120
        .size:           8
        .value_kind:     by_value
      - .offset:         128
        .size:           8
        .value_kind:     by_value
      - .offset:         136
        .size:           4
        .value_kind:     by_value
    .group_segment_fixed_size: 256
    .kernarg_segment_align: 8
    .kernarg_segment_size: 140
    .language:       OpenCL C
    .language_version:
      - 2
      - 0
    .max_flat_workgroup_size: 1024
    .name:           _ZL32rocblas_gemvt_warp_reduce_kernelILb1ELi1024ElPKddKPdEviiT3_lPKT2_lT1_lS7_lS8_lS4_lPT4_lS8_li
    .private_segment_fixed_size: 0
    .sgpr_count:     41
    .sgpr_spill_count: 0
    .symbol:         _ZL32rocblas_gemvt_warp_reduce_kernelILb1ELi1024ElPKddKPdEviiT3_lPKT2_lT1_lS7_lS8_lS4_lPT4_lS8_li.kd
    .uniform_work_group_size: 1
    .uses_dynamic_stack: false
    .vgpr_count:     32
    .vgpr_spill_count: 0
    .wavefront_size: 32
  - .args:
      - .offset:         0
        .size:           4
        .value_kind:     by_value
      - .offset:         4
        .size:           4
        .value_kind:     by_value
      - .address_space:  global
        .offset:         8
        .size:           8
        .value_kind:     global_buffer
      - .offset:         16
        .size:           8
        .value_kind:     by_value
      - .address_space:  global
        .offset:         24
        .size:           8
        .value_kind:     global_buffer
      - .offset:         32
        .size:           8
        .value_kind:     by_value
      - .offset:         40
        .size:           4
        .value_kind:     by_value
      - .offset:         48
        .size:           8
        .value_kind:     by_value
      - .address_space:  global
        .offset:         56
        .size:           8
        .value_kind:     global_buffer
      - .offset:         64
        .size:           8
        .value_kind:     by_value
      - .offset:         72
        .size:           4
        .value_kind:     by_value
      - .offset:         80
        .size:           8
        .value_kind:     by_value
      - .address_space:  global
        .offset:         88
        .size:           8
        .value_kind:     global_buffer
      - .offset:         96
        .size:           8
        .value_kind:     by_value
      - .address_space:  global
        .offset:         104
        .size:           8
        .value_kind:     global_buffer
      - .offset:         112
        .size:           8
        .value_kind:     by_value
      - .offset:         120
        .size:           4
        .value_kind:     by_value
      - .offset:         128
        .size:           8
        .value_kind:     by_value
      - .offset:         136
        .size:           4
        .value_kind:     by_value
    .group_segment_fixed_size: 0
    .kernarg_segment_align: 8
    .kernarg_segment_size: 140
    .language:       OpenCL C
    .language_version:
      - 2
      - 0
    .max_flat_workgroup_size: 768
    .name:           _ZL34rocblas_gemvn_sm_mn_batched_kernelILi32ELi24EPK19rocblas_complex_numIfES3_KPS1_EviiT2_lPKT1_lilS9_lilS6_lPT3_lili
    .private_segment_fixed_size: 0
    .sgpr_count:     0
    .sgpr_spill_count: 0
    .symbol:         _ZL34rocblas_gemvn_sm_mn_batched_kernelILi32ELi24EPK19rocblas_complex_numIfES3_KPS1_EviiT2_lPKT1_lilS9_lilS6_lPT3_lili.kd
    .uniform_work_group_size: 1
    .uses_dynamic_stack: false
    .vgpr_count:     0
    .vgpr_spill_count: 0
    .wavefront_size: 32
  - .args:
      - .offset:         0
        .size:           4
        .value_kind:     by_value
      - .offset:         4
        .size:           4
        .value_kind:     by_value
      - .offset:         8
        .size:           8
        .value_kind:     by_value
      - .offset:         16
        .size:           8
        .value_kind:     by_value
      - .address_space:  global
        .offset:         24
        .size:           8
        .value_kind:     global_buffer
      - .offset:         32
        .size:           8
        .value_kind:     by_value
      - .offset:         40
        .size:           4
        .value_kind:     by_value
      - .offset:         48
        .size:           8
        .value_kind:     by_value
      - .address_space:  global
        .offset:         56
        .size:           8
        .value_kind:     global_buffer
      - .offset:         64
        .size:           8
        .value_kind:     by_value
      - .offset:         72
        .size:           4
        .value_kind:     by_value
      - .offset:         80
        .size:           8
        .value_kind:     by_value
      - .offset:         88
        .size:           8
        .value_kind:     by_value
      - .offset:         96
        .size:           8
        .value_kind:     by_value
      - .address_space:  global
        .offset:         104
        .size:           8
        .value_kind:     global_buffer
      - .offset:         112
        .size:           8
        .value_kind:     by_value
      - .offset:         120
        .size:           4
        .value_kind:     by_value
      - .offset:         128
        .size:           8
        .value_kind:     by_value
      - .offset:         136
        .size:           4
        .value_kind:     by_value
    .group_segment_fixed_size: 0
    .kernarg_segment_align: 8
    .kernarg_segment_size: 140
    .language:       OpenCL C
    .language_version:
      - 2
      - 0
    .max_flat_workgroup_size: 768
    .name:           _ZL34rocblas_gemvn_sm_mn_batched_kernelILi32ELi24EPK19rocblas_complex_numIfES1_KPS1_EviiT2_lPKT1_lilS9_lilS6_lPT3_lili
    .private_segment_fixed_size: 0
    .sgpr_count:     0
    .sgpr_spill_count: 0
    .symbol:         _ZL34rocblas_gemvn_sm_mn_batched_kernelILi32ELi24EPK19rocblas_complex_numIfES1_KPS1_EviiT2_lPKT1_lilS9_lilS6_lPT3_lili.kd
    .uniform_work_group_size: 1
    .uses_dynamic_stack: false
    .vgpr_count:     0
    .vgpr_spill_count: 0
    .wavefront_size: 32
  - .args:
      - .offset:         0
        .size:           4
        .value_kind:     by_value
      - .offset:         4
        .size:           4
        .value_kind:     by_value
      - .address_space:  global
        .offset:         8
        .size:           8
        .value_kind:     global_buffer
      - .offset:         16
        .size:           8
        .value_kind:     by_value
      - .address_space:  global
        .offset:         24
        .size:           8
        .value_kind:     global_buffer
      - .offset:         32
        .size:           8
        .value_kind:     by_value
      - .offset:         40
        .size:           4
        .value_kind:     by_value
      - .offset:         48
        .size:           8
        .value_kind:     by_value
      - .address_space:  global
        .offset:         56
        .size:           8
        .value_kind:     global_buffer
      - .offset:         64
        .size:           8
        .value_kind:     by_value
      - .offset:         72
        .size:           4
        .value_kind:     by_value
      - .offset:         80
        .size:           8
        .value_kind:     by_value
      - .address_space:  global
        .offset:         88
        .size:           8
        .value_kind:     global_buffer
      - .offset:         96
        .size:           8
        .value_kind:     by_value
      - .address_space:  global
        .offset:         104
        .size:           8
        .value_kind:     global_buffer
      - .offset:         112
        .size:           8
        .value_kind:     by_value
      - .offset:         120
        .size:           4
        .value_kind:     by_value
      - .offset:         128
        .size:           8
        .value_kind:     by_value
      - .offset:         136
        .size:           4
        .value_kind:     by_value
      - .offset:         144
        .size:           4
        .value_kind:     hidden_block_count_x
      - .offset:         148
        .size:           4
        .value_kind:     hidden_block_count_y
      - .offset:         152
        .size:           4
        .value_kind:     hidden_block_count_z
      - .offset:         156
        .size:           2
        .value_kind:     hidden_group_size_x
      - .offset:         158
        .size:           2
        .value_kind:     hidden_group_size_y
      - .offset:         160
        .size:           2
        .value_kind:     hidden_group_size_z
      - .offset:         162
        .size:           2
        .value_kind:     hidden_remainder_x
      - .offset:         164
        .size:           2
        .value_kind:     hidden_remainder_y
      - .offset:         166
        .size:           2
        .value_kind:     hidden_remainder_z
      - .offset:         184
        .size:           8
        .value_kind:     hidden_global_offset_x
      - .offset:         192
        .size:           8
        .value_kind:     hidden_global_offset_y
      - .offset:         200
        .size:           8
        .value_kind:     hidden_global_offset_z
      - .offset:         208
        .size:           2
        .value_kind:     hidden_grid_dims
    .group_segment_fixed_size: 8192
    .kernarg_segment_align: 8
    .kernarg_segment_size: 400
    .language:       OpenCL C
    .language_version:
      - 2
      - 0
    .max_flat_workgroup_size: 256
    .name:           _ZL20rocblas_gemvn_kernelILi64ELi4EiPK19rocblas_complex_numIfES3_KPS1_EviiT3_lPKT2_lT1_lS9_lSA_lS6_lPT4_lSA_li
    .private_segment_fixed_size: 0
    .sgpr_count:     52
    .sgpr_spill_count: 0
    .symbol:         _ZL20rocblas_gemvn_kernelILi64ELi4EiPK19rocblas_complex_numIfES3_KPS1_EviiT3_lPKT2_lT1_lS9_lSA_lS6_lPT4_lSA_li.kd
    .uniform_work_group_size: 1
    .uses_dynamic_stack: false
    .vgpr_count:     90
    .vgpr_spill_count: 0
    .wavefront_size: 32
  - .args:
      - .offset:         0
        .size:           4
        .value_kind:     by_value
      - .offset:         4
        .size:           4
        .value_kind:     by_value
      - .address_space:  global
        .offset:         8
        .size:           8
        .value_kind:     global_buffer
      - .offset:         16
        .size:           8
        .value_kind:     by_value
      - .address_space:  global
        .offset:         24
        .size:           8
        .value_kind:     global_buffer
      - .offset:         32
        .size:           8
        .value_kind:     by_value
      - .offset:         40
        .size:           8
        .value_kind:     by_value
      - .offset:         48
        .size:           8
        .value_kind:     by_value
      - .address_space:  global
        .offset:         56
        .size:           8
        .value_kind:     global_buffer
      - .offset:         64
        .size:           8
        .value_kind:     by_value
      - .offset:         72
        .size:           8
        .value_kind:     by_value
      - .offset:         80
        .size:           8
        .value_kind:     by_value
      - .address_space:  global
        .offset:         88
        .size:           8
        .value_kind:     global_buffer
      - .offset:         96
        .size:           8
        .value_kind:     by_value
      - .address_space:  global
        .offset:         104
        .size:           8
        .value_kind:     global_buffer
      - .offset:         112
        .size:           8
        .value_kind:     by_value
      - .offset:         120
        .size:           8
        .value_kind:     by_value
      - .offset:         128
        .size:           8
        .value_kind:     by_value
      - .offset:         136
        .size:           4
        .value_kind:     by_value
      - .offset:         144
        .size:           4
        .value_kind:     hidden_block_count_x
      - .offset:         148
        .size:           4
        .value_kind:     hidden_block_count_y
      - .offset:         152
        .size:           4
        .value_kind:     hidden_block_count_z
      - .offset:         156
        .size:           2
        .value_kind:     hidden_group_size_x
      - .offset:         158
        .size:           2
        .value_kind:     hidden_group_size_y
      - .offset:         160
        .size:           2
        .value_kind:     hidden_group_size_z
      - .offset:         162
        .size:           2
        .value_kind:     hidden_remainder_x
      - .offset:         164
        .size:           2
        .value_kind:     hidden_remainder_y
      - .offset:         166
        .size:           2
        .value_kind:     hidden_remainder_z
      - .offset:         184
        .size:           8
        .value_kind:     hidden_global_offset_x
      - .offset:         192
        .size:           8
        .value_kind:     hidden_global_offset_y
      - .offset:         200
        .size:           8
        .value_kind:     hidden_global_offset_z
      - .offset:         208
        .size:           2
        .value_kind:     hidden_grid_dims
    .group_segment_fixed_size: 8192
    .kernarg_segment_align: 8
    .kernarg_segment_size: 400
    .language:       OpenCL C
    .language_version:
      - 2
      - 0
    .max_flat_workgroup_size: 256
    .name:           _ZL20rocblas_gemvn_kernelILi64ELi4ElPK19rocblas_complex_numIfES3_KPS1_EviiT3_lPKT2_lT1_lS9_lSA_lS6_lPT4_lSA_li
    .private_segment_fixed_size: 0
    .sgpr_count:     53
    .sgpr_spill_count: 0
    .symbol:         _ZL20rocblas_gemvn_kernelILi64ELi4ElPK19rocblas_complex_numIfES3_KPS1_EviiT3_lPKT2_lT1_lS9_lSA_lS6_lPT4_lSA_li.kd
    .uniform_work_group_size: 1
    .uses_dynamic_stack: false
    .vgpr_count:     106
    .vgpr_spill_count: 0
    .wavefront_size: 32
  - .args:
      - .offset:         0
        .size:           4
        .value_kind:     by_value
      - .offset:         4
        .size:           4
        .value_kind:     by_value
      - .offset:         8
        .size:           8
        .value_kind:     by_value
      - .offset:         16
        .size:           8
        .value_kind:     by_value
      - .address_space:  global
        .offset:         24
        .size:           8
        .value_kind:     global_buffer
      - .offset:         32
        .size:           8
        .value_kind:     by_value
      - .offset:         40
        .size:           4
        .value_kind:     by_value
      - .offset:         48
        .size:           8
        .value_kind:     by_value
      - .address_space:  global
        .offset:         56
        .size:           8
        .value_kind:     global_buffer
      - .offset:         64
        .size:           8
        .value_kind:     by_value
      - .offset:         72
        .size:           4
        .value_kind:     by_value
      - .offset:         80
        .size:           8
        .value_kind:     by_value
      - .offset:         88
        .size:           8
        .value_kind:     by_value
      - .offset:         96
        .size:           8
        .value_kind:     by_value
      - .address_space:  global
        .offset:         104
        .size:           8
        .value_kind:     global_buffer
      - .offset:         112
        .size:           8
        .value_kind:     by_value
      - .offset:         120
        .size:           4
        .value_kind:     by_value
      - .offset:         128
        .size:           8
        .value_kind:     by_value
      - .offset:         136
        .size:           4
        .value_kind:     by_value
      - .offset:         144
        .size:           4
        .value_kind:     hidden_block_count_x
      - .offset:         148
        .size:           4
        .value_kind:     hidden_block_count_y
      - .offset:         152
        .size:           4
        .value_kind:     hidden_block_count_z
      - .offset:         156
        .size:           2
        .value_kind:     hidden_group_size_x
      - .offset:         158
        .size:           2
        .value_kind:     hidden_group_size_y
      - .offset:         160
        .size:           2
        .value_kind:     hidden_group_size_z
      - .offset:         162
        .size:           2
        .value_kind:     hidden_remainder_x
      - .offset:         164
        .size:           2
        .value_kind:     hidden_remainder_y
      - .offset:         166
        .size:           2
        .value_kind:     hidden_remainder_z
      - .offset:         184
        .size:           8
        .value_kind:     hidden_global_offset_x
      - .offset:         192
        .size:           8
        .value_kind:     hidden_global_offset_y
      - .offset:         200
        .size:           8
        .value_kind:     hidden_global_offset_z
      - .offset:         208
        .size:           2
        .value_kind:     hidden_grid_dims
    .group_segment_fixed_size: 8192
    .kernarg_segment_align: 8
    .kernarg_segment_size: 400
    .language:       OpenCL C
    .language_version:
      - 2
      - 0
    .max_flat_workgroup_size: 256
    .name:           _ZL20rocblas_gemvn_kernelILi64ELi4EiPK19rocblas_complex_numIfES1_KPS1_EviiT3_lPKT2_lT1_lS9_lSA_lS6_lPT4_lSA_li
    .private_segment_fixed_size: 0
    .sgpr_count:     54
    .sgpr_spill_count: 0
    .symbol:         _ZL20rocblas_gemvn_kernelILi64ELi4EiPK19rocblas_complex_numIfES1_KPS1_EviiT3_lPKT2_lT1_lS9_lSA_lS6_lPT4_lSA_li.kd
    .uniform_work_group_size: 1
    .uses_dynamic_stack: false
    .vgpr_count:     88
    .vgpr_spill_count: 0
    .wavefront_size: 32
  - .args:
      - .offset:         0
        .size:           4
        .value_kind:     by_value
      - .offset:         4
        .size:           4
        .value_kind:     by_value
      - .offset:         8
        .size:           8
        .value_kind:     by_value
      - .offset:         16
        .size:           8
        .value_kind:     by_value
      - .address_space:  global
        .offset:         24
        .size:           8
        .value_kind:     global_buffer
      - .offset:         32
        .size:           8
        .value_kind:     by_value
      - .offset:         40
        .size:           8
        .value_kind:     by_value
      - .offset:         48
        .size:           8
        .value_kind:     by_value
      - .address_space:  global
        .offset:         56
        .size:           8
        .value_kind:     global_buffer
      - .offset:         64
        .size:           8
        .value_kind:     by_value
      - .offset:         72
        .size:           8
        .value_kind:     by_value
      - .offset:         80
        .size:           8
        .value_kind:     by_value
      - .offset:         88
        .size:           8
        .value_kind:     by_value
      - .offset:         96
        .size:           8
        .value_kind:     by_value
      - .address_space:  global
        .offset:         104
        .size:           8
        .value_kind:     global_buffer
      - .offset:         112
        .size:           8
        .value_kind:     by_value
      - .offset:         120
        .size:           8
        .value_kind:     by_value
      - .offset:         128
        .size:           8
        .value_kind:     by_value
      - .offset:         136
        .size:           4
        .value_kind:     by_value
      - .offset:         144
        .size:           4
        .value_kind:     hidden_block_count_x
      - .offset:         148
        .size:           4
        .value_kind:     hidden_block_count_y
      - .offset:         152
        .size:           4
        .value_kind:     hidden_block_count_z
      - .offset:         156
        .size:           2
        .value_kind:     hidden_group_size_x
      - .offset:         158
        .size:           2
        .value_kind:     hidden_group_size_y
      - .offset:         160
        .size:           2
        .value_kind:     hidden_group_size_z
      - .offset:         162
        .size:           2
        .value_kind:     hidden_remainder_x
      - .offset:         164
        .size:           2
        .value_kind:     hidden_remainder_y
      - .offset:         166
        .size:           2
        .value_kind:     hidden_remainder_z
      - .offset:         184
        .size:           8
        .value_kind:     hidden_global_offset_x
      - .offset:         192
        .size:           8
        .value_kind:     hidden_global_offset_y
      - .offset:         200
        .size:           8
        .value_kind:     hidden_global_offset_z
      - .offset:         208
        .size:           2
        .value_kind:     hidden_grid_dims
    .group_segment_fixed_size: 8192
    .kernarg_segment_align: 8
    .kernarg_segment_size: 400
    .language:       OpenCL C
    .language_version:
      - 2
      - 0
    .max_flat_workgroup_size: 256
    .name:           _ZL20rocblas_gemvn_kernelILi64ELi4ElPK19rocblas_complex_numIfES1_KPS1_EviiT3_lPKT2_lT1_lS9_lSA_lS6_lPT4_lSA_li
    .private_segment_fixed_size: 0
    .sgpr_count:     55
    .sgpr_spill_count: 0
    .symbol:         _ZL20rocblas_gemvn_kernelILi64ELi4ElPK19rocblas_complex_numIfES1_KPS1_EviiT3_lPKT2_lT1_lS9_lSA_lS6_lPT4_lSA_li.kd
    .uniform_work_group_size: 1
    .uses_dynamic_stack: false
    .vgpr_count:     104
    .vgpr_spill_count: 0
    .wavefront_size: 32
  - .args:
      - .offset:         0
        .size:           4
        .value_kind:     by_value
      - .offset:         4
        .size:           4
        .value_kind:     by_value
      - .address_space:  global
        .offset:         8
        .size:           8
        .value_kind:     global_buffer
      - .offset:         16
        .size:           8
        .value_kind:     by_value
      - .address_space:  global
        .offset:         24
        .size:           8
        .value_kind:     global_buffer
      - .offset:         32
        .size:           8
        .value_kind:     by_value
      - .offset:         40
        .size:           4
        .value_kind:     by_value
      - .offset:         48
        .size:           8
        .value_kind:     by_value
      - .address_space:  global
        .offset:         56
        .size:           8
        .value_kind:     global_buffer
      - .offset:         64
        .size:           8
        .value_kind:     by_value
      - .offset:         72
        .size:           4
        .value_kind:     by_value
      - .offset:         80
        .size:           8
        .value_kind:     by_value
      - .address_space:  global
        .offset:         88
        .size:           8
        .value_kind:     global_buffer
      - .offset:         96
        .size:           8
        .value_kind:     by_value
      - .address_space:  global
        .offset:         104
        .size:           8
        .value_kind:     global_buffer
      - .offset:         112
        .size:           8
        .value_kind:     by_value
      - .offset:         120
        .size:           4
        .value_kind:     by_value
      - .offset:         128
        .size:           8
        .value_kind:     by_value
      - .offset:         136
        .size:           4
        .value_kind:     by_value
      - .offset:         144
        .size:           4
        .value_kind:     hidden_block_count_x
      - .offset:         148
        .size:           4
        .value_kind:     hidden_block_count_y
      - .offset:         152
        .size:           4
        .value_kind:     hidden_block_count_z
      - .offset:         156
        .size:           2
        .value_kind:     hidden_group_size_x
      - .offset:         158
        .size:           2
        .value_kind:     hidden_group_size_y
      - .offset:         160
        .size:           2
        .value_kind:     hidden_group_size_z
      - .offset:         162
        .size:           2
        .value_kind:     hidden_remainder_x
      - .offset:         164
        .size:           2
        .value_kind:     hidden_remainder_y
      - .offset:         166
        .size:           2
        .value_kind:     hidden_remainder_z
      - .offset:         184
        .size:           8
        .value_kind:     hidden_global_offset_x
      - .offset:         192
        .size:           8
        .value_kind:     hidden_global_offset_y
      - .offset:         200
        .size:           8
        .value_kind:     hidden_global_offset_z
      - .offset:         208
        .size:           2
        .value_kind:     hidden_grid_dims
    .group_segment_fixed_size: 16384
    .kernarg_segment_align: 8
    .kernarg_segment_size: 400
    .language:       OpenCL C
    .language_version:
      - 2
      - 0
    .max_flat_workgroup_size: 512
    .name:           _ZL20rocblas_gemvn_kernelILi32ELi16EiPK19rocblas_complex_numIfES3_KPS1_EviiT3_lPKT2_lT1_lS9_lSA_lS6_lPT4_lSA_li
    .private_segment_fixed_size: 0
    .sgpr_count:     52
    .sgpr_spill_count: 0
    .symbol:         _ZL20rocblas_gemvn_kernelILi32ELi16EiPK19rocblas_complex_numIfES3_KPS1_EviiT3_lPKT2_lT1_lS9_lSA_lS6_lPT4_lSA_li.kd
    .uniform_work_group_size: 1
    .uses_dynamic_stack: false
    .vgpr_count:     90
    .vgpr_spill_count: 0
    .wavefront_size: 32
  - .args:
      - .offset:         0
        .size:           4
        .value_kind:     by_value
      - .offset:         4
        .size:           4
        .value_kind:     by_value
      - .address_space:  global
        .offset:         8
        .size:           8
        .value_kind:     global_buffer
      - .offset:         16
        .size:           8
        .value_kind:     by_value
      - .address_space:  global
        .offset:         24
        .size:           8
        .value_kind:     global_buffer
      - .offset:         32
        .size:           8
        .value_kind:     by_value
      - .offset:         40
        .size:           8
        .value_kind:     by_value
      - .offset:         48
        .size:           8
        .value_kind:     by_value
      - .address_space:  global
        .offset:         56
        .size:           8
        .value_kind:     global_buffer
      - .offset:         64
        .size:           8
        .value_kind:     by_value
      - .offset:         72
        .size:           8
        .value_kind:     by_value
      - .offset:         80
        .size:           8
        .value_kind:     by_value
      - .address_space:  global
        .offset:         88
        .size:           8
        .value_kind:     global_buffer
      - .offset:         96
        .size:           8
        .value_kind:     by_value
      - .address_space:  global
        .offset:         104
        .size:           8
        .value_kind:     global_buffer
      - .offset:         112
        .size:           8
        .value_kind:     by_value
      - .offset:         120
        .size:           8
        .value_kind:     by_value
      - .offset:         128
        .size:           8
        .value_kind:     by_value
      - .offset:         136
        .size:           4
        .value_kind:     by_value
      - .offset:         144
        .size:           4
        .value_kind:     hidden_block_count_x
      - .offset:         148
        .size:           4
        .value_kind:     hidden_block_count_y
      - .offset:         152
        .size:           4
        .value_kind:     hidden_block_count_z
      - .offset:         156
        .size:           2
        .value_kind:     hidden_group_size_x
      - .offset:         158
        .size:           2
        .value_kind:     hidden_group_size_y
      - .offset:         160
        .size:           2
        .value_kind:     hidden_group_size_z
      - .offset:         162
        .size:           2
        .value_kind:     hidden_remainder_x
      - .offset:         164
        .size:           2
        .value_kind:     hidden_remainder_y
      - .offset:         166
        .size:           2
        .value_kind:     hidden_remainder_z
      - .offset:         184
        .size:           8
        .value_kind:     hidden_global_offset_x
      - .offset:         192
        .size:           8
        .value_kind:     hidden_global_offset_y
      - .offset:         200
        .size:           8
        .value_kind:     hidden_global_offset_z
      - .offset:         208
        .size:           2
        .value_kind:     hidden_grid_dims
    .group_segment_fixed_size: 16384
    .kernarg_segment_align: 8
    .kernarg_segment_size: 400
    .language:       OpenCL C
    .language_version:
      - 2
      - 0
    .max_flat_workgroup_size: 512
    .name:           _ZL20rocblas_gemvn_kernelILi32ELi16ElPK19rocblas_complex_numIfES3_KPS1_EviiT3_lPKT2_lT1_lS9_lSA_lS6_lPT4_lSA_li
    .private_segment_fixed_size: 0
    .sgpr_count:     53
    .sgpr_spill_count: 0
    .symbol:         _ZL20rocblas_gemvn_kernelILi32ELi16ElPK19rocblas_complex_numIfES3_KPS1_EviiT3_lPKT2_lT1_lS9_lSA_lS6_lPT4_lSA_li.kd
    .uniform_work_group_size: 1
    .uses_dynamic_stack: false
    .vgpr_count:     106
    .vgpr_spill_count: 0
    .wavefront_size: 32
  - .args:
      - .offset:         0
        .size:           4
        .value_kind:     by_value
      - .offset:         4
        .size:           4
        .value_kind:     by_value
      - .offset:         8
        .size:           8
        .value_kind:     by_value
      - .offset:         16
        .size:           8
        .value_kind:     by_value
      - .address_space:  global
        .offset:         24
        .size:           8
        .value_kind:     global_buffer
      - .offset:         32
        .size:           8
        .value_kind:     by_value
      - .offset:         40
        .size:           4
        .value_kind:     by_value
      - .offset:         48
        .size:           8
        .value_kind:     by_value
      - .address_space:  global
        .offset:         56
        .size:           8
        .value_kind:     global_buffer
      - .offset:         64
        .size:           8
        .value_kind:     by_value
      - .offset:         72
        .size:           4
        .value_kind:     by_value
      - .offset:         80
        .size:           8
        .value_kind:     by_value
      - .offset:         88
        .size:           8
        .value_kind:     by_value
      - .offset:         96
        .size:           8
        .value_kind:     by_value
      - .address_space:  global
        .offset:         104
        .size:           8
        .value_kind:     global_buffer
      - .offset:         112
        .size:           8
        .value_kind:     by_value
      - .offset:         120
        .size:           4
        .value_kind:     by_value
      - .offset:         128
        .size:           8
        .value_kind:     by_value
      - .offset:         136
        .size:           4
        .value_kind:     by_value
      - .offset:         144
        .size:           4
        .value_kind:     hidden_block_count_x
      - .offset:         148
        .size:           4
        .value_kind:     hidden_block_count_y
      - .offset:         152
        .size:           4
        .value_kind:     hidden_block_count_z
      - .offset:         156
        .size:           2
        .value_kind:     hidden_group_size_x
      - .offset:         158
        .size:           2
        .value_kind:     hidden_group_size_y
      - .offset:         160
        .size:           2
        .value_kind:     hidden_group_size_z
      - .offset:         162
        .size:           2
        .value_kind:     hidden_remainder_x
      - .offset:         164
        .size:           2
        .value_kind:     hidden_remainder_y
      - .offset:         166
        .size:           2
        .value_kind:     hidden_remainder_z
      - .offset:         184
        .size:           8
        .value_kind:     hidden_global_offset_x
      - .offset:         192
        .size:           8
        .value_kind:     hidden_global_offset_y
      - .offset:         200
        .size:           8
        .value_kind:     hidden_global_offset_z
      - .offset:         208
        .size:           2
        .value_kind:     hidden_grid_dims
    .group_segment_fixed_size: 16384
    .kernarg_segment_align: 8
    .kernarg_segment_size: 400
    .language:       OpenCL C
    .language_version:
      - 2
      - 0
    .max_flat_workgroup_size: 512
    .name:           _ZL20rocblas_gemvn_kernelILi32ELi16EiPK19rocblas_complex_numIfES1_KPS1_EviiT3_lPKT2_lT1_lS9_lSA_lS6_lPT4_lSA_li
    .private_segment_fixed_size: 0
    .sgpr_count:     54
    .sgpr_spill_count: 0
    .symbol:         _ZL20rocblas_gemvn_kernelILi32ELi16EiPK19rocblas_complex_numIfES1_KPS1_EviiT3_lPKT2_lT1_lS9_lSA_lS6_lPT4_lSA_li.kd
    .uniform_work_group_size: 1
    .uses_dynamic_stack: false
    .vgpr_count:     88
    .vgpr_spill_count: 0
    .wavefront_size: 32
  - .args:
      - .offset:         0
        .size:           4
        .value_kind:     by_value
      - .offset:         4
        .size:           4
        .value_kind:     by_value
      - .offset:         8
        .size:           8
        .value_kind:     by_value
      - .offset:         16
        .size:           8
        .value_kind:     by_value
      - .address_space:  global
        .offset:         24
        .size:           8
        .value_kind:     global_buffer
      - .offset:         32
        .size:           8
        .value_kind:     by_value
      - .offset:         40
        .size:           8
        .value_kind:     by_value
      - .offset:         48
        .size:           8
        .value_kind:     by_value
      - .address_space:  global
        .offset:         56
        .size:           8
        .value_kind:     global_buffer
      - .offset:         64
        .size:           8
        .value_kind:     by_value
      - .offset:         72
        .size:           8
        .value_kind:     by_value
      - .offset:         80
        .size:           8
        .value_kind:     by_value
      - .offset:         88
        .size:           8
        .value_kind:     by_value
      - .offset:         96
        .size:           8
        .value_kind:     by_value
      - .address_space:  global
        .offset:         104
        .size:           8
        .value_kind:     global_buffer
      - .offset:         112
        .size:           8
        .value_kind:     by_value
      - .offset:         120
        .size:           8
        .value_kind:     by_value
      - .offset:         128
        .size:           8
        .value_kind:     by_value
      - .offset:         136
        .size:           4
        .value_kind:     by_value
      - .offset:         144
        .size:           4
        .value_kind:     hidden_block_count_x
      - .offset:         148
        .size:           4
        .value_kind:     hidden_block_count_y
      - .offset:         152
        .size:           4
        .value_kind:     hidden_block_count_z
      - .offset:         156
        .size:           2
        .value_kind:     hidden_group_size_x
      - .offset:         158
        .size:           2
        .value_kind:     hidden_group_size_y
      - .offset:         160
        .size:           2
        .value_kind:     hidden_group_size_z
      - .offset:         162
        .size:           2
        .value_kind:     hidden_remainder_x
      - .offset:         164
        .size:           2
        .value_kind:     hidden_remainder_y
      - .offset:         166
        .size:           2
        .value_kind:     hidden_remainder_z
      - .offset:         184
        .size:           8
        .value_kind:     hidden_global_offset_x
      - .offset:         192
        .size:           8
        .value_kind:     hidden_global_offset_y
      - .offset:         200
        .size:           8
        .value_kind:     hidden_global_offset_z
      - .offset:         208
        .size:           2
        .value_kind:     hidden_grid_dims
    .group_segment_fixed_size: 16384
    .kernarg_segment_align: 8
    .kernarg_segment_size: 400
    .language:       OpenCL C
    .language_version:
      - 2
      - 0
    .max_flat_workgroup_size: 512
    .name:           _ZL20rocblas_gemvn_kernelILi32ELi16ElPK19rocblas_complex_numIfES1_KPS1_EviiT3_lPKT2_lT1_lS9_lSA_lS6_lPT4_lSA_li
    .private_segment_fixed_size: 0
    .sgpr_count:     55
    .sgpr_spill_count: 0
    .symbol:         _ZL20rocblas_gemvn_kernelILi32ELi16ElPK19rocblas_complex_numIfES1_KPS1_EviiT3_lPKT2_lT1_lS9_lSA_lS6_lPT4_lSA_li.kd
    .uniform_work_group_size: 1
    .uses_dynamic_stack: false
    .vgpr_count:     104
    .vgpr_spill_count: 0
    .wavefront_size: 32
  - .args:
      - .offset:         0
        .size:           4
        .value_kind:     by_value
      - .offset:         4
        .size:           4
        .value_kind:     by_value
      - .address_space:  global
        .offset:         8
        .size:           8
        .value_kind:     global_buffer
      - .offset:         16
        .size:           8
        .value_kind:     by_value
      - .address_space:  global
        .offset:         24
        .size:           8
        .value_kind:     global_buffer
      - .offset:         32
        .size:           8
        .value_kind:     by_value
      - .offset:         40
        .size:           4
        .value_kind:     by_value
      - .offset:         48
        .size:           8
        .value_kind:     by_value
      - .address_space:  global
        .offset:         56
        .size:           8
        .value_kind:     global_buffer
      - .offset:         64
        .size:           8
        .value_kind:     by_value
      - .offset:         72
        .size:           4
        .value_kind:     by_value
      - .offset:         80
        .size:           8
        .value_kind:     by_value
      - .address_space:  global
        .offset:         88
        .size:           8
        .value_kind:     global_buffer
      - .offset:         96
        .size:           8
        .value_kind:     by_value
      - .address_space:  global
        .offset:         104
        .size:           8
        .value_kind:     global_buffer
      - .offset:         112
        .size:           8
        .value_kind:     by_value
      - .offset:         120
        .size:           4
        .value_kind:     by_value
      - .offset:         128
        .size:           8
        .value_kind:     by_value
      - .offset:         136
        .size:           4
        .value_kind:     by_value
      - .offset:         144
        .size:           4
        .value_kind:     hidden_block_count_x
      - .offset:         148
        .size:           4
        .value_kind:     hidden_block_count_y
      - .offset:         152
        .size:           4
        .value_kind:     hidden_block_count_z
      - .offset:         156
        .size:           2
        .value_kind:     hidden_group_size_x
      - .offset:         158
        .size:           2
        .value_kind:     hidden_group_size_y
      - .offset:         160
        .size:           2
        .value_kind:     hidden_group_size_z
      - .offset:         162
        .size:           2
        .value_kind:     hidden_remainder_x
      - .offset:         164
        .size:           2
        .value_kind:     hidden_remainder_y
      - .offset:         166
        .size:           2
        .value_kind:     hidden_remainder_z
      - .offset:         184
        .size:           8
        .value_kind:     hidden_global_offset_x
      - .offset:         192
        .size:           8
        .value_kind:     hidden_global_offset_y
      - .offset:         200
        .size:           8
        .value_kind:     hidden_global_offset_z
      - .offset:         208
        .size:           2
        .value_kind:     hidden_grid_dims
    .group_segment_fixed_size: 32768
    .kernarg_segment_align: 8
    .kernarg_segment_size: 400
    .language:       OpenCL C
    .language_version:
      - 2
      - 0
    .max_flat_workgroup_size: 1024
    .name:           _ZL20rocblas_gemvn_kernelILi64ELi16EiPK19rocblas_complex_numIfES3_KPS1_EviiT3_lPKT2_lT1_lS9_lSA_lS6_lPT4_lSA_li
    .private_segment_fixed_size: 0
    .sgpr_count:     52
    .sgpr_spill_count: 0
    .symbol:         _ZL20rocblas_gemvn_kernelILi64ELi16EiPK19rocblas_complex_numIfES3_KPS1_EviiT3_lPKT2_lT1_lS9_lSA_lS6_lPT4_lSA_li.kd
    .uniform_work_group_size: 1
    .uses_dynamic_stack: false
    .vgpr_count:     87
    .vgpr_spill_count: 0
    .wavefront_size: 32
  - .args:
      - .offset:         0
        .size:           4
        .value_kind:     by_value
      - .offset:         4
        .size:           4
        .value_kind:     by_value
      - .address_space:  global
        .offset:         8
        .size:           8
        .value_kind:     global_buffer
      - .offset:         16
        .size:           8
        .value_kind:     by_value
      - .address_space:  global
        .offset:         24
        .size:           8
        .value_kind:     global_buffer
      - .offset:         32
        .size:           8
        .value_kind:     by_value
      - .offset:         40
        .size:           8
        .value_kind:     by_value
      - .offset:         48
        .size:           8
        .value_kind:     by_value
      - .address_space:  global
        .offset:         56
        .size:           8
        .value_kind:     global_buffer
      - .offset:         64
        .size:           8
        .value_kind:     by_value
      - .offset:         72
        .size:           8
        .value_kind:     by_value
      - .offset:         80
        .size:           8
        .value_kind:     by_value
      - .address_space:  global
        .offset:         88
        .size:           8
        .value_kind:     global_buffer
      - .offset:         96
        .size:           8
        .value_kind:     by_value
      - .address_space:  global
        .offset:         104
        .size:           8
        .value_kind:     global_buffer
      - .offset:         112
        .size:           8
        .value_kind:     by_value
      - .offset:         120
        .size:           8
        .value_kind:     by_value
      - .offset:         128
        .size:           8
        .value_kind:     by_value
      - .offset:         136
        .size:           4
        .value_kind:     by_value
      - .offset:         144
        .size:           4
        .value_kind:     hidden_block_count_x
      - .offset:         148
        .size:           4
        .value_kind:     hidden_block_count_y
      - .offset:         152
        .size:           4
        .value_kind:     hidden_block_count_z
      - .offset:         156
        .size:           2
        .value_kind:     hidden_group_size_x
      - .offset:         158
        .size:           2
        .value_kind:     hidden_group_size_y
      - .offset:         160
        .size:           2
        .value_kind:     hidden_group_size_z
      - .offset:         162
        .size:           2
        .value_kind:     hidden_remainder_x
      - .offset:         164
        .size:           2
        .value_kind:     hidden_remainder_y
      - .offset:         166
        .size:           2
        .value_kind:     hidden_remainder_z
      - .offset:         184
        .size:           8
        .value_kind:     hidden_global_offset_x
      - .offset:         192
        .size:           8
        .value_kind:     hidden_global_offset_y
      - .offset:         200
        .size:           8
        .value_kind:     hidden_global_offset_z
      - .offset:         208
        .size:           2
        .value_kind:     hidden_grid_dims
    .group_segment_fixed_size: 32768
    .kernarg_segment_align: 8
    .kernarg_segment_size: 400
    .language:       OpenCL C
    .language_version:
      - 2
      - 0
    .max_flat_workgroup_size: 1024
    .name:           _ZL20rocblas_gemvn_kernelILi64ELi16ElPK19rocblas_complex_numIfES3_KPS1_EviiT3_lPKT2_lT1_lS9_lSA_lS6_lPT4_lSA_li
    .private_segment_fixed_size: 0
    .sgpr_count:     53
    .sgpr_spill_count: 0
    .symbol:         _ZL20rocblas_gemvn_kernelILi64ELi16ElPK19rocblas_complex_numIfES3_KPS1_EviiT3_lPKT2_lT1_lS9_lSA_lS6_lPT4_lSA_li.kd
    .uniform_work_group_size: 1
    .uses_dynamic_stack: false
    .vgpr_count:     103
    .vgpr_spill_count: 0
    .wavefront_size: 32
  - .args:
      - .offset:         0
        .size:           4
        .value_kind:     by_value
      - .offset:         4
        .size:           4
        .value_kind:     by_value
      - .offset:         8
        .size:           8
        .value_kind:     by_value
      - .offset:         16
        .size:           8
        .value_kind:     by_value
      - .address_space:  global
        .offset:         24
        .size:           8
        .value_kind:     global_buffer
      - .offset:         32
        .size:           8
        .value_kind:     by_value
      - .offset:         40
        .size:           4
        .value_kind:     by_value
      - .offset:         48
        .size:           8
        .value_kind:     by_value
      - .address_space:  global
        .offset:         56
        .size:           8
        .value_kind:     global_buffer
      - .offset:         64
        .size:           8
        .value_kind:     by_value
      - .offset:         72
        .size:           4
        .value_kind:     by_value
      - .offset:         80
        .size:           8
        .value_kind:     by_value
      - .offset:         88
        .size:           8
        .value_kind:     by_value
      - .offset:         96
        .size:           8
        .value_kind:     by_value
      - .address_space:  global
        .offset:         104
        .size:           8
        .value_kind:     global_buffer
      - .offset:         112
        .size:           8
        .value_kind:     by_value
      - .offset:         120
        .size:           4
        .value_kind:     by_value
      - .offset:         128
        .size:           8
        .value_kind:     by_value
      - .offset:         136
        .size:           4
        .value_kind:     by_value
      - .offset:         144
        .size:           4
        .value_kind:     hidden_block_count_x
      - .offset:         148
        .size:           4
        .value_kind:     hidden_block_count_y
      - .offset:         152
        .size:           4
        .value_kind:     hidden_block_count_z
      - .offset:         156
        .size:           2
        .value_kind:     hidden_group_size_x
      - .offset:         158
        .size:           2
        .value_kind:     hidden_group_size_y
      - .offset:         160
        .size:           2
        .value_kind:     hidden_group_size_z
      - .offset:         162
        .size:           2
        .value_kind:     hidden_remainder_x
      - .offset:         164
        .size:           2
        .value_kind:     hidden_remainder_y
      - .offset:         166
        .size:           2
        .value_kind:     hidden_remainder_z
      - .offset:         184
        .size:           8
        .value_kind:     hidden_global_offset_x
      - .offset:         192
        .size:           8
        .value_kind:     hidden_global_offset_y
      - .offset:         200
        .size:           8
        .value_kind:     hidden_global_offset_z
      - .offset:         208
        .size:           2
        .value_kind:     hidden_grid_dims
    .group_segment_fixed_size: 32768
    .kernarg_segment_align: 8
    .kernarg_segment_size: 400
    .language:       OpenCL C
    .language_version:
      - 2
      - 0
    .max_flat_workgroup_size: 1024
    .name:           _ZL20rocblas_gemvn_kernelILi64ELi16EiPK19rocblas_complex_numIfES1_KPS1_EviiT3_lPKT2_lT1_lS9_lSA_lS6_lPT4_lSA_li
    .private_segment_fixed_size: 0
    .sgpr_count:     54
    .sgpr_spill_count: 0
    .symbol:         _ZL20rocblas_gemvn_kernelILi64ELi16EiPK19rocblas_complex_numIfES1_KPS1_EviiT3_lPKT2_lT1_lS9_lSA_lS6_lPT4_lSA_li.kd
    .uniform_work_group_size: 1
    .uses_dynamic_stack: false
    .vgpr_count:     85
    .vgpr_spill_count: 0
    .wavefront_size: 32
  - .args:
      - .offset:         0
        .size:           4
        .value_kind:     by_value
      - .offset:         4
        .size:           4
        .value_kind:     by_value
      - .offset:         8
        .size:           8
        .value_kind:     by_value
      - .offset:         16
        .size:           8
        .value_kind:     by_value
      - .address_space:  global
        .offset:         24
        .size:           8
        .value_kind:     global_buffer
      - .offset:         32
        .size:           8
        .value_kind:     by_value
      - .offset:         40
        .size:           8
        .value_kind:     by_value
      - .offset:         48
        .size:           8
        .value_kind:     by_value
      - .address_space:  global
        .offset:         56
        .size:           8
        .value_kind:     global_buffer
      - .offset:         64
        .size:           8
        .value_kind:     by_value
      - .offset:         72
        .size:           8
        .value_kind:     by_value
      - .offset:         80
        .size:           8
        .value_kind:     by_value
      - .offset:         88
        .size:           8
        .value_kind:     by_value
      - .offset:         96
        .size:           8
        .value_kind:     by_value
      - .address_space:  global
        .offset:         104
        .size:           8
        .value_kind:     global_buffer
      - .offset:         112
        .size:           8
        .value_kind:     by_value
      - .offset:         120
        .size:           8
        .value_kind:     by_value
      - .offset:         128
        .size:           8
        .value_kind:     by_value
      - .offset:         136
        .size:           4
        .value_kind:     by_value
      - .offset:         144
        .size:           4
        .value_kind:     hidden_block_count_x
      - .offset:         148
        .size:           4
        .value_kind:     hidden_block_count_y
      - .offset:         152
        .size:           4
        .value_kind:     hidden_block_count_z
      - .offset:         156
        .size:           2
        .value_kind:     hidden_group_size_x
      - .offset:         158
        .size:           2
        .value_kind:     hidden_group_size_y
      - .offset:         160
        .size:           2
        .value_kind:     hidden_group_size_z
      - .offset:         162
        .size:           2
        .value_kind:     hidden_remainder_x
      - .offset:         164
        .size:           2
        .value_kind:     hidden_remainder_y
      - .offset:         166
        .size:           2
        .value_kind:     hidden_remainder_z
      - .offset:         184
        .size:           8
        .value_kind:     hidden_global_offset_x
      - .offset:         192
        .size:           8
        .value_kind:     hidden_global_offset_y
      - .offset:         200
        .size:           8
        .value_kind:     hidden_global_offset_z
      - .offset:         208
        .size:           2
        .value_kind:     hidden_grid_dims
    .group_segment_fixed_size: 32768
    .kernarg_segment_align: 8
    .kernarg_segment_size: 400
    .language:       OpenCL C
    .language_version:
      - 2
      - 0
    .max_flat_workgroup_size: 1024
    .name:           _ZL20rocblas_gemvn_kernelILi64ELi16ElPK19rocblas_complex_numIfES1_KPS1_EviiT3_lPKT2_lT1_lS9_lSA_lS6_lPT4_lSA_li
    .private_segment_fixed_size: 0
    .sgpr_count:     55
    .sgpr_spill_count: 0
    .symbol:         _ZL20rocblas_gemvn_kernelILi64ELi16ElPK19rocblas_complex_numIfES1_KPS1_EviiT3_lPKT2_lT1_lS9_lSA_lS6_lPT4_lSA_li.kd
    .uniform_work_group_size: 1
    .uses_dynamic_stack: false
    .vgpr_count:     101
    .vgpr_spill_count: 0
    .wavefront_size: 32
  - .args:
      - .offset:         0
        .size:           4
        .value_kind:     by_value
      - .offset:         4
        .size:           4
        .value_kind:     by_value
      - .address_space:  global
        .offset:         8
        .size:           8
        .value_kind:     global_buffer
      - .offset:         16
        .size:           8
        .value_kind:     by_value
      - .address_space:  global
        .offset:         24
        .size:           8
        .value_kind:     global_buffer
      - .offset:         32
        .size:           8
        .value_kind:     by_value
      - .offset:         40
        .size:           4
        .value_kind:     by_value
      - .offset:         48
        .size:           8
        .value_kind:     by_value
      - .address_space:  global
        .offset:         56
        .size:           8
        .value_kind:     global_buffer
      - .offset:         64
        .size:           8
        .value_kind:     by_value
      - .offset:         72
        .size:           4
        .value_kind:     by_value
      - .offset:         80
        .size:           8
        .value_kind:     by_value
      - .address_space:  global
        .offset:         88
        .size:           8
        .value_kind:     global_buffer
      - .offset:         96
        .size:           8
        .value_kind:     by_value
      - .address_space:  global
        .offset:         104
        .size:           8
        .value_kind:     global_buffer
      - .offset:         112
        .size:           8
        .value_kind:     by_value
      - .offset:         120
        .size:           4
        .value_kind:     by_value
      - .offset:         128
        .size:           8
        .value_kind:     by_value
    .group_segment_fixed_size: 512
    .kernarg_segment_align: 8
    .kernarg_segment_size: 136
    .language:       OpenCL C
    .language_version:
      - 2
      - 0
    .max_flat_workgroup_size: 256
    .name:           _ZL22rocblas_gemvtsm_kernelILb0ELi256EPK19rocblas_complex_numIfES3_KPS1_EviiT2_lPKT1_lilS9_lilS6_lPT3_lil
    .private_segment_fixed_size: 0
    .sgpr_count:     26
    .sgpr_spill_count: 0
    .symbol:         _ZL22rocblas_gemvtsm_kernelILb0ELi256EPK19rocblas_complex_numIfES3_KPS1_EviiT2_lPKT1_lilS9_lilS6_lPT3_lil.kd
    .uniform_work_group_size: 1
    .uses_dynamic_stack: false
    .vgpr_count:     68
    .vgpr_spill_count: 0
    .wavefront_size: 32
  - .args:
      - .offset:         0
        .size:           4
        .value_kind:     by_value
      - .offset:         4
        .size:           4
        .value_kind:     by_value
      - .offset:         8
        .size:           8
        .value_kind:     by_value
      - .offset:         16
        .size:           8
        .value_kind:     by_value
      - .address_space:  global
        .offset:         24
        .size:           8
        .value_kind:     global_buffer
      - .offset:         32
        .size:           8
        .value_kind:     by_value
      - .offset:         40
        .size:           4
        .value_kind:     by_value
      - .offset:         48
        .size:           8
        .value_kind:     by_value
      - .address_space:  global
        .offset:         56
        .size:           8
        .value_kind:     global_buffer
      - .offset:         64
        .size:           8
        .value_kind:     by_value
      - .offset:         72
        .size:           4
        .value_kind:     by_value
      - .offset:         80
        .size:           8
        .value_kind:     by_value
      - .offset:         88
        .size:           8
        .value_kind:     by_value
      - .offset:         96
        .size:           8
        .value_kind:     by_value
      - .address_space:  global
        .offset:         104
        .size:           8
        .value_kind:     global_buffer
      - .offset:         112
        .size:           8
        .value_kind:     by_value
      - .offset:         120
        .size:           4
        .value_kind:     by_value
      - .offset:         128
        .size:           8
        .value_kind:     by_value
    .group_segment_fixed_size: 512
    .kernarg_segment_align: 8
    .kernarg_segment_size: 136
    .language:       OpenCL C
    .language_version:
      - 2
      - 0
    .max_flat_workgroup_size: 256
    .name:           _ZL22rocblas_gemvtsm_kernelILb0ELi256EPK19rocblas_complex_numIfES1_KPS1_EviiT2_lPKT1_lilS9_lilS6_lPT3_lil
    .private_segment_fixed_size: 0
    .sgpr_count:     26
    .sgpr_spill_count: 0
    .symbol:         _ZL22rocblas_gemvtsm_kernelILb0ELi256EPK19rocblas_complex_numIfES1_KPS1_EviiT2_lPKT1_lilS9_lilS6_lPT3_lil.kd
    .uniform_work_group_size: 1
    .uses_dynamic_stack: false
    .vgpr_count:     68
    .vgpr_spill_count: 0
    .wavefront_size: 32
  - .args:
      - .offset:         0
        .size:           4
        .value_kind:     by_value
      - .offset:         4
        .size:           4
        .value_kind:     by_value
      - .address_space:  global
        .offset:         8
        .size:           8
        .value_kind:     global_buffer
      - .offset:         16
        .size:           8
        .value_kind:     by_value
      - .address_space:  global
        .offset:         24
        .size:           8
        .value_kind:     global_buffer
      - .offset:         32
        .size:           8
        .value_kind:     by_value
      - .offset:         40
        .size:           4
        .value_kind:     by_value
      - .offset:         48
        .size:           8
        .value_kind:     by_value
      - .address_space:  global
        .offset:         56
        .size:           8
        .value_kind:     global_buffer
      - .offset:         64
        .size:           8
        .value_kind:     by_value
      - .offset:         72
        .size:           4
        .value_kind:     by_value
      - .offset:         80
        .size:           8
        .value_kind:     by_value
      - .address_space:  global
        .offset:         88
        .size:           8
        .value_kind:     global_buffer
      - .offset:         96
        .size:           4
        .value_kind:     by_value
      - .offset:         104
        .size:           4
        .value_kind:     hidden_block_count_x
      - .offset:         108
        .size:           4
        .value_kind:     hidden_block_count_y
      - .offset:         112
        .size:           4
        .value_kind:     hidden_block_count_z
      - .offset:         116
        .size:           2
        .value_kind:     hidden_group_size_x
      - .offset:         118
        .size:           2
        .value_kind:     hidden_group_size_y
      - .offset:         120
        .size:           2
        .value_kind:     hidden_group_size_z
      - .offset:         122
        .size:           2
        .value_kind:     hidden_remainder_x
      - .offset:         124
        .size:           2
        .value_kind:     hidden_remainder_y
      - .offset:         126
        .size:           2
        .value_kind:     hidden_remainder_z
      - .offset:         144
        .size:           8
        .value_kind:     hidden_global_offset_x
      - .offset:         152
        .size:           8
        .value_kind:     hidden_global_offset_y
      - .offset:         160
        .size:           8
        .value_kind:     hidden_global_offset_z
      - .offset:         168
        .size:           2
        .value_kind:     hidden_grid_dims
    .group_segment_fixed_size: 8448
    .kernarg_segment_align: 8
    .kernarg_segment_size: 360
    .language:       OpenCL C
    .language_version:
      - 2
      - 0
    .max_flat_workgroup_size: 256
    .name:           _ZL23rocblas_gemvt_sn_kernelILb0ELi256ELi4EiPK19rocblas_complex_numIfES3_S1_EviiT4_lPKT3_lilS7_lilPT5_i
    .private_segment_fixed_size: 0
    .sgpr_count:     70
    .sgpr_spill_count: 0
    .symbol:         _ZL23rocblas_gemvt_sn_kernelILb0ELi256ELi4EiPK19rocblas_complex_numIfES3_S1_EviiT4_lPKT3_lilS7_lilPT5_i.kd
    .uniform_work_group_size: 1
    .uses_dynamic_stack: false
    .vgpr_count:     102
    .vgpr_spill_count: 0
    .wavefront_size: 32
  - .args:
      - .offset:         0
        .size:           4
        .value_kind:     by_value
      - .offset:         4
        .size:           4
        .value_kind:     by_value
      - .address_space:  global
        .offset:         8
        .size:           8
        .value_kind:     global_buffer
      - .offset:         16
        .size:           8
        .value_kind:     by_value
      - .address_space:  global
        .offset:         24
        .size:           8
        .value_kind:     global_buffer
      - .offset:         32
        .size:           8
        .value_kind:     by_value
      - .offset:         40
        .size:           4
        .value_kind:     by_value
      - .offset:         48
        .size:           8
        .value_kind:     by_value
      - .address_space:  global
        .offset:         56
        .size:           8
        .value_kind:     global_buffer
      - .offset:         64
        .size:           8
        .value_kind:     by_value
      - .offset:         72
        .size:           4
        .value_kind:     by_value
      - .offset:         80
        .size:           8
        .value_kind:     by_value
      - .address_space:  global
        .offset:         88
        .size:           8
        .value_kind:     global_buffer
      - .offset:         96
        .size:           4
        .value_kind:     by_value
      - .offset:         104
        .size:           4
        .value_kind:     hidden_block_count_x
      - .offset:         108
        .size:           4
        .value_kind:     hidden_block_count_y
      - .offset:         112
        .size:           4
        .value_kind:     hidden_block_count_z
      - .offset:         116
        .size:           2
        .value_kind:     hidden_group_size_x
      - .offset:         118
        .size:           2
        .value_kind:     hidden_group_size_y
      - .offset:         120
        .size:           2
        .value_kind:     hidden_group_size_z
      - .offset:         122
        .size:           2
        .value_kind:     hidden_remainder_x
      - .offset:         124
        .size:           2
        .value_kind:     hidden_remainder_y
      - .offset:         126
        .size:           2
        .value_kind:     hidden_remainder_z
      - .offset:         144
        .size:           8
        .value_kind:     hidden_global_offset_x
      - .offset:         152
        .size:           8
        .value_kind:     hidden_global_offset_y
      - .offset:         160
        .size:           8
        .value_kind:     hidden_global_offset_z
      - .offset:         168
        .size:           2
        .value_kind:     hidden_grid_dims
    .group_segment_fixed_size: 8448
    .kernarg_segment_align: 8
    .kernarg_segment_size: 360
    .language:       OpenCL C
    .language_version:
      - 2
      - 0
    .max_flat_workgroup_size: 256
    .name:           _ZL23rocblas_gemvt_sn_kernelILb0ELi256ELi4ElPK19rocblas_complex_numIfES3_S1_EviiT4_lPKT3_lilS7_lilPT5_i
    .private_segment_fixed_size: 0
    .sgpr_count:     76
    .sgpr_spill_count: 0
    .symbol:         _ZL23rocblas_gemvt_sn_kernelILb0ELi256ELi4ElPK19rocblas_complex_numIfES3_S1_EviiT4_lPKT3_lilS7_lilPT5_i.kd
    .uniform_work_group_size: 1
    .uses_dynamic_stack: false
    .vgpr_count:     108
    .vgpr_spill_count: 0
    .wavefront_size: 32
  - .args:
      - .offset:         0
        .size:           4
        .value_kind:     by_value
      - .address_space:  global
        .offset:         8
        .size:           8
        .value_kind:     global_buffer
      - .offset:         16
        .size:           8
        .value_kind:     by_value
      - .address_space:  global
        .offset:         24
        .size:           8
        .value_kind:     global_buffer
      - .offset:         32
        .size:           8
        .value_kind:     by_value
      - .offset:         40
        .size:           4
        .value_kind:     by_value
      - .offset:         48
        .size:           8
        .value_kind:     by_value
      - .actual_access:  read_only
        .address_space:  global
        .offset:         56
        .size:           8
        .value_kind:     global_buffer
      - .offset:         64
        .size:           4
        .value_kind:     by_value
      - .offset:         72
        .size:           4
        .value_kind:     hidden_block_count_x
      - .offset:         76
        .size:           4
        .value_kind:     hidden_block_count_y
      - .offset:         80
        .size:           4
        .value_kind:     hidden_block_count_z
      - .offset:         84
        .size:           2
        .value_kind:     hidden_group_size_x
      - .offset:         86
        .size:           2
        .value_kind:     hidden_group_size_y
      - .offset:         88
        .size:           2
        .value_kind:     hidden_group_size_z
      - .offset:         90
        .size:           2
        .value_kind:     hidden_remainder_x
      - .offset:         92
        .size:           2
        .value_kind:     hidden_remainder_y
      - .offset:         94
        .size:           2
        .value_kind:     hidden_remainder_z
      - .offset:         112
        .size:           8
        .value_kind:     hidden_global_offset_x
      - .offset:         120
        .size:           8
        .value_kind:     hidden_global_offset_y
      - .offset:         128
        .size:           8
        .value_kind:     hidden_global_offset_z
      - .offset:         136
        .size:           2
        .value_kind:     hidden_grid_dims
    .group_segment_fixed_size: 256
    .kernarg_segment_align: 8
    .kernarg_segment_size: 328
    .language:       OpenCL C
    .language_version:
      - 2
      - 0
    .max_flat_workgroup_size: 256
    .name:           _ZL23rocblas_gemvt_sn_reduceILi256ELi8E19rocblas_complex_numIfEPKS1_KPS1_EviT2_lPT3_lilPT1_i
    .private_segment_fixed_size: 0
    .sgpr_count:     40
    .sgpr_spill_count: 0
    .symbol:         _ZL23rocblas_gemvt_sn_reduceILi256ELi8E19rocblas_complex_numIfEPKS1_KPS1_EviT2_lPT3_lilPT1_i.kd
    .uniform_work_group_size: 1
    .uses_dynamic_stack: false
    .vgpr_count:     40
    .vgpr_spill_count: 0
    .wavefront_size: 32
  - .args:
      - .offset:         0
        .size:           4
        .value_kind:     by_value
      - .offset:         4
        .size:           4
        .value_kind:     by_value
      - .offset:         8
        .size:           8
        .value_kind:     by_value
      - .offset:         16
        .size:           8
        .value_kind:     by_value
      - .address_space:  global
        .offset:         24
        .size:           8
        .value_kind:     global_buffer
      - .offset:         32
        .size:           8
        .value_kind:     by_value
      - .offset:         40
        .size:           4
        .value_kind:     by_value
      - .offset:         48
        .size:           8
        .value_kind:     by_value
      - .address_space:  global
        .offset:         56
        .size:           8
        .value_kind:     global_buffer
      - .offset:         64
        .size:           8
        .value_kind:     by_value
      - .offset:         72
        .size:           4
        .value_kind:     by_value
      - .offset:         80
        .size:           8
        .value_kind:     by_value
      - .address_space:  global
        .offset:         88
        .size:           8
        .value_kind:     global_buffer
      - .offset:         96
        .size:           4
        .value_kind:     by_value
      - .offset:         104
        .size:           4
        .value_kind:     hidden_block_count_x
      - .offset:         108
        .size:           4
        .value_kind:     hidden_block_count_y
      - .offset:         112
        .size:           4
        .value_kind:     hidden_block_count_z
      - .offset:         116
        .size:           2
        .value_kind:     hidden_group_size_x
      - .offset:         118
        .size:           2
        .value_kind:     hidden_group_size_y
      - .offset:         120
        .size:           2
        .value_kind:     hidden_group_size_z
      - .offset:         122
        .size:           2
        .value_kind:     hidden_remainder_x
      - .offset:         124
        .size:           2
        .value_kind:     hidden_remainder_y
      - .offset:         126
        .size:           2
        .value_kind:     hidden_remainder_z
      - .offset:         144
        .size:           8
        .value_kind:     hidden_global_offset_x
      - .offset:         152
        .size:           8
        .value_kind:     hidden_global_offset_y
      - .offset:         160
        .size:           8
        .value_kind:     hidden_global_offset_z
      - .offset:         168
        .size:           2
        .value_kind:     hidden_grid_dims
    .group_segment_fixed_size: 8448
    .kernarg_segment_align: 8
    .kernarg_segment_size: 360
    .language:       OpenCL C
    .language_version:
      - 2
      - 0
    .max_flat_workgroup_size: 256
    .name:           _ZL23rocblas_gemvt_sn_kernelILb0ELi256ELi4EiPK19rocblas_complex_numIfES1_S1_EviiT4_lPKT3_lilS7_lilPT5_i
    .private_segment_fixed_size: 0
    .sgpr_count:     72
    .sgpr_spill_count: 0
    .symbol:         _ZL23rocblas_gemvt_sn_kernelILb0ELi256ELi4EiPK19rocblas_complex_numIfES1_S1_EviiT4_lPKT3_lilS7_lilPT5_i.kd
    .uniform_work_group_size: 1
    .uses_dynamic_stack: false
    .vgpr_count:     98
    .vgpr_spill_count: 0
    .wavefront_size: 32
  - .args:
      - .offset:         0
        .size:           4
        .value_kind:     by_value
      - .offset:         4
        .size:           4
        .value_kind:     by_value
      - .offset:         8
        .size:           8
        .value_kind:     by_value
      - .offset:         16
        .size:           8
        .value_kind:     by_value
      - .address_space:  global
        .offset:         24
        .size:           8
        .value_kind:     global_buffer
      - .offset:         32
        .size:           8
        .value_kind:     by_value
      - .offset:         40
        .size:           4
        .value_kind:     by_value
      - .offset:         48
        .size:           8
        .value_kind:     by_value
      - .address_space:  global
        .offset:         56
        .size:           8
        .value_kind:     global_buffer
      - .offset:         64
        .size:           8
        .value_kind:     by_value
      - .offset:         72
        .size:           4
        .value_kind:     by_value
      - .offset:         80
        .size:           8
        .value_kind:     by_value
      - .address_space:  global
        .offset:         88
        .size:           8
        .value_kind:     global_buffer
      - .offset:         96
        .size:           4
        .value_kind:     by_value
      - .offset:         104
        .size:           4
        .value_kind:     hidden_block_count_x
      - .offset:         108
        .size:           4
        .value_kind:     hidden_block_count_y
      - .offset:         112
        .size:           4
        .value_kind:     hidden_block_count_z
      - .offset:         116
        .size:           2
        .value_kind:     hidden_group_size_x
      - .offset:         118
        .size:           2
        .value_kind:     hidden_group_size_y
      - .offset:         120
        .size:           2
        .value_kind:     hidden_group_size_z
      - .offset:         122
        .size:           2
        .value_kind:     hidden_remainder_x
      - .offset:         124
        .size:           2
        .value_kind:     hidden_remainder_y
      - .offset:         126
        .size:           2
        .value_kind:     hidden_remainder_z
      - .offset:         144
        .size:           8
        .value_kind:     hidden_global_offset_x
      - .offset:         152
        .size:           8
        .value_kind:     hidden_global_offset_y
      - .offset:         160
        .size:           8
        .value_kind:     hidden_global_offset_z
      - .offset:         168
        .size:           2
        .value_kind:     hidden_grid_dims
    .group_segment_fixed_size: 8448
    .kernarg_segment_align: 8
    .kernarg_segment_size: 360
    .language:       OpenCL C
    .language_version:
      - 2
      - 0
    .max_flat_workgroup_size: 256
    .name:           _ZL23rocblas_gemvt_sn_kernelILb0ELi256ELi4ElPK19rocblas_complex_numIfES1_S1_EviiT4_lPKT3_lilS7_lilPT5_i
    .private_segment_fixed_size: 0
    .sgpr_count:     78
    .sgpr_spill_count: 0
    .symbol:         _ZL23rocblas_gemvt_sn_kernelILb0ELi256ELi4ElPK19rocblas_complex_numIfES1_S1_EviiT4_lPKT3_lilS7_lilPT5_i.kd
    .uniform_work_group_size: 1
    .uses_dynamic_stack: false
    .vgpr_count:     104
    .vgpr_spill_count: 0
    .wavefront_size: 32
  - .args:
      - .offset:         0
        .size:           4
        .value_kind:     by_value
      - .offset:         4
        .size:           8
        .value_kind:     by_value
      - .offset:         16
        .size:           8
        .value_kind:     by_value
      - .address_space:  global
        .offset:         24
        .size:           8
        .value_kind:     global_buffer
      - .offset:         32
        .size:           8
        .value_kind:     by_value
      - .offset:         40
        .size:           4
        .value_kind:     by_value
      - .offset:         48
        .size:           8
        .value_kind:     by_value
      - .actual_access:  read_only
        .address_space:  global
        .offset:         56
        .size:           8
        .value_kind:     global_buffer
      - .offset:         64
        .size:           4
        .value_kind:     by_value
      - .offset:         72
        .size:           4
        .value_kind:     hidden_block_count_x
      - .offset:         76
        .size:           4
        .value_kind:     hidden_block_count_y
      - .offset:         80
        .size:           4
        .value_kind:     hidden_block_count_z
      - .offset:         84
        .size:           2
        .value_kind:     hidden_group_size_x
      - .offset:         86
        .size:           2
        .value_kind:     hidden_group_size_y
      - .offset:         88
        .size:           2
        .value_kind:     hidden_group_size_z
      - .offset:         90
        .size:           2
        .value_kind:     hidden_remainder_x
      - .offset:         92
        .size:           2
        .value_kind:     hidden_remainder_y
      - .offset:         94
        .size:           2
        .value_kind:     hidden_remainder_z
      - .offset:         112
        .size:           8
        .value_kind:     hidden_global_offset_x
      - .offset:         120
        .size:           8
        .value_kind:     hidden_global_offset_y
      - .offset:         128
        .size:           8
        .value_kind:     hidden_global_offset_z
      - .offset:         136
        .size:           2
        .value_kind:     hidden_grid_dims
    .group_segment_fixed_size: 256
    .kernarg_segment_align: 8
    .kernarg_segment_size: 328
    .language:       OpenCL C
    .language_version:
      - 2
      - 0
    .max_flat_workgroup_size: 256
    .name:           _ZL23rocblas_gemvt_sn_reduceILi256ELi8E19rocblas_complex_numIfES1_KPS1_EviT2_lPT3_lilPT1_i
    .private_segment_fixed_size: 0
    .sgpr_count:     42
    .sgpr_spill_count: 0
    .symbol:         _ZL23rocblas_gemvt_sn_reduceILi256ELi8E19rocblas_complex_numIfES1_KPS1_EviT2_lPT3_lilPT1_i.kd
    .uniform_work_group_size: 1
    .uses_dynamic_stack: false
    .vgpr_count:     38
    .vgpr_spill_count: 0
    .wavefront_size: 32
  - .args:
      - .offset:         0
        .size:           4
        .value_kind:     by_value
      - .offset:         4
        .size:           4
        .value_kind:     by_value
      - .address_space:  global
        .offset:         8
        .size:           8
        .value_kind:     global_buffer
      - .offset:         16
        .size:           8
        .value_kind:     by_value
      - .address_space:  global
        .offset:         24
        .size:           8
        .value_kind:     global_buffer
      - .offset:         32
        .size:           8
        .value_kind:     by_value
      - .offset:         40
        .size:           4
        .value_kind:     by_value
      - .offset:         48
        .size:           8
        .value_kind:     by_value
      - .address_space:  global
        .offset:         56
        .size:           8
        .value_kind:     global_buffer
      - .offset:         64
        .size:           8
        .value_kind:     by_value
      - .offset:         72
        .size:           4
        .value_kind:     by_value
      - .offset:         80
        .size:           8
        .value_kind:     by_value
      - .address_space:  global
        .offset:         88
        .size:           8
        .value_kind:     global_buffer
      - .offset:         96
        .size:           8
        .value_kind:     by_value
      - .address_space:  global
        .offset:         104
        .size:           8
        .value_kind:     global_buffer
      - .offset:         112
        .size:           8
        .value_kind:     by_value
      - .offset:         120
        .size:           4
        .value_kind:     by_value
      - .offset:         128
        .size:           8
        .value_kind:     by_value
      - .offset:         136
        .size:           4
        .value_kind:     by_value
    .group_segment_fixed_size: 256
    .kernarg_segment_align: 8
    .kernarg_segment_size: 140
    .language:       OpenCL C
    .language_version:
      - 2
      - 0
    .max_flat_workgroup_size: 256
    .name:           _ZL32rocblas_gemvt_warp_reduce_kernelILb0ELi256EiPK19rocblas_complex_numIfES3_KPS1_EviiT3_lPKT2_lT1_lS9_lSA_lS6_lPT4_lSA_li
    .private_segment_fixed_size: 0
    .sgpr_count:     48
    .sgpr_spill_count: 0
    .symbol:         _ZL32rocblas_gemvt_warp_reduce_kernelILb0ELi256EiPK19rocblas_complex_numIfES3_KPS1_EviiT3_lPKT2_lT1_lS9_lSA_lS6_lPT4_lSA_li.kd
    .uniform_work_group_size: 1
    .uses_dynamic_stack: false
    .vgpr_count:     32
    .vgpr_spill_count: 0
    .wavefront_size: 32
  - .args:
      - .offset:         0
        .size:           4
        .value_kind:     by_value
      - .offset:         4
        .size:           4
        .value_kind:     by_value
      - .address_space:  global
        .offset:         8
        .size:           8
        .value_kind:     global_buffer
      - .offset:         16
        .size:           8
        .value_kind:     by_value
      - .address_space:  global
        .offset:         24
        .size:           8
        .value_kind:     global_buffer
      - .offset:         32
        .size:           8
        .value_kind:     by_value
      - .offset:         40
        .size:           8
        .value_kind:     by_value
      - .offset:         48
        .size:           8
        .value_kind:     by_value
      - .address_space:  global
        .offset:         56
        .size:           8
        .value_kind:     global_buffer
      - .offset:         64
        .size:           8
        .value_kind:     by_value
      - .offset:         72
        .size:           8
        .value_kind:     by_value
      - .offset:         80
        .size:           8
        .value_kind:     by_value
      - .address_space:  global
        .offset:         88
        .size:           8
        .value_kind:     global_buffer
      - .offset:         96
        .size:           8
        .value_kind:     by_value
      - .address_space:  global
        .offset:         104
        .size:           8
        .value_kind:     global_buffer
      - .offset:         112
        .size:           8
        .value_kind:     by_value
      - .offset:         120
        .size:           8
        .value_kind:     by_value
      - .offset:         128
        .size:           8
        .value_kind:     by_value
      - .offset:         136
        .size:           4
        .value_kind:     by_value
    .group_segment_fixed_size: 256
    .kernarg_segment_align: 8
    .kernarg_segment_size: 140
    .language:       OpenCL C
    .language_version:
      - 2
      - 0
    .max_flat_workgroup_size: 256
    .name:           _ZL32rocblas_gemvt_warp_reduce_kernelILb0ELi256ElPK19rocblas_complex_numIfES3_KPS1_EviiT3_lPKT2_lT1_lS9_lSA_lS6_lPT4_lSA_li
    .private_segment_fixed_size: 0
    .sgpr_count:     47
    .sgpr_spill_count: 0
    .symbol:         _ZL32rocblas_gemvt_warp_reduce_kernelILb0ELi256ElPK19rocblas_complex_numIfES3_KPS1_EviiT3_lPKT2_lT1_lS9_lSA_lS6_lPT4_lSA_li.kd
    .uniform_work_group_size: 1
    .uses_dynamic_stack: false
    .vgpr_count:     34
    .vgpr_spill_count: 0
    .wavefront_size: 32
  - .args:
      - .offset:         0
        .size:           4
        .value_kind:     by_value
      - .offset:         4
        .size:           4
        .value_kind:     by_value
      - .offset:         8
        .size:           8
        .value_kind:     by_value
      - .offset:         16
        .size:           8
        .value_kind:     by_value
      - .address_space:  global
        .offset:         24
        .size:           8
        .value_kind:     global_buffer
      - .offset:         32
        .size:           8
        .value_kind:     by_value
      - .offset:         40
        .size:           4
        .value_kind:     by_value
      - .offset:         48
        .size:           8
        .value_kind:     by_value
      - .address_space:  global
        .offset:         56
        .size:           8
        .value_kind:     global_buffer
      - .offset:         64
        .size:           8
        .value_kind:     by_value
      - .offset:         72
        .size:           4
        .value_kind:     by_value
      - .offset:         80
        .size:           8
        .value_kind:     by_value
      - .offset:         88
        .size:           8
        .value_kind:     by_value
      - .offset:         96
        .size:           8
        .value_kind:     by_value
      - .address_space:  global
        .offset:         104
        .size:           8
        .value_kind:     global_buffer
      - .offset:         112
        .size:           8
        .value_kind:     by_value
      - .offset:         120
        .size:           4
        .value_kind:     by_value
      - .offset:         128
        .size:           8
        .value_kind:     by_value
      - .offset:         136
        .size:           4
        .value_kind:     by_value
    .group_segment_fixed_size: 256
    .kernarg_segment_align: 8
    .kernarg_segment_size: 140
    .language:       OpenCL C
    .language_version:
      - 2
      - 0
    .max_flat_workgroup_size: 256
    .name:           _ZL32rocblas_gemvt_warp_reduce_kernelILb0ELi256EiPK19rocblas_complex_numIfES1_KPS1_EviiT3_lPKT2_lT1_lS9_lSA_lS6_lPT4_lSA_li
    .private_segment_fixed_size: 0
    .sgpr_count:     50
    .sgpr_spill_count: 0
    .symbol:         _ZL32rocblas_gemvt_warp_reduce_kernelILb0ELi256EiPK19rocblas_complex_numIfES1_KPS1_EviiT3_lPKT2_lT1_lS9_lSA_lS6_lPT4_lSA_li.kd
    .uniform_work_group_size: 1
    .uses_dynamic_stack: false
    .vgpr_count:     30
    .vgpr_spill_count: 0
    .wavefront_size: 32
  - .args:
      - .offset:         0
        .size:           4
        .value_kind:     by_value
      - .offset:         4
        .size:           4
        .value_kind:     by_value
      - .offset:         8
        .size:           8
        .value_kind:     by_value
      - .offset:         16
        .size:           8
        .value_kind:     by_value
      - .address_space:  global
        .offset:         24
        .size:           8
        .value_kind:     global_buffer
      - .offset:         32
        .size:           8
        .value_kind:     by_value
      - .offset:         40
        .size:           8
        .value_kind:     by_value
      - .offset:         48
        .size:           8
        .value_kind:     by_value
      - .address_space:  global
        .offset:         56
        .size:           8
        .value_kind:     global_buffer
      - .offset:         64
        .size:           8
        .value_kind:     by_value
      - .offset:         72
        .size:           8
        .value_kind:     by_value
      - .offset:         80
        .size:           8
        .value_kind:     by_value
      - .offset:         88
        .size:           8
        .value_kind:     by_value
      - .offset:         96
        .size:           8
        .value_kind:     by_value
      - .address_space:  global
        .offset:         104
        .size:           8
        .value_kind:     global_buffer
      - .offset:         112
        .size:           8
        .value_kind:     by_value
      - .offset:         120
        .size:           8
        .value_kind:     by_value
      - .offset:         128
        .size:           8
        .value_kind:     by_value
      - .offset:         136
        .size:           4
        .value_kind:     by_value
    .group_segment_fixed_size: 256
    .kernarg_segment_align: 8
    .kernarg_segment_size: 140
    .language:       OpenCL C
    .language_version:
      - 2
      - 0
    .max_flat_workgroup_size: 256
    .name:           _ZL32rocblas_gemvt_warp_reduce_kernelILb0ELi256ElPK19rocblas_complex_numIfES1_KPS1_EviiT3_lPKT2_lT1_lS9_lSA_lS6_lPT4_lSA_li
    .private_segment_fixed_size: 0
    .sgpr_count:     49
    .sgpr_spill_count: 0
    .symbol:         _ZL32rocblas_gemvt_warp_reduce_kernelILb0ELi256ElPK19rocblas_complex_numIfES1_KPS1_EviiT3_lPKT2_lT1_lS9_lSA_lS6_lPT4_lSA_li.kd
    .uniform_work_group_size: 1
    .uses_dynamic_stack: false
    .vgpr_count:     32
    .vgpr_spill_count: 0
    .wavefront_size: 32
  - .args:
      - .offset:         0
        .size:           4
        .value_kind:     by_value
      - .offset:         4
        .size:           4
        .value_kind:     by_value
      - .address_space:  global
        .offset:         8
        .size:           8
        .value_kind:     global_buffer
      - .offset:         16
        .size:           8
        .value_kind:     by_value
      - .address_space:  global
        .offset:         24
        .size:           8
        .value_kind:     global_buffer
      - .offset:         32
        .size:           8
        .value_kind:     by_value
      - .offset:         40
        .size:           4
        .value_kind:     by_value
      - .offset:         48
        .size:           8
        .value_kind:     by_value
      - .address_space:  global
        .offset:         56
        .size:           8
        .value_kind:     global_buffer
      - .offset:         64
        .size:           8
        .value_kind:     by_value
      - .offset:         72
        .size:           4
        .value_kind:     by_value
      - .offset:         80
        .size:           8
        .value_kind:     by_value
      - .address_space:  global
        .offset:         88
        .size:           8
        .value_kind:     global_buffer
      - .offset:         96
        .size:           8
        .value_kind:     by_value
      - .address_space:  global
        .offset:         104
        .size:           8
        .value_kind:     global_buffer
      - .offset:         112
        .size:           8
        .value_kind:     by_value
      - .offset:         120
        .size:           4
        .value_kind:     by_value
      - .offset:         128
        .size:           8
        .value_kind:     by_value
      - .offset:         136
        .size:           4
        .value_kind:     by_value
    .group_segment_fixed_size: 2048
    .kernarg_segment_align: 8
    .kernarg_segment_size: 140
    .language:       OpenCL C
    .language_version:
      - 2
      - 0
    .max_flat_workgroup_size: 256
    .name:           _ZL20rocblas_gemvt_kernelILb0ELi256EPK19rocblas_complex_numIfES3_KPS1_EviiT2_lPKT1_lilS9_lilS6_lPT3_lili
    .private_segment_fixed_size: 0
    .sgpr_count:     52
    .sgpr_spill_count: 0
    .symbol:         _ZL20rocblas_gemvt_kernelILb0ELi256EPK19rocblas_complex_numIfES3_KPS1_EviiT2_lPKT1_lilS9_lilS6_lPT3_lili.kd
    .uniform_work_group_size: 1
    .uses_dynamic_stack: false
    .vgpr_count:     28
    .vgpr_spill_count: 0
    .wavefront_size: 32
  - .args:
      - .offset:         0
        .size:           4
        .value_kind:     by_value
      - .offset:         4
        .size:           4
        .value_kind:     by_value
      - .offset:         8
        .size:           8
        .value_kind:     by_value
      - .offset:         16
        .size:           8
        .value_kind:     by_value
      - .address_space:  global
        .offset:         24
        .size:           8
        .value_kind:     global_buffer
      - .offset:         32
        .size:           8
        .value_kind:     by_value
      - .offset:         40
        .size:           4
        .value_kind:     by_value
      - .offset:         48
        .size:           8
        .value_kind:     by_value
      - .address_space:  global
        .offset:         56
        .size:           8
        .value_kind:     global_buffer
      - .offset:         64
        .size:           8
        .value_kind:     by_value
      - .offset:         72
        .size:           4
        .value_kind:     by_value
      - .offset:         80
        .size:           8
        .value_kind:     by_value
      - .offset:         88
        .size:           8
        .value_kind:     by_value
      - .offset:         96
        .size:           8
        .value_kind:     by_value
      - .address_space:  global
        .offset:         104
        .size:           8
        .value_kind:     global_buffer
      - .offset:         112
        .size:           8
        .value_kind:     by_value
      - .offset:         120
        .size:           4
        .value_kind:     by_value
      - .offset:         128
        .size:           8
        .value_kind:     by_value
      - .offset:         136
        .size:           4
        .value_kind:     by_value
    .group_segment_fixed_size: 2048
    .kernarg_segment_align: 8
    .kernarg_segment_size: 140
    .language:       OpenCL C
    .language_version:
      - 2
      - 0
    .max_flat_workgroup_size: 256
    .name:           _ZL20rocblas_gemvt_kernelILb0ELi256EPK19rocblas_complex_numIfES1_KPS1_EviiT2_lPKT1_lilS9_lilS6_lPT3_lili
    .private_segment_fixed_size: 0
    .sgpr_count:     53
    .sgpr_spill_count: 0
    .symbol:         _ZL20rocblas_gemvt_kernelILb0ELi256EPK19rocblas_complex_numIfES1_KPS1_EviiT2_lPKT1_lilS9_lilS6_lPT3_lili.kd
    .uniform_work_group_size: 1
    .uses_dynamic_stack: false
    .vgpr_count:     26
    .vgpr_spill_count: 0
    .wavefront_size: 32
  - .args:
      - .offset:         0
        .size:           4
        .value_kind:     by_value
      - .offset:         4
        .size:           4
        .value_kind:     by_value
      - .address_space:  global
        .offset:         8
        .size:           8
        .value_kind:     global_buffer
      - .offset:         16
        .size:           8
        .value_kind:     by_value
      - .address_space:  global
        .offset:         24
        .size:           8
        .value_kind:     global_buffer
      - .offset:         32
        .size:           8
        .value_kind:     by_value
      - .offset:         40
        .size:           4
        .value_kind:     by_value
      - .offset:         48
        .size:           8
        .value_kind:     by_value
      - .address_space:  global
        .offset:         56
        .size:           8
        .value_kind:     global_buffer
      - .offset:         64
        .size:           8
        .value_kind:     by_value
      - .offset:         72
        .size:           4
        .value_kind:     by_value
      - .offset:         80
        .size:           8
        .value_kind:     by_value
      - .address_space:  global
        .offset:         88
        .size:           8
        .value_kind:     global_buffer
      - .offset:         96
        .size:           8
        .value_kind:     by_value
      - .address_space:  global
        .offset:         104
        .size:           8
        .value_kind:     global_buffer
      - .offset:         112
        .size:           8
        .value_kind:     by_value
      - .offset:         120
        .size:           4
        .value_kind:     by_value
      - .offset:         128
        .size:           8
        .value_kind:     by_value
      - .offset:         136
        .size:           4
        .value_kind:     by_value
    .group_segment_fixed_size: 256
    .kernarg_segment_align: 8
    .kernarg_segment_size: 140
    .language:       OpenCL C
    .language_version:
      - 2
      - 0
    .max_flat_workgroup_size: 1024
    .name:           _ZL32rocblas_gemvt_warp_reduce_kernelILb0ELi1024EiPK19rocblas_complex_numIfES3_KPS1_EviiT3_lPKT2_lT1_lS9_lSA_lS6_lPT4_lSA_li
    .private_segment_fixed_size: 0
    .sgpr_count:     46
    .sgpr_spill_count: 0
    .symbol:         _ZL32rocblas_gemvt_warp_reduce_kernelILb0ELi1024EiPK19rocblas_complex_numIfES3_KPS1_EviiT3_lPKT2_lT1_lS9_lSA_lS6_lPT4_lSA_li.kd
    .uniform_work_group_size: 1
    .uses_dynamic_stack: false
    .vgpr_count:     32
    .vgpr_spill_count: 0
    .wavefront_size: 32
  - .args:
      - .offset:         0
        .size:           4
        .value_kind:     by_value
      - .offset:         4
        .size:           4
        .value_kind:     by_value
      - .address_space:  global
        .offset:         8
        .size:           8
        .value_kind:     global_buffer
      - .offset:         16
        .size:           8
        .value_kind:     by_value
      - .address_space:  global
        .offset:         24
        .size:           8
        .value_kind:     global_buffer
      - .offset:         32
        .size:           8
        .value_kind:     by_value
      - .offset:         40
        .size:           8
        .value_kind:     by_value
      - .offset:         48
        .size:           8
        .value_kind:     by_value
      - .address_space:  global
        .offset:         56
        .size:           8
        .value_kind:     global_buffer
      - .offset:         64
        .size:           8
        .value_kind:     by_value
      - .offset:         72
        .size:           8
        .value_kind:     by_value
      - .offset:         80
        .size:           8
        .value_kind:     by_value
      - .address_space:  global
        .offset:         88
        .size:           8
        .value_kind:     global_buffer
      - .offset:         96
        .size:           8
        .value_kind:     by_value
      - .address_space:  global
        .offset:         104
        .size:           8
        .value_kind:     global_buffer
      - .offset:         112
        .size:           8
        .value_kind:     by_value
      - .offset:         120
        .size:           8
        .value_kind:     by_value
      - .offset:         128
        .size:           8
        .value_kind:     by_value
      - .offset:         136
        .size:           4
        .value_kind:     by_value
    .group_segment_fixed_size: 256
    .kernarg_segment_align: 8
    .kernarg_segment_size: 140
    .language:       OpenCL C
    .language_version:
      - 2
      - 0
    .max_flat_workgroup_size: 1024
    .name:           _ZL32rocblas_gemvt_warp_reduce_kernelILb0ELi1024ElPK19rocblas_complex_numIfES3_KPS1_EviiT3_lPKT2_lT1_lS9_lSA_lS6_lPT4_lSA_li
    .private_segment_fixed_size: 0
    .sgpr_count:     47
    .sgpr_spill_count: 0
    .symbol:         _ZL32rocblas_gemvt_warp_reduce_kernelILb0ELi1024ElPK19rocblas_complex_numIfES3_KPS1_EviiT3_lPKT2_lT1_lS9_lSA_lS6_lPT4_lSA_li.kd
    .uniform_work_group_size: 1
    .uses_dynamic_stack: false
    .vgpr_count:     34
    .vgpr_spill_count: 0
    .wavefront_size: 32
  - .args:
      - .offset:         0
        .size:           4
        .value_kind:     by_value
      - .offset:         4
        .size:           4
        .value_kind:     by_value
      - .offset:         8
        .size:           8
        .value_kind:     by_value
      - .offset:         16
        .size:           8
        .value_kind:     by_value
      - .address_space:  global
        .offset:         24
        .size:           8
        .value_kind:     global_buffer
      - .offset:         32
        .size:           8
        .value_kind:     by_value
      - .offset:         40
        .size:           4
        .value_kind:     by_value
      - .offset:         48
        .size:           8
        .value_kind:     by_value
      - .address_space:  global
        .offset:         56
        .size:           8
        .value_kind:     global_buffer
      - .offset:         64
        .size:           8
        .value_kind:     by_value
      - .offset:         72
        .size:           4
        .value_kind:     by_value
      - .offset:         80
        .size:           8
        .value_kind:     by_value
      - .offset:         88
        .size:           8
        .value_kind:     by_value
      - .offset:         96
        .size:           8
        .value_kind:     by_value
      - .address_space:  global
        .offset:         104
        .size:           8
        .value_kind:     global_buffer
      - .offset:         112
        .size:           8
        .value_kind:     by_value
      - .offset:         120
        .size:           4
        .value_kind:     by_value
      - .offset:         128
        .size:           8
        .value_kind:     by_value
      - .offset:         136
        .size:           4
        .value_kind:     by_value
    .group_segment_fixed_size: 256
    .kernarg_segment_align: 8
    .kernarg_segment_size: 140
    .language:       OpenCL C
    .language_version:
      - 2
      - 0
    .max_flat_workgroup_size: 1024
    .name:           _ZL32rocblas_gemvt_warp_reduce_kernelILb0ELi1024EiPK19rocblas_complex_numIfES1_KPS1_EviiT3_lPKT2_lT1_lS9_lSA_lS6_lPT4_lSA_li
    .private_segment_fixed_size: 0
    .sgpr_count:     48
    .sgpr_spill_count: 0
    .symbol:         _ZL32rocblas_gemvt_warp_reduce_kernelILb0ELi1024EiPK19rocblas_complex_numIfES1_KPS1_EviiT3_lPKT2_lT1_lS9_lSA_lS6_lPT4_lSA_li.kd
    .uniform_work_group_size: 1
    .uses_dynamic_stack: false
    .vgpr_count:     30
    .vgpr_spill_count: 0
    .wavefront_size: 32
  - .args:
      - .offset:         0
        .size:           4
        .value_kind:     by_value
      - .offset:         4
        .size:           4
        .value_kind:     by_value
      - .offset:         8
        .size:           8
        .value_kind:     by_value
      - .offset:         16
        .size:           8
        .value_kind:     by_value
      - .address_space:  global
        .offset:         24
        .size:           8
        .value_kind:     global_buffer
      - .offset:         32
        .size:           8
        .value_kind:     by_value
      - .offset:         40
        .size:           8
        .value_kind:     by_value
      - .offset:         48
        .size:           8
        .value_kind:     by_value
      - .address_space:  global
        .offset:         56
        .size:           8
        .value_kind:     global_buffer
      - .offset:         64
        .size:           8
        .value_kind:     by_value
      - .offset:         72
        .size:           8
        .value_kind:     by_value
      - .offset:         80
        .size:           8
        .value_kind:     by_value
      - .offset:         88
        .size:           8
        .value_kind:     by_value
      - .offset:         96
        .size:           8
        .value_kind:     by_value
      - .address_space:  global
        .offset:         104
        .size:           8
        .value_kind:     global_buffer
      - .offset:         112
        .size:           8
        .value_kind:     by_value
      - .offset:         120
        .size:           8
        .value_kind:     by_value
      - .offset:         128
        .size:           8
        .value_kind:     by_value
      - .offset:         136
        .size:           4
        .value_kind:     by_value
    .group_segment_fixed_size: 256
    .kernarg_segment_align: 8
    .kernarg_segment_size: 140
    .language:       OpenCL C
    .language_version:
      - 2
      - 0
    .max_flat_workgroup_size: 1024
    .name:           _ZL32rocblas_gemvt_warp_reduce_kernelILb0ELi1024ElPK19rocblas_complex_numIfES1_KPS1_EviiT3_lPKT2_lT1_lS9_lSA_lS6_lPT4_lSA_li
    .private_segment_fixed_size: 0
    .sgpr_count:     48
    .sgpr_spill_count: 0
    .symbol:         _ZL32rocblas_gemvt_warp_reduce_kernelILb0ELi1024ElPK19rocblas_complex_numIfES1_KPS1_EviiT3_lPKT2_lT1_lS9_lSA_lS6_lPT4_lSA_li.kd
    .uniform_work_group_size: 1
    .uses_dynamic_stack: false
    .vgpr_count:     32
    .vgpr_spill_count: 0
    .wavefront_size: 32
  - .args:
      - .offset:         0
        .size:           4
        .value_kind:     by_value
      - .offset:         4
        .size:           4
        .value_kind:     by_value
      - .address_space:  global
        .offset:         8
        .size:           8
        .value_kind:     global_buffer
      - .offset:         16
        .size:           8
        .value_kind:     by_value
      - .address_space:  global
        .offset:         24
        .size:           8
        .value_kind:     global_buffer
      - .offset:         32
        .size:           8
        .value_kind:     by_value
      - .offset:         40
        .size:           4
        .value_kind:     by_value
      - .offset:         48
        .size:           8
        .value_kind:     by_value
      - .address_space:  global
        .offset:         56
        .size:           8
        .value_kind:     global_buffer
      - .offset:         64
        .size:           8
        .value_kind:     by_value
      - .offset:         72
        .size:           4
        .value_kind:     by_value
      - .offset:         80
        .size:           8
        .value_kind:     by_value
      - .address_space:  global
        .offset:         88
        .size:           8
        .value_kind:     global_buffer
      - .offset:         96
        .size:           8
        .value_kind:     by_value
      - .address_space:  global
        .offset:         104
        .size:           8
        .value_kind:     global_buffer
      - .offset:         112
        .size:           8
        .value_kind:     by_value
      - .offset:         120
        .size:           4
        .value_kind:     by_value
      - .offset:         128
        .size:           8
        .value_kind:     by_value
    .group_segment_fixed_size: 512
    .kernarg_segment_align: 8
    .kernarg_segment_size: 136
    .language:       OpenCL C
    .language_version:
      - 2
      - 0
    .max_flat_workgroup_size: 256
    .name:           _ZL22rocblas_gemvtsm_kernelILb1ELi256EPK19rocblas_complex_numIfES3_KPS1_EviiT2_lPKT1_lilS9_lilS6_lPT3_lil
    .private_segment_fixed_size: 0
    .sgpr_count:     26
    .sgpr_spill_count: 0
    .symbol:         _ZL22rocblas_gemvtsm_kernelILb1ELi256EPK19rocblas_complex_numIfES3_KPS1_EviiT2_lPKT1_lilS9_lilS6_lPT3_lil.kd
    .uniform_work_group_size: 1
    .uses_dynamic_stack: false
    .vgpr_count:     68
    .vgpr_spill_count: 0
    .wavefront_size: 32
  - .args:
      - .offset:         0
        .size:           4
        .value_kind:     by_value
      - .offset:         4
        .size:           4
        .value_kind:     by_value
      - .offset:         8
        .size:           8
        .value_kind:     by_value
      - .offset:         16
        .size:           8
        .value_kind:     by_value
      - .address_space:  global
        .offset:         24
        .size:           8
        .value_kind:     global_buffer
      - .offset:         32
        .size:           8
        .value_kind:     by_value
      - .offset:         40
        .size:           4
        .value_kind:     by_value
      - .offset:         48
        .size:           8
        .value_kind:     by_value
      - .address_space:  global
        .offset:         56
        .size:           8
        .value_kind:     global_buffer
      - .offset:         64
        .size:           8
        .value_kind:     by_value
      - .offset:         72
        .size:           4
        .value_kind:     by_value
      - .offset:         80
        .size:           8
        .value_kind:     by_value
      - .offset:         88
        .size:           8
        .value_kind:     by_value
      - .offset:         96
        .size:           8
        .value_kind:     by_value
      - .address_space:  global
        .offset:         104
        .size:           8
        .value_kind:     global_buffer
      - .offset:         112
        .size:           8
        .value_kind:     by_value
      - .offset:         120
        .size:           4
        .value_kind:     by_value
      - .offset:         128
        .size:           8
        .value_kind:     by_value
    .group_segment_fixed_size: 512
    .kernarg_segment_align: 8
    .kernarg_segment_size: 136
    .language:       OpenCL C
    .language_version:
      - 2
      - 0
    .max_flat_workgroup_size: 256
    .name:           _ZL22rocblas_gemvtsm_kernelILb1ELi256EPK19rocblas_complex_numIfES1_KPS1_EviiT2_lPKT1_lilS9_lilS6_lPT3_lil
    .private_segment_fixed_size: 0
    .sgpr_count:     26
    .sgpr_spill_count: 0
    .symbol:         _ZL22rocblas_gemvtsm_kernelILb1ELi256EPK19rocblas_complex_numIfES1_KPS1_EviiT2_lPKT1_lilS9_lilS6_lPT3_lil.kd
    .uniform_work_group_size: 1
    .uses_dynamic_stack: false
    .vgpr_count:     68
    .vgpr_spill_count: 0
    .wavefront_size: 32
  - .args:
      - .offset:         0
        .size:           4
        .value_kind:     by_value
      - .offset:         4
        .size:           4
        .value_kind:     by_value
      - .address_space:  global
        .offset:         8
        .size:           8
        .value_kind:     global_buffer
      - .offset:         16
        .size:           8
        .value_kind:     by_value
      - .address_space:  global
        .offset:         24
        .size:           8
        .value_kind:     global_buffer
      - .offset:         32
        .size:           8
        .value_kind:     by_value
      - .offset:         40
        .size:           4
        .value_kind:     by_value
      - .offset:         48
        .size:           8
        .value_kind:     by_value
      - .address_space:  global
        .offset:         56
        .size:           8
        .value_kind:     global_buffer
      - .offset:         64
        .size:           8
        .value_kind:     by_value
      - .offset:         72
        .size:           4
        .value_kind:     by_value
      - .offset:         80
        .size:           8
        .value_kind:     by_value
      - .address_space:  global
        .offset:         88
        .size:           8
        .value_kind:     global_buffer
      - .offset:         96
        .size:           4
        .value_kind:     by_value
      - .offset:         104
        .size:           4
        .value_kind:     hidden_block_count_x
      - .offset:         108
        .size:           4
        .value_kind:     hidden_block_count_y
      - .offset:         112
        .size:           4
        .value_kind:     hidden_block_count_z
      - .offset:         116
        .size:           2
        .value_kind:     hidden_group_size_x
      - .offset:         118
        .size:           2
        .value_kind:     hidden_group_size_y
      - .offset:         120
        .size:           2
        .value_kind:     hidden_group_size_z
      - .offset:         122
        .size:           2
        .value_kind:     hidden_remainder_x
      - .offset:         124
        .size:           2
        .value_kind:     hidden_remainder_y
      - .offset:         126
        .size:           2
        .value_kind:     hidden_remainder_z
      - .offset:         144
        .size:           8
        .value_kind:     hidden_global_offset_x
      - .offset:         152
        .size:           8
        .value_kind:     hidden_global_offset_y
      - .offset:         160
        .size:           8
        .value_kind:     hidden_global_offset_z
      - .offset:         168
        .size:           2
        .value_kind:     hidden_grid_dims
    .group_segment_fixed_size: 8448
    .kernarg_segment_align: 8
    .kernarg_segment_size: 360
    .language:       OpenCL C
    .language_version:
      - 2
      - 0
    .max_flat_workgroup_size: 256
    .name:           _ZL23rocblas_gemvt_sn_kernelILb1ELi256ELi4EiPK19rocblas_complex_numIfES3_S1_EviiT4_lPKT3_lilS7_lilPT5_i
    .private_segment_fixed_size: 0
    .sgpr_count:     70
    .sgpr_spill_count: 0
    .symbol:         _ZL23rocblas_gemvt_sn_kernelILb1ELi256ELi4EiPK19rocblas_complex_numIfES3_S1_EviiT4_lPKT3_lilS7_lilPT5_i.kd
    .uniform_work_group_size: 1
    .uses_dynamic_stack: false
    .vgpr_count:     102
    .vgpr_spill_count: 0
    .wavefront_size: 32
  - .args:
      - .offset:         0
        .size:           4
        .value_kind:     by_value
      - .offset:         4
        .size:           4
        .value_kind:     by_value
      - .address_space:  global
        .offset:         8
        .size:           8
        .value_kind:     global_buffer
      - .offset:         16
        .size:           8
        .value_kind:     by_value
      - .address_space:  global
        .offset:         24
        .size:           8
        .value_kind:     global_buffer
      - .offset:         32
        .size:           8
        .value_kind:     by_value
      - .offset:         40
        .size:           4
        .value_kind:     by_value
      - .offset:         48
        .size:           8
        .value_kind:     by_value
      - .address_space:  global
        .offset:         56
        .size:           8
        .value_kind:     global_buffer
      - .offset:         64
        .size:           8
        .value_kind:     by_value
      - .offset:         72
        .size:           4
        .value_kind:     by_value
      - .offset:         80
        .size:           8
        .value_kind:     by_value
      - .address_space:  global
        .offset:         88
        .size:           8
        .value_kind:     global_buffer
      - .offset:         96
        .size:           4
        .value_kind:     by_value
      - .offset:         104
        .size:           4
        .value_kind:     hidden_block_count_x
      - .offset:         108
        .size:           4
        .value_kind:     hidden_block_count_y
      - .offset:         112
        .size:           4
        .value_kind:     hidden_block_count_z
      - .offset:         116
        .size:           2
        .value_kind:     hidden_group_size_x
      - .offset:         118
        .size:           2
        .value_kind:     hidden_group_size_y
      - .offset:         120
        .size:           2
        .value_kind:     hidden_group_size_z
      - .offset:         122
        .size:           2
        .value_kind:     hidden_remainder_x
      - .offset:         124
        .size:           2
        .value_kind:     hidden_remainder_y
      - .offset:         126
        .size:           2
        .value_kind:     hidden_remainder_z
      - .offset:         144
        .size:           8
        .value_kind:     hidden_global_offset_x
      - .offset:         152
        .size:           8
        .value_kind:     hidden_global_offset_y
      - .offset:         160
        .size:           8
        .value_kind:     hidden_global_offset_z
      - .offset:         168
        .size:           2
        .value_kind:     hidden_grid_dims
    .group_segment_fixed_size: 8448
    .kernarg_segment_align: 8
    .kernarg_segment_size: 360
    .language:       OpenCL C
    .language_version:
      - 2
      - 0
    .max_flat_workgroup_size: 256
    .name:           _ZL23rocblas_gemvt_sn_kernelILb1ELi256ELi4ElPK19rocblas_complex_numIfES3_S1_EviiT4_lPKT3_lilS7_lilPT5_i
    .private_segment_fixed_size: 0
    .sgpr_count:     72
    .sgpr_spill_count: 0
    .symbol:         _ZL23rocblas_gemvt_sn_kernelILb1ELi256ELi4ElPK19rocblas_complex_numIfES3_S1_EviiT4_lPKT3_lilS7_lilPT5_i.kd
    .uniform_work_group_size: 1
    .uses_dynamic_stack: false
    .vgpr_count:     108
    .vgpr_spill_count: 0
    .wavefront_size: 32
  - .args:
      - .offset:         0
        .size:           4
        .value_kind:     by_value
      - .offset:         4
        .size:           4
        .value_kind:     by_value
      - .offset:         8
        .size:           8
        .value_kind:     by_value
      - .offset:         16
        .size:           8
        .value_kind:     by_value
      - .address_space:  global
        .offset:         24
        .size:           8
        .value_kind:     global_buffer
      - .offset:         32
        .size:           8
        .value_kind:     by_value
      - .offset:         40
        .size:           4
        .value_kind:     by_value
      - .offset:         48
        .size:           8
        .value_kind:     by_value
      - .address_space:  global
        .offset:         56
        .size:           8
        .value_kind:     global_buffer
      - .offset:         64
        .size:           8
        .value_kind:     by_value
      - .offset:         72
        .size:           4
        .value_kind:     by_value
      - .offset:         80
        .size:           8
        .value_kind:     by_value
      - .address_space:  global
        .offset:         88
        .size:           8
        .value_kind:     global_buffer
      - .offset:         96
        .size:           4
        .value_kind:     by_value
      - .offset:         104
        .size:           4
        .value_kind:     hidden_block_count_x
      - .offset:         108
        .size:           4
        .value_kind:     hidden_block_count_y
      - .offset:         112
        .size:           4
        .value_kind:     hidden_block_count_z
      - .offset:         116
        .size:           2
        .value_kind:     hidden_group_size_x
      - .offset:         118
        .size:           2
        .value_kind:     hidden_group_size_y
      - .offset:         120
        .size:           2
        .value_kind:     hidden_group_size_z
      - .offset:         122
        .size:           2
        .value_kind:     hidden_remainder_x
      - .offset:         124
        .size:           2
        .value_kind:     hidden_remainder_y
      - .offset:         126
        .size:           2
        .value_kind:     hidden_remainder_z
      - .offset:         144
        .size:           8
        .value_kind:     hidden_global_offset_x
      - .offset:         152
        .size:           8
        .value_kind:     hidden_global_offset_y
      - .offset:         160
        .size:           8
        .value_kind:     hidden_global_offset_z
      - .offset:         168
        .size:           2
        .value_kind:     hidden_grid_dims
    .group_segment_fixed_size: 8448
    .kernarg_segment_align: 8
    .kernarg_segment_size: 360
    .language:       OpenCL C
    .language_version:
      - 2
      - 0
    .max_flat_workgroup_size: 256
    .name:           _ZL23rocblas_gemvt_sn_kernelILb1ELi256ELi4EiPK19rocblas_complex_numIfES1_S1_EviiT4_lPKT3_lilS7_lilPT5_i
    .private_segment_fixed_size: 0
    .sgpr_count:     72
    .sgpr_spill_count: 0
    .symbol:         _ZL23rocblas_gemvt_sn_kernelILb1ELi256ELi4EiPK19rocblas_complex_numIfES1_S1_EviiT4_lPKT3_lilS7_lilPT5_i.kd
    .uniform_work_group_size: 1
    .uses_dynamic_stack: false
    .vgpr_count:     98
    .vgpr_spill_count: 0
    .wavefront_size: 32
  - .args:
      - .offset:         0
        .size:           4
        .value_kind:     by_value
      - .offset:         4
        .size:           4
        .value_kind:     by_value
      - .offset:         8
        .size:           8
        .value_kind:     by_value
      - .offset:         16
        .size:           8
        .value_kind:     by_value
      - .address_space:  global
        .offset:         24
        .size:           8
        .value_kind:     global_buffer
      - .offset:         32
        .size:           8
        .value_kind:     by_value
      - .offset:         40
        .size:           4
        .value_kind:     by_value
      - .offset:         48
        .size:           8
        .value_kind:     by_value
      - .address_space:  global
        .offset:         56
        .size:           8
        .value_kind:     global_buffer
      - .offset:         64
        .size:           8
        .value_kind:     by_value
      - .offset:         72
        .size:           4
        .value_kind:     by_value
      - .offset:         80
        .size:           8
        .value_kind:     by_value
      - .address_space:  global
        .offset:         88
        .size:           8
        .value_kind:     global_buffer
      - .offset:         96
        .size:           4
        .value_kind:     by_value
      - .offset:         104
        .size:           4
        .value_kind:     hidden_block_count_x
      - .offset:         108
        .size:           4
        .value_kind:     hidden_block_count_y
      - .offset:         112
        .size:           4
        .value_kind:     hidden_block_count_z
      - .offset:         116
        .size:           2
        .value_kind:     hidden_group_size_x
      - .offset:         118
        .size:           2
        .value_kind:     hidden_group_size_y
      - .offset:         120
        .size:           2
        .value_kind:     hidden_group_size_z
      - .offset:         122
        .size:           2
        .value_kind:     hidden_remainder_x
      - .offset:         124
        .size:           2
        .value_kind:     hidden_remainder_y
      - .offset:         126
        .size:           2
        .value_kind:     hidden_remainder_z
      - .offset:         144
        .size:           8
        .value_kind:     hidden_global_offset_x
      - .offset:         152
        .size:           8
        .value_kind:     hidden_global_offset_y
      - .offset:         160
        .size:           8
        .value_kind:     hidden_global_offset_z
      - .offset:         168
        .size:           2
        .value_kind:     hidden_grid_dims
    .group_segment_fixed_size: 8448
    .kernarg_segment_align: 8
    .kernarg_segment_size: 360
    .language:       OpenCL C
    .language_version:
      - 2
      - 0
    .max_flat_workgroup_size: 256
    .name:           _ZL23rocblas_gemvt_sn_kernelILb1ELi256ELi4ElPK19rocblas_complex_numIfES1_S1_EviiT4_lPKT3_lilS7_lilPT5_i
    .private_segment_fixed_size: 0
    .sgpr_count:     74
    .sgpr_spill_count: 0
    .symbol:         _ZL23rocblas_gemvt_sn_kernelILb1ELi256ELi4ElPK19rocblas_complex_numIfES1_S1_EviiT4_lPKT3_lilS7_lilPT5_i.kd
    .uniform_work_group_size: 1
    .uses_dynamic_stack: false
    .vgpr_count:     104
    .vgpr_spill_count: 0
    .wavefront_size: 32
  - .args:
      - .offset:         0
        .size:           4
        .value_kind:     by_value
      - .offset:         4
        .size:           4
        .value_kind:     by_value
      - .address_space:  global
        .offset:         8
        .size:           8
        .value_kind:     global_buffer
      - .offset:         16
        .size:           8
        .value_kind:     by_value
      - .address_space:  global
        .offset:         24
        .size:           8
        .value_kind:     global_buffer
      - .offset:         32
        .size:           8
        .value_kind:     by_value
      - .offset:         40
        .size:           4
        .value_kind:     by_value
      - .offset:         48
        .size:           8
        .value_kind:     by_value
      - .address_space:  global
        .offset:         56
        .size:           8
        .value_kind:     global_buffer
      - .offset:         64
        .size:           8
        .value_kind:     by_value
      - .offset:         72
        .size:           4
        .value_kind:     by_value
      - .offset:         80
        .size:           8
        .value_kind:     by_value
      - .address_space:  global
        .offset:         88
        .size:           8
        .value_kind:     global_buffer
      - .offset:         96
        .size:           8
        .value_kind:     by_value
      - .address_space:  global
        .offset:         104
        .size:           8
        .value_kind:     global_buffer
      - .offset:         112
        .size:           8
        .value_kind:     by_value
      - .offset:         120
        .size:           4
        .value_kind:     by_value
      - .offset:         128
        .size:           8
        .value_kind:     by_value
      - .offset:         136
        .size:           4
        .value_kind:     by_value
    .group_segment_fixed_size: 2048
    .kernarg_segment_align: 8
    .kernarg_segment_size: 140
    .language:       OpenCL C
    .language_version:
      - 2
      - 0
    .max_flat_workgroup_size: 256
    .name:           _ZL20rocblas_gemvt_kernelILb1ELi256EPK19rocblas_complex_numIfES3_KPS1_EviiT2_lPKT1_lilS9_lilS6_lPT3_lili
    .private_segment_fixed_size: 0
    .sgpr_count:     52
    .sgpr_spill_count: 0
    .symbol:         _ZL20rocblas_gemvt_kernelILb1ELi256EPK19rocblas_complex_numIfES3_KPS1_EviiT2_lPKT1_lilS9_lilS6_lPT3_lili.kd
    .uniform_work_group_size: 1
    .uses_dynamic_stack: false
    .vgpr_count:     30
    .vgpr_spill_count: 0
    .wavefront_size: 32
  - .args:
      - .offset:         0
        .size:           4
        .value_kind:     by_value
      - .offset:         4
        .size:           4
        .value_kind:     by_value
      - .offset:         8
        .size:           8
        .value_kind:     by_value
      - .offset:         16
        .size:           8
        .value_kind:     by_value
      - .address_space:  global
        .offset:         24
        .size:           8
        .value_kind:     global_buffer
      - .offset:         32
        .size:           8
        .value_kind:     by_value
      - .offset:         40
        .size:           4
        .value_kind:     by_value
      - .offset:         48
        .size:           8
        .value_kind:     by_value
      - .address_space:  global
        .offset:         56
        .size:           8
        .value_kind:     global_buffer
      - .offset:         64
        .size:           8
        .value_kind:     by_value
      - .offset:         72
        .size:           4
        .value_kind:     by_value
      - .offset:         80
        .size:           8
        .value_kind:     by_value
      - .offset:         88
        .size:           8
        .value_kind:     by_value
      - .offset:         96
        .size:           8
        .value_kind:     by_value
      - .address_space:  global
        .offset:         104
        .size:           8
        .value_kind:     global_buffer
      - .offset:         112
        .size:           8
        .value_kind:     by_value
      - .offset:         120
        .size:           4
        .value_kind:     by_value
      - .offset:         128
        .size:           8
        .value_kind:     by_value
      - .offset:         136
        .size:           4
        .value_kind:     by_value
    .group_segment_fixed_size: 2048
    .kernarg_segment_align: 8
    .kernarg_segment_size: 140
    .language:       OpenCL C
    .language_version:
      - 2
      - 0
    .max_flat_workgroup_size: 256
    .name:           _ZL20rocblas_gemvt_kernelILb1ELi256EPK19rocblas_complex_numIfES1_KPS1_EviiT2_lPKT1_lilS9_lilS6_lPT3_lili
    .private_segment_fixed_size: 0
    .sgpr_count:     54
    .sgpr_spill_count: 0
    .symbol:         _ZL20rocblas_gemvt_kernelILb1ELi256EPK19rocblas_complex_numIfES1_KPS1_EviiT2_lPKT1_lilS9_lilS6_lPT3_lili.kd
    .uniform_work_group_size: 1
    .uses_dynamic_stack: false
    .vgpr_count:     28
    .vgpr_spill_count: 0
    .wavefront_size: 32
  - .args:
      - .offset:         0
        .size:           4
        .value_kind:     by_value
      - .offset:         4
        .size:           4
        .value_kind:     by_value
      - .address_space:  global
        .offset:         8
        .size:           8
        .value_kind:     global_buffer
      - .offset:         16
        .size:           8
        .value_kind:     by_value
      - .address_space:  global
        .offset:         24
        .size:           8
        .value_kind:     global_buffer
      - .offset:         32
        .size:           8
        .value_kind:     by_value
      - .offset:         40
        .size:           4
        .value_kind:     by_value
      - .offset:         48
        .size:           8
        .value_kind:     by_value
      - .address_space:  global
        .offset:         56
        .size:           8
        .value_kind:     global_buffer
      - .offset:         64
        .size:           8
        .value_kind:     by_value
      - .offset:         72
        .size:           4
        .value_kind:     by_value
      - .offset:         80
        .size:           8
        .value_kind:     by_value
      - .address_space:  global
        .offset:         88
        .size:           8
        .value_kind:     global_buffer
      - .offset:         96
        .size:           8
        .value_kind:     by_value
      - .address_space:  global
        .offset:         104
        .size:           8
        .value_kind:     global_buffer
      - .offset:         112
        .size:           8
        .value_kind:     by_value
      - .offset:         120
        .size:           4
        .value_kind:     by_value
      - .offset:         128
        .size:           8
        .value_kind:     by_value
      - .offset:         136
        .size:           4
        .value_kind:     by_value
    .group_segment_fixed_size: 256
    .kernarg_segment_align: 8
    .kernarg_segment_size: 140
    .language:       OpenCL C
    .language_version:
      - 2
      - 0
    .max_flat_workgroup_size: 1024
    .name:           _ZL32rocblas_gemvt_warp_reduce_kernelILb1ELi1024EiPK19rocblas_complex_numIfES3_KPS1_EviiT3_lPKT2_lT1_lS9_lSA_lS6_lPT4_lSA_li
    .private_segment_fixed_size: 0
    .sgpr_count:     46
    .sgpr_spill_count: 0
    .symbol:         _ZL32rocblas_gemvt_warp_reduce_kernelILb1ELi1024EiPK19rocblas_complex_numIfES3_KPS1_EviiT3_lPKT2_lT1_lS9_lSA_lS6_lPT4_lSA_li.kd
    .uniform_work_group_size: 1
    .uses_dynamic_stack: false
    .vgpr_count:     34
    .vgpr_spill_count: 0
    .wavefront_size: 32
  - .args:
      - .offset:         0
        .size:           4
        .value_kind:     by_value
      - .offset:         4
        .size:           4
        .value_kind:     by_value
      - .address_space:  global
        .offset:         8
        .size:           8
        .value_kind:     global_buffer
      - .offset:         16
        .size:           8
        .value_kind:     by_value
      - .address_space:  global
        .offset:         24
        .size:           8
        .value_kind:     global_buffer
      - .offset:         32
        .size:           8
        .value_kind:     by_value
      - .offset:         40
        .size:           8
        .value_kind:     by_value
      - .offset:         48
        .size:           8
        .value_kind:     by_value
      - .address_space:  global
        .offset:         56
        .size:           8
        .value_kind:     global_buffer
      - .offset:         64
        .size:           8
        .value_kind:     by_value
      - .offset:         72
        .size:           8
        .value_kind:     by_value
      - .offset:         80
        .size:           8
        .value_kind:     by_value
      - .address_space:  global
        .offset:         88
        .size:           8
        .value_kind:     global_buffer
      - .offset:         96
        .size:           8
        .value_kind:     by_value
      - .address_space:  global
        .offset:         104
        .size:           8
        .value_kind:     global_buffer
      - .offset:         112
        .size:           8
        .value_kind:     by_value
      - .offset:         120
        .size:           8
        .value_kind:     by_value
      - .offset:         128
        .size:           8
        .value_kind:     by_value
      - .offset:         136
        .size:           4
        .value_kind:     by_value
    .group_segment_fixed_size: 256
    .kernarg_segment_align: 8
    .kernarg_segment_size: 140
    .language:       OpenCL C
    .language_version:
      - 2
      - 0
    .max_flat_workgroup_size: 1024
    .name:           _ZL32rocblas_gemvt_warp_reduce_kernelILb1ELi1024ElPK19rocblas_complex_numIfES3_KPS1_EviiT3_lPKT2_lT1_lS9_lSA_lS6_lPT4_lSA_li
    .private_segment_fixed_size: 0
    .sgpr_count:     47
    .sgpr_spill_count: 0
    .symbol:         _ZL32rocblas_gemvt_warp_reduce_kernelILb1ELi1024ElPK19rocblas_complex_numIfES3_KPS1_EviiT3_lPKT2_lT1_lS9_lSA_lS6_lPT4_lSA_li.kd
    .uniform_work_group_size: 1
    .uses_dynamic_stack: false
    .vgpr_count:     36
    .vgpr_spill_count: 0
    .wavefront_size: 32
  - .args:
      - .offset:         0
        .size:           4
        .value_kind:     by_value
      - .offset:         4
        .size:           4
        .value_kind:     by_value
      - .offset:         8
        .size:           8
        .value_kind:     by_value
      - .offset:         16
        .size:           8
        .value_kind:     by_value
      - .address_space:  global
        .offset:         24
        .size:           8
        .value_kind:     global_buffer
      - .offset:         32
        .size:           8
        .value_kind:     by_value
      - .offset:         40
        .size:           4
        .value_kind:     by_value
      - .offset:         48
        .size:           8
        .value_kind:     by_value
      - .address_space:  global
        .offset:         56
        .size:           8
        .value_kind:     global_buffer
      - .offset:         64
        .size:           8
        .value_kind:     by_value
      - .offset:         72
        .size:           4
        .value_kind:     by_value
      - .offset:         80
        .size:           8
        .value_kind:     by_value
      - .offset:         88
        .size:           8
        .value_kind:     by_value
      - .offset:         96
        .size:           8
        .value_kind:     by_value
      - .address_space:  global
        .offset:         104
        .size:           8
        .value_kind:     global_buffer
      - .offset:         112
        .size:           8
        .value_kind:     by_value
      - .offset:         120
        .size:           4
        .value_kind:     by_value
      - .offset:         128
        .size:           8
        .value_kind:     by_value
      - .offset:         136
        .size:           4
        .value_kind:     by_value
    .group_segment_fixed_size: 256
    .kernarg_segment_align: 8
    .kernarg_segment_size: 140
    .language:       OpenCL C
    .language_version:
      - 2
      - 0
    .max_flat_workgroup_size: 1024
    .name:           _ZL32rocblas_gemvt_warp_reduce_kernelILb1ELi1024EiPK19rocblas_complex_numIfES1_KPS1_EviiT3_lPKT2_lT1_lS9_lSA_lS6_lPT4_lSA_li
    .private_segment_fixed_size: 0
    .sgpr_count:     48
    .sgpr_spill_count: 0
    .symbol:         _ZL32rocblas_gemvt_warp_reduce_kernelILb1ELi1024EiPK19rocblas_complex_numIfES1_KPS1_EviiT3_lPKT2_lT1_lS9_lSA_lS6_lPT4_lSA_li.kd
    .uniform_work_group_size: 1
    .uses_dynamic_stack: false
    .vgpr_count:     32
    .vgpr_spill_count: 0
    .wavefront_size: 32
  - .args:
      - .offset:         0
        .size:           4
        .value_kind:     by_value
      - .offset:         4
        .size:           4
        .value_kind:     by_value
      - .offset:         8
        .size:           8
        .value_kind:     by_value
      - .offset:         16
        .size:           8
        .value_kind:     by_value
      - .address_space:  global
        .offset:         24
        .size:           8
        .value_kind:     global_buffer
      - .offset:         32
        .size:           8
        .value_kind:     by_value
      - .offset:         40
        .size:           8
        .value_kind:     by_value
      - .offset:         48
        .size:           8
        .value_kind:     by_value
      - .address_space:  global
        .offset:         56
        .size:           8
        .value_kind:     global_buffer
      - .offset:         64
        .size:           8
        .value_kind:     by_value
      - .offset:         72
        .size:           8
        .value_kind:     by_value
      - .offset:         80
        .size:           8
        .value_kind:     by_value
      - .offset:         88
        .size:           8
        .value_kind:     by_value
      - .offset:         96
        .size:           8
        .value_kind:     by_value
      - .address_space:  global
        .offset:         104
        .size:           8
        .value_kind:     global_buffer
      - .offset:         112
        .size:           8
        .value_kind:     by_value
      - .offset:         120
        .size:           8
        .value_kind:     by_value
      - .offset:         128
        .size:           8
        .value_kind:     by_value
      - .offset:         136
        .size:           4
        .value_kind:     by_value
    .group_segment_fixed_size: 256
    .kernarg_segment_align: 8
    .kernarg_segment_size: 140
    .language:       OpenCL C
    .language_version:
      - 2
      - 0
    .max_flat_workgroup_size: 1024
    .name:           _ZL32rocblas_gemvt_warp_reduce_kernelILb1ELi1024ElPK19rocblas_complex_numIfES1_KPS1_EviiT3_lPKT2_lT1_lS9_lSA_lS6_lPT4_lSA_li
    .private_segment_fixed_size: 0
    .sgpr_count:     48
    .sgpr_spill_count: 0
    .symbol:         _ZL32rocblas_gemvt_warp_reduce_kernelILb1ELi1024ElPK19rocblas_complex_numIfES1_KPS1_EviiT3_lPKT2_lT1_lS9_lSA_lS6_lPT4_lSA_li.kd
    .uniform_work_group_size: 1
    .uses_dynamic_stack: false
    .vgpr_count:     34
    .vgpr_spill_count: 0
    .wavefront_size: 32
  - .args:
      - .offset:         0
        .size:           4
        .value_kind:     by_value
      - .offset:         4
        .size:           4
        .value_kind:     by_value
      - .address_space:  global
        .offset:         8
        .size:           8
        .value_kind:     global_buffer
      - .offset:         16
        .size:           8
        .value_kind:     by_value
      - .address_space:  global
        .offset:         24
        .size:           8
        .value_kind:     global_buffer
      - .offset:         32
        .size:           8
        .value_kind:     by_value
      - .offset:         40
        .size:           4
        .value_kind:     by_value
      - .offset:         48
        .size:           8
        .value_kind:     by_value
      - .address_space:  global
        .offset:         56
        .size:           8
        .value_kind:     global_buffer
      - .offset:         64
        .size:           8
        .value_kind:     by_value
      - .offset:         72
        .size:           4
        .value_kind:     by_value
      - .offset:         80
        .size:           8
        .value_kind:     by_value
      - .address_space:  global
        .offset:         88
        .size:           8
        .value_kind:     global_buffer
      - .offset:         96
        .size:           8
        .value_kind:     by_value
      - .address_space:  global
        .offset:         104
        .size:           8
        .value_kind:     global_buffer
      - .offset:         112
        .size:           8
        .value_kind:     by_value
      - .offset:         120
        .size:           4
        .value_kind:     by_value
      - .offset:         128
        .size:           8
        .value_kind:     by_value
      - .offset:         136
        .size:           4
        .value_kind:     by_value
    .group_segment_fixed_size: 0
    .kernarg_segment_align: 8
    .kernarg_segment_size: 140
    .language:       OpenCL C
    .language_version:
      - 2
      - 0
    .max_flat_workgroup_size: 768
    .name:           _ZL34rocblas_gemvn_sm_mn_batched_kernelILi32ELi24EPK19rocblas_complex_numIdES3_KPS1_EviiT2_lPKT1_lilS9_lilS6_lPT3_lili
    .private_segment_fixed_size: 0
    .sgpr_count:     0
    .sgpr_spill_count: 0
    .symbol:         _ZL34rocblas_gemvn_sm_mn_batched_kernelILi32ELi24EPK19rocblas_complex_numIdES3_KPS1_EviiT2_lPKT1_lilS9_lilS6_lPT3_lili.kd
    .uniform_work_group_size: 1
    .uses_dynamic_stack: false
    .vgpr_count:     0
    .vgpr_spill_count: 0
    .wavefront_size: 32
  - .args:
      - .offset:         0
        .size:           4
        .value_kind:     by_value
      - .offset:         4
        .size:           4
        .value_kind:     by_value
      - .offset:         8
        .size:           16
        .value_kind:     by_value
      - .offset:         24
        .size:           8
        .value_kind:     by_value
      - .address_space:  global
        .offset:         32
        .size:           8
        .value_kind:     global_buffer
      - .offset:         40
        .size:           8
        .value_kind:     by_value
      - .offset:         48
        .size:           4
        .value_kind:     by_value
      - .offset:         56
        .size:           8
        .value_kind:     by_value
      - .address_space:  global
        .offset:         64
        .size:           8
        .value_kind:     global_buffer
      - .offset:         72
        .size:           8
        .value_kind:     by_value
      - .offset:         80
        .size:           4
        .value_kind:     by_value
      - .offset:         88
        .size:           8
        .value_kind:     by_value
      - .offset:         96
        .size:           16
        .value_kind:     by_value
      - .offset:         112
        .size:           8
        .value_kind:     by_value
      - .address_space:  global
        .offset:         120
        .size:           8
        .value_kind:     global_buffer
      - .offset:         128
        .size:           8
        .value_kind:     by_value
      - .offset:         136
        .size:           4
        .value_kind:     by_value
      - .offset:         144
        .size:           8
        .value_kind:     by_value
      - .offset:         152
        .size:           4
        .value_kind:     by_value
    .group_segment_fixed_size: 0
    .kernarg_segment_align: 8
    .kernarg_segment_size: 156
    .language:       OpenCL C
    .language_version:
      - 2
      - 0
    .max_flat_workgroup_size: 768
    .name:           _ZL34rocblas_gemvn_sm_mn_batched_kernelILi32ELi24EPK19rocblas_complex_numIdES1_KPS1_EviiT2_lPKT1_lilS9_lilS6_lPT3_lili
    .private_segment_fixed_size: 0
    .sgpr_count:     0
    .sgpr_spill_count: 0
    .symbol:         _ZL34rocblas_gemvn_sm_mn_batched_kernelILi32ELi24EPK19rocblas_complex_numIdES1_KPS1_EviiT2_lPKT1_lilS9_lilS6_lPT3_lili.kd
    .uniform_work_group_size: 1
    .uses_dynamic_stack: false
    .vgpr_count:     0
    .vgpr_spill_count: 0
    .wavefront_size: 32
  - .args:
      - .offset:         0
        .size:           4
        .value_kind:     by_value
      - .offset:         4
        .size:           4
        .value_kind:     by_value
      - .address_space:  global
        .offset:         8
        .size:           8
        .value_kind:     global_buffer
      - .offset:         16
        .size:           8
        .value_kind:     by_value
      - .address_space:  global
        .offset:         24
        .size:           8
        .value_kind:     global_buffer
      - .offset:         32
        .size:           8
        .value_kind:     by_value
      - .offset:         40
        .size:           4
        .value_kind:     by_value
      - .offset:         48
        .size:           8
        .value_kind:     by_value
      - .address_space:  global
        .offset:         56
        .size:           8
        .value_kind:     global_buffer
      - .offset:         64
        .size:           8
        .value_kind:     by_value
      - .offset:         72
        .size:           4
        .value_kind:     by_value
      - .offset:         80
        .size:           8
        .value_kind:     by_value
      - .address_space:  global
        .offset:         88
        .size:           8
        .value_kind:     global_buffer
      - .offset:         96
        .size:           8
        .value_kind:     by_value
      - .address_space:  global
        .offset:         104
        .size:           8
        .value_kind:     global_buffer
      - .offset:         112
        .size:           8
        .value_kind:     by_value
      - .offset:         120
        .size:           4
        .value_kind:     by_value
      - .offset:         128
        .size:           8
        .value_kind:     by_value
      - .offset:         136
        .size:           4
        .value_kind:     by_value
      - .offset:         144
        .size:           4
        .value_kind:     hidden_block_count_x
      - .offset:         148
        .size:           4
        .value_kind:     hidden_block_count_y
      - .offset:         152
        .size:           4
        .value_kind:     hidden_block_count_z
      - .offset:         156
        .size:           2
        .value_kind:     hidden_group_size_x
      - .offset:         158
        .size:           2
        .value_kind:     hidden_group_size_y
      - .offset:         160
        .size:           2
        .value_kind:     hidden_group_size_z
      - .offset:         162
        .size:           2
        .value_kind:     hidden_remainder_x
      - .offset:         164
        .size:           2
        .value_kind:     hidden_remainder_y
      - .offset:         166
        .size:           2
        .value_kind:     hidden_remainder_z
      - .offset:         184
        .size:           8
        .value_kind:     hidden_global_offset_x
      - .offset:         192
        .size:           8
        .value_kind:     hidden_global_offset_y
      - .offset:         200
        .size:           8
        .value_kind:     hidden_global_offset_z
      - .offset:         208
        .size:           2
        .value_kind:     hidden_grid_dims
    .group_segment_fixed_size: 4096
    .kernarg_segment_align: 8
    .kernarg_segment_size: 400
    .language:       OpenCL C
    .language_version:
      - 2
      - 0
    .max_flat_workgroup_size: 256
    .name:           _ZL20rocblas_gemvn_kernelILi64ELi4EiPK19rocblas_complex_numIdES3_KPS1_EviiT3_lPKT2_lT1_lS9_lSA_lS6_lPT4_lSA_li
    .private_segment_fixed_size: 0
    .sgpr_count:     46
    .sgpr_spill_count: 0
    .symbol:         _ZL20rocblas_gemvn_kernelILi64ELi4EiPK19rocblas_complex_numIdES3_KPS1_EviiT3_lPKT2_lT1_lS9_lSA_lS6_lPT4_lSA_li.kd
    .uniform_work_group_size: 1
    .uses_dynamic_stack: false
    .vgpr_count:     42
    .vgpr_spill_count: 0
    .wavefront_size: 32
  - .args:
      - .offset:         0
        .size:           4
        .value_kind:     by_value
      - .offset:         4
        .size:           4
        .value_kind:     by_value
      - .address_space:  global
        .offset:         8
        .size:           8
        .value_kind:     global_buffer
      - .offset:         16
        .size:           8
        .value_kind:     by_value
      - .address_space:  global
        .offset:         24
        .size:           8
        .value_kind:     global_buffer
      - .offset:         32
        .size:           8
        .value_kind:     by_value
      - .offset:         40
        .size:           8
        .value_kind:     by_value
      - .offset:         48
        .size:           8
        .value_kind:     by_value
      - .address_space:  global
        .offset:         56
        .size:           8
        .value_kind:     global_buffer
      - .offset:         64
        .size:           8
        .value_kind:     by_value
      - .offset:         72
        .size:           8
        .value_kind:     by_value
      - .offset:         80
        .size:           8
        .value_kind:     by_value
      - .address_space:  global
        .offset:         88
        .size:           8
        .value_kind:     global_buffer
      - .offset:         96
        .size:           8
        .value_kind:     by_value
      - .address_space:  global
        .offset:         104
        .size:           8
        .value_kind:     global_buffer
      - .offset:         112
        .size:           8
        .value_kind:     by_value
      - .offset:         120
        .size:           8
        .value_kind:     by_value
      - .offset:         128
        .size:           8
        .value_kind:     by_value
      - .offset:         136
        .size:           4
        .value_kind:     by_value
      - .offset:         144
        .size:           4
        .value_kind:     hidden_block_count_x
      - .offset:         148
        .size:           4
        .value_kind:     hidden_block_count_y
      - .offset:         152
        .size:           4
        .value_kind:     hidden_block_count_z
      - .offset:         156
        .size:           2
        .value_kind:     hidden_group_size_x
      - .offset:         158
        .size:           2
        .value_kind:     hidden_group_size_y
      - .offset:         160
        .size:           2
        .value_kind:     hidden_group_size_z
      - .offset:         162
        .size:           2
        .value_kind:     hidden_remainder_x
      - .offset:         164
        .size:           2
        .value_kind:     hidden_remainder_y
      - .offset:         166
        .size:           2
        .value_kind:     hidden_remainder_z
      - .offset:         184
        .size:           8
        .value_kind:     hidden_global_offset_x
      - .offset:         192
        .size:           8
        .value_kind:     hidden_global_offset_y
      - .offset:         200
        .size:           8
        .value_kind:     hidden_global_offset_z
      - .offset:         208
        .size:           2
        .value_kind:     hidden_grid_dims
    .group_segment_fixed_size: 4096
    .kernarg_segment_align: 8
    .kernarg_segment_size: 400
    .language:       OpenCL C
    .language_version:
      - 2
      - 0
    .max_flat_workgroup_size: 256
    .name:           _ZL20rocblas_gemvn_kernelILi64ELi4ElPK19rocblas_complex_numIdES3_KPS1_EviiT3_lPKT2_lT1_lS9_lSA_lS6_lPT4_lSA_li
    .private_segment_fixed_size: 0
    .sgpr_count:     46
    .sgpr_spill_count: 0
    .symbol:         _ZL20rocblas_gemvn_kernelILi64ELi4ElPK19rocblas_complex_numIdES3_KPS1_EviiT3_lPKT2_lT1_lS9_lSA_lS6_lPT4_lSA_li.kd
    .uniform_work_group_size: 1
    .uses_dynamic_stack: false
    .vgpr_count:     46
    .vgpr_spill_count: 0
    .wavefront_size: 32
  - .args:
      - .offset:         0
        .size:           4
        .value_kind:     by_value
      - .offset:         4
        .size:           4
        .value_kind:     by_value
      - .offset:         8
        .size:           16
        .value_kind:     by_value
      - .offset:         24
        .size:           8
        .value_kind:     by_value
      - .address_space:  global
        .offset:         32
        .size:           8
        .value_kind:     global_buffer
      - .offset:         40
        .size:           8
        .value_kind:     by_value
      - .offset:         48
        .size:           4
        .value_kind:     by_value
      - .offset:         56
        .size:           8
        .value_kind:     by_value
      - .address_space:  global
        .offset:         64
        .size:           8
        .value_kind:     global_buffer
      - .offset:         72
        .size:           8
        .value_kind:     by_value
      - .offset:         80
        .size:           4
        .value_kind:     by_value
      - .offset:         88
        .size:           8
        .value_kind:     by_value
      - .offset:         96
        .size:           16
        .value_kind:     by_value
      - .offset:         112
        .size:           8
        .value_kind:     by_value
      - .address_space:  global
        .offset:         120
        .size:           8
        .value_kind:     global_buffer
      - .offset:         128
        .size:           8
        .value_kind:     by_value
      - .offset:         136
        .size:           4
        .value_kind:     by_value
      - .offset:         144
        .size:           8
        .value_kind:     by_value
      - .offset:         152
        .size:           4
        .value_kind:     by_value
      - .offset:         160
        .size:           4
        .value_kind:     hidden_block_count_x
      - .offset:         164
        .size:           4
        .value_kind:     hidden_block_count_y
      - .offset:         168
        .size:           4
        .value_kind:     hidden_block_count_z
      - .offset:         172
        .size:           2
        .value_kind:     hidden_group_size_x
      - .offset:         174
        .size:           2
        .value_kind:     hidden_group_size_y
      - .offset:         176
        .size:           2
        .value_kind:     hidden_group_size_z
      - .offset:         178
        .size:           2
        .value_kind:     hidden_remainder_x
      - .offset:         180
        .size:           2
        .value_kind:     hidden_remainder_y
      - .offset:         182
        .size:           2
        .value_kind:     hidden_remainder_z
      - .offset:         200
        .size:           8
        .value_kind:     hidden_global_offset_x
      - .offset:         208
        .size:           8
        .value_kind:     hidden_global_offset_y
      - .offset:         216
        .size:           8
        .value_kind:     hidden_global_offset_z
      - .offset:         224
        .size:           2
        .value_kind:     hidden_grid_dims
    .group_segment_fixed_size: 4096
    .kernarg_segment_align: 8
    .kernarg_segment_size: 416
    .language:       OpenCL C
    .language_version:
      - 2
      - 0
    .max_flat_workgroup_size: 256
    .name:           _ZL20rocblas_gemvn_kernelILi64ELi4EiPK19rocblas_complex_numIdES1_KPS1_EviiT3_lPKT2_lT1_lS9_lSA_lS6_lPT4_lSA_li
    .private_segment_fixed_size: 0
    .sgpr_count:     50
    .sgpr_spill_count: 0
    .symbol:         _ZL20rocblas_gemvn_kernelILi64ELi4EiPK19rocblas_complex_numIdES1_KPS1_EviiT3_lPKT2_lT1_lS9_lSA_lS6_lPT4_lSA_li.kd
    .uniform_work_group_size: 1
    .uses_dynamic_stack: false
    .vgpr_count:     34
    .vgpr_spill_count: 0
    .wavefront_size: 32
  - .args:
      - .offset:         0
        .size:           4
        .value_kind:     by_value
      - .offset:         4
        .size:           4
        .value_kind:     by_value
      - .offset:         8
        .size:           16
        .value_kind:     by_value
      - .offset:         24
        .size:           8
        .value_kind:     by_value
      - .address_space:  global
        .offset:         32
        .size:           8
        .value_kind:     global_buffer
      - .offset:         40
        .size:           8
        .value_kind:     by_value
      - .offset:         48
        .size:           8
        .value_kind:     by_value
      - .offset:         56
        .size:           8
        .value_kind:     by_value
      - .address_space:  global
        .offset:         64
        .size:           8
        .value_kind:     global_buffer
      - .offset:         72
        .size:           8
        .value_kind:     by_value
      - .offset:         80
        .size:           8
        .value_kind:     by_value
      - .offset:         88
        .size:           8
        .value_kind:     by_value
      - .offset:         96
        .size:           16
        .value_kind:     by_value
      - .offset:         112
        .size:           8
        .value_kind:     by_value
      - .address_space:  global
        .offset:         120
        .size:           8
        .value_kind:     global_buffer
      - .offset:         128
        .size:           8
        .value_kind:     by_value
      - .offset:         136
        .size:           8
        .value_kind:     by_value
      - .offset:         144
        .size:           8
        .value_kind:     by_value
      - .offset:         152
        .size:           4
        .value_kind:     by_value
      - .offset:         160
        .size:           4
        .value_kind:     hidden_block_count_x
      - .offset:         164
        .size:           4
        .value_kind:     hidden_block_count_y
      - .offset:         168
        .size:           4
        .value_kind:     hidden_block_count_z
      - .offset:         172
        .size:           2
        .value_kind:     hidden_group_size_x
      - .offset:         174
        .size:           2
        .value_kind:     hidden_group_size_y
      - .offset:         176
        .size:           2
        .value_kind:     hidden_group_size_z
      - .offset:         178
        .size:           2
        .value_kind:     hidden_remainder_x
      - .offset:         180
        .size:           2
        .value_kind:     hidden_remainder_y
      - .offset:         182
        .size:           2
        .value_kind:     hidden_remainder_z
      - .offset:         200
        .size:           8
        .value_kind:     hidden_global_offset_x
      - .offset:         208
        .size:           8
        .value_kind:     hidden_global_offset_y
      - .offset:         216
        .size:           8
        .value_kind:     hidden_global_offset_z
      - .offset:         224
        .size:           2
        .value_kind:     hidden_grid_dims
    .group_segment_fixed_size: 4096
    .kernarg_segment_align: 8
    .kernarg_segment_size: 416
    .language:       OpenCL C
    .language_version:
      - 2
      - 0
    .max_flat_workgroup_size: 256
    .name:           _ZL20rocblas_gemvn_kernelILi64ELi4ElPK19rocblas_complex_numIdES1_KPS1_EviiT3_lPKT2_lT1_lS9_lSA_lS6_lPT4_lSA_li
    .private_segment_fixed_size: 0
    .sgpr_count:     49
    .sgpr_spill_count: 0
    .symbol:         _ZL20rocblas_gemvn_kernelILi64ELi4ElPK19rocblas_complex_numIdES1_KPS1_EviiT3_lPKT2_lT1_lS9_lSA_lS6_lPT4_lSA_li.kd
    .uniform_work_group_size: 1
    .uses_dynamic_stack: false
    .vgpr_count:     40
    .vgpr_spill_count: 0
    .wavefront_size: 32
  - .args:
      - .offset:         0
        .size:           4
        .value_kind:     by_value
      - .offset:         4
        .size:           4
        .value_kind:     by_value
      - .address_space:  global
        .offset:         8
        .size:           8
        .value_kind:     global_buffer
      - .offset:         16
        .size:           8
        .value_kind:     by_value
      - .address_space:  global
        .offset:         24
        .size:           8
        .value_kind:     global_buffer
      - .offset:         32
        .size:           8
        .value_kind:     by_value
      - .offset:         40
        .size:           4
        .value_kind:     by_value
      - .offset:         48
        .size:           8
        .value_kind:     by_value
      - .address_space:  global
        .offset:         56
        .size:           8
        .value_kind:     global_buffer
      - .offset:         64
        .size:           8
        .value_kind:     by_value
      - .offset:         72
        .size:           4
        .value_kind:     by_value
      - .offset:         80
        .size:           8
        .value_kind:     by_value
      - .address_space:  global
        .offset:         88
        .size:           8
        .value_kind:     global_buffer
      - .offset:         96
        .size:           8
        .value_kind:     by_value
      - .address_space:  global
        .offset:         104
        .size:           8
        .value_kind:     global_buffer
      - .offset:         112
        .size:           8
        .value_kind:     by_value
      - .offset:         120
        .size:           4
        .value_kind:     by_value
      - .offset:         128
        .size:           8
        .value_kind:     by_value
      - .offset:         136
        .size:           4
        .value_kind:     by_value
      - .offset:         144
        .size:           4
        .value_kind:     hidden_block_count_x
      - .offset:         148
        .size:           4
        .value_kind:     hidden_block_count_y
      - .offset:         152
        .size:           4
        .value_kind:     hidden_block_count_z
      - .offset:         156
        .size:           2
        .value_kind:     hidden_group_size_x
      - .offset:         158
        .size:           2
        .value_kind:     hidden_group_size_y
      - .offset:         160
        .size:           2
        .value_kind:     hidden_group_size_z
      - .offset:         162
        .size:           2
        .value_kind:     hidden_remainder_x
      - .offset:         164
        .size:           2
        .value_kind:     hidden_remainder_y
      - .offset:         166
        .size:           2
        .value_kind:     hidden_remainder_z
      - .offset:         184
        .size:           8
        .value_kind:     hidden_global_offset_x
      - .offset:         192
        .size:           8
        .value_kind:     hidden_global_offset_y
      - .offset:         200
        .size:           8
        .value_kind:     hidden_global_offset_z
      - .offset:         208
        .size:           2
        .value_kind:     hidden_grid_dims
    .group_segment_fixed_size: 8192
    .kernarg_segment_align: 8
    .kernarg_segment_size: 400
    .language:       OpenCL C
    .language_version:
      - 2
      - 0
    .max_flat_workgroup_size: 512
    .name:           _ZL20rocblas_gemvn_kernelILi32ELi16EiPK19rocblas_complex_numIdES3_KPS1_EviiT3_lPKT2_lT1_lS9_lSA_lS6_lPT4_lSA_li
    .private_segment_fixed_size: 0
    .sgpr_count:     46
    .sgpr_spill_count: 0
    .symbol:         _ZL20rocblas_gemvn_kernelILi32ELi16EiPK19rocblas_complex_numIdES3_KPS1_EviiT3_lPKT2_lT1_lS9_lSA_lS6_lPT4_lSA_li.kd
    .uniform_work_group_size: 1
    .uses_dynamic_stack: false
    .vgpr_count:     42
    .vgpr_spill_count: 0
    .wavefront_size: 32
  - .args:
      - .offset:         0
        .size:           4
        .value_kind:     by_value
      - .offset:         4
        .size:           4
        .value_kind:     by_value
      - .address_space:  global
        .offset:         8
        .size:           8
        .value_kind:     global_buffer
      - .offset:         16
        .size:           8
        .value_kind:     by_value
      - .address_space:  global
        .offset:         24
        .size:           8
        .value_kind:     global_buffer
      - .offset:         32
        .size:           8
        .value_kind:     by_value
      - .offset:         40
        .size:           8
        .value_kind:     by_value
      - .offset:         48
        .size:           8
        .value_kind:     by_value
      - .address_space:  global
        .offset:         56
        .size:           8
        .value_kind:     global_buffer
      - .offset:         64
        .size:           8
        .value_kind:     by_value
      - .offset:         72
        .size:           8
        .value_kind:     by_value
      - .offset:         80
        .size:           8
        .value_kind:     by_value
      - .address_space:  global
        .offset:         88
        .size:           8
        .value_kind:     global_buffer
      - .offset:         96
        .size:           8
        .value_kind:     by_value
      - .address_space:  global
        .offset:         104
        .size:           8
        .value_kind:     global_buffer
      - .offset:         112
        .size:           8
        .value_kind:     by_value
      - .offset:         120
        .size:           8
        .value_kind:     by_value
      - .offset:         128
        .size:           8
        .value_kind:     by_value
      - .offset:         136
        .size:           4
        .value_kind:     by_value
      - .offset:         144
        .size:           4
        .value_kind:     hidden_block_count_x
      - .offset:         148
        .size:           4
        .value_kind:     hidden_block_count_y
      - .offset:         152
        .size:           4
        .value_kind:     hidden_block_count_z
      - .offset:         156
        .size:           2
        .value_kind:     hidden_group_size_x
      - .offset:         158
        .size:           2
        .value_kind:     hidden_group_size_y
      - .offset:         160
        .size:           2
        .value_kind:     hidden_group_size_z
      - .offset:         162
        .size:           2
        .value_kind:     hidden_remainder_x
      - .offset:         164
        .size:           2
        .value_kind:     hidden_remainder_y
      - .offset:         166
        .size:           2
        .value_kind:     hidden_remainder_z
      - .offset:         184
        .size:           8
        .value_kind:     hidden_global_offset_x
      - .offset:         192
        .size:           8
        .value_kind:     hidden_global_offset_y
      - .offset:         200
        .size:           8
        .value_kind:     hidden_global_offset_z
      - .offset:         208
        .size:           2
        .value_kind:     hidden_grid_dims
    .group_segment_fixed_size: 8192
    .kernarg_segment_align: 8
    .kernarg_segment_size: 400
    .language:       OpenCL C
    .language_version:
      - 2
      - 0
    .max_flat_workgroup_size: 512
    .name:           _ZL20rocblas_gemvn_kernelILi32ELi16ElPK19rocblas_complex_numIdES3_KPS1_EviiT3_lPKT2_lT1_lS9_lSA_lS6_lPT4_lSA_li
    .private_segment_fixed_size: 0
    .sgpr_count:     46
    .sgpr_spill_count: 0
    .symbol:         _ZL20rocblas_gemvn_kernelILi32ELi16ElPK19rocblas_complex_numIdES3_KPS1_EviiT3_lPKT2_lT1_lS9_lSA_lS6_lPT4_lSA_li.kd
    .uniform_work_group_size: 1
    .uses_dynamic_stack: false
    .vgpr_count:     46
    .vgpr_spill_count: 0
    .wavefront_size: 32
  - .args:
      - .offset:         0
        .size:           4
        .value_kind:     by_value
      - .offset:         4
        .size:           4
        .value_kind:     by_value
      - .offset:         8
        .size:           16
        .value_kind:     by_value
      - .offset:         24
        .size:           8
        .value_kind:     by_value
      - .address_space:  global
        .offset:         32
        .size:           8
        .value_kind:     global_buffer
      - .offset:         40
        .size:           8
        .value_kind:     by_value
      - .offset:         48
        .size:           4
        .value_kind:     by_value
      - .offset:         56
        .size:           8
        .value_kind:     by_value
      - .address_space:  global
        .offset:         64
        .size:           8
        .value_kind:     global_buffer
      - .offset:         72
        .size:           8
        .value_kind:     by_value
      - .offset:         80
        .size:           4
        .value_kind:     by_value
      - .offset:         88
        .size:           8
        .value_kind:     by_value
      - .offset:         96
        .size:           16
        .value_kind:     by_value
      - .offset:         112
        .size:           8
        .value_kind:     by_value
      - .address_space:  global
        .offset:         120
        .size:           8
        .value_kind:     global_buffer
      - .offset:         128
        .size:           8
        .value_kind:     by_value
      - .offset:         136
        .size:           4
        .value_kind:     by_value
      - .offset:         144
        .size:           8
        .value_kind:     by_value
      - .offset:         152
        .size:           4
        .value_kind:     by_value
      - .offset:         160
        .size:           4
        .value_kind:     hidden_block_count_x
      - .offset:         164
        .size:           4
        .value_kind:     hidden_block_count_y
      - .offset:         168
        .size:           4
        .value_kind:     hidden_block_count_z
      - .offset:         172
        .size:           2
        .value_kind:     hidden_group_size_x
      - .offset:         174
        .size:           2
        .value_kind:     hidden_group_size_y
      - .offset:         176
        .size:           2
        .value_kind:     hidden_group_size_z
      - .offset:         178
        .size:           2
        .value_kind:     hidden_remainder_x
      - .offset:         180
        .size:           2
        .value_kind:     hidden_remainder_y
      - .offset:         182
        .size:           2
        .value_kind:     hidden_remainder_z
      - .offset:         200
        .size:           8
        .value_kind:     hidden_global_offset_x
      - .offset:         208
        .size:           8
        .value_kind:     hidden_global_offset_y
      - .offset:         216
        .size:           8
        .value_kind:     hidden_global_offset_z
      - .offset:         224
        .size:           2
        .value_kind:     hidden_grid_dims
    .group_segment_fixed_size: 8192
    .kernarg_segment_align: 8
    .kernarg_segment_size: 416
    .language:       OpenCL C
    .language_version:
      - 2
      - 0
    .max_flat_workgroup_size: 512
    .name:           _ZL20rocblas_gemvn_kernelILi32ELi16EiPK19rocblas_complex_numIdES1_KPS1_EviiT3_lPKT2_lT1_lS9_lSA_lS6_lPT4_lSA_li
    .private_segment_fixed_size: 0
    .sgpr_count:     50
    .sgpr_spill_count: 0
    .symbol:         _ZL20rocblas_gemvn_kernelILi32ELi16EiPK19rocblas_complex_numIdES1_KPS1_EviiT3_lPKT2_lT1_lS9_lSA_lS6_lPT4_lSA_li.kd
    .uniform_work_group_size: 1
    .uses_dynamic_stack: false
    .vgpr_count:     34
    .vgpr_spill_count: 0
    .wavefront_size: 32
  - .args:
      - .offset:         0
        .size:           4
        .value_kind:     by_value
      - .offset:         4
        .size:           4
        .value_kind:     by_value
      - .offset:         8
        .size:           16
        .value_kind:     by_value
      - .offset:         24
        .size:           8
        .value_kind:     by_value
      - .address_space:  global
        .offset:         32
        .size:           8
        .value_kind:     global_buffer
      - .offset:         40
        .size:           8
        .value_kind:     by_value
      - .offset:         48
        .size:           8
        .value_kind:     by_value
      - .offset:         56
        .size:           8
        .value_kind:     by_value
      - .address_space:  global
        .offset:         64
        .size:           8
        .value_kind:     global_buffer
      - .offset:         72
        .size:           8
        .value_kind:     by_value
      - .offset:         80
        .size:           8
        .value_kind:     by_value
      - .offset:         88
        .size:           8
        .value_kind:     by_value
      - .offset:         96
        .size:           16
        .value_kind:     by_value
      - .offset:         112
        .size:           8
        .value_kind:     by_value
      - .address_space:  global
        .offset:         120
        .size:           8
        .value_kind:     global_buffer
      - .offset:         128
        .size:           8
        .value_kind:     by_value
      - .offset:         136
        .size:           8
        .value_kind:     by_value
      - .offset:         144
        .size:           8
        .value_kind:     by_value
      - .offset:         152
        .size:           4
        .value_kind:     by_value
      - .offset:         160
        .size:           4
        .value_kind:     hidden_block_count_x
      - .offset:         164
        .size:           4
        .value_kind:     hidden_block_count_y
      - .offset:         168
        .size:           4
        .value_kind:     hidden_block_count_z
      - .offset:         172
        .size:           2
        .value_kind:     hidden_group_size_x
      - .offset:         174
        .size:           2
        .value_kind:     hidden_group_size_y
      - .offset:         176
        .size:           2
        .value_kind:     hidden_group_size_z
      - .offset:         178
        .size:           2
        .value_kind:     hidden_remainder_x
      - .offset:         180
        .size:           2
        .value_kind:     hidden_remainder_y
      - .offset:         182
        .size:           2
        .value_kind:     hidden_remainder_z
      - .offset:         200
        .size:           8
        .value_kind:     hidden_global_offset_x
      - .offset:         208
        .size:           8
        .value_kind:     hidden_global_offset_y
      - .offset:         216
        .size:           8
        .value_kind:     hidden_global_offset_z
      - .offset:         224
        .size:           2
        .value_kind:     hidden_grid_dims
    .group_segment_fixed_size: 8192
    .kernarg_segment_align: 8
    .kernarg_segment_size: 416
    .language:       OpenCL C
    .language_version:
      - 2
      - 0
    .max_flat_workgroup_size: 512
    .name:           _ZL20rocblas_gemvn_kernelILi32ELi16ElPK19rocblas_complex_numIdES1_KPS1_EviiT3_lPKT2_lT1_lS9_lSA_lS6_lPT4_lSA_li
    .private_segment_fixed_size: 0
    .sgpr_count:     49
    .sgpr_spill_count: 0
    .symbol:         _ZL20rocblas_gemvn_kernelILi32ELi16ElPK19rocblas_complex_numIdES1_KPS1_EviiT3_lPKT2_lT1_lS9_lSA_lS6_lPT4_lSA_li.kd
    .uniform_work_group_size: 1
    .uses_dynamic_stack: false
    .vgpr_count:     40
    .vgpr_spill_count: 0
    .wavefront_size: 32
  - .args:
      - .offset:         0
        .size:           4
        .value_kind:     by_value
      - .offset:         4
        .size:           4
        .value_kind:     by_value
      - .address_space:  global
        .offset:         8
        .size:           8
        .value_kind:     global_buffer
      - .offset:         16
        .size:           8
        .value_kind:     by_value
      - .address_space:  global
        .offset:         24
        .size:           8
        .value_kind:     global_buffer
      - .offset:         32
        .size:           8
        .value_kind:     by_value
      - .offset:         40
        .size:           4
        .value_kind:     by_value
      - .offset:         48
        .size:           8
        .value_kind:     by_value
      - .address_space:  global
        .offset:         56
        .size:           8
        .value_kind:     global_buffer
      - .offset:         64
        .size:           8
        .value_kind:     by_value
      - .offset:         72
        .size:           4
        .value_kind:     by_value
      - .offset:         80
        .size:           8
        .value_kind:     by_value
      - .address_space:  global
        .offset:         88
        .size:           8
        .value_kind:     global_buffer
      - .offset:         96
        .size:           8
        .value_kind:     by_value
      - .address_space:  global
        .offset:         104
        .size:           8
        .value_kind:     global_buffer
      - .offset:         112
        .size:           8
        .value_kind:     by_value
      - .offset:         120
        .size:           4
        .value_kind:     by_value
      - .offset:         128
        .size:           8
        .value_kind:     by_value
      - .offset:         136
        .size:           4
        .value_kind:     by_value
      - .offset:         144
        .size:           4
        .value_kind:     hidden_block_count_x
      - .offset:         148
        .size:           4
        .value_kind:     hidden_block_count_y
      - .offset:         152
        .size:           4
        .value_kind:     hidden_block_count_z
      - .offset:         156
        .size:           2
        .value_kind:     hidden_group_size_x
      - .offset:         158
        .size:           2
        .value_kind:     hidden_group_size_y
      - .offset:         160
        .size:           2
        .value_kind:     hidden_group_size_z
      - .offset:         162
        .size:           2
        .value_kind:     hidden_remainder_x
      - .offset:         164
        .size:           2
        .value_kind:     hidden_remainder_y
      - .offset:         166
        .size:           2
        .value_kind:     hidden_remainder_z
      - .offset:         184
        .size:           8
        .value_kind:     hidden_global_offset_x
      - .offset:         192
        .size:           8
        .value_kind:     hidden_global_offset_y
      - .offset:         200
        .size:           8
        .value_kind:     hidden_global_offset_z
      - .offset:         208
        .size:           2
        .value_kind:     hidden_grid_dims
    .group_segment_fixed_size: 16384
    .kernarg_segment_align: 8
    .kernarg_segment_size: 400
    .language:       OpenCL C
    .language_version:
      - 2
      - 0
    .max_flat_workgroup_size: 1024
    .name:           _ZL20rocblas_gemvn_kernelILi64ELi16EiPK19rocblas_complex_numIdES3_KPS1_EviiT3_lPKT2_lT1_lS9_lSA_lS6_lPT4_lSA_li
    .private_segment_fixed_size: 0
    .sgpr_count:     46
    .sgpr_spill_count: 0
    .symbol:         _ZL20rocblas_gemvn_kernelILi64ELi16EiPK19rocblas_complex_numIdES3_KPS1_EviiT3_lPKT2_lT1_lS9_lSA_lS6_lPT4_lSA_li.kd
    .uniform_work_group_size: 1
    .uses_dynamic_stack: false
    .vgpr_count:     42
    .vgpr_spill_count: 0
    .wavefront_size: 32
  - .args:
      - .offset:         0
        .size:           4
        .value_kind:     by_value
      - .offset:         4
        .size:           4
        .value_kind:     by_value
      - .address_space:  global
        .offset:         8
        .size:           8
        .value_kind:     global_buffer
      - .offset:         16
        .size:           8
        .value_kind:     by_value
      - .address_space:  global
        .offset:         24
        .size:           8
        .value_kind:     global_buffer
      - .offset:         32
        .size:           8
        .value_kind:     by_value
      - .offset:         40
        .size:           8
        .value_kind:     by_value
      - .offset:         48
        .size:           8
        .value_kind:     by_value
      - .address_space:  global
        .offset:         56
        .size:           8
        .value_kind:     global_buffer
      - .offset:         64
        .size:           8
        .value_kind:     by_value
      - .offset:         72
        .size:           8
        .value_kind:     by_value
      - .offset:         80
        .size:           8
        .value_kind:     by_value
      - .address_space:  global
        .offset:         88
        .size:           8
        .value_kind:     global_buffer
      - .offset:         96
        .size:           8
        .value_kind:     by_value
      - .address_space:  global
        .offset:         104
        .size:           8
        .value_kind:     global_buffer
      - .offset:         112
        .size:           8
        .value_kind:     by_value
      - .offset:         120
        .size:           8
        .value_kind:     by_value
      - .offset:         128
        .size:           8
        .value_kind:     by_value
      - .offset:         136
        .size:           4
        .value_kind:     by_value
      - .offset:         144
        .size:           4
        .value_kind:     hidden_block_count_x
      - .offset:         148
        .size:           4
        .value_kind:     hidden_block_count_y
      - .offset:         152
        .size:           4
        .value_kind:     hidden_block_count_z
      - .offset:         156
        .size:           2
        .value_kind:     hidden_group_size_x
      - .offset:         158
        .size:           2
        .value_kind:     hidden_group_size_y
      - .offset:         160
        .size:           2
        .value_kind:     hidden_group_size_z
      - .offset:         162
        .size:           2
        .value_kind:     hidden_remainder_x
      - .offset:         164
        .size:           2
        .value_kind:     hidden_remainder_y
      - .offset:         166
        .size:           2
        .value_kind:     hidden_remainder_z
      - .offset:         184
        .size:           8
        .value_kind:     hidden_global_offset_x
      - .offset:         192
        .size:           8
        .value_kind:     hidden_global_offset_y
      - .offset:         200
        .size:           8
        .value_kind:     hidden_global_offset_z
      - .offset:         208
        .size:           2
        .value_kind:     hidden_grid_dims
    .group_segment_fixed_size: 16384
    .kernarg_segment_align: 8
    .kernarg_segment_size: 400
    .language:       OpenCL C
    .language_version:
      - 2
      - 0
    .max_flat_workgroup_size: 1024
    .name:           _ZL20rocblas_gemvn_kernelILi64ELi16ElPK19rocblas_complex_numIdES3_KPS1_EviiT3_lPKT2_lT1_lS9_lSA_lS6_lPT4_lSA_li
    .private_segment_fixed_size: 0
    .sgpr_count:     46
    .sgpr_spill_count: 0
    .symbol:         _ZL20rocblas_gemvn_kernelILi64ELi16ElPK19rocblas_complex_numIdES3_KPS1_EviiT3_lPKT2_lT1_lS9_lSA_lS6_lPT4_lSA_li.kd
    .uniform_work_group_size: 1
    .uses_dynamic_stack: false
    .vgpr_count:     46
    .vgpr_spill_count: 0
    .wavefront_size: 32
  - .args:
      - .offset:         0
        .size:           4
        .value_kind:     by_value
      - .offset:         4
        .size:           4
        .value_kind:     by_value
      - .offset:         8
        .size:           16
        .value_kind:     by_value
      - .offset:         24
        .size:           8
        .value_kind:     by_value
      - .address_space:  global
        .offset:         32
        .size:           8
        .value_kind:     global_buffer
      - .offset:         40
        .size:           8
        .value_kind:     by_value
      - .offset:         48
        .size:           4
        .value_kind:     by_value
      - .offset:         56
        .size:           8
        .value_kind:     by_value
      - .address_space:  global
        .offset:         64
        .size:           8
        .value_kind:     global_buffer
      - .offset:         72
        .size:           8
        .value_kind:     by_value
      - .offset:         80
        .size:           4
        .value_kind:     by_value
      - .offset:         88
        .size:           8
        .value_kind:     by_value
      - .offset:         96
        .size:           16
        .value_kind:     by_value
      - .offset:         112
        .size:           8
        .value_kind:     by_value
      - .address_space:  global
        .offset:         120
        .size:           8
        .value_kind:     global_buffer
      - .offset:         128
        .size:           8
        .value_kind:     by_value
      - .offset:         136
        .size:           4
        .value_kind:     by_value
      - .offset:         144
        .size:           8
        .value_kind:     by_value
      - .offset:         152
        .size:           4
        .value_kind:     by_value
      - .offset:         160
        .size:           4
        .value_kind:     hidden_block_count_x
      - .offset:         164
        .size:           4
        .value_kind:     hidden_block_count_y
      - .offset:         168
        .size:           4
        .value_kind:     hidden_block_count_z
      - .offset:         172
        .size:           2
        .value_kind:     hidden_group_size_x
      - .offset:         174
        .size:           2
        .value_kind:     hidden_group_size_y
      - .offset:         176
        .size:           2
        .value_kind:     hidden_group_size_z
      - .offset:         178
        .size:           2
        .value_kind:     hidden_remainder_x
      - .offset:         180
        .size:           2
        .value_kind:     hidden_remainder_y
      - .offset:         182
        .size:           2
        .value_kind:     hidden_remainder_z
      - .offset:         200
        .size:           8
        .value_kind:     hidden_global_offset_x
      - .offset:         208
        .size:           8
        .value_kind:     hidden_global_offset_y
      - .offset:         216
        .size:           8
        .value_kind:     hidden_global_offset_z
      - .offset:         224
        .size:           2
        .value_kind:     hidden_grid_dims
    .group_segment_fixed_size: 16384
    .kernarg_segment_align: 8
    .kernarg_segment_size: 416
    .language:       OpenCL C
    .language_version:
      - 2
      - 0
    .max_flat_workgroup_size: 1024
    .name:           _ZL20rocblas_gemvn_kernelILi64ELi16EiPK19rocblas_complex_numIdES1_KPS1_EviiT3_lPKT2_lT1_lS9_lSA_lS6_lPT4_lSA_li
    .private_segment_fixed_size: 0
    .sgpr_count:     50
    .sgpr_spill_count: 0
    .symbol:         _ZL20rocblas_gemvn_kernelILi64ELi16EiPK19rocblas_complex_numIdES1_KPS1_EviiT3_lPKT2_lT1_lS9_lSA_lS6_lPT4_lSA_li.kd
    .uniform_work_group_size: 1
    .uses_dynamic_stack: false
    .vgpr_count:     34
    .vgpr_spill_count: 0
    .wavefront_size: 32
  - .args:
      - .offset:         0
        .size:           4
        .value_kind:     by_value
      - .offset:         4
        .size:           4
        .value_kind:     by_value
      - .offset:         8
        .size:           16
        .value_kind:     by_value
      - .offset:         24
        .size:           8
        .value_kind:     by_value
      - .address_space:  global
        .offset:         32
        .size:           8
        .value_kind:     global_buffer
      - .offset:         40
        .size:           8
        .value_kind:     by_value
      - .offset:         48
        .size:           8
        .value_kind:     by_value
      - .offset:         56
        .size:           8
        .value_kind:     by_value
      - .address_space:  global
        .offset:         64
        .size:           8
        .value_kind:     global_buffer
      - .offset:         72
        .size:           8
        .value_kind:     by_value
      - .offset:         80
        .size:           8
        .value_kind:     by_value
      - .offset:         88
        .size:           8
        .value_kind:     by_value
      - .offset:         96
        .size:           16
        .value_kind:     by_value
      - .offset:         112
        .size:           8
        .value_kind:     by_value
      - .address_space:  global
        .offset:         120
        .size:           8
        .value_kind:     global_buffer
      - .offset:         128
        .size:           8
        .value_kind:     by_value
      - .offset:         136
        .size:           8
        .value_kind:     by_value
      - .offset:         144
        .size:           8
        .value_kind:     by_value
      - .offset:         152
        .size:           4
        .value_kind:     by_value
      - .offset:         160
        .size:           4
        .value_kind:     hidden_block_count_x
      - .offset:         164
        .size:           4
        .value_kind:     hidden_block_count_y
      - .offset:         168
        .size:           4
        .value_kind:     hidden_block_count_z
      - .offset:         172
        .size:           2
        .value_kind:     hidden_group_size_x
      - .offset:         174
        .size:           2
        .value_kind:     hidden_group_size_y
      - .offset:         176
        .size:           2
        .value_kind:     hidden_group_size_z
      - .offset:         178
        .size:           2
        .value_kind:     hidden_remainder_x
      - .offset:         180
        .size:           2
        .value_kind:     hidden_remainder_y
      - .offset:         182
        .size:           2
        .value_kind:     hidden_remainder_z
      - .offset:         200
        .size:           8
        .value_kind:     hidden_global_offset_x
      - .offset:         208
        .size:           8
        .value_kind:     hidden_global_offset_y
      - .offset:         216
        .size:           8
        .value_kind:     hidden_global_offset_z
      - .offset:         224
        .size:           2
        .value_kind:     hidden_grid_dims
    .group_segment_fixed_size: 16384
    .kernarg_segment_align: 8
    .kernarg_segment_size: 416
    .language:       OpenCL C
    .language_version:
      - 2
      - 0
    .max_flat_workgroup_size: 1024
    .name:           _ZL20rocblas_gemvn_kernelILi64ELi16ElPK19rocblas_complex_numIdES1_KPS1_EviiT3_lPKT2_lT1_lS9_lSA_lS6_lPT4_lSA_li
    .private_segment_fixed_size: 0
    .sgpr_count:     49
    .sgpr_spill_count: 0
    .symbol:         _ZL20rocblas_gemvn_kernelILi64ELi16ElPK19rocblas_complex_numIdES1_KPS1_EviiT3_lPKT2_lT1_lS9_lSA_lS6_lPT4_lSA_li.kd
    .uniform_work_group_size: 1
    .uses_dynamic_stack: false
    .vgpr_count:     40
    .vgpr_spill_count: 0
    .wavefront_size: 32
  - .args:
      - .offset:         0
        .size:           4
        .value_kind:     by_value
      - .offset:         4
        .size:           4
        .value_kind:     by_value
      - .address_space:  global
        .offset:         8
        .size:           8
        .value_kind:     global_buffer
      - .offset:         16
        .size:           8
        .value_kind:     by_value
      - .address_space:  global
        .offset:         24
        .size:           8
        .value_kind:     global_buffer
      - .offset:         32
        .size:           8
        .value_kind:     by_value
      - .offset:         40
        .size:           4
        .value_kind:     by_value
      - .offset:         48
        .size:           8
        .value_kind:     by_value
      - .address_space:  global
        .offset:         56
        .size:           8
        .value_kind:     global_buffer
      - .offset:         64
        .size:           8
        .value_kind:     by_value
      - .offset:         72
        .size:           4
        .value_kind:     by_value
      - .offset:         80
        .size:           8
        .value_kind:     by_value
      - .address_space:  global
        .offset:         88
        .size:           8
        .value_kind:     global_buffer
      - .offset:         96
        .size:           8
        .value_kind:     by_value
      - .address_space:  global
        .offset:         104
        .size:           8
        .value_kind:     global_buffer
      - .offset:         112
        .size:           8
        .value_kind:     by_value
      - .offset:         120
        .size:           4
        .value_kind:     by_value
      - .offset:         128
        .size:           8
        .value_kind:     by_value
    .group_segment_fixed_size: 1024
    .kernarg_segment_align: 8
    .kernarg_segment_size: 136
    .language:       OpenCL C
    .language_version:
      - 2
      - 0
    .max_flat_workgroup_size: 256
    .name:           _ZL22rocblas_gemvtsm_kernelILb0ELi256EPK19rocblas_complex_numIdES3_KPS1_EviiT2_lPKT1_lilS9_lilS6_lPT3_lil
    .private_segment_fixed_size: 0
    .sgpr_count:     28
    .sgpr_spill_count: 0
    .symbol:         _ZL22rocblas_gemvtsm_kernelILb0ELi256EPK19rocblas_complex_numIdES3_KPS1_EviiT2_lPKT1_lilS9_lilS6_lPT3_lil.kd
    .uniform_work_group_size: 1
    .uses_dynamic_stack: false
    .vgpr_count:     66
    .vgpr_spill_count: 0
    .wavefront_size: 32
  - .args:
      - .offset:         0
        .size:           4
        .value_kind:     by_value
      - .offset:         4
        .size:           4
        .value_kind:     by_value
      - .offset:         8
        .size:           16
        .value_kind:     by_value
      - .offset:         24
        .size:           8
        .value_kind:     by_value
      - .address_space:  global
        .offset:         32
        .size:           8
        .value_kind:     global_buffer
      - .offset:         40
        .size:           8
        .value_kind:     by_value
      - .offset:         48
        .size:           4
        .value_kind:     by_value
      - .offset:         56
        .size:           8
        .value_kind:     by_value
      - .address_space:  global
        .offset:         64
        .size:           8
        .value_kind:     global_buffer
      - .offset:         72
        .size:           8
        .value_kind:     by_value
      - .offset:         80
        .size:           4
        .value_kind:     by_value
      - .offset:         88
        .size:           8
        .value_kind:     by_value
      - .offset:         96
        .size:           16
        .value_kind:     by_value
      - .offset:         112
        .size:           8
        .value_kind:     by_value
      - .address_space:  global
        .offset:         120
        .size:           8
        .value_kind:     global_buffer
      - .offset:         128
        .size:           8
        .value_kind:     by_value
      - .offset:         136
        .size:           4
        .value_kind:     by_value
      - .offset:         144
        .size:           8
        .value_kind:     by_value
    .group_segment_fixed_size: 1024
    .kernarg_segment_align: 8
    .kernarg_segment_size: 152
    .language:       OpenCL C
    .language_version:
      - 2
      - 0
    .max_flat_workgroup_size: 256
    .name:           _ZL22rocblas_gemvtsm_kernelILb0ELi256EPK19rocblas_complex_numIdES1_KPS1_EviiT2_lPKT1_lilS9_lilS6_lPT3_lil
    .private_segment_fixed_size: 0
    .sgpr_count:     28
    .sgpr_spill_count: 0
    .symbol:         _ZL22rocblas_gemvtsm_kernelILb0ELi256EPK19rocblas_complex_numIdES1_KPS1_EviiT2_lPKT1_lilS9_lilS6_lPT3_lil.kd
    .uniform_work_group_size: 1
    .uses_dynamic_stack: false
    .vgpr_count:     66
    .vgpr_spill_count: 0
    .wavefront_size: 32
  - .args:
      - .offset:         0
        .size:           4
        .value_kind:     by_value
      - .offset:         4
        .size:           4
        .value_kind:     by_value
      - .address_space:  global
        .offset:         8
        .size:           8
        .value_kind:     global_buffer
      - .offset:         16
        .size:           8
        .value_kind:     by_value
      - .address_space:  global
        .offset:         24
        .size:           8
        .value_kind:     global_buffer
      - .offset:         32
        .size:           8
        .value_kind:     by_value
      - .offset:         40
        .size:           4
        .value_kind:     by_value
      - .offset:         48
        .size:           8
        .value_kind:     by_value
      - .address_space:  global
        .offset:         56
        .size:           8
        .value_kind:     global_buffer
      - .offset:         64
        .size:           8
        .value_kind:     by_value
      - .offset:         72
        .size:           4
        .value_kind:     by_value
      - .offset:         80
        .size:           8
        .value_kind:     by_value
      - .address_space:  global
        .offset:         88
        .size:           8
        .value_kind:     global_buffer
      - .offset:         96
        .size:           4
        .value_kind:     by_value
      - .offset:         104
        .size:           4
        .value_kind:     hidden_block_count_x
      - .offset:         108
        .size:           4
        .value_kind:     hidden_block_count_y
      - .offset:         112
        .size:           4
        .value_kind:     hidden_block_count_z
      - .offset:         116
        .size:           2
        .value_kind:     hidden_group_size_x
      - .offset:         118
        .size:           2
        .value_kind:     hidden_group_size_y
      - .offset:         120
        .size:           2
        .value_kind:     hidden_group_size_z
      - .offset:         122
        .size:           2
        .value_kind:     hidden_remainder_x
      - .offset:         124
        .size:           2
        .value_kind:     hidden_remainder_y
      - .offset:         126
        .size:           2
        .value_kind:     hidden_remainder_z
      - .offset:         144
        .size:           8
        .value_kind:     hidden_global_offset_x
      - .offset:         152
        .size:           8
        .value_kind:     hidden_global_offset_y
      - .offset:         160
        .size:           8
        .value_kind:     hidden_global_offset_z
      - .offset:         168
        .size:           2
        .value_kind:     hidden_grid_dims
    .group_segment_fixed_size: 512
    .kernarg_segment_align: 8
    .kernarg_segment_size: 360
    .language:       OpenCL C
    .language_version:
      - 2
      - 0
    .max_flat_workgroup_size: 256
    .name:           _ZL23rocblas_gemvt_sn_kernelILb0ELi256ELi4EiPK19rocblas_complex_numIdES3_S1_EviiT4_lPKT3_lilS7_lilPT5_i
    .private_segment_fixed_size: 80
    .sgpr_count:     72
    .sgpr_spill_count: 0
    .symbol:         _ZL23rocblas_gemvt_sn_kernelILb0ELi256ELi4EiPK19rocblas_complex_numIdES3_S1_EviiT4_lPKT3_lilS7_lilPT5_i.kd
    .uniform_work_group_size: 1
    .uses_dynamic_stack: false
    .vgpr_count:     80
    .vgpr_spill_count: 0
    .wavefront_size: 32
  - .args:
      - .offset:         0
        .size:           4
        .value_kind:     by_value
      - .offset:         4
        .size:           4
        .value_kind:     by_value
      - .address_space:  global
        .offset:         8
        .size:           8
        .value_kind:     global_buffer
      - .offset:         16
        .size:           8
        .value_kind:     by_value
      - .address_space:  global
        .offset:         24
        .size:           8
        .value_kind:     global_buffer
      - .offset:         32
        .size:           8
        .value_kind:     by_value
      - .offset:         40
        .size:           4
        .value_kind:     by_value
      - .offset:         48
        .size:           8
        .value_kind:     by_value
      - .address_space:  global
        .offset:         56
        .size:           8
        .value_kind:     global_buffer
      - .offset:         64
        .size:           8
        .value_kind:     by_value
      - .offset:         72
        .size:           4
        .value_kind:     by_value
      - .offset:         80
        .size:           8
        .value_kind:     by_value
      - .address_space:  global
        .offset:         88
        .size:           8
        .value_kind:     global_buffer
      - .offset:         96
        .size:           4
        .value_kind:     by_value
      - .offset:         104
        .size:           4
        .value_kind:     hidden_block_count_x
      - .offset:         108
        .size:           4
        .value_kind:     hidden_block_count_y
      - .offset:         112
        .size:           4
        .value_kind:     hidden_block_count_z
      - .offset:         116
        .size:           2
        .value_kind:     hidden_group_size_x
      - .offset:         118
        .size:           2
        .value_kind:     hidden_group_size_y
      - .offset:         120
        .size:           2
        .value_kind:     hidden_group_size_z
      - .offset:         122
        .size:           2
        .value_kind:     hidden_remainder_x
      - .offset:         124
        .size:           2
        .value_kind:     hidden_remainder_y
      - .offset:         126
        .size:           2
        .value_kind:     hidden_remainder_z
      - .offset:         144
        .size:           8
        .value_kind:     hidden_global_offset_x
      - .offset:         152
        .size:           8
        .value_kind:     hidden_global_offset_y
      - .offset:         160
        .size:           8
        .value_kind:     hidden_global_offset_z
      - .offset:         168
        .size:           2
        .value_kind:     hidden_grid_dims
    .group_segment_fixed_size: 512
    .kernarg_segment_align: 8
    .kernarg_segment_size: 360
    .language:       OpenCL C
    .language_version:
      - 2
      - 0
    .max_flat_workgroup_size: 256
    .name:           _ZL23rocblas_gemvt_sn_kernelILb0ELi256ELi4ElPK19rocblas_complex_numIdES3_S1_EviiT4_lPKT3_lilS7_lilPT5_i
    .private_segment_fixed_size: 80
    .sgpr_count:     72
    .sgpr_spill_count: 0
    .symbol:         _ZL23rocblas_gemvt_sn_kernelILb0ELi256ELi4ElPK19rocblas_complex_numIdES3_S1_EviiT4_lPKT3_lilS7_lilPT5_i.kd
    .uniform_work_group_size: 1
    .uses_dynamic_stack: false
    .vgpr_count:     92
    .vgpr_spill_count: 0
    .wavefront_size: 32
  - .args:
      - .offset:         0
        .size:           4
        .value_kind:     by_value
      - .address_space:  global
        .offset:         8
        .size:           8
        .value_kind:     global_buffer
      - .offset:         16
        .size:           8
        .value_kind:     by_value
      - .address_space:  global
        .offset:         24
        .size:           8
        .value_kind:     global_buffer
      - .offset:         32
        .size:           8
        .value_kind:     by_value
      - .offset:         40
        .size:           4
        .value_kind:     by_value
      - .offset:         48
        .size:           8
        .value_kind:     by_value
      - .actual_access:  read_only
        .address_space:  global
        .offset:         56
        .size:           8
        .value_kind:     global_buffer
      - .offset:         64
        .size:           4
        .value_kind:     by_value
      - .offset:         72
        .size:           4
        .value_kind:     hidden_block_count_x
      - .offset:         76
        .size:           4
        .value_kind:     hidden_block_count_y
      - .offset:         80
        .size:           4
        .value_kind:     hidden_block_count_z
      - .offset:         84
        .size:           2
        .value_kind:     hidden_group_size_x
      - .offset:         86
        .size:           2
        .value_kind:     hidden_group_size_y
      - .offset:         88
        .size:           2
        .value_kind:     hidden_group_size_z
      - .offset:         90
        .size:           2
        .value_kind:     hidden_remainder_x
      - .offset:         92
        .size:           2
        .value_kind:     hidden_remainder_y
      - .offset:         94
        .size:           2
        .value_kind:     hidden_remainder_z
      - .offset:         112
        .size:           8
        .value_kind:     hidden_global_offset_x
      - .offset:         120
        .size:           8
        .value_kind:     hidden_global_offset_y
      - .offset:         128
        .size:           8
        .value_kind:     hidden_global_offset_z
      - .offset:         136
        .size:           2
        .value_kind:     hidden_grid_dims
    .group_segment_fixed_size: 512
    .kernarg_segment_align: 8
    .kernarg_segment_size: 328
    .language:       OpenCL C
    .language_version:
      - 2
      - 0
    .max_flat_workgroup_size: 256
    .name:           _ZL23rocblas_gemvt_sn_reduceILi256ELi8E19rocblas_complex_numIdEPKS1_KPS1_EviT2_lPT3_lilPT1_i
    .private_segment_fixed_size: 0
    .sgpr_count:     40
    .sgpr_spill_count: 0
    .symbol:         _ZL23rocblas_gemvt_sn_reduceILi256ELi8E19rocblas_complex_numIdEPKS1_KPS1_EviT2_lPT3_lilPT1_i.kd
    .uniform_work_group_size: 1
    .uses_dynamic_stack: false
    .vgpr_count:     60
    .vgpr_spill_count: 0
    .wavefront_size: 32
  - .args:
      - .offset:         0
        .size:           4
        .value_kind:     by_value
      - .offset:         4
        .size:           4
        .value_kind:     by_value
      - .offset:         8
        .size:           16
        .value_kind:     by_value
      - .offset:         24
        .size:           8
        .value_kind:     by_value
      - .address_space:  global
        .offset:         32
        .size:           8
        .value_kind:     global_buffer
      - .offset:         40
        .size:           8
        .value_kind:     by_value
      - .offset:         48
        .size:           4
        .value_kind:     by_value
      - .offset:         56
        .size:           8
        .value_kind:     by_value
      - .address_space:  global
        .offset:         64
        .size:           8
        .value_kind:     global_buffer
      - .offset:         72
        .size:           8
        .value_kind:     by_value
      - .offset:         80
        .size:           4
        .value_kind:     by_value
      - .offset:         88
        .size:           8
        .value_kind:     by_value
      - .address_space:  global
        .offset:         96
        .size:           8
        .value_kind:     global_buffer
      - .offset:         104
        .size:           4
        .value_kind:     by_value
      - .offset:         112
        .size:           4
        .value_kind:     hidden_block_count_x
      - .offset:         116
        .size:           4
        .value_kind:     hidden_block_count_y
      - .offset:         120
        .size:           4
        .value_kind:     hidden_block_count_z
      - .offset:         124
        .size:           2
        .value_kind:     hidden_group_size_x
      - .offset:         126
        .size:           2
        .value_kind:     hidden_group_size_y
      - .offset:         128
        .size:           2
        .value_kind:     hidden_group_size_z
      - .offset:         130
        .size:           2
        .value_kind:     hidden_remainder_x
      - .offset:         132
        .size:           2
        .value_kind:     hidden_remainder_y
      - .offset:         134
        .size:           2
        .value_kind:     hidden_remainder_z
      - .offset:         152
        .size:           8
        .value_kind:     hidden_global_offset_x
      - .offset:         160
        .size:           8
        .value_kind:     hidden_global_offset_y
      - .offset:         168
        .size:           8
        .value_kind:     hidden_global_offset_z
      - .offset:         176
        .size:           2
        .value_kind:     hidden_grid_dims
    .group_segment_fixed_size: 512
    .kernarg_segment_align: 8
    .kernarg_segment_size: 368
    .language:       OpenCL C
    .language_version:
      - 2
      - 0
    .max_flat_workgroup_size: 256
    .name:           _ZL23rocblas_gemvt_sn_kernelILb0ELi256ELi4EiPK19rocblas_complex_numIdES1_S1_EviiT4_lPKT3_lilS7_lilPT5_i
    .private_segment_fixed_size: 80
    .sgpr_count:     73
    .sgpr_spill_count: 0
    .symbol:         _ZL23rocblas_gemvt_sn_kernelILb0ELi256ELi4EiPK19rocblas_complex_numIdES1_S1_EviiT4_lPKT3_lilS7_lilPT5_i.kd
    .uniform_work_group_size: 1
    .uses_dynamic_stack: false
    .vgpr_count:     134
    .vgpr_spill_count: 0
    .wavefront_size: 32
  - .args:
      - .offset:         0
        .size:           4
        .value_kind:     by_value
      - .offset:         4
        .size:           4
        .value_kind:     by_value
      - .offset:         8
        .size:           16
        .value_kind:     by_value
      - .offset:         24
        .size:           8
        .value_kind:     by_value
      - .address_space:  global
        .offset:         32
        .size:           8
        .value_kind:     global_buffer
      - .offset:         40
        .size:           8
        .value_kind:     by_value
      - .offset:         48
        .size:           4
        .value_kind:     by_value
      - .offset:         56
        .size:           8
        .value_kind:     by_value
      - .address_space:  global
        .offset:         64
        .size:           8
        .value_kind:     global_buffer
      - .offset:         72
        .size:           8
        .value_kind:     by_value
      - .offset:         80
        .size:           4
        .value_kind:     by_value
      - .offset:         88
        .size:           8
        .value_kind:     by_value
      - .address_space:  global
        .offset:         96
        .size:           8
        .value_kind:     global_buffer
      - .offset:         104
        .size:           4
        .value_kind:     by_value
      - .offset:         112
        .size:           4
        .value_kind:     hidden_block_count_x
      - .offset:         116
        .size:           4
        .value_kind:     hidden_block_count_y
      - .offset:         120
        .size:           4
        .value_kind:     hidden_block_count_z
      - .offset:         124
        .size:           2
        .value_kind:     hidden_group_size_x
      - .offset:         126
        .size:           2
        .value_kind:     hidden_group_size_y
      - .offset:         128
        .size:           2
        .value_kind:     hidden_group_size_z
      - .offset:         130
        .size:           2
        .value_kind:     hidden_remainder_x
      - .offset:         132
        .size:           2
        .value_kind:     hidden_remainder_y
      - .offset:         134
        .size:           2
        .value_kind:     hidden_remainder_z
      - .offset:         152
        .size:           8
        .value_kind:     hidden_global_offset_x
      - .offset:         160
        .size:           8
        .value_kind:     hidden_global_offset_y
      - .offset:         168
        .size:           8
        .value_kind:     hidden_global_offset_z
      - .offset:         176
        .size:           2
        .value_kind:     hidden_grid_dims
    .group_segment_fixed_size: 512
    .kernarg_segment_align: 8
    .kernarg_segment_size: 368
    .language:       OpenCL C
    .language_version:
      - 2
      - 0
    .max_flat_workgroup_size: 256
    .name:           _ZL23rocblas_gemvt_sn_kernelILb0ELi256ELi4ElPK19rocblas_complex_numIdES1_S1_EviiT4_lPKT3_lilS7_lilPT5_i
    .private_segment_fixed_size: 80
    .sgpr_count:     72
    .sgpr_spill_count: 0
    .symbol:         _ZL23rocblas_gemvt_sn_kernelILb0ELi256ELi4ElPK19rocblas_complex_numIdES1_S1_EviiT4_lPKT3_lilS7_lilPT5_i.kd
    .uniform_work_group_size: 1
    .uses_dynamic_stack: false
    .vgpr_count:     140
    .vgpr_spill_count: 0
    .wavefront_size: 32
  - .args:
      - .offset:         0
        .size:           4
        .value_kind:     by_value
      - .offset:         8
        .size:           16
        .value_kind:     by_value
      - .offset:         24
        .size:           8
        .value_kind:     by_value
      - .address_space:  global
        .offset:         32
        .size:           8
        .value_kind:     global_buffer
      - .offset:         40
        .size:           8
        .value_kind:     by_value
      - .offset:         48
        .size:           4
        .value_kind:     by_value
      - .offset:         56
        .size:           8
        .value_kind:     by_value
      - .actual_access:  read_only
        .address_space:  global
        .offset:         64
        .size:           8
        .value_kind:     global_buffer
      - .offset:         72
        .size:           4
        .value_kind:     by_value
      - .offset:         80
        .size:           4
        .value_kind:     hidden_block_count_x
      - .offset:         84
        .size:           4
        .value_kind:     hidden_block_count_y
      - .offset:         88
        .size:           4
        .value_kind:     hidden_block_count_z
      - .offset:         92
        .size:           2
        .value_kind:     hidden_group_size_x
      - .offset:         94
        .size:           2
        .value_kind:     hidden_group_size_y
      - .offset:         96
        .size:           2
        .value_kind:     hidden_group_size_z
      - .offset:         98
        .size:           2
        .value_kind:     hidden_remainder_x
      - .offset:         100
        .size:           2
        .value_kind:     hidden_remainder_y
      - .offset:         102
        .size:           2
        .value_kind:     hidden_remainder_z
      - .offset:         120
        .size:           8
        .value_kind:     hidden_global_offset_x
      - .offset:         128
        .size:           8
        .value_kind:     hidden_global_offset_y
      - .offset:         136
        .size:           8
        .value_kind:     hidden_global_offset_z
      - .offset:         144
        .size:           2
        .value_kind:     hidden_grid_dims
    .group_segment_fixed_size: 512
    .kernarg_segment_align: 8
    .kernarg_segment_size: 336
    .language:       OpenCL C
    .language_version:
      - 2
      - 0
    .max_flat_workgroup_size: 256
    .name:           _ZL23rocblas_gemvt_sn_reduceILi256ELi8E19rocblas_complex_numIdES1_KPS1_EviT2_lPT3_lilPT1_i
    .private_segment_fixed_size: 0
    .sgpr_count:     42
    .sgpr_spill_count: 0
    .symbol:         _ZL23rocblas_gemvt_sn_reduceILi256ELi8E19rocblas_complex_numIdES1_KPS1_EviT2_lPT3_lilPT1_i.kd
    .uniform_work_group_size: 1
    .uses_dynamic_stack: false
    .vgpr_count:     56
    .vgpr_spill_count: 0
    .wavefront_size: 32
  - .args:
      - .offset:         0
        .size:           4
        .value_kind:     by_value
      - .offset:         4
        .size:           4
        .value_kind:     by_value
      - .address_space:  global
        .offset:         8
        .size:           8
        .value_kind:     global_buffer
      - .offset:         16
        .size:           8
        .value_kind:     by_value
      - .address_space:  global
        .offset:         24
        .size:           8
        .value_kind:     global_buffer
      - .offset:         32
        .size:           8
        .value_kind:     by_value
      - .offset:         40
        .size:           4
        .value_kind:     by_value
      - .offset:         48
        .size:           8
        .value_kind:     by_value
      - .address_space:  global
        .offset:         56
        .size:           8
        .value_kind:     global_buffer
      - .offset:         64
        .size:           8
        .value_kind:     by_value
      - .offset:         72
        .size:           4
        .value_kind:     by_value
      - .offset:         80
        .size:           8
        .value_kind:     by_value
      - .address_space:  global
        .offset:         88
        .size:           8
        .value_kind:     global_buffer
      - .offset:         96
        .size:           8
        .value_kind:     by_value
      - .address_space:  global
        .offset:         104
        .size:           8
        .value_kind:     global_buffer
      - .offset:         112
        .size:           8
        .value_kind:     by_value
      - .offset:         120
        .size:           4
        .value_kind:     by_value
      - .offset:         128
        .size:           8
        .value_kind:     by_value
      - .offset:         136
        .size:           4
        .value_kind:     by_value
    .group_segment_fixed_size: 512
    .kernarg_segment_align: 8
    .kernarg_segment_size: 140
    .language:       OpenCL C
    .language_version:
      - 2
      - 0
    .max_flat_workgroup_size: 256
    .name:           _ZL32rocblas_gemvt_warp_reduce_kernelILb0ELi256EiPK19rocblas_complex_numIdES3_KPS1_EviiT3_lPKT2_lT1_lS9_lSA_lS6_lPT4_lSA_li
    .private_segment_fixed_size: 0
    .sgpr_count:     44
    .sgpr_spill_count: 0
    .symbol:         _ZL32rocblas_gemvt_warp_reduce_kernelILb0ELi256EiPK19rocblas_complex_numIdES3_KPS1_EviiT3_lPKT2_lT1_lS9_lSA_lS6_lPT4_lSA_li.kd
    .uniform_work_group_size: 1
    .uses_dynamic_stack: false
    .vgpr_count:     44
    .vgpr_spill_count: 0
    .wavefront_size: 32
  - .args:
      - .offset:         0
        .size:           4
        .value_kind:     by_value
      - .offset:         4
        .size:           4
        .value_kind:     by_value
      - .address_space:  global
        .offset:         8
        .size:           8
        .value_kind:     global_buffer
      - .offset:         16
        .size:           8
        .value_kind:     by_value
      - .address_space:  global
        .offset:         24
        .size:           8
        .value_kind:     global_buffer
      - .offset:         32
        .size:           8
        .value_kind:     by_value
      - .offset:         40
        .size:           8
        .value_kind:     by_value
      - .offset:         48
        .size:           8
        .value_kind:     by_value
      - .address_space:  global
        .offset:         56
        .size:           8
        .value_kind:     global_buffer
      - .offset:         64
        .size:           8
        .value_kind:     by_value
      - .offset:         72
        .size:           8
        .value_kind:     by_value
      - .offset:         80
        .size:           8
        .value_kind:     by_value
      - .address_space:  global
        .offset:         88
        .size:           8
        .value_kind:     global_buffer
      - .offset:         96
        .size:           8
        .value_kind:     by_value
      - .address_space:  global
        .offset:         104
        .size:           8
        .value_kind:     global_buffer
      - .offset:         112
        .size:           8
        .value_kind:     by_value
      - .offset:         120
        .size:           8
        .value_kind:     by_value
      - .offset:         128
        .size:           8
        .value_kind:     by_value
      - .offset:         136
        .size:           4
        .value_kind:     by_value
    .group_segment_fixed_size: 512
    .kernarg_segment_align: 8
    .kernarg_segment_size: 140
    .language:       OpenCL C
    .language_version:
      - 2
      - 0
    .max_flat_workgroup_size: 256
    .name:           _ZL32rocblas_gemvt_warp_reduce_kernelILb0ELi256ElPK19rocblas_complex_numIdES3_KPS1_EviiT3_lPKT2_lT1_lS9_lSA_lS6_lPT4_lSA_li
    .private_segment_fixed_size: 0
    .sgpr_count:     44
    .sgpr_spill_count: 0
    .symbol:         _ZL32rocblas_gemvt_warp_reduce_kernelILb0ELi256ElPK19rocblas_complex_numIdES3_KPS1_EviiT3_lPKT2_lT1_lS9_lSA_lS6_lPT4_lSA_li.kd
    .uniform_work_group_size: 1
    .uses_dynamic_stack: false
    .vgpr_count:     46
    .vgpr_spill_count: 0
    .wavefront_size: 32
  - .args:
      - .offset:         0
        .size:           4
        .value_kind:     by_value
      - .offset:         4
        .size:           4
        .value_kind:     by_value
      - .offset:         8
        .size:           16
        .value_kind:     by_value
      - .offset:         24
        .size:           8
        .value_kind:     by_value
      - .address_space:  global
        .offset:         32
        .size:           8
        .value_kind:     global_buffer
      - .offset:         40
        .size:           8
        .value_kind:     by_value
      - .offset:         48
        .size:           4
        .value_kind:     by_value
      - .offset:         56
        .size:           8
        .value_kind:     by_value
      - .address_space:  global
        .offset:         64
        .size:           8
        .value_kind:     global_buffer
      - .offset:         72
        .size:           8
        .value_kind:     by_value
      - .offset:         80
        .size:           4
        .value_kind:     by_value
      - .offset:         88
        .size:           8
        .value_kind:     by_value
      - .offset:         96
        .size:           16
        .value_kind:     by_value
      - .offset:         112
        .size:           8
        .value_kind:     by_value
      - .address_space:  global
        .offset:         120
        .size:           8
        .value_kind:     global_buffer
      - .offset:         128
        .size:           8
        .value_kind:     by_value
      - .offset:         136
        .size:           4
        .value_kind:     by_value
      - .offset:         144
        .size:           8
        .value_kind:     by_value
      - .offset:         152
        .size:           4
        .value_kind:     by_value
    .group_segment_fixed_size: 512
    .kernarg_segment_align: 8
    .kernarg_segment_size: 156
    .language:       OpenCL C
    .language_version:
      - 2
      - 0
    .max_flat_workgroup_size: 256
    .name:           _ZL32rocblas_gemvt_warp_reduce_kernelILb0ELi256EiPK19rocblas_complex_numIdES1_KPS1_EviiT3_lPKT2_lT1_lS9_lSA_lS6_lPT4_lSA_li
    .private_segment_fixed_size: 0
    .sgpr_count:     48
    .sgpr_spill_count: 0
    .symbol:         _ZL32rocblas_gemvt_warp_reduce_kernelILb0ELi256EiPK19rocblas_complex_numIdES1_KPS1_EviiT3_lPKT2_lT1_lS9_lSA_lS6_lPT4_lSA_li.kd
    .uniform_work_group_size: 1
    .uses_dynamic_stack: false
    .vgpr_count:     36
    .vgpr_spill_count: 0
    .wavefront_size: 32
  - .args:
      - .offset:         0
        .size:           4
        .value_kind:     by_value
      - .offset:         4
        .size:           4
        .value_kind:     by_value
      - .offset:         8
        .size:           16
        .value_kind:     by_value
      - .offset:         24
        .size:           8
        .value_kind:     by_value
      - .address_space:  global
        .offset:         32
        .size:           8
        .value_kind:     global_buffer
      - .offset:         40
        .size:           8
        .value_kind:     by_value
      - .offset:         48
        .size:           8
        .value_kind:     by_value
      - .offset:         56
        .size:           8
        .value_kind:     by_value
      - .address_space:  global
        .offset:         64
        .size:           8
        .value_kind:     global_buffer
      - .offset:         72
        .size:           8
        .value_kind:     by_value
      - .offset:         80
        .size:           8
        .value_kind:     by_value
      - .offset:         88
        .size:           8
        .value_kind:     by_value
      - .offset:         96
        .size:           16
        .value_kind:     by_value
      - .offset:         112
        .size:           8
        .value_kind:     by_value
      - .address_space:  global
        .offset:         120
        .size:           8
        .value_kind:     global_buffer
      - .offset:         128
        .size:           8
        .value_kind:     by_value
      - .offset:         136
        .size:           8
        .value_kind:     by_value
      - .offset:         144
        .size:           8
        .value_kind:     by_value
      - .offset:         152
        .size:           4
        .value_kind:     by_value
    .group_segment_fixed_size: 512
    .kernarg_segment_align: 8
    .kernarg_segment_size: 156
    .language:       OpenCL C
    .language_version:
      - 2
      - 0
    .max_flat_workgroup_size: 256
    .name:           _ZL32rocblas_gemvt_warp_reduce_kernelILb0ELi256ElPK19rocblas_complex_numIdES1_KPS1_EviiT3_lPKT2_lT1_lS9_lSA_lS6_lPT4_lSA_li
    .private_segment_fixed_size: 0
    .sgpr_count:     46
    .sgpr_spill_count: 0
    .symbol:         _ZL32rocblas_gemvt_warp_reduce_kernelILb0ELi256ElPK19rocblas_complex_numIdES1_KPS1_EviiT3_lPKT2_lT1_lS9_lSA_lS6_lPT4_lSA_li.kd
    .uniform_work_group_size: 1
    .uses_dynamic_stack: false
    .vgpr_count:     38
    .vgpr_spill_count: 0
    .wavefront_size: 32
  - .args:
      - .offset:         0
        .size:           4
        .value_kind:     by_value
      - .offset:         4
        .size:           4
        .value_kind:     by_value
      - .address_space:  global
        .offset:         8
        .size:           8
        .value_kind:     global_buffer
      - .offset:         16
        .size:           8
        .value_kind:     by_value
      - .address_space:  global
        .offset:         24
        .size:           8
        .value_kind:     global_buffer
      - .offset:         32
        .size:           8
        .value_kind:     by_value
      - .offset:         40
        .size:           4
        .value_kind:     by_value
      - .offset:         48
        .size:           8
        .value_kind:     by_value
      - .address_space:  global
        .offset:         56
        .size:           8
        .value_kind:     global_buffer
      - .offset:         64
        .size:           8
        .value_kind:     by_value
      - .offset:         72
        .size:           4
        .value_kind:     by_value
      - .offset:         80
        .size:           8
        .value_kind:     by_value
      - .address_space:  global
        .offset:         88
        .size:           8
        .value_kind:     global_buffer
      - .offset:         96
        .size:           8
        .value_kind:     by_value
      - .address_space:  global
        .offset:         104
        .size:           8
        .value_kind:     global_buffer
      - .offset:         112
        .size:           8
        .value_kind:     by_value
      - .offset:         120
        .size:           4
        .value_kind:     by_value
      - .offset:         128
        .size:           8
        .value_kind:     by_value
      - .offset:         136
        .size:           4
        .value_kind:     by_value
    .group_segment_fixed_size: 4096
    .kernarg_segment_align: 8
    .kernarg_segment_size: 140
    .language:       OpenCL C
    .language_version:
      - 2
      - 0
    .max_flat_workgroup_size: 256
    .name:           _ZL20rocblas_gemvt_kernelILb0ELi256EPK19rocblas_complex_numIdES3_KPS1_EviiT2_lPKT1_lilS9_lilS6_lPT3_lili
    .private_segment_fixed_size: 0
    .sgpr_count:     48
    .sgpr_spill_count: 0
    .symbol:         _ZL20rocblas_gemvt_kernelILb0ELi256EPK19rocblas_complex_numIdES3_KPS1_EviiT2_lPKT1_lilS9_lilS6_lPT3_lili.kd
    .uniform_work_group_size: 1
    .uses_dynamic_stack: false
    .vgpr_count:     42
    .vgpr_spill_count: 0
    .wavefront_size: 32
  - .args:
      - .offset:         0
        .size:           4
        .value_kind:     by_value
      - .offset:         4
        .size:           4
        .value_kind:     by_value
      - .offset:         8
        .size:           16
        .value_kind:     by_value
      - .offset:         24
        .size:           8
        .value_kind:     by_value
      - .address_space:  global
        .offset:         32
        .size:           8
        .value_kind:     global_buffer
      - .offset:         40
        .size:           8
        .value_kind:     by_value
      - .offset:         48
        .size:           4
        .value_kind:     by_value
      - .offset:         56
        .size:           8
        .value_kind:     by_value
      - .address_space:  global
        .offset:         64
        .size:           8
        .value_kind:     global_buffer
      - .offset:         72
        .size:           8
        .value_kind:     by_value
      - .offset:         80
        .size:           4
        .value_kind:     by_value
      - .offset:         88
        .size:           8
        .value_kind:     by_value
      - .offset:         96
        .size:           16
        .value_kind:     by_value
      - .offset:         112
        .size:           8
        .value_kind:     by_value
      - .address_space:  global
        .offset:         120
        .size:           8
        .value_kind:     global_buffer
      - .offset:         128
        .size:           8
        .value_kind:     by_value
      - .offset:         136
        .size:           4
        .value_kind:     by_value
      - .offset:         144
        .size:           8
        .value_kind:     by_value
      - .offset:         152
        .size:           4
        .value_kind:     by_value
    .group_segment_fixed_size: 4096
    .kernarg_segment_align: 8
    .kernarg_segment_size: 156
    .language:       OpenCL C
    .language_version:
      - 2
      - 0
    .max_flat_workgroup_size: 256
    .name:           _ZL20rocblas_gemvt_kernelILb0ELi256EPK19rocblas_complex_numIdES1_KPS1_EviiT2_lPKT1_lilS9_lilS6_lPT3_lili
    .private_segment_fixed_size: 0
    .sgpr_count:     50
    .sgpr_spill_count: 0
    .symbol:         _ZL20rocblas_gemvt_kernelILb0ELi256EPK19rocblas_complex_numIdES1_KPS1_EviiT2_lPKT1_lilS9_lilS6_lPT3_lili.kd
    .uniform_work_group_size: 1
    .uses_dynamic_stack: false
    .vgpr_count:     34
    .vgpr_spill_count: 0
    .wavefront_size: 32
  - .args:
      - .offset:         0
        .size:           4
        .value_kind:     by_value
      - .offset:         4
        .size:           4
        .value_kind:     by_value
      - .address_space:  global
        .offset:         8
        .size:           8
        .value_kind:     global_buffer
      - .offset:         16
        .size:           8
        .value_kind:     by_value
      - .address_space:  global
        .offset:         24
        .size:           8
        .value_kind:     global_buffer
      - .offset:         32
        .size:           8
        .value_kind:     by_value
      - .offset:         40
        .size:           4
        .value_kind:     by_value
      - .offset:         48
        .size:           8
        .value_kind:     by_value
      - .address_space:  global
        .offset:         56
        .size:           8
        .value_kind:     global_buffer
      - .offset:         64
        .size:           8
        .value_kind:     by_value
      - .offset:         72
        .size:           4
        .value_kind:     by_value
      - .offset:         80
        .size:           8
        .value_kind:     by_value
      - .address_space:  global
        .offset:         88
        .size:           8
        .value_kind:     global_buffer
      - .offset:         96
        .size:           8
        .value_kind:     by_value
      - .address_space:  global
        .offset:         104
        .size:           8
        .value_kind:     global_buffer
      - .offset:         112
        .size:           8
        .value_kind:     by_value
      - .offset:         120
        .size:           4
        .value_kind:     by_value
      - .offset:         128
        .size:           8
        .value_kind:     by_value
      - .offset:         136
        .size:           4
        .value_kind:     by_value
    .group_segment_fixed_size: 512
    .kernarg_segment_align: 8
    .kernarg_segment_size: 140
    .language:       OpenCL C
    .language_version:
      - 2
      - 0
    .max_flat_workgroup_size: 1024
    .name:           _ZL32rocblas_gemvt_warp_reduce_kernelILb0ELi1024EiPK19rocblas_complex_numIdES3_KPS1_EviiT3_lPKT2_lT1_lS9_lSA_lS6_lPT4_lSA_li
    .private_segment_fixed_size: 0
    .sgpr_count:     44
    .sgpr_spill_count: 0
    .symbol:         _ZL32rocblas_gemvt_warp_reduce_kernelILb0ELi1024EiPK19rocblas_complex_numIdES3_KPS1_EviiT3_lPKT2_lT1_lS9_lSA_lS6_lPT4_lSA_li.kd
    .uniform_work_group_size: 1
    .uses_dynamic_stack: false
    .vgpr_count:     44
    .vgpr_spill_count: 0
    .wavefront_size: 32
  - .args:
      - .offset:         0
        .size:           4
        .value_kind:     by_value
      - .offset:         4
        .size:           4
        .value_kind:     by_value
      - .address_space:  global
        .offset:         8
        .size:           8
        .value_kind:     global_buffer
      - .offset:         16
        .size:           8
        .value_kind:     by_value
      - .address_space:  global
        .offset:         24
        .size:           8
        .value_kind:     global_buffer
      - .offset:         32
        .size:           8
        .value_kind:     by_value
      - .offset:         40
        .size:           8
        .value_kind:     by_value
      - .offset:         48
        .size:           8
        .value_kind:     by_value
      - .address_space:  global
        .offset:         56
        .size:           8
        .value_kind:     global_buffer
      - .offset:         64
        .size:           8
        .value_kind:     by_value
      - .offset:         72
        .size:           8
        .value_kind:     by_value
      - .offset:         80
        .size:           8
        .value_kind:     by_value
      - .address_space:  global
        .offset:         88
        .size:           8
        .value_kind:     global_buffer
      - .offset:         96
        .size:           8
        .value_kind:     by_value
      - .address_space:  global
        .offset:         104
        .size:           8
        .value_kind:     global_buffer
      - .offset:         112
        .size:           8
        .value_kind:     by_value
      - .offset:         120
        .size:           8
        .value_kind:     by_value
      - .offset:         128
        .size:           8
        .value_kind:     by_value
      - .offset:         136
        .size:           4
        .value_kind:     by_value
    .group_segment_fixed_size: 512
    .kernarg_segment_align: 8
    .kernarg_segment_size: 140
    .language:       OpenCL C
    .language_version:
      - 2
      - 0
    .max_flat_workgroup_size: 1024
    .name:           _ZL32rocblas_gemvt_warp_reduce_kernelILb0ELi1024ElPK19rocblas_complex_numIdES3_KPS1_EviiT3_lPKT2_lT1_lS9_lSA_lS6_lPT4_lSA_li
    .private_segment_fixed_size: 0
    .sgpr_count:     44
    .sgpr_spill_count: 0
    .symbol:         _ZL32rocblas_gemvt_warp_reduce_kernelILb0ELi1024ElPK19rocblas_complex_numIdES3_KPS1_EviiT3_lPKT2_lT1_lS9_lSA_lS6_lPT4_lSA_li.kd
    .uniform_work_group_size: 1
    .uses_dynamic_stack: false
    .vgpr_count:     46
    .vgpr_spill_count: 0
    .wavefront_size: 32
  - .args:
      - .offset:         0
        .size:           4
        .value_kind:     by_value
      - .offset:         4
        .size:           4
        .value_kind:     by_value
      - .offset:         8
        .size:           16
        .value_kind:     by_value
      - .offset:         24
        .size:           8
        .value_kind:     by_value
      - .address_space:  global
        .offset:         32
        .size:           8
        .value_kind:     global_buffer
      - .offset:         40
        .size:           8
        .value_kind:     by_value
      - .offset:         48
        .size:           4
        .value_kind:     by_value
      - .offset:         56
        .size:           8
        .value_kind:     by_value
      - .address_space:  global
        .offset:         64
        .size:           8
        .value_kind:     global_buffer
      - .offset:         72
        .size:           8
        .value_kind:     by_value
      - .offset:         80
        .size:           4
        .value_kind:     by_value
      - .offset:         88
        .size:           8
        .value_kind:     by_value
      - .offset:         96
        .size:           16
        .value_kind:     by_value
      - .offset:         112
        .size:           8
        .value_kind:     by_value
      - .address_space:  global
        .offset:         120
        .size:           8
        .value_kind:     global_buffer
      - .offset:         128
        .size:           8
        .value_kind:     by_value
      - .offset:         136
        .size:           4
        .value_kind:     by_value
      - .offset:         144
        .size:           8
        .value_kind:     by_value
      - .offset:         152
        .size:           4
        .value_kind:     by_value
    .group_segment_fixed_size: 512
    .kernarg_segment_align: 8
    .kernarg_segment_size: 156
    .language:       OpenCL C
    .language_version:
      - 2
      - 0
    .max_flat_workgroup_size: 1024
    .name:           _ZL32rocblas_gemvt_warp_reduce_kernelILb0ELi1024EiPK19rocblas_complex_numIdES1_KPS1_EviiT3_lPKT2_lT1_lS9_lSA_lS6_lPT4_lSA_li
    .private_segment_fixed_size: 0
    .sgpr_count:     46
    .sgpr_spill_count: 0
    .symbol:         _ZL32rocblas_gemvt_warp_reduce_kernelILb0ELi1024EiPK19rocblas_complex_numIdES1_KPS1_EviiT3_lPKT2_lT1_lS9_lSA_lS6_lPT4_lSA_li.kd
    .uniform_work_group_size: 1
    .uses_dynamic_stack: false
    .vgpr_count:     36
    .vgpr_spill_count: 0
    .wavefront_size: 32
  - .args:
      - .offset:         0
        .size:           4
        .value_kind:     by_value
      - .offset:         4
        .size:           4
        .value_kind:     by_value
      - .offset:         8
        .size:           16
        .value_kind:     by_value
      - .offset:         24
        .size:           8
        .value_kind:     by_value
      - .address_space:  global
        .offset:         32
        .size:           8
        .value_kind:     global_buffer
      - .offset:         40
        .size:           8
        .value_kind:     by_value
      - .offset:         48
        .size:           8
        .value_kind:     by_value
      - .offset:         56
        .size:           8
        .value_kind:     by_value
      - .address_space:  global
        .offset:         64
        .size:           8
        .value_kind:     global_buffer
      - .offset:         72
        .size:           8
        .value_kind:     by_value
      - .offset:         80
        .size:           8
        .value_kind:     by_value
      - .offset:         88
        .size:           8
        .value_kind:     by_value
      - .offset:         96
        .size:           16
        .value_kind:     by_value
      - .offset:         112
        .size:           8
        .value_kind:     by_value
      - .address_space:  global
        .offset:         120
        .size:           8
        .value_kind:     global_buffer
      - .offset:         128
        .size:           8
        .value_kind:     by_value
      - .offset:         136
        .size:           8
        .value_kind:     by_value
      - .offset:         144
        .size:           8
        .value_kind:     by_value
      - .offset:         152
        .size:           4
        .value_kind:     by_value
    .group_segment_fixed_size: 512
    .kernarg_segment_align: 8
    .kernarg_segment_size: 156
    .language:       OpenCL C
    .language_version:
      - 2
      - 0
    .max_flat_workgroup_size: 1024
    .name:           _ZL32rocblas_gemvt_warp_reduce_kernelILb0ELi1024ElPK19rocblas_complex_numIdES1_KPS1_EviiT3_lPKT2_lT1_lS9_lSA_lS6_lPT4_lSA_li
    .private_segment_fixed_size: 0
    .sgpr_count:     45
    .sgpr_spill_count: 0
    .symbol:         _ZL32rocblas_gemvt_warp_reduce_kernelILb0ELi1024ElPK19rocblas_complex_numIdES1_KPS1_EviiT3_lPKT2_lT1_lS9_lSA_lS6_lPT4_lSA_li.kd
    .uniform_work_group_size: 1
    .uses_dynamic_stack: false
    .vgpr_count:     38
    .vgpr_spill_count: 0
    .wavefront_size: 32
  - .args:
      - .offset:         0
        .size:           4
        .value_kind:     by_value
      - .offset:         4
        .size:           4
        .value_kind:     by_value
      - .address_space:  global
        .offset:         8
        .size:           8
        .value_kind:     global_buffer
      - .offset:         16
        .size:           8
        .value_kind:     by_value
      - .address_space:  global
        .offset:         24
        .size:           8
        .value_kind:     global_buffer
      - .offset:         32
        .size:           8
        .value_kind:     by_value
      - .offset:         40
        .size:           4
        .value_kind:     by_value
      - .offset:         48
        .size:           8
        .value_kind:     by_value
      - .address_space:  global
        .offset:         56
        .size:           8
        .value_kind:     global_buffer
      - .offset:         64
        .size:           8
        .value_kind:     by_value
      - .offset:         72
        .size:           4
        .value_kind:     by_value
      - .offset:         80
        .size:           8
        .value_kind:     by_value
      - .address_space:  global
        .offset:         88
        .size:           8
        .value_kind:     global_buffer
      - .offset:         96
        .size:           8
        .value_kind:     by_value
      - .address_space:  global
        .offset:         104
        .size:           8
        .value_kind:     global_buffer
      - .offset:         112
        .size:           8
        .value_kind:     by_value
      - .offset:         120
        .size:           4
        .value_kind:     by_value
      - .offset:         128
        .size:           8
        .value_kind:     by_value
    .group_segment_fixed_size: 1024
    .kernarg_segment_align: 8
    .kernarg_segment_size: 136
    .language:       OpenCL C
    .language_version:
      - 2
      - 0
    .max_flat_workgroup_size: 256
    .name:           _ZL22rocblas_gemvtsm_kernelILb1ELi256EPK19rocblas_complex_numIdES3_KPS1_EviiT2_lPKT1_lilS9_lilS6_lPT3_lil
    .private_segment_fixed_size: 0
    .sgpr_count:     28
    .sgpr_spill_count: 0
    .symbol:         _ZL22rocblas_gemvtsm_kernelILb1ELi256EPK19rocblas_complex_numIdES3_KPS1_EviiT2_lPKT1_lilS9_lilS6_lPT3_lil.kd
    .uniform_work_group_size: 1
    .uses_dynamic_stack: false
    .vgpr_count:     64
    .vgpr_spill_count: 0
    .wavefront_size: 32
  - .args:
      - .offset:         0
        .size:           4
        .value_kind:     by_value
      - .offset:         4
        .size:           4
        .value_kind:     by_value
      - .offset:         8
        .size:           16
        .value_kind:     by_value
      - .offset:         24
        .size:           8
        .value_kind:     by_value
      - .address_space:  global
        .offset:         32
        .size:           8
        .value_kind:     global_buffer
      - .offset:         40
        .size:           8
        .value_kind:     by_value
      - .offset:         48
        .size:           4
        .value_kind:     by_value
      - .offset:         56
        .size:           8
        .value_kind:     by_value
      - .address_space:  global
        .offset:         64
        .size:           8
        .value_kind:     global_buffer
      - .offset:         72
        .size:           8
        .value_kind:     by_value
      - .offset:         80
        .size:           4
        .value_kind:     by_value
      - .offset:         88
        .size:           8
        .value_kind:     by_value
      - .offset:         96
        .size:           16
        .value_kind:     by_value
      - .offset:         112
        .size:           8
        .value_kind:     by_value
      - .address_space:  global
        .offset:         120
        .size:           8
        .value_kind:     global_buffer
      - .offset:         128
        .size:           8
        .value_kind:     by_value
      - .offset:         136
        .size:           4
        .value_kind:     by_value
      - .offset:         144
        .size:           8
        .value_kind:     by_value
    .group_segment_fixed_size: 1024
    .kernarg_segment_align: 8
    .kernarg_segment_size: 152
    .language:       OpenCL C
    .language_version:
      - 2
      - 0
    .max_flat_workgroup_size: 256
    .name:           _ZL22rocblas_gemvtsm_kernelILb1ELi256EPK19rocblas_complex_numIdES1_KPS1_EviiT2_lPKT1_lilS9_lilS6_lPT3_lil
    .private_segment_fixed_size: 0
    .sgpr_count:     28
    .sgpr_spill_count: 0
    .symbol:         _ZL22rocblas_gemvtsm_kernelILb1ELi256EPK19rocblas_complex_numIdES1_KPS1_EviiT2_lPKT1_lilS9_lilS6_lPT3_lil.kd
    .uniform_work_group_size: 1
    .uses_dynamic_stack: false
    .vgpr_count:     64
    .vgpr_spill_count: 0
    .wavefront_size: 32
  - .args:
      - .offset:         0
        .size:           4
        .value_kind:     by_value
      - .offset:         4
        .size:           4
        .value_kind:     by_value
      - .address_space:  global
        .offset:         8
        .size:           8
        .value_kind:     global_buffer
      - .offset:         16
        .size:           8
        .value_kind:     by_value
      - .address_space:  global
        .offset:         24
        .size:           8
        .value_kind:     global_buffer
      - .offset:         32
        .size:           8
        .value_kind:     by_value
      - .offset:         40
        .size:           4
        .value_kind:     by_value
      - .offset:         48
        .size:           8
        .value_kind:     by_value
      - .address_space:  global
        .offset:         56
        .size:           8
        .value_kind:     global_buffer
      - .offset:         64
        .size:           8
        .value_kind:     by_value
      - .offset:         72
        .size:           4
        .value_kind:     by_value
      - .offset:         80
        .size:           8
        .value_kind:     by_value
      - .address_space:  global
        .offset:         88
        .size:           8
        .value_kind:     global_buffer
      - .offset:         96
        .size:           4
        .value_kind:     by_value
      - .offset:         104
        .size:           4
        .value_kind:     hidden_block_count_x
      - .offset:         108
        .size:           4
        .value_kind:     hidden_block_count_y
      - .offset:         112
        .size:           4
        .value_kind:     hidden_block_count_z
      - .offset:         116
        .size:           2
        .value_kind:     hidden_group_size_x
      - .offset:         118
        .size:           2
        .value_kind:     hidden_group_size_y
      - .offset:         120
        .size:           2
        .value_kind:     hidden_group_size_z
      - .offset:         122
        .size:           2
        .value_kind:     hidden_remainder_x
      - .offset:         124
        .size:           2
        .value_kind:     hidden_remainder_y
      - .offset:         126
        .size:           2
        .value_kind:     hidden_remainder_z
      - .offset:         144
        .size:           8
        .value_kind:     hidden_global_offset_x
      - .offset:         152
        .size:           8
        .value_kind:     hidden_global_offset_y
      - .offset:         160
        .size:           8
        .value_kind:     hidden_global_offset_z
      - .offset:         168
        .size:           2
        .value_kind:     hidden_grid_dims
    .group_segment_fixed_size: 512
    .kernarg_segment_align: 8
    .kernarg_segment_size: 360
    .language:       OpenCL C
    .language_version:
      - 2
      - 0
    .max_flat_workgroup_size: 256
    .name:           _ZL23rocblas_gemvt_sn_kernelILb1ELi256ELi4EiPK19rocblas_complex_numIdES3_S1_EviiT4_lPKT3_lilS7_lilPT5_i
    .private_segment_fixed_size: 80
    .sgpr_count:     72
    .sgpr_spill_count: 0
    .symbol:         _ZL23rocblas_gemvt_sn_kernelILb1ELi256ELi4EiPK19rocblas_complex_numIdES3_S1_EviiT4_lPKT3_lilS7_lilPT5_i.kd
    .uniform_work_group_size: 1
    .uses_dynamic_stack: false
    .vgpr_count:     80
    .vgpr_spill_count: 0
    .wavefront_size: 32
  - .args:
      - .offset:         0
        .size:           4
        .value_kind:     by_value
      - .offset:         4
        .size:           4
        .value_kind:     by_value
      - .address_space:  global
        .offset:         8
        .size:           8
        .value_kind:     global_buffer
      - .offset:         16
        .size:           8
        .value_kind:     by_value
      - .address_space:  global
        .offset:         24
        .size:           8
        .value_kind:     global_buffer
      - .offset:         32
        .size:           8
        .value_kind:     by_value
      - .offset:         40
        .size:           4
        .value_kind:     by_value
      - .offset:         48
        .size:           8
        .value_kind:     by_value
      - .address_space:  global
        .offset:         56
        .size:           8
        .value_kind:     global_buffer
      - .offset:         64
        .size:           8
        .value_kind:     by_value
      - .offset:         72
        .size:           4
        .value_kind:     by_value
      - .offset:         80
        .size:           8
        .value_kind:     by_value
      - .address_space:  global
        .offset:         88
        .size:           8
        .value_kind:     global_buffer
      - .offset:         96
        .size:           4
        .value_kind:     by_value
      - .offset:         104
        .size:           4
        .value_kind:     hidden_block_count_x
      - .offset:         108
        .size:           4
        .value_kind:     hidden_block_count_y
      - .offset:         112
        .size:           4
        .value_kind:     hidden_block_count_z
      - .offset:         116
        .size:           2
        .value_kind:     hidden_group_size_x
      - .offset:         118
        .size:           2
        .value_kind:     hidden_group_size_y
      - .offset:         120
        .size:           2
        .value_kind:     hidden_group_size_z
      - .offset:         122
        .size:           2
        .value_kind:     hidden_remainder_x
      - .offset:         124
        .size:           2
        .value_kind:     hidden_remainder_y
      - .offset:         126
        .size:           2
        .value_kind:     hidden_remainder_z
      - .offset:         144
        .size:           8
        .value_kind:     hidden_global_offset_x
      - .offset:         152
        .size:           8
        .value_kind:     hidden_global_offset_y
      - .offset:         160
        .size:           8
        .value_kind:     hidden_global_offset_z
      - .offset:         168
        .size:           2
        .value_kind:     hidden_grid_dims
    .group_segment_fixed_size: 512
    .kernarg_segment_align: 8
    .kernarg_segment_size: 360
    .language:       OpenCL C
    .language_version:
      - 2
      - 0
    .max_flat_workgroup_size: 256
    .name:           _ZL23rocblas_gemvt_sn_kernelILb1ELi256ELi4ElPK19rocblas_complex_numIdES3_S1_EviiT4_lPKT3_lilS7_lilPT5_i
    .private_segment_fixed_size: 80
    .sgpr_count:     72
    .sgpr_spill_count: 0
    .symbol:         _ZL23rocblas_gemvt_sn_kernelILb1ELi256ELi4ElPK19rocblas_complex_numIdES3_S1_EviiT4_lPKT3_lilS7_lilPT5_i.kd
    .uniform_work_group_size: 1
    .uses_dynamic_stack: false
    .vgpr_count:     92
    .vgpr_spill_count: 0
    .wavefront_size: 32
  - .args:
      - .offset:         0
        .size:           4
        .value_kind:     by_value
      - .offset:         4
        .size:           4
        .value_kind:     by_value
      - .offset:         8
        .size:           16
        .value_kind:     by_value
      - .offset:         24
        .size:           8
        .value_kind:     by_value
      - .address_space:  global
        .offset:         32
        .size:           8
        .value_kind:     global_buffer
      - .offset:         40
        .size:           8
        .value_kind:     by_value
      - .offset:         48
        .size:           4
        .value_kind:     by_value
      - .offset:         56
        .size:           8
        .value_kind:     by_value
      - .address_space:  global
        .offset:         64
        .size:           8
        .value_kind:     global_buffer
      - .offset:         72
        .size:           8
        .value_kind:     by_value
      - .offset:         80
        .size:           4
        .value_kind:     by_value
      - .offset:         88
        .size:           8
        .value_kind:     by_value
      - .address_space:  global
        .offset:         96
        .size:           8
        .value_kind:     global_buffer
      - .offset:         104
        .size:           4
        .value_kind:     by_value
      - .offset:         112
        .size:           4
        .value_kind:     hidden_block_count_x
      - .offset:         116
        .size:           4
        .value_kind:     hidden_block_count_y
      - .offset:         120
        .size:           4
        .value_kind:     hidden_block_count_z
      - .offset:         124
        .size:           2
        .value_kind:     hidden_group_size_x
      - .offset:         126
        .size:           2
        .value_kind:     hidden_group_size_y
      - .offset:         128
        .size:           2
        .value_kind:     hidden_group_size_z
      - .offset:         130
        .size:           2
        .value_kind:     hidden_remainder_x
      - .offset:         132
        .size:           2
        .value_kind:     hidden_remainder_y
      - .offset:         134
        .size:           2
        .value_kind:     hidden_remainder_z
      - .offset:         152
        .size:           8
        .value_kind:     hidden_global_offset_x
      - .offset:         160
        .size:           8
        .value_kind:     hidden_global_offset_y
      - .offset:         168
        .size:           8
        .value_kind:     hidden_global_offset_z
      - .offset:         176
        .size:           2
        .value_kind:     hidden_grid_dims
    .group_segment_fixed_size: 512
    .kernarg_segment_align: 8
    .kernarg_segment_size: 368
    .language:       OpenCL C
    .language_version:
      - 2
      - 0
    .max_flat_workgroup_size: 256
    .name:           _ZL23rocblas_gemvt_sn_kernelILb1ELi256ELi4EiPK19rocblas_complex_numIdES1_S1_EviiT4_lPKT3_lilS7_lilPT5_i
    .private_segment_fixed_size: 80
    .sgpr_count:     73
    .sgpr_spill_count: 0
    .symbol:         _ZL23rocblas_gemvt_sn_kernelILb1ELi256ELi4EiPK19rocblas_complex_numIdES1_S1_EviiT4_lPKT3_lilS7_lilPT5_i.kd
    .uniform_work_group_size: 1
    .uses_dynamic_stack: false
    .vgpr_count:     134
    .vgpr_spill_count: 0
    .wavefront_size: 32
  - .args:
      - .offset:         0
        .size:           4
        .value_kind:     by_value
      - .offset:         4
        .size:           4
        .value_kind:     by_value
      - .offset:         8
        .size:           16
        .value_kind:     by_value
      - .offset:         24
        .size:           8
        .value_kind:     by_value
      - .address_space:  global
        .offset:         32
        .size:           8
        .value_kind:     global_buffer
      - .offset:         40
        .size:           8
        .value_kind:     by_value
      - .offset:         48
        .size:           4
        .value_kind:     by_value
      - .offset:         56
        .size:           8
        .value_kind:     by_value
      - .address_space:  global
        .offset:         64
        .size:           8
        .value_kind:     global_buffer
      - .offset:         72
        .size:           8
        .value_kind:     by_value
      - .offset:         80
        .size:           4
        .value_kind:     by_value
      - .offset:         88
        .size:           8
        .value_kind:     by_value
      - .address_space:  global
        .offset:         96
        .size:           8
        .value_kind:     global_buffer
      - .offset:         104
        .size:           4
        .value_kind:     by_value
      - .offset:         112
        .size:           4
        .value_kind:     hidden_block_count_x
      - .offset:         116
        .size:           4
        .value_kind:     hidden_block_count_y
      - .offset:         120
        .size:           4
        .value_kind:     hidden_block_count_z
      - .offset:         124
        .size:           2
        .value_kind:     hidden_group_size_x
      - .offset:         126
        .size:           2
        .value_kind:     hidden_group_size_y
      - .offset:         128
        .size:           2
        .value_kind:     hidden_group_size_z
      - .offset:         130
        .size:           2
        .value_kind:     hidden_remainder_x
      - .offset:         132
        .size:           2
        .value_kind:     hidden_remainder_y
      - .offset:         134
        .size:           2
        .value_kind:     hidden_remainder_z
      - .offset:         152
        .size:           8
        .value_kind:     hidden_global_offset_x
      - .offset:         160
        .size:           8
        .value_kind:     hidden_global_offset_y
      - .offset:         168
        .size:           8
        .value_kind:     hidden_global_offset_z
      - .offset:         176
        .size:           2
        .value_kind:     hidden_grid_dims
    .group_segment_fixed_size: 512
    .kernarg_segment_align: 8
    .kernarg_segment_size: 368
    .language:       OpenCL C
    .language_version:
      - 2
      - 0
    .max_flat_workgroup_size: 256
    .name:           _ZL23rocblas_gemvt_sn_kernelILb1ELi256ELi4ElPK19rocblas_complex_numIdES1_S1_EviiT4_lPKT3_lilS7_lilPT5_i
    .private_segment_fixed_size: 80
    .sgpr_count:     72
    .sgpr_spill_count: 0
    .symbol:         _ZL23rocblas_gemvt_sn_kernelILb1ELi256ELi4ElPK19rocblas_complex_numIdES1_S1_EviiT4_lPKT3_lilS7_lilPT5_i.kd
    .uniform_work_group_size: 1
    .uses_dynamic_stack: false
    .vgpr_count:     140
    .vgpr_spill_count: 0
    .wavefront_size: 32
  - .args:
      - .offset:         0
        .size:           4
        .value_kind:     by_value
      - .offset:         4
        .size:           4
        .value_kind:     by_value
      - .address_space:  global
        .offset:         8
        .size:           8
        .value_kind:     global_buffer
      - .offset:         16
        .size:           8
        .value_kind:     by_value
      - .address_space:  global
        .offset:         24
        .size:           8
        .value_kind:     global_buffer
      - .offset:         32
        .size:           8
        .value_kind:     by_value
      - .offset:         40
        .size:           4
        .value_kind:     by_value
      - .offset:         48
        .size:           8
        .value_kind:     by_value
      - .address_space:  global
        .offset:         56
        .size:           8
        .value_kind:     global_buffer
      - .offset:         64
        .size:           8
        .value_kind:     by_value
      - .offset:         72
        .size:           4
        .value_kind:     by_value
      - .offset:         80
        .size:           8
        .value_kind:     by_value
      - .address_space:  global
        .offset:         88
        .size:           8
        .value_kind:     global_buffer
      - .offset:         96
        .size:           8
        .value_kind:     by_value
      - .address_space:  global
        .offset:         104
        .size:           8
        .value_kind:     global_buffer
      - .offset:         112
        .size:           8
        .value_kind:     by_value
      - .offset:         120
        .size:           4
        .value_kind:     by_value
      - .offset:         128
        .size:           8
        .value_kind:     by_value
      - .offset:         136
        .size:           4
        .value_kind:     by_value
    .group_segment_fixed_size: 4096
    .kernarg_segment_align: 8
    .kernarg_segment_size: 140
    .language:       OpenCL C
    .language_version:
      - 2
      - 0
    .max_flat_workgroup_size: 256
    .name:           _ZL20rocblas_gemvt_kernelILb1ELi256EPK19rocblas_complex_numIdES3_KPS1_EviiT2_lPKT1_lilS9_lilS6_lPT3_lili
    .private_segment_fixed_size: 0
    .sgpr_count:     48
    .sgpr_spill_count: 0
    .symbol:         _ZL20rocblas_gemvt_kernelILb1ELi256EPK19rocblas_complex_numIdES3_KPS1_EviiT2_lPKT1_lilS9_lilS6_lPT3_lili.kd
    .uniform_work_group_size: 1
    .uses_dynamic_stack: false
    .vgpr_count:     42
    .vgpr_spill_count: 0
    .wavefront_size: 32
  - .args:
      - .offset:         0
        .size:           4
        .value_kind:     by_value
      - .offset:         4
        .size:           4
        .value_kind:     by_value
      - .offset:         8
        .size:           16
        .value_kind:     by_value
      - .offset:         24
        .size:           8
        .value_kind:     by_value
      - .address_space:  global
        .offset:         32
        .size:           8
        .value_kind:     global_buffer
      - .offset:         40
        .size:           8
        .value_kind:     by_value
      - .offset:         48
        .size:           4
        .value_kind:     by_value
      - .offset:         56
        .size:           8
        .value_kind:     by_value
      - .address_space:  global
        .offset:         64
        .size:           8
        .value_kind:     global_buffer
      - .offset:         72
        .size:           8
        .value_kind:     by_value
      - .offset:         80
        .size:           4
        .value_kind:     by_value
      - .offset:         88
        .size:           8
        .value_kind:     by_value
      - .offset:         96
        .size:           16
        .value_kind:     by_value
      - .offset:         112
        .size:           8
        .value_kind:     by_value
      - .address_space:  global
        .offset:         120
        .size:           8
        .value_kind:     global_buffer
      - .offset:         128
        .size:           8
        .value_kind:     by_value
      - .offset:         136
        .size:           4
        .value_kind:     by_value
      - .offset:         144
        .size:           8
        .value_kind:     by_value
      - .offset:         152
        .size:           4
        .value_kind:     by_value
    .group_segment_fixed_size: 4096
    .kernarg_segment_align: 8
    .kernarg_segment_size: 156
    .language:       OpenCL C
    .language_version:
      - 2
      - 0
    .max_flat_workgroup_size: 256
    .name:           _ZL20rocblas_gemvt_kernelILb1ELi256EPK19rocblas_complex_numIdES1_KPS1_EviiT2_lPKT1_lilS9_lilS6_lPT3_lili
    .private_segment_fixed_size: 0
    .sgpr_count:     50
    .sgpr_spill_count: 0
    .symbol:         _ZL20rocblas_gemvt_kernelILb1ELi256EPK19rocblas_complex_numIdES1_KPS1_EviiT2_lPKT1_lilS9_lilS6_lPT3_lili.kd
    .uniform_work_group_size: 1
    .uses_dynamic_stack: false
    .vgpr_count:     34
    .vgpr_spill_count: 0
    .wavefront_size: 32
  - .args:
      - .offset:         0
        .size:           4
        .value_kind:     by_value
      - .offset:         4
        .size:           4
        .value_kind:     by_value
      - .address_space:  global
        .offset:         8
        .size:           8
        .value_kind:     global_buffer
      - .offset:         16
        .size:           8
        .value_kind:     by_value
      - .address_space:  global
        .offset:         24
        .size:           8
        .value_kind:     global_buffer
      - .offset:         32
        .size:           8
        .value_kind:     by_value
      - .offset:         40
        .size:           4
        .value_kind:     by_value
      - .offset:         48
        .size:           8
        .value_kind:     by_value
      - .address_space:  global
        .offset:         56
        .size:           8
        .value_kind:     global_buffer
      - .offset:         64
        .size:           8
        .value_kind:     by_value
      - .offset:         72
        .size:           4
        .value_kind:     by_value
      - .offset:         80
        .size:           8
        .value_kind:     by_value
      - .address_space:  global
        .offset:         88
        .size:           8
        .value_kind:     global_buffer
      - .offset:         96
        .size:           8
        .value_kind:     by_value
      - .address_space:  global
        .offset:         104
        .size:           8
        .value_kind:     global_buffer
      - .offset:         112
        .size:           8
        .value_kind:     by_value
      - .offset:         120
        .size:           4
        .value_kind:     by_value
      - .offset:         128
        .size:           8
        .value_kind:     by_value
      - .offset:         136
        .size:           4
        .value_kind:     by_value
    .group_segment_fixed_size: 512
    .kernarg_segment_align: 8
    .kernarg_segment_size: 140
    .language:       OpenCL C
    .language_version:
      - 2
      - 0
    .max_flat_workgroup_size: 1024
    .name:           _ZL32rocblas_gemvt_warp_reduce_kernelILb1ELi1024EiPK19rocblas_complex_numIdES3_KPS1_EviiT3_lPKT2_lT1_lS9_lSA_lS6_lPT4_lSA_li
    .private_segment_fixed_size: 0
    .sgpr_count:     44
    .sgpr_spill_count: 0
    .symbol:         _ZL32rocblas_gemvt_warp_reduce_kernelILb1ELi1024EiPK19rocblas_complex_numIdES3_KPS1_EviiT3_lPKT2_lT1_lS9_lSA_lS6_lPT4_lSA_li.kd
    .uniform_work_group_size: 1
    .uses_dynamic_stack: false
    .vgpr_count:     44
    .vgpr_spill_count: 0
    .wavefront_size: 32
  - .args:
      - .offset:         0
        .size:           4
        .value_kind:     by_value
      - .offset:         4
        .size:           4
        .value_kind:     by_value
      - .address_space:  global
        .offset:         8
        .size:           8
        .value_kind:     global_buffer
      - .offset:         16
        .size:           8
        .value_kind:     by_value
      - .address_space:  global
        .offset:         24
        .size:           8
        .value_kind:     global_buffer
      - .offset:         32
        .size:           8
        .value_kind:     by_value
      - .offset:         40
        .size:           8
        .value_kind:     by_value
      - .offset:         48
        .size:           8
        .value_kind:     by_value
      - .address_space:  global
        .offset:         56
        .size:           8
        .value_kind:     global_buffer
      - .offset:         64
        .size:           8
        .value_kind:     by_value
      - .offset:         72
        .size:           8
        .value_kind:     by_value
      - .offset:         80
        .size:           8
        .value_kind:     by_value
      - .address_space:  global
        .offset:         88
        .size:           8
        .value_kind:     global_buffer
      - .offset:         96
        .size:           8
        .value_kind:     by_value
      - .address_space:  global
        .offset:         104
        .size:           8
        .value_kind:     global_buffer
      - .offset:         112
        .size:           8
        .value_kind:     by_value
      - .offset:         120
        .size:           8
        .value_kind:     by_value
      - .offset:         128
        .size:           8
        .value_kind:     by_value
      - .offset:         136
        .size:           4
        .value_kind:     by_value
    .group_segment_fixed_size: 512
    .kernarg_segment_align: 8
    .kernarg_segment_size: 140
    .language:       OpenCL C
    .language_version:
      - 2
      - 0
    .max_flat_workgroup_size: 1024
    .name:           _ZL32rocblas_gemvt_warp_reduce_kernelILb1ELi1024ElPK19rocblas_complex_numIdES3_KPS1_EviiT3_lPKT2_lT1_lS9_lSA_lS6_lPT4_lSA_li
    .private_segment_fixed_size: 0
    .sgpr_count:     44
    .sgpr_spill_count: 0
    .symbol:         _ZL32rocblas_gemvt_warp_reduce_kernelILb1ELi1024ElPK19rocblas_complex_numIdES3_KPS1_EviiT3_lPKT2_lT1_lS9_lSA_lS6_lPT4_lSA_li.kd
    .uniform_work_group_size: 1
    .uses_dynamic_stack: false
    .vgpr_count:     46
    .vgpr_spill_count: 0
    .wavefront_size: 32
  - .args:
      - .offset:         0
        .size:           4
        .value_kind:     by_value
      - .offset:         4
        .size:           4
        .value_kind:     by_value
      - .offset:         8
        .size:           16
        .value_kind:     by_value
      - .offset:         24
        .size:           8
        .value_kind:     by_value
      - .address_space:  global
        .offset:         32
        .size:           8
        .value_kind:     global_buffer
      - .offset:         40
        .size:           8
        .value_kind:     by_value
      - .offset:         48
        .size:           4
        .value_kind:     by_value
      - .offset:         56
        .size:           8
        .value_kind:     by_value
      - .address_space:  global
        .offset:         64
        .size:           8
        .value_kind:     global_buffer
      - .offset:         72
        .size:           8
        .value_kind:     by_value
      - .offset:         80
        .size:           4
        .value_kind:     by_value
      - .offset:         88
        .size:           8
        .value_kind:     by_value
      - .offset:         96
        .size:           16
        .value_kind:     by_value
      - .offset:         112
        .size:           8
        .value_kind:     by_value
      - .address_space:  global
        .offset:         120
        .size:           8
        .value_kind:     global_buffer
      - .offset:         128
        .size:           8
        .value_kind:     by_value
      - .offset:         136
        .size:           4
        .value_kind:     by_value
      - .offset:         144
        .size:           8
        .value_kind:     by_value
      - .offset:         152
        .size:           4
        .value_kind:     by_value
    .group_segment_fixed_size: 512
    .kernarg_segment_align: 8
    .kernarg_segment_size: 156
    .language:       OpenCL C
    .language_version:
      - 2
      - 0
    .max_flat_workgroup_size: 1024
    .name:           _ZL32rocblas_gemvt_warp_reduce_kernelILb1ELi1024EiPK19rocblas_complex_numIdES1_KPS1_EviiT3_lPKT2_lT1_lS9_lSA_lS6_lPT4_lSA_li
    .private_segment_fixed_size: 0
    .sgpr_count:     46
    .sgpr_spill_count: 0
    .symbol:         _ZL32rocblas_gemvt_warp_reduce_kernelILb1ELi1024EiPK19rocblas_complex_numIdES1_KPS1_EviiT3_lPKT2_lT1_lS9_lSA_lS6_lPT4_lSA_li.kd
    .uniform_work_group_size: 1
    .uses_dynamic_stack: false
    .vgpr_count:     36
    .vgpr_spill_count: 0
    .wavefront_size: 32
  - .args:
      - .offset:         0
        .size:           4
        .value_kind:     by_value
      - .offset:         4
        .size:           4
        .value_kind:     by_value
      - .offset:         8
        .size:           16
        .value_kind:     by_value
      - .offset:         24
        .size:           8
        .value_kind:     by_value
      - .address_space:  global
        .offset:         32
        .size:           8
        .value_kind:     global_buffer
      - .offset:         40
        .size:           8
        .value_kind:     by_value
      - .offset:         48
        .size:           8
        .value_kind:     by_value
      - .offset:         56
        .size:           8
        .value_kind:     by_value
      - .address_space:  global
        .offset:         64
        .size:           8
        .value_kind:     global_buffer
      - .offset:         72
        .size:           8
        .value_kind:     by_value
      - .offset:         80
        .size:           8
        .value_kind:     by_value
      - .offset:         88
        .size:           8
        .value_kind:     by_value
      - .offset:         96
        .size:           16
        .value_kind:     by_value
      - .offset:         112
        .size:           8
        .value_kind:     by_value
      - .address_space:  global
        .offset:         120
        .size:           8
        .value_kind:     global_buffer
      - .offset:         128
        .size:           8
        .value_kind:     by_value
      - .offset:         136
        .size:           8
        .value_kind:     by_value
      - .offset:         144
        .size:           8
        .value_kind:     by_value
      - .offset:         152
        .size:           4
        .value_kind:     by_value
    .group_segment_fixed_size: 512
    .kernarg_segment_align: 8
    .kernarg_segment_size: 156
    .language:       OpenCL C
    .language_version:
      - 2
      - 0
    .max_flat_workgroup_size: 1024
    .name:           _ZL32rocblas_gemvt_warp_reduce_kernelILb1ELi1024ElPK19rocblas_complex_numIdES1_KPS1_EviiT3_lPKT2_lT1_lS9_lSA_lS6_lPT4_lSA_li
    .private_segment_fixed_size: 0
    .sgpr_count:     45
    .sgpr_spill_count: 0
    .symbol:         _ZL32rocblas_gemvt_warp_reduce_kernelILb1ELi1024ElPK19rocblas_complex_numIdES1_KPS1_EviiT3_lPKT2_lT1_lS9_lSA_lS6_lPT4_lSA_li.kd
    .uniform_work_group_size: 1
    .uses_dynamic_stack: false
    .vgpr_count:     38
    .vgpr_spill_count: 0
    .wavefront_size: 32
  - .args:
      - .offset:         0
        .size:           4
        .value_kind:     by_value
      - .offset:         4
        .size:           4
        .value_kind:     by_value
      - .address_space:  global
        .offset:         8
        .size:           8
        .value_kind:     global_buffer
      - .offset:         16
        .size:           8
        .value_kind:     by_value
      - .address_space:  global
        .offset:         24
        .size:           8
        .value_kind:     global_buffer
      - .offset:         32
        .size:           8
        .value_kind:     by_value
      - .offset:         40
        .size:           4
        .value_kind:     by_value
      - .offset:         48
        .size:           8
        .value_kind:     by_value
      - .address_space:  global
        .offset:         56
        .size:           8
        .value_kind:     global_buffer
      - .offset:         64
        .size:           8
        .value_kind:     by_value
      - .offset:         72
        .size:           4
        .value_kind:     by_value
      - .offset:         80
        .size:           8
        .value_kind:     by_value
      - .address_space:  global
        .offset:         88
        .size:           8
        .value_kind:     global_buffer
      - .offset:         96
        .size:           8
        .value_kind:     by_value
      - .address_space:  global
        .offset:         104
        .size:           8
        .value_kind:     global_buffer
      - .offset:         112
        .size:           8
        .value_kind:     by_value
      - .offset:         120
        .size:           4
        .value_kind:     by_value
      - .offset:         128
        .size:           8
        .value_kind:     by_value
      - .offset:         136
        .size:           4
        .value_kind:     by_value
    .group_segment_fixed_size: 0
    .kernarg_segment_align: 8
    .kernarg_segment_size: 140
    .language:       OpenCL C
    .language_version:
      - 2
      - 0
    .max_flat_workgroup_size: 768
    .name:           _ZL34rocblas_gemvn_sm_mn_batched_kernelILi32ELi24EDF16_PKfDF16_EviiT2_lPKT1_lilS5_lilS2_lPT3_lili
    .private_segment_fixed_size: 0
    .sgpr_count:     0
    .sgpr_spill_count: 0
    .symbol:         _ZL34rocblas_gemvn_sm_mn_batched_kernelILi32ELi24EDF16_PKfDF16_EviiT2_lPKT1_lilS5_lilS2_lPT3_lili.kd
    .uniform_work_group_size: 1
    .uses_dynamic_stack: false
    .vgpr_count:     0
    .vgpr_spill_count: 0
    .wavefront_size: 32
  - .args:
      - .offset:         0
        .size:           4
        .value_kind:     by_value
      - .offset:         4
        .size:           4
        .value_kind:     by_value
      - .offset:         8
        .size:           4
        .value_kind:     by_value
      - .offset:         16
        .size:           8
        .value_kind:     by_value
      - .address_space:  global
        .offset:         24
        .size:           8
        .value_kind:     global_buffer
      - .offset:         32
        .size:           8
        .value_kind:     by_value
      - .offset:         40
        .size:           4
        .value_kind:     by_value
      - .offset:         48
        .size:           8
        .value_kind:     by_value
      - .address_space:  global
        .offset:         56
        .size:           8
        .value_kind:     global_buffer
      - .offset:         64
        .size:           8
        .value_kind:     by_value
      - .offset:         72
        .size:           4
        .value_kind:     by_value
      - .offset:         80
        .size:           8
        .value_kind:     by_value
      - .offset:         88
        .size:           4
        .value_kind:     by_value
      - .offset:         96
        .size:           8
        .value_kind:     by_value
      - .address_space:  global
        .offset:         104
        .size:           8
        .value_kind:     global_buffer
      - .offset:         112
        .size:           8
        .value_kind:     by_value
      - .offset:         120
        .size:           4
        .value_kind:     by_value
      - .offset:         128
        .size:           8
        .value_kind:     by_value
      - .offset:         136
        .size:           4
        .value_kind:     by_value
    .group_segment_fixed_size: 0
    .kernarg_segment_align: 8
    .kernarg_segment_size: 140
    .language:       OpenCL C
    .language_version:
      - 2
      - 0
    .max_flat_workgroup_size: 768
    .name:           _ZL34rocblas_gemvn_sm_mn_batched_kernelILi32ELi24EDF16_fDF16_EviiT2_lPKT1_lilS3_lilS0_lPT3_lili
    .private_segment_fixed_size: 0
    .sgpr_count:     0
    .sgpr_spill_count: 0
    .symbol:         _ZL34rocblas_gemvn_sm_mn_batched_kernelILi32ELi24EDF16_fDF16_EviiT2_lPKT1_lilS3_lilS0_lPT3_lili.kd
    .uniform_work_group_size: 1
    .uses_dynamic_stack: false
    .vgpr_count:     0
    .vgpr_spill_count: 0
    .wavefront_size: 32
  - .args:
      - .offset:         0
        .size:           4
        .value_kind:     by_value
      - .offset:         4
        .size:           4
        .value_kind:     by_value
      - .address_space:  global
        .offset:         8
        .size:           8
        .value_kind:     global_buffer
      - .offset:         16
        .size:           8
        .value_kind:     by_value
      - .address_space:  global
        .offset:         24
        .size:           8
        .value_kind:     global_buffer
      - .offset:         32
        .size:           8
        .value_kind:     by_value
      - .offset:         40
        .size:           4
        .value_kind:     by_value
      - .offset:         48
        .size:           8
        .value_kind:     by_value
      - .address_space:  global
        .offset:         56
        .size:           8
        .value_kind:     global_buffer
      - .offset:         64
        .size:           8
        .value_kind:     by_value
      - .offset:         72
        .size:           4
        .value_kind:     by_value
      - .offset:         80
        .size:           8
        .value_kind:     by_value
      - .address_space:  global
        .offset:         88
        .size:           8
        .value_kind:     global_buffer
      - .offset:         96
        .size:           8
        .value_kind:     by_value
      - .address_space:  global
        .offset:         104
        .size:           8
        .value_kind:     global_buffer
      - .offset:         112
        .size:           8
        .value_kind:     by_value
      - .offset:         120
        .size:           4
        .value_kind:     by_value
      - .offset:         128
        .size:           8
        .value_kind:     by_value
      - .offset:         136
        .size:           4
        .value_kind:     by_value
      - .offset:         144
        .size:           4
        .value_kind:     hidden_block_count_x
      - .offset:         148
        .size:           4
        .value_kind:     hidden_block_count_y
      - .offset:         152
        .size:           4
        .value_kind:     hidden_block_count_z
      - .offset:         156
        .size:           2
        .value_kind:     hidden_group_size_x
      - .offset:         158
        .size:           2
        .value_kind:     hidden_group_size_y
      - .offset:         160
        .size:           2
        .value_kind:     hidden_group_size_z
      - .offset:         162
        .size:           2
        .value_kind:     hidden_remainder_x
      - .offset:         164
        .size:           2
        .value_kind:     hidden_remainder_y
      - .offset:         166
        .size:           2
        .value_kind:     hidden_remainder_z
      - .offset:         184
        .size:           8
        .value_kind:     hidden_global_offset_x
      - .offset:         192
        .size:           8
        .value_kind:     hidden_global_offset_y
      - .offset:         200
        .size:           8
        .value_kind:     hidden_global_offset_z
      - .offset:         208
        .size:           2
        .value_kind:     hidden_grid_dims
    .group_segment_fixed_size: 4096
    .kernarg_segment_align: 8
    .kernarg_segment_size: 400
    .language:       OpenCL C
    .language_version:
      - 2
      - 0
    .max_flat_workgroup_size: 256
    .name:           _ZL20rocblas_gemvn_kernelILi64ELi4EiDF16_PKfDF16_EviiT3_lPKT2_lT1_lS5_lS6_lS2_lPT4_lS6_li
    .private_segment_fixed_size: 0
    .sgpr_count:     57
    .sgpr_spill_count: 0
    .symbol:         _ZL20rocblas_gemvn_kernelILi64ELi4EiDF16_PKfDF16_EviiT3_lPKT2_lT1_lS5_lS6_lS2_lPT4_lS6_li.kd
    .uniform_work_group_size: 1
    .uses_dynamic_stack: false
    .vgpr_count:     55
    .vgpr_spill_count: 0
    .wavefront_size: 32
  - .args:
      - .offset:         0
        .size:           4
        .value_kind:     by_value
      - .offset:         4
        .size:           4
        .value_kind:     by_value
      - .address_space:  global
        .offset:         8
        .size:           8
        .value_kind:     global_buffer
      - .offset:         16
        .size:           8
        .value_kind:     by_value
      - .address_space:  global
        .offset:         24
        .size:           8
        .value_kind:     global_buffer
      - .offset:         32
        .size:           8
        .value_kind:     by_value
      - .offset:         40
        .size:           8
        .value_kind:     by_value
      - .offset:         48
        .size:           8
        .value_kind:     by_value
      - .address_space:  global
        .offset:         56
        .size:           8
        .value_kind:     global_buffer
      - .offset:         64
        .size:           8
        .value_kind:     by_value
      - .offset:         72
        .size:           8
        .value_kind:     by_value
      - .offset:         80
        .size:           8
        .value_kind:     by_value
      - .address_space:  global
        .offset:         88
        .size:           8
        .value_kind:     global_buffer
      - .offset:         96
        .size:           8
        .value_kind:     by_value
      - .address_space:  global
        .offset:         104
        .size:           8
        .value_kind:     global_buffer
      - .offset:         112
        .size:           8
        .value_kind:     by_value
      - .offset:         120
        .size:           8
        .value_kind:     by_value
      - .offset:         128
        .size:           8
        .value_kind:     by_value
      - .offset:         136
        .size:           4
        .value_kind:     by_value
      - .offset:         144
        .size:           4
        .value_kind:     hidden_block_count_x
      - .offset:         148
        .size:           4
        .value_kind:     hidden_block_count_y
      - .offset:         152
        .size:           4
        .value_kind:     hidden_block_count_z
      - .offset:         156
        .size:           2
        .value_kind:     hidden_group_size_x
      - .offset:         158
        .size:           2
        .value_kind:     hidden_group_size_y
      - .offset:         160
        .size:           2
        .value_kind:     hidden_group_size_z
      - .offset:         162
        .size:           2
        .value_kind:     hidden_remainder_x
      - .offset:         164
        .size:           2
        .value_kind:     hidden_remainder_y
      - .offset:         166
        .size:           2
        .value_kind:     hidden_remainder_z
      - .offset:         184
        .size:           8
        .value_kind:     hidden_global_offset_x
      - .offset:         192
        .size:           8
        .value_kind:     hidden_global_offset_y
      - .offset:         200
        .size:           8
        .value_kind:     hidden_global_offset_z
      - .offset:         208
        .size:           2
        .value_kind:     hidden_grid_dims
    .group_segment_fixed_size: 4096
    .kernarg_segment_align: 8
    .kernarg_segment_size: 400
    .language:       OpenCL C
    .language_version:
      - 2
      - 0
    .max_flat_workgroup_size: 256
    .name:           _ZL20rocblas_gemvn_kernelILi64ELi4ElDF16_PKfDF16_EviiT3_lPKT2_lT1_lS5_lS6_lS2_lPT4_lS6_li
    .private_segment_fixed_size: 0
    .sgpr_count:     62
    .sgpr_spill_count: 0
    .symbol:         _ZL20rocblas_gemvn_kernelILi64ELi4ElDF16_PKfDF16_EviiT3_lPKT2_lT1_lS5_lS6_lS2_lPT4_lS6_li.kd
    .uniform_work_group_size: 1
    .uses_dynamic_stack: false
    .vgpr_count:     76
    .vgpr_spill_count: 0
    .wavefront_size: 32
  - .args:
      - .offset:         0
        .size:           4
        .value_kind:     by_value
      - .offset:         4
        .size:           4
        .value_kind:     by_value
      - .offset:         8
        .size:           4
        .value_kind:     by_value
      - .offset:         16
        .size:           8
        .value_kind:     by_value
      - .address_space:  global
        .offset:         24
        .size:           8
        .value_kind:     global_buffer
      - .offset:         32
        .size:           8
        .value_kind:     by_value
      - .offset:         40
        .size:           4
        .value_kind:     by_value
      - .offset:         48
        .size:           8
        .value_kind:     by_value
      - .address_space:  global
        .offset:         56
        .size:           8
        .value_kind:     global_buffer
      - .offset:         64
        .size:           8
        .value_kind:     by_value
      - .offset:         72
        .size:           4
        .value_kind:     by_value
      - .offset:         80
        .size:           8
        .value_kind:     by_value
      - .offset:         88
        .size:           4
        .value_kind:     by_value
      - .offset:         96
        .size:           8
        .value_kind:     by_value
      - .address_space:  global
        .offset:         104
        .size:           8
        .value_kind:     global_buffer
      - .offset:         112
        .size:           8
        .value_kind:     by_value
      - .offset:         120
        .size:           4
        .value_kind:     by_value
      - .offset:         128
        .size:           8
        .value_kind:     by_value
      - .offset:         136
        .size:           4
        .value_kind:     by_value
      - .offset:         144
        .size:           4
        .value_kind:     hidden_block_count_x
      - .offset:         148
        .size:           4
        .value_kind:     hidden_block_count_y
      - .offset:         152
        .size:           4
        .value_kind:     hidden_block_count_z
      - .offset:         156
        .size:           2
        .value_kind:     hidden_group_size_x
      - .offset:         158
        .size:           2
        .value_kind:     hidden_group_size_y
      - .offset:         160
        .size:           2
        .value_kind:     hidden_group_size_z
      - .offset:         162
        .size:           2
        .value_kind:     hidden_remainder_x
      - .offset:         164
        .size:           2
        .value_kind:     hidden_remainder_y
      - .offset:         166
        .size:           2
        .value_kind:     hidden_remainder_z
      - .offset:         184
        .size:           8
        .value_kind:     hidden_global_offset_x
      - .offset:         192
        .size:           8
        .value_kind:     hidden_global_offset_y
      - .offset:         200
        .size:           8
        .value_kind:     hidden_global_offset_z
      - .offset:         208
        .size:           2
        .value_kind:     hidden_grid_dims
    .group_segment_fixed_size: 4096
    .kernarg_segment_align: 8
    .kernarg_segment_size: 400
    .language:       OpenCL C
    .language_version:
      - 2
      - 0
    .max_flat_workgroup_size: 256
    .name:           _ZL20rocblas_gemvn_kernelILi64ELi4EiDF16_fDF16_EviiT3_lPKT2_lT1_lS3_lS4_lS0_lPT4_lS4_li
    .private_segment_fixed_size: 0
    .sgpr_count:     53
    .sgpr_spill_count: 0
    .symbol:         _ZL20rocblas_gemvn_kernelILi64ELi4EiDF16_fDF16_EviiT3_lPKT2_lT1_lS3_lS4_lS0_lPT4_lS4_li.kd
    .uniform_work_group_size: 1
    .uses_dynamic_stack: false
    .vgpr_count:     57
    .vgpr_spill_count: 0
    .wavefront_size: 32
  - .args:
      - .offset:         0
        .size:           4
        .value_kind:     by_value
      - .offset:         4
        .size:           4
        .value_kind:     by_value
      - .offset:         8
        .size:           4
        .value_kind:     by_value
      - .offset:         16
        .size:           8
        .value_kind:     by_value
      - .address_space:  global
        .offset:         24
        .size:           8
        .value_kind:     global_buffer
      - .offset:         32
        .size:           8
        .value_kind:     by_value
      - .offset:         40
        .size:           8
        .value_kind:     by_value
      - .offset:         48
        .size:           8
        .value_kind:     by_value
      - .address_space:  global
        .offset:         56
        .size:           8
        .value_kind:     global_buffer
      - .offset:         64
        .size:           8
        .value_kind:     by_value
      - .offset:         72
        .size:           8
        .value_kind:     by_value
      - .offset:         80
        .size:           8
        .value_kind:     by_value
      - .offset:         88
        .size:           4
        .value_kind:     by_value
      - .offset:         96
        .size:           8
        .value_kind:     by_value
      - .address_space:  global
        .offset:         104
        .size:           8
        .value_kind:     global_buffer
      - .offset:         112
        .size:           8
        .value_kind:     by_value
      - .offset:         120
        .size:           8
        .value_kind:     by_value
      - .offset:         128
        .size:           8
        .value_kind:     by_value
      - .offset:         136
        .size:           4
        .value_kind:     by_value
      - .offset:         144
        .size:           4
        .value_kind:     hidden_block_count_x
      - .offset:         148
        .size:           4
        .value_kind:     hidden_block_count_y
      - .offset:         152
        .size:           4
        .value_kind:     hidden_block_count_z
      - .offset:         156
        .size:           2
        .value_kind:     hidden_group_size_x
      - .offset:         158
        .size:           2
        .value_kind:     hidden_group_size_y
      - .offset:         160
        .size:           2
        .value_kind:     hidden_group_size_z
      - .offset:         162
        .size:           2
        .value_kind:     hidden_remainder_x
      - .offset:         164
        .size:           2
        .value_kind:     hidden_remainder_y
      - .offset:         166
        .size:           2
        .value_kind:     hidden_remainder_z
      - .offset:         184
        .size:           8
        .value_kind:     hidden_global_offset_x
      - .offset:         192
        .size:           8
        .value_kind:     hidden_global_offset_y
      - .offset:         200
        .size:           8
        .value_kind:     hidden_global_offset_z
      - .offset:         208
        .size:           2
        .value_kind:     hidden_grid_dims
    .group_segment_fixed_size: 4096
    .kernarg_segment_align: 8
    .kernarg_segment_size: 400
    .language:       OpenCL C
    .language_version:
      - 2
      - 0
    .max_flat_workgroup_size: 256
    .name:           _ZL20rocblas_gemvn_kernelILi64ELi4ElDF16_fDF16_EviiT3_lPKT2_lT1_lS3_lS4_lS0_lPT4_lS4_li
    .private_segment_fixed_size: 0
    .sgpr_count:     58
    .sgpr_spill_count: 0
    .symbol:         _ZL20rocblas_gemvn_kernelILi64ELi4ElDF16_fDF16_EviiT3_lPKT2_lT1_lS3_lS4_lS0_lPT4_lS4_li.kd
    .uniform_work_group_size: 1
    .uses_dynamic_stack: false
    .vgpr_count:     75
    .vgpr_spill_count: 0
    .wavefront_size: 32
  - .args:
      - .offset:         0
        .size:           4
        .value_kind:     by_value
      - .offset:         4
        .size:           4
        .value_kind:     by_value
      - .address_space:  global
        .offset:         8
        .size:           8
        .value_kind:     global_buffer
      - .offset:         16
        .size:           8
        .value_kind:     by_value
      - .address_space:  global
        .offset:         24
        .size:           8
        .value_kind:     global_buffer
      - .offset:         32
        .size:           8
        .value_kind:     by_value
      - .offset:         40
        .size:           4
        .value_kind:     by_value
      - .offset:         48
        .size:           8
        .value_kind:     by_value
      - .address_space:  global
        .offset:         56
        .size:           8
        .value_kind:     global_buffer
      - .offset:         64
        .size:           8
        .value_kind:     by_value
      - .offset:         72
        .size:           4
        .value_kind:     by_value
      - .offset:         80
        .size:           8
        .value_kind:     by_value
      - .address_space:  global
        .offset:         88
        .size:           8
        .value_kind:     global_buffer
      - .offset:         96
        .size:           8
        .value_kind:     by_value
      - .address_space:  global
        .offset:         104
        .size:           8
        .value_kind:     global_buffer
      - .offset:         112
        .size:           8
        .value_kind:     by_value
      - .offset:         120
        .size:           4
        .value_kind:     by_value
      - .offset:         128
        .size:           8
        .value_kind:     by_value
      - .offset:         136
        .size:           4
        .value_kind:     by_value
      - .offset:         144
        .size:           4
        .value_kind:     hidden_block_count_x
      - .offset:         148
        .size:           4
        .value_kind:     hidden_block_count_y
      - .offset:         152
        .size:           4
        .value_kind:     hidden_block_count_z
      - .offset:         156
        .size:           2
        .value_kind:     hidden_group_size_x
      - .offset:         158
        .size:           2
        .value_kind:     hidden_group_size_y
      - .offset:         160
        .size:           2
        .value_kind:     hidden_group_size_z
      - .offset:         162
        .size:           2
        .value_kind:     hidden_remainder_x
      - .offset:         164
        .size:           2
        .value_kind:     hidden_remainder_y
      - .offset:         166
        .size:           2
        .value_kind:     hidden_remainder_z
      - .offset:         184
        .size:           8
        .value_kind:     hidden_global_offset_x
      - .offset:         192
        .size:           8
        .value_kind:     hidden_global_offset_y
      - .offset:         200
        .size:           8
        .value_kind:     hidden_global_offset_z
      - .offset:         208
        .size:           2
        .value_kind:     hidden_grid_dims
    .group_segment_fixed_size: 8192
    .kernarg_segment_align: 8
    .kernarg_segment_size: 400
    .language:       OpenCL C
    .language_version:
      - 2
      - 0
    .max_flat_workgroup_size: 512
    .name:           _ZL20rocblas_gemvn_kernelILi32ELi16EiDF16_PKfDF16_EviiT3_lPKT2_lT1_lS5_lS6_lS2_lPT4_lS6_li
    .private_segment_fixed_size: 0
    .sgpr_count:     57
    .sgpr_spill_count: 0
    .symbol:         _ZL20rocblas_gemvn_kernelILi32ELi16EiDF16_PKfDF16_EviiT3_lPKT2_lT1_lS5_lS6_lS2_lPT4_lS6_li.kd
    .uniform_work_group_size: 1
    .uses_dynamic_stack: false
    .vgpr_count:     55
    .vgpr_spill_count: 0
    .wavefront_size: 32
  - .args:
      - .offset:         0
        .size:           4
        .value_kind:     by_value
      - .offset:         4
        .size:           4
        .value_kind:     by_value
      - .address_space:  global
        .offset:         8
        .size:           8
        .value_kind:     global_buffer
      - .offset:         16
        .size:           8
        .value_kind:     by_value
      - .address_space:  global
        .offset:         24
        .size:           8
        .value_kind:     global_buffer
      - .offset:         32
        .size:           8
        .value_kind:     by_value
      - .offset:         40
        .size:           8
        .value_kind:     by_value
      - .offset:         48
        .size:           8
        .value_kind:     by_value
      - .address_space:  global
        .offset:         56
        .size:           8
        .value_kind:     global_buffer
      - .offset:         64
        .size:           8
        .value_kind:     by_value
      - .offset:         72
        .size:           8
        .value_kind:     by_value
      - .offset:         80
        .size:           8
        .value_kind:     by_value
      - .address_space:  global
        .offset:         88
        .size:           8
        .value_kind:     global_buffer
      - .offset:         96
        .size:           8
        .value_kind:     by_value
      - .address_space:  global
        .offset:         104
        .size:           8
        .value_kind:     global_buffer
      - .offset:         112
        .size:           8
        .value_kind:     by_value
      - .offset:         120
        .size:           8
        .value_kind:     by_value
      - .offset:         128
        .size:           8
        .value_kind:     by_value
      - .offset:         136
        .size:           4
        .value_kind:     by_value
      - .offset:         144
        .size:           4
        .value_kind:     hidden_block_count_x
      - .offset:         148
        .size:           4
        .value_kind:     hidden_block_count_y
      - .offset:         152
        .size:           4
        .value_kind:     hidden_block_count_z
      - .offset:         156
        .size:           2
        .value_kind:     hidden_group_size_x
      - .offset:         158
        .size:           2
        .value_kind:     hidden_group_size_y
      - .offset:         160
        .size:           2
        .value_kind:     hidden_group_size_z
      - .offset:         162
        .size:           2
        .value_kind:     hidden_remainder_x
      - .offset:         164
        .size:           2
        .value_kind:     hidden_remainder_y
      - .offset:         166
        .size:           2
        .value_kind:     hidden_remainder_z
      - .offset:         184
        .size:           8
        .value_kind:     hidden_global_offset_x
      - .offset:         192
        .size:           8
        .value_kind:     hidden_global_offset_y
      - .offset:         200
        .size:           8
        .value_kind:     hidden_global_offset_z
      - .offset:         208
        .size:           2
        .value_kind:     hidden_grid_dims
    .group_segment_fixed_size: 8192
    .kernarg_segment_align: 8
    .kernarg_segment_size: 400
    .language:       OpenCL C
    .language_version:
      - 2
      - 0
    .max_flat_workgroup_size: 512
    .name:           _ZL20rocblas_gemvn_kernelILi32ELi16ElDF16_PKfDF16_EviiT3_lPKT2_lT1_lS5_lS6_lS2_lPT4_lS6_li
    .private_segment_fixed_size: 0
    .sgpr_count:     62
    .sgpr_spill_count: 0
    .symbol:         _ZL20rocblas_gemvn_kernelILi32ELi16ElDF16_PKfDF16_EviiT3_lPKT2_lT1_lS5_lS6_lS2_lPT4_lS6_li.kd
    .uniform_work_group_size: 1
    .uses_dynamic_stack: false
    .vgpr_count:     76
    .vgpr_spill_count: 0
    .wavefront_size: 32
  - .args:
      - .offset:         0
        .size:           4
        .value_kind:     by_value
      - .offset:         4
        .size:           4
        .value_kind:     by_value
      - .offset:         8
        .size:           4
        .value_kind:     by_value
      - .offset:         16
        .size:           8
        .value_kind:     by_value
      - .address_space:  global
        .offset:         24
        .size:           8
        .value_kind:     global_buffer
      - .offset:         32
        .size:           8
        .value_kind:     by_value
      - .offset:         40
        .size:           4
        .value_kind:     by_value
      - .offset:         48
        .size:           8
        .value_kind:     by_value
      - .address_space:  global
        .offset:         56
        .size:           8
        .value_kind:     global_buffer
      - .offset:         64
        .size:           8
        .value_kind:     by_value
      - .offset:         72
        .size:           4
        .value_kind:     by_value
      - .offset:         80
        .size:           8
        .value_kind:     by_value
      - .offset:         88
        .size:           4
        .value_kind:     by_value
      - .offset:         96
        .size:           8
        .value_kind:     by_value
      - .address_space:  global
        .offset:         104
        .size:           8
        .value_kind:     global_buffer
      - .offset:         112
        .size:           8
        .value_kind:     by_value
      - .offset:         120
        .size:           4
        .value_kind:     by_value
      - .offset:         128
        .size:           8
        .value_kind:     by_value
      - .offset:         136
        .size:           4
        .value_kind:     by_value
      - .offset:         144
        .size:           4
        .value_kind:     hidden_block_count_x
      - .offset:         148
        .size:           4
        .value_kind:     hidden_block_count_y
      - .offset:         152
        .size:           4
        .value_kind:     hidden_block_count_z
      - .offset:         156
        .size:           2
        .value_kind:     hidden_group_size_x
      - .offset:         158
        .size:           2
        .value_kind:     hidden_group_size_y
      - .offset:         160
        .size:           2
        .value_kind:     hidden_group_size_z
      - .offset:         162
        .size:           2
        .value_kind:     hidden_remainder_x
      - .offset:         164
        .size:           2
        .value_kind:     hidden_remainder_y
      - .offset:         166
        .size:           2
        .value_kind:     hidden_remainder_z
      - .offset:         184
        .size:           8
        .value_kind:     hidden_global_offset_x
      - .offset:         192
        .size:           8
        .value_kind:     hidden_global_offset_y
      - .offset:         200
        .size:           8
        .value_kind:     hidden_global_offset_z
      - .offset:         208
        .size:           2
        .value_kind:     hidden_grid_dims
    .group_segment_fixed_size: 8192
    .kernarg_segment_align: 8
    .kernarg_segment_size: 400
    .language:       OpenCL C
    .language_version:
      - 2
      - 0
    .max_flat_workgroup_size: 512
    .name:           _ZL20rocblas_gemvn_kernelILi32ELi16EiDF16_fDF16_EviiT3_lPKT2_lT1_lS3_lS4_lS0_lPT4_lS4_li
    .private_segment_fixed_size: 0
    .sgpr_count:     53
    .sgpr_spill_count: 0
    .symbol:         _ZL20rocblas_gemvn_kernelILi32ELi16EiDF16_fDF16_EviiT3_lPKT2_lT1_lS3_lS4_lS0_lPT4_lS4_li.kd
    .uniform_work_group_size: 1
    .uses_dynamic_stack: false
    .vgpr_count:     57
    .vgpr_spill_count: 0
    .wavefront_size: 32
  - .args:
      - .offset:         0
        .size:           4
        .value_kind:     by_value
      - .offset:         4
        .size:           4
        .value_kind:     by_value
      - .offset:         8
        .size:           4
        .value_kind:     by_value
      - .offset:         16
        .size:           8
        .value_kind:     by_value
      - .address_space:  global
        .offset:         24
        .size:           8
        .value_kind:     global_buffer
      - .offset:         32
        .size:           8
        .value_kind:     by_value
      - .offset:         40
        .size:           8
        .value_kind:     by_value
      - .offset:         48
        .size:           8
        .value_kind:     by_value
      - .address_space:  global
        .offset:         56
        .size:           8
        .value_kind:     global_buffer
      - .offset:         64
        .size:           8
        .value_kind:     by_value
      - .offset:         72
        .size:           8
        .value_kind:     by_value
      - .offset:         80
        .size:           8
        .value_kind:     by_value
      - .offset:         88
        .size:           4
        .value_kind:     by_value
      - .offset:         96
        .size:           8
        .value_kind:     by_value
      - .address_space:  global
        .offset:         104
        .size:           8
        .value_kind:     global_buffer
      - .offset:         112
        .size:           8
        .value_kind:     by_value
      - .offset:         120
        .size:           8
        .value_kind:     by_value
      - .offset:         128
        .size:           8
        .value_kind:     by_value
      - .offset:         136
        .size:           4
        .value_kind:     by_value
      - .offset:         144
        .size:           4
        .value_kind:     hidden_block_count_x
      - .offset:         148
        .size:           4
        .value_kind:     hidden_block_count_y
      - .offset:         152
        .size:           4
        .value_kind:     hidden_block_count_z
      - .offset:         156
        .size:           2
        .value_kind:     hidden_group_size_x
      - .offset:         158
        .size:           2
        .value_kind:     hidden_group_size_y
      - .offset:         160
        .size:           2
        .value_kind:     hidden_group_size_z
      - .offset:         162
        .size:           2
        .value_kind:     hidden_remainder_x
      - .offset:         164
        .size:           2
        .value_kind:     hidden_remainder_y
      - .offset:         166
        .size:           2
        .value_kind:     hidden_remainder_z
      - .offset:         184
        .size:           8
        .value_kind:     hidden_global_offset_x
      - .offset:         192
        .size:           8
        .value_kind:     hidden_global_offset_y
      - .offset:         200
        .size:           8
        .value_kind:     hidden_global_offset_z
      - .offset:         208
        .size:           2
        .value_kind:     hidden_grid_dims
    .group_segment_fixed_size: 8192
    .kernarg_segment_align: 8
    .kernarg_segment_size: 400
    .language:       OpenCL C
    .language_version:
      - 2
      - 0
    .max_flat_workgroup_size: 512
    .name:           _ZL20rocblas_gemvn_kernelILi32ELi16ElDF16_fDF16_EviiT3_lPKT2_lT1_lS3_lS4_lS0_lPT4_lS4_li
    .private_segment_fixed_size: 0
    .sgpr_count:     58
    .sgpr_spill_count: 0
    .symbol:         _ZL20rocblas_gemvn_kernelILi32ELi16ElDF16_fDF16_EviiT3_lPKT2_lT1_lS3_lS4_lS0_lPT4_lS4_li.kd
    .uniform_work_group_size: 1
    .uses_dynamic_stack: false
    .vgpr_count:     75
    .vgpr_spill_count: 0
    .wavefront_size: 32
  - .args:
      - .offset:         0
        .size:           4
        .value_kind:     by_value
      - .offset:         4
        .size:           4
        .value_kind:     by_value
      - .address_space:  global
        .offset:         8
        .size:           8
        .value_kind:     global_buffer
      - .offset:         16
        .size:           8
        .value_kind:     by_value
      - .address_space:  global
        .offset:         24
        .size:           8
        .value_kind:     global_buffer
      - .offset:         32
        .size:           8
        .value_kind:     by_value
      - .offset:         40
        .size:           4
        .value_kind:     by_value
      - .offset:         48
        .size:           8
        .value_kind:     by_value
      - .address_space:  global
        .offset:         56
        .size:           8
        .value_kind:     global_buffer
      - .offset:         64
        .size:           8
        .value_kind:     by_value
      - .offset:         72
        .size:           4
        .value_kind:     by_value
      - .offset:         80
        .size:           8
        .value_kind:     by_value
      - .address_space:  global
        .offset:         88
        .size:           8
        .value_kind:     global_buffer
      - .offset:         96
        .size:           8
        .value_kind:     by_value
      - .address_space:  global
        .offset:         104
        .size:           8
        .value_kind:     global_buffer
      - .offset:         112
        .size:           8
        .value_kind:     by_value
      - .offset:         120
        .size:           4
        .value_kind:     by_value
      - .offset:         128
        .size:           8
        .value_kind:     by_value
      - .offset:         136
        .size:           4
        .value_kind:     by_value
      - .offset:         144
        .size:           4
        .value_kind:     hidden_block_count_x
      - .offset:         148
        .size:           4
        .value_kind:     hidden_block_count_y
      - .offset:         152
        .size:           4
        .value_kind:     hidden_block_count_z
      - .offset:         156
        .size:           2
        .value_kind:     hidden_group_size_x
      - .offset:         158
        .size:           2
        .value_kind:     hidden_group_size_y
      - .offset:         160
        .size:           2
        .value_kind:     hidden_group_size_z
      - .offset:         162
        .size:           2
        .value_kind:     hidden_remainder_x
      - .offset:         164
        .size:           2
        .value_kind:     hidden_remainder_y
      - .offset:         166
        .size:           2
        .value_kind:     hidden_remainder_z
      - .offset:         184
        .size:           8
        .value_kind:     hidden_global_offset_x
      - .offset:         192
        .size:           8
        .value_kind:     hidden_global_offset_y
      - .offset:         200
        .size:           8
        .value_kind:     hidden_global_offset_z
      - .offset:         208
        .size:           2
        .value_kind:     hidden_grid_dims
    .group_segment_fixed_size: 16384
    .kernarg_segment_align: 8
    .kernarg_segment_size: 400
    .language:       OpenCL C
    .language_version:
      - 2
      - 0
    .max_flat_workgroup_size: 1024
    .name:           _ZL20rocblas_gemvn_kernelILi64ELi16EiDF16_PKfDF16_EviiT3_lPKT2_lT1_lS5_lS6_lS2_lPT4_lS6_li
    .private_segment_fixed_size: 0
    .sgpr_count:     57
    .sgpr_spill_count: 0
    .symbol:         _ZL20rocblas_gemvn_kernelILi64ELi16EiDF16_PKfDF16_EviiT3_lPKT2_lT1_lS5_lS6_lS2_lPT4_lS6_li.kd
    .uniform_work_group_size: 1
    .uses_dynamic_stack: false
    .vgpr_count:     55
    .vgpr_spill_count: 0
    .wavefront_size: 32
  - .args:
      - .offset:         0
        .size:           4
        .value_kind:     by_value
      - .offset:         4
        .size:           4
        .value_kind:     by_value
      - .address_space:  global
        .offset:         8
        .size:           8
        .value_kind:     global_buffer
      - .offset:         16
        .size:           8
        .value_kind:     by_value
      - .address_space:  global
        .offset:         24
        .size:           8
        .value_kind:     global_buffer
      - .offset:         32
        .size:           8
        .value_kind:     by_value
      - .offset:         40
        .size:           8
        .value_kind:     by_value
      - .offset:         48
        .size:           8
        .value_kind:     by_value
      - .address_space:  global
        .offset:         56
        .size:           8
        .value_kind:     global_buffer
      - .offset:         64
        .size:           8
        .value_kind:     by_value
      - .offset:         72
        .size:           8
        .value_kind:     by_value
      - .offset:         80
        .size:           8
        .value_kind:     by_value
      - .address_space:  global
        .offset:         88
        .size:           8
        .value_kind:     global_buffer
      - .offset:         96
        .size:           8
        .value_kind:     by_value
      - .address_space:  global
        .offset:         104
        .size:           8
        .value_kind:     global_buffer
      - .offset:         112
        .size:           8
        .value_kind:     by_value
      - .offset:         120
        .size:           8
        .value_kind:     by_value
      - .offset:         128
        .size:           8
        .value_kind:     by_value
      - .offset:         136
        .size:           4
        .value_kind:     by_value
      - .offset:         144
        .size:           4
        .value_kind:     hidden_block_count_x
      - .offset:         148
        .size:           4
        .value_kind:     hidden_block_count_y
      - .offset:         152
        .size:           4
        .value_kind:     hidden_block_count_z
      - .offset:         156
        .size:           2
        .value_kind:     hidden_group_size_x
      - .offset:         158
        .size:           2
        .value_kind:     hidden_group_size_y
      - .offset:         160
        .size:           2
        .value_kind:     hidden_group_size_z
      - .offset:         162
        .size:           2
        .value_kind:     hidden_remainder_x
      - .offset:         164
        .size:           2
        .value_kind:     hidden_remainder_y
      - .offset:         166
        .size:           2
        .value_kind:     hidden_remainder_z
      - .offset:         184
        .size:           8
        .value_kind:     hidden_global_offset_x
      - .offset:         192
        .size:           8
        .value_kind:     hidden_global_offset_y
      - .offset:         200
        .size:           8
        .value_kind:     hidden_global_offset_z
      - .offset:         208
        .size:           2
        .value_kind:     hidden_grid_dims
    .group_segment_fixed_size: 16384
    .kernarg_segment_align: 8
    .kernarg_segment_size: 400
    .language:       OpenCL C
    .language_version:
      - 2
      - 0
    .max_flat_workgroup_size: 1024
    .name:           _ZL20rocblas_gemvn_kernelILi64ELi16ElDF16_PKfDF16_EviiT3_lPKT2_lT1_lS5_lS6_lS2_lPT4_lS6_li
    .private_segment_fixed_size: 0
    .sgpr_count:     62
    .sgpr_spill_count: 0
    .symbol:         _ZL20rocblas_gemvn_kernelILi64ELi16ElDF16_PKfDF16_EviiT3_lPKT2_lT1_lS5_lS6_lS2_lPT4_lS6_li.kd
    .uniform_work_group_size: 1
    .uses_dynamic_stack: false
    .vgpr_count:     76
    .vgpr_spill_count: 0
    .wavefront_size: 32
  - .args:
      - .offset:         0
        .size:           4
        .value_kind:     by_value
      - .offset:         4
        .size:           4
        .value_kind:     by_value
      - .offset:         8
        .size:           4
        .value_kind:     by_value
      - .offset:         16
        .size:           8
        .value_kind:     by_value
      - .address_space:  global
        .offset:         24
        .size:           8
        .value_kind:     global_buffer
      - .offset:         32
        .size:           8
        .value_kind:     by_value
      - .offset:         40
        .size:           4
        .value_kind:     by_value
      - .offset:         48
        .size:           8
        .value_kind:     by_value
      - .address_space:  global
        .offset:         56
        .size:           8
        .value_kind:     global_buffer
      - .offset:         64
        .size:           8
        .value_kind:     by_value
      - .offset:         72
        .size:           4
        .value_kind:     by_value
      - .offset:         80
        .size:           8
        .value_kind:     by_value
      - .offset:         88
        .size:           4
        .value_kind:     by_value
      - .offset:         96
        .size:           8
        .value_kind:     by_value
      - .address_space:  global
        .offset:         104
        .size:           8
        .value_kind:     global_buffer
      - .offset:         112
        .size:           8
        .value_kind:     by_value
      - .offset:         120
        .size:           4
        .value_kind:     by_value
      - .offset:         128
        .size:           8
        .value_kind:     by_value
      - .offset:         136
        .size:           4
        .value_kind:     by_value
      - .offset:         144
        .size:           4
        .value_kind:     hidden_block_count_x
      - .offset:         148
        .size:           4
        .value_kind:     hidden_block_count_y
      - .offset:         152
        .size:           4
        .value_kind:     hidden_block_count_z
      - .offset:         156
        .size:           2
        .value_kind:     hidden_group_size_x
      - .offset:         158
        .size:           2
        .value_kind:     hidden_group_size_y
      - .offset:         160
        .size:           2
        .value_kind:     hidden_group_size_z
      - .offset:         162
        .size:           2
        .value_kind:     hidden_remainder_x
      - .offset:         164
        .size:           2
        .value_kind:     hidden_remainder_y
      - .offset:         166
        .size:           2
        .value_kind:     hidden_remainder_z
      - .offset:         184
        .size:           8
        .value_kind:     hidden_global_offset_x
      - .offset:         192
        .size:           8
        .value_kind:     hidden_global_offset_y
      - .offset:         200
        .size:           8
        .value_kind:     hidden_global_offset_z
      - .offset:         208
        .size:           2
        .value_kind:     hidden_grid_dims
    .group_segment_fixed_size: 16384
    .kernarg_segment_align: 8
    .kernarg_segment_size: 400
    .language:       OpenCL C
    .language_version:
      - 2
      - 0
    .max_flat_workgroup_size: 1024
    .name:           _ZL20rocblas_gemvn_kernelILi64ELi16EiDF16_fDF16_EviiT3_lPKT2_lT1_lS3_lS4_lS0_lPT4_lS4_li
    .private_segment_fixed_size: 0
    .sgpr_count:     53
    .sgpr_spill_count: 0
    .symbol:         _ZL20rocblas_gemvn_kernelILi64ELi16EiDF16_fDF16_EviiT3_lPKT2_lT1_lS3_lS4_lS0_lPT4_lS4_li.kd
    .uniform_work_group_size: 1
    .uses_dynamic_stack: false
    .vgpr_count:     57
    .vgpr_spill_count: 0
    .wavefront_size: 32
  - .args:
      - .offset:         0
        .size:           4
        .value_kind:     by_value
      - .offset:         4
        .size:           4
        .value_kind:     by_value
      - .offset:         8
        .size:           4
        .value_kind:     by_value
      - .offset:         16
        .size:           8
        .value_kind:     by_value
      - .address_space:  global
        .offset:         24
        .size:           8
        .value_kind:     global_buffer
      - .offset:         32
        .size:           8
        .value_kind:     by_value
      - .offset:         40
        .size:           8
        .value_kind:     by_value
      - .offset:         48
        .size:           8
        .value_kind:     by_value
      - .address_space:  global
        .offset:         56
        .size:           8
        .value_kind:     global_buffer
      - .offset:         64
        .size:           8
        .value_kind:     by_value
      - .offset:         72
        .size:           8
        .value_kind:     by_value
      - .offset:         80
        .size:           8
        .value_kind:     by_value
      - .offset:         88
        .size:           4
        .value_kind:     by_value
      - .offset:         96
        .size:           8
        .value_kind:     by_value
      - .address_space:  global
        .offset:         104
        .size:           8
        .value_kind:     global_buffer
      - .offset:         112
        .size:           8
        .value_kind:     by_value
      - .offset:         120
        .size:           8
        .value_kind:     by_value
      - .offset:         128
        .size:           8
        .value_kind:     by_value
      - .offset:         136
        .size:           4
        .value_kind:     by_value
      - .offset:         144
        .size:           4
        .value_kind:     hidden_block_count_x
      - .offset:         148
        .size:           4
        .value_kind:     hidden_block_count_y
      - .offset:         152
        .size:           4
        .value_kind:     hidden_block_count_z
      - .offset:         156
        .size:           2
        .value_kind:     hidden_group_size_x
      - .offset:         158
        .size:           2
        .value_kind:     hidden_group_size_y
      - .offset:         160
        .size:           2
        .value_kind:     hidden_group_size_z
      - .offset:         162
        .size:           2
        .value_kind:     hidden_remainder_x
      - .offset:         164
        .size:           2
        .value_kind:     hidden_remainder_y
      - .offset:         166
        .size:           2
        .value_kind:     hidden_remainder_z
      - .offset:         184
        .size:           8
        .value_kind:     hidden_global_offset_x
      - .offset:         192
        .size:           8
        .value_kind:     hidden_global_offset_y
      - .offset:         200
        .size:           8
        .value_kind:     hidden_global_offset_z
      - .offset:         208
        .size:           2
        .value_kind:     hidden_grid_dims
    .group_segment_fixed_size: 16384
    .kernarg_segment_align: 8
    .kernarg_segment_size: 400
    .language:       OpenCL C
    .language_version:
      - 2
      - 0
    .max_flat_workgroup_size: 1024
    .name:           _ZL20rocblas_gemvn_kernelILi64ELi16ElDF16_fDF16_EviiT3_lPKT2_lT1_lS3_lS4_lS0_lPT4_lS4_li
    .private_segment_fixed_size: 0
    .sgpr_count:     58
    .sgpr_spill_count: 0
    .symbol:         _ZL20rocblas_gemvn_kernelILi64ELi16ElDF16_fDF16_EviiT3_lPKT2_lT1_lS3_lS4_lS0_lPT4_lS4_li.kd
    .uniform_work_group_size: 1
    .uses_dynamic_stack: false
    .vgpr_count:     75
    .vgpr_spill_count: 0
    .wavefront_size: 32
  - .args:
      - .offset:         0
        .size:           4
        .value_kind:     by_value
      - .offset:         4
        .size:           4
        .value_kind:     by_value
      - .address_space:  global
        .offset:         8
        .size:           8
        .value_kind:     global_buffer
      - .offset:         16
        .size:           8
        .value_kind:     by_value
      - .address_space:  global
        .offset:         24
        .size:           8
        .value_kind:     global_buffer
      - .offset:         32
        .size:           8
        .value_kind:     by_value
      - .offset:         40
        .size:           4
        .value_kind:     by_value
      - .offset:         48
        .size:           8
        .value_kind:     by_value
      - .address_space:  global
        .offset:         56
        .size:           8
        .value_kind:     global_buffer
      - .offset:         64
        .size:           8
        .value_kind:     by_value
      - .offset:         72
        .size:           4
        .value_kind:     by_value
      - .offset:         80
        .size:           8
        .value_kind:     by_value
      - .address_space:  global
        .offset:         88
        .size:           8
        .value_kind:     global_buffer
      - .offset:         96
        .size:           8
        .value_kind:     by_value
      - .address_space:  global
        .offset:         104
        .size:           8
        .value_kind:     global_buffer
      - .offset:         112
        .size:           8
        .value_kind:     by_value
      - .offset:         120
        .size:           4
        .value_kind:     by_value
      - .offset:         128
        .size:           8
        .value_kind:     by_value
    .group_segment_fixed_size: 256
    .kernarg_segment_align: 8
    .kernarg_segment_size: 136
    .language:       OpenCL C
    .language_version:
      - 2
      - 0
    .max_flat_workgroup_size: 256
    .name:           _ZL22rocblas_gemvtsm_kernelILb0ELi256EDF16_PKfDF16_EviiT2_lPKT1_lilS5_lilS2_lPT3_lil
    .private_segment_fixed_size: 0
    .sgpr_count:     32
    .sgpr_spill_count: 0
    .symbol:         _ZL22rocblas_gemvtsm_kernelILb0ELi256EDF16_PKfDF16_EviiT2_lPKT1_lilS5_lilS2_lPT3_lil.kd
    .uniform_work_group_size: 1
    .uses_dynamic_stack: false
    .vgpr_count:     24
    .vgpr_spill_count: 0
    .wavefront_size: 32
  - .args:
      - .offset:         0
        .size:           4
        .value_kind:     by_value
      - .offset:         4
        .size:           4
        .value_kind:     by_value
      - .offset:         8
        .size:           4
        .value_kind:     by_value
      - .offset:         16
        .size:           8
        .value_kind:     by_value
      - .address_space:  global
        .offset:         24
        .size:           8
        .value_kind:     global_buffer
      - .offset:         32
        .size:           8
        .value_kind:     by_value
      - .offset:         40
        .size:           4
        .value_kind:     by_value
      - .offset:         48
        .size:           8
        .value_kind:     by_value
      - .address_space:  global
        .offset:         56
        .size:           8
        .value_kind:     global_buffer
      - .offset:         64
        .size:           8
        .value_kind:     by_value
      - .offset:         72
        .size:           4
        .value_kind:     by_value
      - .offset:         80
        .size:           8
        .value_kind:     by_value
      - .offset:         88
        .size:           4
        .value_kind:     by_value
      - .offset:         96
        .size:           8
        .value_kind:     by_value
      - .address_space:  global
        .offset:         104
        .size:           8
        .value_kind:     global_buffer
      - .offset:         112
        .size:           8
        .value_kind:     by_value
      - .offset:         120
        .size:           4
        .value_kind:     by_value
      - .offset:         128
        .size:           8
        .value_kind:     by_value
    .group_segment_fixed_size: 256
    .kernarg_segment_align: 8
    .kernarg_segment_size: 136
    .language:       OpenCL C
    .language_version:
      - 2
      - 0
    .max_flat_workgroup_size: 256
    .name:           _ZL22rocblas_gemvtsm_kernelILb0ELi256EDF16_fDF16_EviiT2_lPKT1_lilS3_lilS0_lPT3_lil
    .private_segment_fixed_size: 0
    .sgpr_count:     28
    .sgpr_spill_count: 0
    .symbol:         _ZL22rocblas_gemvtsm_kernelILb0ELi256EDF16_fDF16_EviiT2_lPKT1_lilS3_lilS0_lPT3_lil.kd
    .uniform_work_group_size: 1
    .uses_dynamic_stack: false
    .vgpr_count:     24
    .vgpr_spill_count: 0
    .wavefront_size: 32
  - .args:
      - .offset:         0
        .size:           4
        .value_kind:     by_value
      - .offset:         4
        .size:           4
        .value_kind:     by_value
      - .address_space:  global
        .offset:         8
        .size:           8
        .value_kind:     global_buffer
      - .offset:         16
        .size:           8
        .value_kind:     by_value
      - .address_space:  global
        .offset:         24
        .size:           8
        .value_kind:     global_buffer
      - .offset:         32
        .size:           8
        .value_kind:     by_value
      - .offset:         40
        .size:           4
        .value_kind:     by_value
      - .offset:         48
        .size:           8
        .value_kind:     by_value
      - .address_space:  global
        .offset:         56
        .size:           8
        .value_kind:     global_buffer
      - .offset:         64
        .size:           8
        .value_kind:     by_value
      - .offset:         72
        .size:           4
        .value_kind:     by_value
      - .offset:         80
        .size:           8
        .value_kind:     by_value
      - .address_space:  global
        .offset:         88
        .size:           8
        .value_kind:     global_buffer
      - .offset:         96
        .size:           4
        .value_kind:     by_value
      - .offset:         104
        .size:           4
        .value_kind:     hidden_block_count_x
      - .offset:         108
        .size:           4
        .value_kind:     hidden_block_count_y
      - .offset:         112
        .size:           4
        .value_kind:     hidden_block_count_z
      - .offset:         116
        .size:           2
        .value_kind:     hidden_group_size_x
      - .offset:         118
        .size:           2
        .value_kind:     hidden_group_size_y
      - .offset:         120
        .size:           2
        .value_kind:     hidden_group_size_z
      - .offset:         122
        .size:           2
        .value_kind:     hidden_remainder_x
      - .offset:         124
        .size:           2
        .value_kind:     hidden_remainder_y
      - .offset:         126
        .size:           2
        .value_kind:     hidden_remainder_z
      - .offset:         144
        .size:           8
        .value_kind:     hidden_global_offset_x
      - .offset:         152
        .size:           8
        .value_kind:     hidden_global_offset_y
      - .offset:         160
        .size:           8
        .value_kind:     hidden_global_offset_z
      - .offset:         168
        .size:           2
        .value_kind:     hidden_grid_dims
    .group_segment_fixed_size: 128
    .kernarg_segment_align: 8
    .kernarg_segment_size: 360
    .language:       OpenCL C
    .language_version:
      - 2
      - 0
    .max_flat_workgroup_size: 256
    .name:           _ZL23rocblas_gemvt_sn_kernelILb0ELi256ELi4EiDF16_PKffEviiT4_lPKT3_lilS5_lilPT5_i
    .private_segment_fixed_size: 0
    .sgpr_count:     82
    .sgpr_spill_count: 0
    .symbol:         _ZL23rocblas_gemvt_sn_kernelILb0ELi256ELi4EiDF16_PKffEviiT4_lPKT3_lilS5_lilPT5_i.kd
    .uniform_work_group_size: 1
    .uses_dynamic_stack: false
    .vgpr_count:     62
    .vgpr_spill_count: 0
    .wavefront_size: 32
  - .args:
      - .offset:         0
        .size:           4
        .value_kind:     by_value
      - .offset:         4
        .size:           4
        .value_kind:     by_value
      - .address_space:  global
        .offset:         8
        .size:           8
        .value_kind:     global_buffer
      - .offset:         16
        .size:           8
        .value_kind:     by_value
      - .address_space:  global
        .offset:         24
        .size:           8
        .value_kind:     global_buffer
      - .offset:         32
        .size:           8
        .value_kind:     by_value
      - .offset:         40
        .size:           4
        .value_kind:     by_value
      - .offset:         48
        .size:           8
        .value_kind:     by_value
      - .address_space:  global
        .offset:         56
        .size:           8
        .value_kind:     global_buffer
      - .offset:         64
        .size:           8
        .value_kind:     by_value
      - .offset:         72
        .size:           4
        .value_kind:     by_value
      - .offset:         80
        .size:           8
        .value_kind:     by_value
      - .address_space:  global
        .offset:         88
        .size:           8
        .value_kind:     global_buffer
      - .offset:         96
        .size:           4
        .value_kind:     by_value
      - .offset:         104
        .size:           4
        .value_kind:     hidden_block_count_x
      - .offset:         108
        .size:           4
        .value_kind:     hidden_block_count_y
      - .offset:         112
        .size:           4
        .value_kind:     hidden_block_count_z
      - .offset:         116
        .size:           2
        .value_kind:     hidden_group_size_x
      - .offset:         118
        .size:           2
        .value_kind:     hidden_group_size_y
      - .offset:         120
        .size:           2
        .value_kind:     hidden_group_size_z
      - .offset:         122
        .size:           2
        .value_kind:     hidden_remainder_x
      - .offset:         124
        .size:           2
        .value_kind:     hidden_remainder_y
      - .offset:         126
        .size:           2
        .value_kind:     hidden_remainder_z
      - .offset:         144
        .size:           8
        .value_kind:     hidden_global_offset_x
      - .offset:         152
        .size:           8
        .value_kind:     hidden_global_offset_y
      - .offset:         160
        .size:           8
        .value_kind:     hidden_global_offset_z
      - .offset:         168
        .size:           2
        .value_kind:     hidden_grid_dims
    .group_segment_fixed_size: 128
    .kernarg_segment_align: 8
    .kernarg_segment_size: 360
    .language:       OpenCL C
    .language_version:
      - 2
      - 0
    .max_flat_workgroup_size: 256
    .name:           _ZL23rocblas_gemvt_sn_kernelILb0ELi256ELi4ElDF16_PKffEviiT4_lPKT3_lilS5_lilPT5_i
    .private_segment_fixed_size: 0
    .sgpr_count:     78
    .sgpr_spill_count: 0
    .symbol:         _ZL23rocblas_gemvt_sn_kernelILb0ELi256ELi4ElDF16_PKffEviiT4_lPKT3_lilS5_lilPT5_i.kd
    .uniform_work_group_size: 1
    .uses_dynamic_stack: false
    .vgpr_count:     66
    .vgpr_spill_count: 0
    .wavefront_size: 32
  - .args:
      - .offset:         0
        .size:           4
        .value_kind:     by_value
      - .address_space:  global
        .offset:         8
        .size:           8
        .value_kind:     global_buffer
      - .offset:         16
        .size:           8
        .value_kind:     by_value
      - .address_space:  global
        .offset:         24
        .size:           8
        .value_kind:     global_buffer
      - .offset:         32
        .size:           8
        .value_kind:     by_value
      - .offset:         40
        .size:           4
        .value_kind:     by_value
      - .offset:         48
        .size:           8
        .value_kind:     by_value
      - .actual_access:  read_only
        .address_space:  global
        .offset:         56
        .size:           8
        .value_kind:     global_buffer
      - .offset:         64
        .size:           4
        .value_kind:     by_value
      - .offset:         72
        .size:           4
        .value_kind:     hidden_block_count_x
      - .offset:         76
        .size:           4
        .value_kind:     hidden_block_count_y
      - .offset:         80
        .size:           4
        .value_kind:     hidden_block_count_z
      - .offset:         84
        .size:           2
        .value_kind:     hidden_group_size_x
      - .offset:         86
        .size:           2
        .value_kind:     hidden_group_size_y
      - .offset:         88
        .size:           2
        .value_kind:     hidden_group_size_z
      - .offset:         90
        .size:           2
        .value_kind:     hidden_remainder_x
      - .offset:         92
        .size:           2
        .value_kind:     hidden_remainder_y
      - .offset:         94
        .size:           2
        .value_kind:     hidden_remainder_z
      - .offset:         112
        .size:           8
        .value_kind:     hidden_global_offset_x
      - .offset:         120
        .size:           8
        .value_kind:     hidden_global_offset_y
      - .offset:         128
        .size:           8
        .value_kind:     hidden_global_offset_z
      - .offset:         136
        .size:           2
        .value_kind:     hidden_grid_dims
    .group_segment_fixed_size: 128
    .kernarg_segment_align: 8
    .kernarg_segment_size: 328
    .language:       OpenCL C
    .language_version:
      - 2
      - 0
    .max_flat_workgroup_size: 256
    .name:           _ZL23rocblas_gemvt_sn_reduceILi256ELi8EfPKfDF16_EviT2_lPT3_lilPT1_i
    .private_segment_fixed_size: 0
    .sgpr_count:     40
    .sgpr_spill_count: 0
    .symbol:         _ZL23rocblas_gemvt_sn_reduceILi256ELi8EfPKfDF16_EviT2_lPT3_lilPT1_i.kd
    .uniform_work_group_size: 1
    .uses_dynamic_stack: false
    .vgpr_count:     26
    .vgpr_spill_count: 0
    .wavefront_size: 32
  - .args:
      - .offset:         0
        .size:           4
        .value_kind:     by_value
      - .offset:         4
        .size:           4
        .value_kind:     by_value
      - .offset:         8
        .size:           4
        .value_kind:     by_value
      - .offset:         16
        .size:           8
        .value_kind:     by_value
      - .address_space:  global
        .offset:         24
        .size:           8
        .value_kind:     global_buffer
      - .offset:         32
        .size:           8
        .value_kind:     by_value
      - .offset:         40
        .size:           4
        .value_kind:     by_value
      - .offset:         48
        .size:           8
        .value_kind:     by_value
      - .address_space:  global
        .offset:         56
        .size:           8
        .value_kind:     global_buffer
      - .offset:         64
        .size:           8
        .value_kind:     by_value
      - .offset:         72
        .size:           4
        .value_kind:     by_value
      - .offset:         80
        .size:           8
        .value_kind:     by_value
      - .address_space:  global
        .offset:         88
        .size:           8
        .value_kind:     global_buffer
      - .offset:         96
        .size:           4
        .value_kind:     by_value
      - .offset:         104
        .size:           4
        .value_kind:     hidden_block_count_x
      - .offset:         108
        .size:           4
        .value_kind:     hidden_block_count_y
      - .offset:         112
        .size:           4
        .value_kind:     hidden_block_count_z
      - .offset:         116
        .size:           2
        .value_kind:     hidden_group_size_x
      - .offset:         118
        .size:           2
        .value_kind:     hidden_group_size_y
      - .offset:         120
        .size:           2
        .value_kind:     hidden_group_size_z
      - .offset:         122
        .size:           2
        .value_kind:     hidden_remainder_x
      - .offset:         124
        .size:           2
        .value_kind:     hidden_remainder_y
      - .offset:         126
        .size:           2
        .value_kind:     hidden_remainder_z
      - .offset:         144
        .size:           8
        .value_kind:     hidden_global_offset_x
      - .offset:         152
        .size:           8
        .value_kind:     hidden_global_offset_y
      - .offset:         160
        .size:           8
        .value_kind:     hidden_global_offset_z
      - .offset:         168
        .size:           2
        .value_kind:     hidden_grid_dims
    .group_segment_fixed_size: 128
    .kernarg_segment_align: 8
    .kernarg_segment_size: 360
    .language:       OpenCL C
    .language_version:
      - 2
      - 0
    .max_flat_workgroup_size: 256
    .name:           _ZL23rocblas_gemvt_sn_kernelILb0ELi256ELi4EiDF16_ffEviiT4_lPKT3_lilS3_lilPT5_i
    .private_segment_fixed_size: 0
    .sgpr_count:     80
    .sgpr_spill_count: 0
    .symbol:         _ZL23rocblas_gemvt_sn_kernelILb0ELi256ELi4EiDF16_ffEviiT4_lPKT3_lilS3_lilPT5_i.kd
    .uniform_work_group_size: 1
    .uses_dynamic_stack: false
    .vgpr_count:     61
    .vgpr_spill_count: 0
    .wavefront_size: 32
  - .args:
      - .offset:         0
        .size:           4
        .value_kind:     by_value
      - .offset:         4
        .size:           4
        .value_kind:     by_value
      - .offset:         8
        .size:           4
        .value_kind:     by_value
      - .offset:         16
        .size:           8
        .value_kind:     by_value
      - .address_space:  global
        .offset:         24
        .size:           8
        .value_kind:     global_buffer
      - .offset:         32
        .size:           8
        .value_kind:     by_value
      - .offset:         40
        .size:           4
        .value_kind:     by_value
      - .offset:         48
        .size:           8
        .value_kind:     by_value
      - .address_space:  global
        .offset:         56
        .size:           8
        .value_kind:     global_buffer
      - .offset:         64
        .size:           8
        .value_kind:     by_value
      - .offset:         72
        .size:           4
        .value_kind:     by_value
      - .offset:         80
        .size:           8
        .value_kind:     by_value
      - .address_space:  global
        .offset:         88
        .size:           8
        .value_kind:     global_buffer
      - .offset:         96
        .size:           4
        .value_kind:     by_value
      - .offset:         104
        .size:           4
        .value_kind:     hidden_block_count_x
      - .offset:         108
        .size:           4
        .value_kind:     hidden_block_count_y
      - .offset:         112
        .size:           4
        .value_kind:     hidden_block_count_z
      - .offset:         116
        .size:           2
        .value_kind:     hidden_group_size_x
      - .offset:         118
        .size:           2
        .value_kind:     hidden_group_size_y
      - .offset:         120
        .size:           2
        .value_kind:     hidden_group_size_z
      - .offset:         122
        .size:           2
        .value_kind:     hidden_remainder_x
      - .offset:         124
        .size:           2
        .value_kind:     hidden_remainder_y
      - .offset:         126
        .size:           2
        .value_kind:     hidden_remainder_z
      - .offset:         144
        .size:           8
        .value_kind:     hidden_global_offset_x
      - .offset:         152
        .size:           8
        .value_kind:     hidden_global_offset_y
      - .offset:         160
        .size:           8
        .value_kind:     hidden_global_offset_z
      - .offset:         168
        .size:           2
        .value_kind:     hidden_grid_dims
    .group_segment_fixed_size: 128
    .kernarg_segment_align: 8
    .kernarg_segment_size: 360
    .language:       OpenCL C
    .language_version:
      - 2
      - 0
    .max_flat_workgroup_size: 256
    .name:           _ZL23rocblas_gemvt_sn_kernelILb0ELi256ELi4ElDF16_ffEviiT4_lPKT3_lilS3_lilPT5_i
    .private_segment_fixed_size: 0
    .sgpr_count:     76
    .sgpr_spill_count: 0
    .symbol:         _ZL23rocblas_gemvt_sn_kernelILb0ELi256ELi4ElDF16_ffEviiT4_lPKT3_lilS3_lilPT5_i.kd
    .uniform_work_group_size: 1
    .uses_dynamic_stack: false
    .vgpr_count:     64
    .vgpr_spill_count: 0
    .wavefront_size: 32
  - .args:
      - .offset:         0
        .size:           4
        .value_kind:     by_value
      - .offset:         4
        .size:           4
        .value_kind:     by_value
      - .offset:         8
        .size:           8
        .value_kind:     by_value
      - .address_space:  global
        .offset:         16
        .size:           8
        .value_kind:     global_buffer
      - .offset:         24
        .size:           8
        .value_kind:     by_value
      - .offset:         32
        .size:           4
        .value_kind:     by_value
      - .offset:         40
        .size:           8
        .value_kind:     by_value
      - .actual_access:  read_only
        .address_space:  global
        .offset:         48
        .size:           8
        .value_kind:     global_buffer
      - .offset:         56
        .size:           4
        .value_kind:     by_value
      - .offset:         64
        .size:           4
        .value_kind:     hidden_block_count_x
      - .offset:         68
        .size:           4
        .value_kind:     hidden_block_count_y
      - .offset:         72
        .size:           4
        .value_kind:     hidden_block_count_z
      - .offset:         76
        .size:           2
        .value_kind:     hidden_group_size_x
      - .offset:         78
        .size:           2
        .value_kind:     hidden_group_size_y
      - .offset:         80
        .size:           2
        .value_kind:     hidden_group_size_z
      - .offset:         82
        .size:           2
        .value_kind:     hidden_remainder_x
      - .offset:         84
        .size:           2
        .value_kind:     hidden_remainder_y
      - .offset:         86
        .size:           2
        .value_kind:     hidden_remainder_z
      - .offset:         104
        .size:           8
        .value_kind:     hidden_global_offset_x
      - .offset:         112
        .size:           8
        .value_kind:     hidden_global_offset_y
      - .offset:         120
        .size:           8
        .value_kind:     hidden_global_offset_z
      - .offset:         128
        .size:           2
        .value_kind:     hidden_grid_dims
    .group_segment_fixed_size: 128
    .kernarg_segment_align: 8
    .kernarg_segment_size: 320
    .language:       OpenCL C
    .language_version:
      - 2
      - 0
    .max_flat_workgroup_size: 256
    .name:           _ZL23rocblas_gemvt_sn_reduceILi256ELi8EffDF16_EviT2_lPT3_lilPT1_i
    .private_segment_fixed_size: 0
    .sgpr_count:     38
    .sgpr_spill_count: 0
    .symbol:         _ZL23rocblas_gemvt_sn_reduceILi256ELi8EffDF16_EviT2_lPT3_lilPT1_i.kd
    .uniform_work_group_size: 1
    .uses_dynamic_stack: false
    .vgpr_count:     24
    .vgpr_spill_count: 0
    .wavefront_size: 32
  - .args:
      - .offset:         0
        .size:           4
        .value_kind:     by_value
      - .offset:         4
        .size:           4
        .value_kind:     by_value
      - .address_space:  global
        .offset:         8
        .size:           8
        .value_kind:     global_buffer
      - .offset:         16
        .size:           8
        .value_kind:     by_value
      - .address_space:  global
        .offset:         24
        .size:           8
        .value_kind:     global_buffer
      - .offset:         32
        .size:           8
        .value_kind:     by_value
      - .offset:         40
        .size:           4
        .value_kind:     by_value
      - .offset:         48
        .size:           8
        .value_kind:     by_value
      - .address_space:  global
        .offset:         56
        .size:           8
        .value_kind:     global_buffer
      - .offset:         64
        .size:           8
        .value_kind:     by_value
      - .offset:         72
        .size:           4
        .value_kind:     by_value
      - .offset:         80
        .size:           8
        .value_kind:     by_value
      - .address_space:  global
        .offset:         88
        .size:           8
        .value_kind:     global_buffer
      - .offset:         96
        .size:           8
        .value_kind:     by_value
      - .address_space:  global
        .offset:         104
        .size:           8
        .value_kind:     global_buffer
      - .offset:         112
        .size:           8
        .value_kind:     by_value
      - .offset:         120
        .size:           4
        .value_kind:     by_value
      - .offset:         128
        .size:           8
        .value_kind:     by_value
      - .offset:         136
        .size:           4
        .value_kind:     by_value
    .group_segment_fixed_size: 128
    .kernarg_segment_align: 8
    .kernarg_segment_size: 140
    .language:       OpenCL C
    .language_version:
      - 2
      - 0
    .max_flat_workgroup_size: 256
    .name:           _ZL32rocblas_gemvt_warp_reduce_kernelILb0ELi256EiDF16_PKfDF16_EviiT3_lPKT2_lT1_lS5_lS6_lS2_lPT4_lS6_li
    .private_segment_fixed_size: 0
    .sgpr_count:     46
    .sgpr_spill_count: 0
    .symbol:         _ZL32rocblas_gemvt_warp_reduce_kernelILb0ELi256EiDF16_PKfDF16_EviiT3_lPKT2_lT1_lS5_lS6_lS2_lPT4_lS6_li.kd
    .uniform_work_group_size: 1
    .uses_dynamic_stack: false
    .vgpr_count:     21
    .vgpr_spill_count: 0
    .wavefront_size: 32
  - .args:
      - .offset:         0
        .size:           4
        .value_kind:     by_value
      - .offset:         4
        .size:           4
        .value_kind:     by_value
      - .address_space:  global
        .offset:         8
        .size:           8
        .value_kind:     global_buffer
      - .offset:         16
        .size:           8
        .value_kind:     by_value
      - .address_space:  global
        .offset:         24
        .size:           8
        .value_kind:     global_buffer
      - .offset:         32
        .size:           8
        .value_kind:     by_value
      - .offset:         40
        .size:           8
        .value_kind:     by_value
      - .offset:         48
        .size:           8
        .value_kind:     by_value
      - .address_space:  global
        .offset:         56
        .size:           8
        .value_kind:     global_buffer
      - .offset:         64
        .size:           8
        .value_kind:     by_value
      - .offset:         72
        .size:           8
        .value_kind:     by_value
      - .offset:         80
        .size:           8
        .value_kind:     by_value
      - .address_space:  global
        .offset:         88
        .size:           8
        .value_kind:     global_buffer
      - .offset:         96
        .size:           8
        .value_kind:     by_value
      - .address_space:  global
        .offset:         104
        .size:           8
        .value_kind:     global_buffer
      - .offset:         112
        .size:           8
        .value_kind:     by_value
      - .offset:         120
        .size:           8
        .value_kind:     by_value
      - .offset:         128
        .size:           8
        .value_kind:     by_value
      - .offset:         136
        .size:           4
        .value_kind:     by_value
    .group_segment_fixed_size: 128
    .kernarg_segment_align: 8
    .kernarg_segment_size: 140
    .language:       OpenCL C
    .language_version:
      - 2
      - 0
    .max_flat_workgroup_size: 256
    .name:           _ZL32rocblas_gemvt_warp_reduce_kernelILb0ELi256ElDF16_PKfDF16_EviiT3_lPKT2_lT1_lS5_lS6_lS2_lPT4_lS6_li
    .private_segment_fixed_size: 0
    .sgpr_count:     54
    .sgpr_spill_count: 0
    .symbol:         _ZL32rocblas_gemvt_warp_reduce_kernelILb0ELi256ElDF16_PKfDF16_EviiT3_lPKT2_lT1_lS5_lS6_lS2_lPT4_lS6_li.kd
    .uniform_work_group_size: 1
    .uses_dynamic_stack: false
    .vgpr_count:     23
    .vgpr_spill_count: 0
    .wavefront_size: 32
  - .args:
      - .offset:         0
        .size:           4
        .value_kind:     by_value
      - .offset:         4
        .size:           4
        .value_kind:     by_value
      - .offset:         8
        .size:           4
        .value_kind:     by_value
      - .offset:         16
        .size:           8
        .value_kind:     by_value
      - .address_space:  global
        .offset:         24
        .size:           8
        .value_kind:     global_buffer
      - .offset:         32
        .size:           8
        .value_kind:     by_value
      - .offset:         40
        .size:           4
        .value_kind:     by_value
      - .offset:         48
        .size:           8
        .value_kind:     by_value
      - .address_space:  global
        .offset:         56
        .size:           8
        .value_kind:     global_buffer
      - .offset:         64
        .size:           8
        .value_kind:     by_value
      - .offset:         72
        .size:           4
        .value_kind:     by_value
      - .offset:         80
        .size:           8
        .value_kind:     by_value
      - .offset:         88
        .size:           4
        .value_kind:     by_value
      - .offset:         96
        .size:           8
        .value_kind:     by_value
      - .address_space:  global
        .offset:         104
        .size:           8
        .value_kind:     global_buffer
      - .offset:         112
        .size:           8
        .value_kind:     by_value
      - .offset:         120
        .size:           4
        .value_kind:     by_value
      - .offset:         128
        .size:           8
        .value_kind:     by_value
      - .offset:         136
        .size:           4
        .value_kind:     by_value
    .group_segment_fixed_size: 128
    .kernarg_segment_align: 8
    .kernarg_segment_size: 140
    .language:       OpenCL C
    .language_version:
      - 2
      - 0
    .max_flat_workgroup_size: 256
    .name:           _ZL32rocblas_gemvt_warp_reduce_kernelILb0ELi256EiDF16_fDF16_EviiT3_lPKT2_lT1_lS3_lS4_lS0_lPT4_lS4_li
    .private_segment_fixed_size: 0
    .sgpr_count:     42
    .sgpr_spill_count: 0
    .symbol:         _ZL32rocblas_gemvt_warp_reduce_kernelILb0ELi256EiDF16_fDF16_EviiT3_lPKT2_lT1_lS3_lS4_lS0_lPT4_lS4_li.kd
    .uniform_work_group_size: 1
    .uses_dynamic_stack: false
    .vgpr_count:     20
    .vgpr_spill_count: 0
    .wavefront_size: 32
  - .args:
      - .offset:         0
        .size:           4
        .value_kind:     by_value
      - .offset:         4
        .size:           4
        .value_kind:     by_value
      - .offset:         8
        .size:           4
        .value_kind:     by_value
      - .offset:         16
        .size:           8
        .value_kind:     by_value
      - .address_space:  global
        .offset:         24
        .size:           8
        .value_kind:     global_buffer
      - .offset:         32
        .size:           8
        .value_kind:     by_value
      - .offset:         40
        .size:           8
        .value_kind:     by_value
      - .offset:         48
        .size:           8
        .value_kind:     by_value
      - .address_space:  global
        .offset:         56
        .size:           8
        .value_kind:     global_buffer
      - .offset:         64
        .size:           8
        .value_kind:     by_value
      - .offset:         72
        .size:           8
        .value_kind:     by_value
      - .offset:         80
        .size:           8
        .value_kind:     by_value
      - .offset:         88
        .size:           4
        .value_kind:     by_value
      - .offset:         96
        .size:           8
        .value_kind:     by_value
      - .address_space:  global
        .offset:         104
        .size:           8
        .value_kind:     global_buffer
      - .offset:         112
        .size:           8
        .value_kind:     by_value
      - .offset:         120
        .size:           8
        .value_kind:     by_value
      - .offset:         128
        .size:           8
        .value_kind:     by_value
      - .offset:         136
        .size:           4
        .value_kind:     by_value
    .group_segment_fixed_size: 128
    .kernarg_segment_align: 8
    .kernarg_segment_size: 140
    .language:       OpenCL C
    .language_version:
      - 2
      - 0
    .max_flat_workgroup_size: 256
    .name:           _ZL32rocblas_gemvt_warp_reduce_kernelILb0ELi256ElDF16_fDF16_EviiT3_lPKT2_lT1_lS3_lS4_lS0_lPT4_lS4_li
    .private_segment_fixed_size: 0
    .sgpr_count:     46
    .sgpr_spill_count: 0
    .symbol:         _ZL32rocblas_gemvt_warp_reduce_kernelILb0ELi256ElDF16_fDF16_EviiT3_lPKT2_lT1_lS3_lS4_lS0_lPT4_lS4_li.kd
    .uniform_work_group_size: 1
    .uses_dynamic_stack: false
    .vgpr_count:     22
    .vgpr_spill_count: 0
    .wavefront_size: 32
  - .args:
      - .offset:         0
        .size:           4
        .value_kind:     by_value
      - .offset:         4
        .size:           4
        .value_kind:     by_value
      - .address_space:  global
        .offset:         8
        .size:           8
        .value_kind:     global_buffer
      - .offset:         16
        .size:           8
        .value_kind:     by_value
      - .address_space:  global
        .offset:         24
        .size:           8
        .value_kind:     global_buffer
      - .offset:         32
        .size:           8
        .value_kind:     by_value
      - .offset:         40
        .size:           4
        .value_kind:     by_value
      - .offset:         48
        .size:           8
        .value_kind:     by_value
      - .address_space:  global
        .offset:         56
        .size:           8
        .value_kind:     global_buffer
      - .offset:         64
        .size:           8
        .value_kind:     by_value
      - .offset:         72
        .size:           4
        .value_kind:     by_value
      - .offset:         80
        .size:           8
        .value_kind:     by_value
      - .address_space:  global
        .offset:         88
        .size:           8
        .value_kind:     global_buffer
      - .offset:         96
        .size:           8
        .value_kind:     by_value
      - .address_space:  global
        .offset:         104
        .size:           8
        .value_kind:     global_buffer
      - .offset:         112
        .size:           8
        .value_kind:     by_value
      - .offset:         120
        .size:           4
        .value_kind:     by_value
      - .offset:         128
        .size:           8
        .value_kind:     by_value
      - .offset:         136
        .size:           4
        .value_kind:     by_value
    .group_segment_fixed_size: 1024
    .kernarg_segment_align: 8
    .kernarg_segment_size: 140
    .language:       OpenCL C
    .language_version:
      - 2
      - 0
    .max_flat_workgroup_size: 256
    .name:           _ZL20rocblas_gemvt_kernelILb0ELi256EDF16_PKfDF16_EviiT2_lPKT1_lilS5_lilS2_lPT3_lili
    .private_segment_fixed_size: 0
    .sgpr_count:     54
    .sgpr_spill_count: 0
    .symbol:         _ZL20rocblas_gemvt_kernelILb0ELi256EDF16_PKfDF16_EviiT2_lPKT1_lilS5_lilS2_lPT3_lili.kd
    .uniform_work_group_size: 1
    .uses_dynamic_stack: false
    .vgpr_count:     18
    .vgpr_spill_count: 0
    .wavefront_size: 32
  - .args:
      - .offset:         0
        .size:           4
        .value_kind:     by_value
      - .offset:         4
        .size:           4
        .value_kind:     by_value
      - .offset:         8
        .size:           4
        .value_kind:     by_value
      - .offset:         16
        .size:           8
        .value_kind:     by_value
      - .address_space:  global
        .offset:         24
        .size:           8
        .value_kind:     global_buffer
      - .offset:         32
        .size:           8
        .value_kind:     by_value
      - .offset:         40
        .size:           4
        .value_kind:     by_value
      - .offset:         48
        .size:           8
        .value_kind:     by_value
      - .address_space:  global
        .offset:         56
        .size:           8
        .value_kind:     global_buffer
      - .offset:         64
        .size:           8
        .value_kind:     by_value
      - .offset:         72
        .size:           4
        .value_kind:     by_value
      - .offset:         80
        .size:           8
        .value_kind:     by_value
      - .offset:         88
        .size:           4
        .value_kind:     by_value
      - .offset:         96
        .size:           8
        .value_kind:     by_value
      - .address_space:  global
        .offset:         104
        .size:           8
        .value_kind:     global_buffer
      - .offset:         112
        .size:           8
        .value_kind:     by_value
      - .offset:         120
        .size:           4
        .value_kind:     by_value
      - .offset:         128
        .size:           8
        .value_kind:     by_value
      - .offset:         136
        .size:           4
        .value_kind:     by_value
    .group_segment_fixed_size: 1024
    .kernarg_segment_align: 8
    .kernarg_segment_size: 140
    .language:       OpenCL C
    .language_version:
      - 2
      - 0
    .max_flat_workgroup_size: 256
    .name:           _ZL20rocblas_gemvt_kernelILb0ELi256EDF16_fDF16_EviiT2_lPKT1_lilS3_lilS0_lPT3_lili
    .private_segment_fixed_size: 0
    .sgpr_count:     50
    .sgpr_spill_count: 0
    .symbol:         _ZL20rocblas_gemvt_kernelILb0ELi256EDF16_fDF16_EviiT2_lPKT1_lilS3_lilS0_lPT3_lili.kd
    .uniform_work_group_size: 1
    .uses_dynamic_stack: false
    .vgpr_count:     17
    .vgpr_spill_count: 0
    .wavefront_size: 32
  - .args:
      - .offset:         0
        .size:           4
        .value_kind:     by_value
      - .offset:         4
        .size:           4
        .value_kind:     by_value
      - .address_space:  global
        .offset:         8
        .size:           8
        .value_kind:     global_buffer
      - .offset:         16
        .size:           8
        .value_kind:     by_value
      - .address_space:  global
        .offset:         24
        .size:           8
        .value_kind:     global_buffer
      - .offset:         32
        .size:           8
        .value_kind:     by_value
      - .offset:         40
        .size:           4
        .value_kind:     by_value
      - .offset:         48
        .size:           8
        .value_kind:     by_value
      - .address_space:  global
        .offset:         56
        .size:           8
        .value_kind:     global_buffer
      - .offset:         64
        .size:           8
        .value_kind:     by_value
      - .offset:         72
        .size:           4
        .value_kind:     by_value
      - .offset:         80
        .size:           8
        .value_kind:     by_value
      - .address_space:  global
        .offset:         88
        .size:           8
        .value_kind:     global_buffer
      - .offset:         96
        .size:           8
        .value_kind:     by_value
      - .address_space:  global
        .offset:         104
        .size:           8
        .value_kind:     global_buffer
      - .offset:         112
        .size:           8
        .value_kind:     by_value
      - .offset:         120
        .size:           4
        .value_kind:     by_value
      - .offset:         128
        .size:           8
        .value_kind:     by_value
      - .offset:         136
        .size:           4
        .value_kind:     by_value
    .group_segment_fixed_size: 128
    .kernarg_segment_align: 8
    .kernarg_segment_size: 140
    .language:       OpenCL C
    .language_version:
      - 2
      - 0
    .max_flat_workgroup_size: 1024
    .name:           _ZL32rocblas_gemvt_warp_reduce_kernelILb0ELi1024EiDF16_PKfDF16_EviiT3_lPKT2_lT1_lS5_lS6_lS2_lPT4_lS6_li
    .private_segment_fixed_size: 0
    .sgpr_count:     46
    .sgpr_spill_count: 0
    .symbol:         _ZL32rocblas_gemvt_warp_reduce_kernelILb0ELi1024EiDF16_PKfDF16_EviiT3_lPKT2_lT1_lS5_lS6_lS2_lPT4_lS6_li.kd
    .uniform_work_group_size: 1
    .uses_dynamic_stack: false
    .vgpr_count:     21
    .vgpr_spill_count: 0
    .wavefront_size: 32
  - .args:
      - .offset:         0
        .size:           4
        .value_kind:     by_value
      - .offset:         4
        .size:           4
        .value_kind:     by_value
      - .address_space:  global
        .offset:         8
        .size:           8
        .value_kind:     global_buffer
      - .offset:         16
        .size:           8
        .value_kind:     by_value
      - .address_space:  global
        .offset:         24
        .size:           8
        .value_kind:     global_buffer
      - .offset:         32
        .size:           8
        .value_kind:     by_value
      - .offset:         40
        .size:           8
        .value_kind:     by_value
      - .offset:         48
        .size:           8
        .value_kind:     by_value
      - .address_space:  global
        .offset:         56
        .size:           8
        .value_kind:     global_buffer
      - .offset:         64
        .size:           8
        .value_kind:     by_value
      - .offset:         72
        .size:           8
        .value_kind:     by_value
      - .offset:         80
        .size:           8
        .value_kind:     by_value
      - .address_space:  global
        .offset:         88
        .size:           8
        .value_kind:     global_buffer
      - .offset:         96
        .size:           8
        .value_kind:     by_value
      - .address_space:  global
        .offset:         104
        .size:           8
        .value_kind:     global_buffer
      - .offset:         112
        .size:           8
        .value_kind:     by_value
      - .offset:         120
        .size:           8
        .value_kind:     by_value
      - .offset:         128
        .size:           8
        .value_kind:     by_value
      - .offset:         136
        .size:           4
        .value_kind:     by_value
    .group_segment_fixed_size: 128
    .kernarg_segment_align: 8
    .kernarg_segment_size: 140
    .language:       OpenCL C
    .language_version:
      - 2
      - 0
    .max_flat_workgroup_size: 1024
    .name:           _ZL32rocblas_gemvt_warp_reduce_kernelILb0ELi1024ElDF16_PKfDF16_EviiT3_lPKT2_lT1_lS5_lS6_lS2_lPT4_lS6_li
    .private_segment_fixed_size: 0
    .sgpr_count:     54
    .sgpr_spill_count: 0
    .symbol:         _ZL32rocblas_gemvt_warp_reduce_kernelILb0ELi1024ElDF16_PKfDF16_EviiT3_lPKT2_lT1_lS5_lS6_lS2_lPT4_lS6_li.kd
    .uniform_work_group_size: 1
    .uses_dynamic_stack: false
    .vgpr_count:     23
    .vgpr_spill_count: 0
    .wavefront_size: 32
  - .args:
      - .offset:         0
        .size:           4
        .value_kind:     by_value
      - .offset:         4
        .size:           4
        .value_kind:     by_value
      - .offset:         8
        .size:           4
        .value_kind:     by_value
      - .offset:         16
        .size:           8
        .value_kind:     by_value
      - .address_space:  global
        .offset:         24
        .size:           8
        .value_kind:     global_buffer
      - .offset:         32
        .size:           8
        .value_kind:     by_value
      - .offset:         40
        .size:           4
        .value_kind:     by_value
      - .offset:         48
        .size:           8
        .value_kind:     by_value
      - .address_space:  global
        .offset:         56
        .size:           8
        .value_kind:     global_buffer
      - .offset:         64
        .size:           8
        .value_kind:     by_value
      - .offset:         72
        .size:           4
        .value_kind:     by_value
      - .offset:         80
        .size:           8
        .value_kind:     by_value
      - .offset:         88
        .size:           4
        .value_kind:     by_value
      - .offset:         96
        .size:           8
        .value_kind:     by_value
      - .address_space:  global
        .offset:         104
        .size:           8
        .value_kind:     global_buffer
      - .offset:         112
        .size:           8
        .value_kind:     by_value
      - .offset:         120
        .size:           4
        .value_kind:     by_value
      - .offset:         128
        .size:           8
        .value_kind:     by_value
      - .offset:         136
        .size:           4
        .value_kind:     by_value
    .group_segment_fixed_size: 128
    .kernarg_segment_align: 8
    .kernarg_segment_size: 140
    .language:       OpenCL C
    .language_version:
      - 2
      - 0
    .max_flat_workgroup_size: 1024
    .name:           _ZL32rocblas_gemvt_warp_reduce_kernelILb0ELi1024EiDF16_fDF16_EviiT3_lPKT2_lT1_lS3_lS4_lS0_lPT4_lS4_li
    .private_segment_fixed_size: 0
    .sgpr_count:     42
    .sgpr_spill_count: 0
    .symbol:         _ZL32rocblas_gemvt_warp_reduce_kernelILb0ELi1024EiDF16_fDF16_EviiT3_lPKT2_lT1_lS3_lS4_lS0_lPT4_lS4_li.kd
    .uniform_work_group_size: 1
    .uses_dynamic_stack: false
    .vgpr_count:     20
    .vgpr_spill_count: 0
    .wavefront_size: 32
  - .args:
      - .offset:         0
        .size:           4
        .value_kind:     by_value
      - .offset:         4
        .size:           4
        .value_kind:     by_value
      - .offset:         8
        .size:           4
        .value_kind:     by_value
      - .offset:         16
        .size:           8
        .value_kind:     by_value
      - .address_space:  global
        .offset:         24
        .size:           8
        .value_kind:     global_buffer
      - .offset:         32
        .size:           8
        .value_kind:     by_value
      - .offset:         40
        .size:           8
        .value_kind:     by_value
      - .offset:         48
        .size:           8
        .value_kind:     by_value
      - .address_space:  global
        .offset:         56
        .size:           8
        .value_kind:     global_buffer
      - .offset:         64
        .size:           8
        .value_kind:     by_value
      - .offset:         72
        .size:           8
        .value_kind:     by_value
      - .offset:         80
        .size:           8
        .value_kind:     by_value
      - .offset:         88
        .size:           4
        .value_kind:     by_value
      - .offset:         96
        .size:           8
        .value_kind:     by_value
      - .address_space:  global
        .offset:         104
        .size:           8
        .value_kind:     global_buffer
      - .offset:         112
        .size:           8
        .value_kind:     by_value
      - .offset:         120
        .size:           8
        .value_kind:     by_value
      - .offset:         128
        .size:           8
        .value_kind:     by_value
      - .offset:         136
        .size:           4
        .value_kind:     by_value
    .group_segment_fixed_size: 128
    .kernarg_segment_align: 8
    .kernarg_segment_size: 140
    .language:       OpenCL C
    .language_version:
      - 2
      - 0
    .max_flat_workgroup_size: 1024
    .name:           _ZL32rocblas_gemvt_warp_reduce_kernelILb0ELi1024ElDF16_fDF16_EviiT3_lPKT2_lT1_lS3_lS4_lS0_lPT4_lS4_li
    .private_segment_fixed_size: 0
    .sgpr_count:     44
    .sgpr_spill_count: 0
    .symbol:         _ZL32rocblas_gemvt_warp_reduce_kernelILb0ELi1024ElDF16_fDF16_EviiT3_lPKT2_lT1_lS3_lS4_lS0_lPT4_lS4_li.kd
    .uniform_work_group_size: 1
    .uses_dynamic_stack: false
    .vgpr_count:     22
    .vgpr_spill_count: 0
    .wavefront_size: 32
  - .args:
      - .offset:         0
        .size:           4
        .value_kind:     by_value
      - .offset:         4
        .size:           4
        .value_kind:     by_value
      - .address_space:  global
        .offset:         8
        .size:           8
        .value_kind:     global_buffer
      - .offset:         16
        .size:           8
        .value_kind:     by_value
      - .address_space:  global
        .offset:         24
        .size:           8
        .value_kind:     global_buffer
      - .offset:         32
        .size:           8
        .value_kind:     by_value
      - .offset:         40
        .size:           4
        .value_kind:     by_value
      - .offset:         48
        .size:           8
        .value_kind:     by_value
      - .address_space:  global
        .offset:         56
        .size:           8
        .value_kind:     global_buffer
      - .offset:         64
        .size:           8
        .value_kind:     by_value
      - .offset:         72
        .size:           4
        .value_kind:     by_value
      - .offset:         80
        .size:           8
        .value_kind:     by_value
      - .address_space:  global
        .offset:         88
        .size:           8
        .value_kind:     global_buffer
      - .offset:         96
        .size:           8
        .value_kind:     by_value
      - .address_space:  global
        .offset:         104
        .size:           8
        .value_kind:     global_buffer
      - .offset:         112
        .size:           8
        .value_kind:     by_value
      - .offset:         120
        .size:           4
        .value_kind:     by_value
      - .offset:         128
        .size:           8
        .value_kind:     by_value
    .group_segment_fixed_size: 256
    .kernarg_segment_align: 8
    .kernarg_segment_size: 136
    .language:       OpenCL C
    .language_version:
      - 2
      - 0
    .max_flat_workgroup_size: 256
    .name:           _ZL22rocblas_gemvtsm_kernelILb1ELi256EDF16_PKfDF16_EviiT2_lPKT1_lilS5_lilS2_lPT3_lil
    .private_segment_fixed_size: 0
    .sgpr_count:     32
    .sgpr_spill_count: 0
    .symbol:         _ZL22rocblas_gemvtsm_kernelILb1ELi256EDF16_PKfDF16_EviiT2_lPKT1_lilS5_lilS2_lPT3_lil.kd
    .uniform_work_group_size: 1
    .uses_dynamic_stack: false
    .vgpr_count:     24
    .vgpr_spill_count: 0
    .wavefront_size: 32
  - .args:
      - .offset:         0
        .size:           4
        .value_kind:     by_value
      - .offset:         4
        .size:           4
        .value_kind:     by_value
      - .offset:         8
        .size:           4
        .value_kind:     by_value
      - .offset:         16
        .size:           8
        .value_kind:     by_value
      - .address_space:  global
        .offset:         24
        .size:           8
        .value_kind:     global_buffer
      - .offset:         32
        .size:           8
        .value_kind:     by_value
      - .offset:         40
        .size:           4
        .value_kind:     by_value
      - .offset:         48
        .size:           8
        .value_kind:     by_value
      - .address_space:  global
        .offset:         56
        .size:           8
        .value_kind:     global_buffer
      - .offset:         64
        .size:           8
        .value_kind:     by_value
      - .offset:         72
        .size:           4
        .value_kind:     by_value
      - .offset:         80
        .size:           8
        .value_kind:     by_value
      - .offset:         88
        .size:           4
        .value_kind:     by_value
      - .offset:         96
        .size:           8
        .value_kind:     by_value
      - .address_space:  global
        .offset:         104
        .size:           8
        .value_kind:     global_buffer
      - .offset:         112
        .size:           8
        .value_kind:     by_value
      - .offset:         120
        .size:           4
        .value_kind:     by_value
      - .offset:         128
        .size:           8
        .value_kind:     by_value
    .group_segment_fixed_size: 256
    .kernarg_segment_align: 8
    .kernarg_segment_size: 136
    .language:       OpenCL C
    .language_version:
      - 2
      - 0
    .max_flat_workgroup_size: 256
    .name:           _ZL22rocblas_gemvtsm_kernelILb1ELi256EDF16_fDF16_EviiT2_lPKT1_lilS3_lilS0_lPT3_lil
    .private_segment_fixed_size: 0
    .sgpr_count:     28
    .sgpr_spill_count: 0
    .symbol:         _ZL22rocblas_gemvtsm_kernelILb1ELi256EDF16_fDF16_EviiT2_lPKT1_lilS3_lilS0_lPT3_lil.kd
    .uniform_work_group_size: 1
    .uses_dynamic_stack: false
    .vgpr_count:     24
    .vgpr_spill_count: 0
    .wavefront_size: 32
  - .args:
      - .offset:         0
        .size:           4
        .value_kind:     by_value
      - .offset:         4
        .size:           4
        .value_kind:     by_value
      - .address_space:  global
        .offset:         8
        .size:           8
        .value_kind:     global_buffer
      - .offset:         16
        .size:           8
        .value_kind:     by_value
      - .address_space:  global
        .offset:         24
        .size:           8
        .value_kind:     global_buffer
      - .offset:         32
        .size:           8
        .value_kind:     by_value
      - .offset:         40
        .size:           4
        .value_kind:     by_value
      - .offset:         48
        .size:           8
        .value_kind:     by_value
      - .address_space:  global
        .offset:         56
        .size:           8
        .value_kind:     global_buffer
      - .offset:         64
        .size:           8
        .value_kind:     by_value
      - .offset:         72
        .size:           4
        .value_kind:     by_value
      - .offset:         80
        .size:           8
        .value_kind:     by_value
      - .address_space:  global
        .offset:         88
        .size:           8
        .value_kind:     global_buffer
      - .offset:         96
        .size:           4
        .value_kind:     by_value
      - .offset:         104
        .size:           4
        .value_kind:     hidden_block_count_x
      - .offset:         108
        .size:           4
        .value_kind:     hidden_block_count_y
      - .offset:         112
        .size:           4
        .value_kind:     hidden_block_count_z
      - .offset:         116
        .size:           2
        .value_kind:     hidden_group_size_x
      - .offset:         118
        .size:           2
        .value_kind:     hidden_group_size_y
      - .offset:         120
        .size:           2
        .value_kind:     hidden_group_size_z
      - .offset:         122
        .size:           2
        .value_kind:     hidden_remainder_x
      - .offset:         124
        .size:           2
        .value_kind:     hidden_remainder_y
      - .offset:         126
        .size:           2
        .value_kind:     hidden_remainder_z
      - .offset:         144
        .size:           8
        .value_kind:     hidden_global_offset_x
      - .offset:         152
        .size:           8
        .value_kind:     hidden_global_offset_y
      - .offset:         160
        .size:           8
        .value_kind:     hidden_global_offset_z
      - .offset:         168
        .size:           2
        .value_kind:     hidden_grid_dims
    .group_segment_fixed_size: 128
    .kernarg_segment_align: 8
    .kernarg_segment_size: 360
    .language:       OpenCL C
    .language_version:
      - 2
      - 0
    .max_flat_workgroup_size: 256
    .name:           _ZL23rocblas_gemvt_sn_kernelILb1ELi256ELi4EiDF16_PKffEviiT4_lPKT3_lilS5_lilPT5_i
    .private_segment_fixed_size: 0
    .sgpr_count:     82
    .sgpr_spill_count: 0
    .symbol:         _ZL23rocblas_gemvt_sn_kernelILb1ELi256ELi4EiDF16_PKffEviiT4_lPKT3_lilS5_lilPT5_i.kd
    .uniform_work_group_size: 1
    .uses_dynamic_stack: false
    .vgpr_count:     62
    .vgpr_spill_count: 0
    .wavefront_size: 32
  - .args:
      - .offset:         0
        .size:           4
        .value_kind:     by_value
      - .offset:         4
        .size:           4
        .value_kind:     by_value
      - .address_space:  global
        .offset:         8
        .size:           8
        .value_kind:     global_buffer
      - .offset:         16
        .size:           8
        .value_kind:     by_value
      - .address_space:  global
        .offset:         24
        .size:           8
        .value_kind:     global_buffer
      - .offset:         32
        .size:           8
        .value_kind:     by_value
      - .offset:         40
        .size:           4
        .value_kind:     by_value
      - .offset:         48
        .size:           8
        .value_kind:     by_value
      - .address_space:  global
        .offset:         56
        .size:           8
        .value_kind:     global_buffer
      - .offset:         64
        .size:           8
        .value_kind:     by_value
      - .offset:         72
        .size:           4
        .value_kind:     by_value
      - .offset:         80
        .size:           8
        .value_kind:     by_value
      - .address_space:  global
        .offset:         88
        .size:           8
        .value_kind:     global_buffer
      - .offset:         96
        .size:           4
        .value_kind:     by_value
      - .offset:         104
        .size:           4
        .value_kind:     hidden_block_count_x
      - .offset:         108
        .size:           4
        .value_kind:     hidden_block_count_y
      - .offset:         112
        .size:           4
        .value_kind:     hidden_block_count_z
      - .offset:         116
        .size:           2
        .value_kind:     hidden_group_size_x
      - .offset:         118
        .size:           2
        .value_kind:     hidden_group_size_y
      - .offset:         120
        .size:           2
        .value_kind:     hidden_group_size_z
      - .offset:         122
        .size:           2
        .value_kind:     hidden_remainder_x
      - .offset:         124
        .size:           2
        .value_kind:     hidden_remainder_y
      - .offset:         126
        .size:           2
        .value_kind:     hidden_remainder_z
      - .offset:         144
        .size:           8
        .value_kind:     hidden_global_offset_x
      - .offset:         152
        .size:           8
        .value_kind:     hidden_global_offset_y
      - .offset:         160
        .size:           8
        .value_kind:     hidden_global_offset_z
      - .offset:         168
        .size:           2
        .value_kind:     hidden_grid_dims
    .group_segment_fixed_size: 128
    .kernarg_segment_align: 8
    .kernarg_segment_size: 360
    .language:       OpenCL C
    .language_version:
      - 2
      - 0
    .max_flat_workgroup_size: 256
    .name:           _ZL23rocblas_gemvt_sn_kernelILb1ELi256ELi4ElDF16_PKffEviiT4_lPKT3_lilS5_lilPT5_i
    .private_segment_fixed_size: 0
    .sgpr_count:     78
    .sgpr_spill_count: 0
    .symbol:         _ZL23rocblas_gemvt_sn_kernelILb1ELi256ELi4ElDF16_PKffEviiT4_lPKT3_lilS5_lilPT5_i.kd
    .uniform_work_group_size: 1
    .uses_dynamic_stack: false
    .vgpr_count:     66
    .vgpr_spill_count: 0
    .wavefront_size: 32
  - .args:
      - .offset:         0
        .size:           4
        .value_kind:     by_value
      - .offset:         4
        .size:           4
        .value_kind:     by_value
      - .offset:         8
        .size:           4
        .value_kind:     by_value
      - .offset:         16
        .size:           8
        .value_kind:     by_value
      - .address_space:  global
        .offset:         24
        .size:           8
        .value_kind:     global_buffer
      - .offset:         32
        .size:           8
        .value_kind:     by_value
      - .offset:         40
        .size:           4
        .value_kind:     by_value
      - .offset:         48
        .size:           8
        .value_kind:     by_value
      - .address_space:  global
        .offset:         56
        .size:           8
        .value_kind:     global_buffer
      - .offset:         64
        .size:           8
        .value_kind:     by_value
      - .offset:         72
        .size:           4
        .value_kind:     by_value
      - .offset:         80
        .size:           8
        .value_kind:     by_value
      - .address_space:  global
        .offset:         88
        .size:           8
        .value_kind:     global_buffer
      - .offset:         96
        .size:           4
        .value_kind:     by_value
      - .offset:         104
        .size:           4
        .value_kind:     hidden_block_count_x
      - .offset:         108
        .size:           4
        .value_kind:     hidden_block_count_y
      - .offset:         112
        .size:           4
        .value_kind:     hidden_block_count_z
      - .offset:         116
        .size:           2
        .value_kind:     hidden_group_size_x
      - .offset:         118
        .size:           2
        .value_kind:     hidden_group_size_y
      - .offset:         120
        .size:           2
        .value_kind:     hidden_group_size_z
      - .offset:         122
        .size:           2
        .value_kind:     hidden_remainder_x
      - .offset:         124
        .size:           2
        .value_kind:     hidden_remainder_y
      - .offset:         126
        .size:           2
        .value_kind:     hidden_remainder_z
      - .offset:         144
        .size:           8
        .value_kind:     hidden_global_offset_x
      - .offset:         152
        .size:           8
        .value_kind:     hidden_global_offset_y
      - .offset:         160
        .size:           8
        .value_kind:     hidden_global_offset_z
      - .offset:         168
        .size:           2
        .value_kind:     hidden_grid_dims
    .group_segment_fixed_size: 128
    .kernarg_segment_align: 8
    .kernarg_segment_size: 360
    .language:       OpenCL C
    .language_version:
      - 2
      - 0
    .max_flat_workgroup_size: 256
    .name:           _ZL23rocblas_gemvt_sn_kernelILb1ELi256ELi4EiDF16_ffEviiT4_lPKT3_lilS3_lilPT5_i
    .private_segment_fixed_size: 0
    .sgpr_count:     80
    .sgpr_spill_count: 0
    .symbol:         _ZL23rocblas_gemvt_sn_kernelILb1ELi256ELi4EiDF16_ffEviiT4_lPKT3_lilS3_lilPT5_i.kd
    .uniform_work_group_size: 1
    .uses_dynamic_stack: false
    .vgpr_count:     61
    .vgpr_spill_count: 0
    .wavefront_size: 32
  - .args:
      - .offset:         0
        .size:           4
        .value_kind:     by_value
      - .offset:         4
        .size:           4
        .value_kind:     by_value
      - .offset:         8
        .size:           4
        .value_kind:     by_value
      - .offset:         16
        .size:           8
        .value_kind:     by_value
      - .address_space:  global
        .offset:         24
        .size:           8
        .value_kind:     global_buffer
      - .offset:         32
        .size:           8
        .value_kind:     by_value
      - .offset:         40
        .size:           4
        .value_kind:     by_value
      - .offset:         48
        .size:           8
        .value_kind:     by_value
      - .address_space:  global
        .offset:         56
        .size:           8
        .value_kind:     global_buffer
      - .offset:         64
        .size:           8
        .value_kind:     by_value
      - .offset:         72
        .size:           4
        .value_kind:     by_value
      - .offset:         80
        .size:           8
        .value_kind:     by_value
      - .address_space:  global
        .offset:         88
        .size:           8
        .value_kind:     global_buffer
      - .offset:         96
        .size:           4
        .value_kind:     by_value
      - .offset:         104
        .size:           4
        .value_kind:     hidden_block_count_x
      - .offset:         108
        .size:           4
        .value_kind:     hidden_block_count_y
      - .offset:         112
        .size:           4
        .value_kind:     hidden_block_count_z
      - .offset:         116
        .size:           2
        .value_kind:     hidden_group_size_x
      - .offset:         118
        .size:           2
        .value_kind:     hidden_group_size_y
      - .offset:         120
        .size:           2
        .value_kind:     hidden_group_size_z
      - .offset:         122
        .size:           2
        .value_kind:     hidden_remainder_x
      - .offset:         124
        .size:           2
        .value_kind:     hidden_remainder_y
      - .offset:         126
        .size:           2
        .value_kind:     hidden_remainder_z
      - .offset:         144
        .size:           8
        .value_kind:     hidden_global_offset_x
      - .offset:         152
        .size:           8
        .value_kind:     hidden_global_offset_y
      - .offset:         160
        .size:           8
        .value_kind:     hidden_global_offset_z
      - .offset:         168
        .size:           2
        .value_kind:     hidden_grid_dims
    .group_segment_fixed_size: 128
    .kernarg_segment_align: 8
    .kernarg_segment_size: 360
    .language:       OpenCL C
    .language_version:
      - 2
      - 0
    .max_flat_workgroup_size: 256
    .name:           _ZL23rocblas_gemvt_sn_kernelILb1ELi256ELi4ElDF16_ffEviiT4_lPKT3_lilS3_lilPT5_i
    .private_segment_fixed_size: 0
    .sgpr_count:     76
    .sgpr_spill_count: 0
    .symbol:         _ZL23rocblas_gemvt_sn_kernelILb1ELi256ELi4ElDF16_ffEviiT4_lPKT3_lilS3_lilPT5_i.kd
    .uniform_work_group_size: 1
    .uses_dynamic_stack: false
    .vgpr_count:     64
    .vgpr_spill_count: 0
    .wavefront_size: 32
  - .args:
      - .offset:         0
        .size:           4
        .value_kind:     by_value
      - .offset:         4
        .size:           4
        .value_kind:     by_value
      - .address_space:  global
        .offset:         8
        .size:           8
        .value_kind:     global_buffer
      - .offset:         16
        .size:           8
        .value_kind:     by_value
      - .address_space:  global
        .offset:         24
        .size:           8
        .value_kind:     global_buffer
      - .offset:         32
        .size:           8
        .value_kind:     by_value
      - .offset:         40
        .size:           4
        .value_kind:     by_value
      - .offset:         48
        .size:           8
        .value_kind:     by_value
      - .address_space:  global
        .offset:         56
        .size:           8
        .value_kind:     global_buffer
      - .offset:         64
        .size:           8
        .value_kind:     by_value
      - .offset:         72
        .size:           4
        .value_kind:     by_value
      - .offset:         80
        .size:           8
        .value_kind:     by_value
      - .address_space:  global
        .offset:         88
        .size:           8
        .value_kind:     global_buffer
      - .offset:         96
        .size:           8
        .value_kind:     by_value
      - .address_space:  global
        .offset:         104
        .size:           8
        .value_kind:     global_buffer
      - .offset:         112
        .size:           8
        .value_kind:     by_value
      - .offset:         120
        .size:           4
        .value_kind:     by_value
      - .offset:         128
        .size:           8
        .value_kind:     by_value
      - .offset:         136
        .size:           4
        .value_kind:     by_value
    .group_segment_fixed_size: 1024
    .kernarg_segment_align: 8
    .kernarg_segment_size: 140
    .language:       OpenCL C
    .language_version:
      - 2
      - 0
    .max_flat_workgroup_size: 256
    .name:           _ZL20rocblas_gemvt_kernelILb1ELi256EDF16_PKfDF16_EviiT2_lPKT1_lilS5_lilS2_lPT3_lili
    .private_segment_fixed_size: 0
    .sgpr_count:     54
    .sgpr_spill_count: 0
    .symbol:         _ZL20rocblas_gemvt_kernelILb1ELi256EDF16_PKfDF16_EviiT2_lPKT1_lilS5_lilS2_lPT3_lili.kd
    .uniform_work_group_size: 1
    .uses_dynamic_stack: false
    .vgpr_count:     18
    .vgpr_spill_count: 0
    .wavefront_size: 32
  - .args:
      - .offset:         0
        .size:           4
        .value_kind:     by_value
      - .offset:         4
        .size:           4
        .value_kind:     by_value
      - .offset:         8
        .size:           4
        .value_kind:     by_value
      - .offset:         16
        .size:           8
        .value_kind:     by_value
      - .address_space:  global
        .offset:         24
        .size:           8
        .value_kind:     global_buffer
      - .offset:         32
        .size:           8
        .value_kind:     by_value
      - .offset:         40
        .size:           4
        .value_kind:     by_value
      - .offset:         48
        .size:           8
        .value_kind:     by_value
      - .address_space:  global
        .offset:         56
        .size:           8
        .value_kind:     global_buffer
      - .offset:         64
        .size:           8
        .value_kind:     by_value
      - .offset:         72
        .size:           4
        .value_kind:     by_value
      - .offset:         80
        .size:           8
        .value_kind:     by_value
      - .offset:         88
        .size:           4
        .value_kind:     by_value
      - .offset:         96
        .size:           8
        .value_kind:     by_value
      - .address_space:  global
        .offset:         104
        .size:           8
        .value_kind:     global_buffer
      - .offset:         112
        .size:           8
        .value_kind:     by_value
      - .offset:         120
        .size:           4
        .value_kind:     by_value
      - .offset:         128
        .size:           8
        .value_kind:     by_value
      - .offset:         136
        .size:           4
        .value_kind:     by_value
    .group_segment_fixed_size: 1024
    .kernarg_segment_align: 8
    .kernarg_segment_size: 140
    .language:       OpenCL C
    .language_version:
      - 2
      - 0
    .max_flat_workgroup_size: 256
    .name:           _ZL20rocblas_gemvt_kernelILb1ELi256EDF16_fDF16_EviiT2_lPKT1_lilS3_lilS0_lPT3_lili
    .private_segment_fixed_size: 0
    .sgpr_count:     50
    .sgpr_spill_count: 0
    .symbol:         _ZL20rocblas_gemvt_kernelILb1ELi256EDF16_fDF16_EviiT2_lPKT1_lilS3_lilS0_lPT3_lili.kd
    .uniform_work_group_size: 1
    .uses_dynamic_stack: false
    .vgpr_count:     17
    .vgpr_spill_count: 0
    .wavefront_size: 32
  - .args:
      - .offset:         0
        .size:           4
        .value_kind:     by_value
      - .offset:         4
        .size:           4
        .value_kind:     by_value
      - .address_space:  global
        .offset:         8
        .size:           8
        .value_kind:     global_buffer
      - .offset:         16
        .size:           8
        .value_kind:     by_value
      - .address_space:  global
        .offset:         24
        .size:           8
        .value_kind:     global_buffer
      - .offset:         32
        .size:           8
        .value_kind:     by_value
      - .offset:         40
        .size:           4
        .value_kind:     by_value
      - .offset:         48
        .size:           8
        .value_kind:     by_value
      - .address_space:  global
        .offset:         56
        .size:           8
        .value_kind:     global_buffer
      - .offset:         64
        .size:           8
        .value_kind:     by_value
      - .offset:         72
        .size:           4
        .value_kind:     by_value
      - .offset:         80
        .size:           8
        .value_kind:     by_value
      - .address_space:  global
        .offset:         88
        .size:           8
        .value_kind:     global_buffer
      - .offset:         96
        .size:           8
        .value_kind:     by_value
      - .address_space:  global
        .offset:         104
        .size:           8
        .value_kind:     global_buffer
      - .offset:         112
        .size:           8
        .value_kind:     by_value
      - .offset:         120
        .size:           4
        .value_kind:     by_value
      - .offset:         128
        .size:           8
        .value_kind:     by_value
      - .offset:         136
        .size:           4
        .value_kind:     by_value
    .group_segment_fixed_size: 128
    .kernarg_segment_align: 8
    .kernarg_segment_size: 140
    .language:       OpenCL C
    .language_version:
      - 2
      - 0
    .max_flat_workgroup_size: 1024
    .name:           _ZL32rocblas_gemvt_warp_reduce_kernelILb1ELi1024EiDF16_PKfDF16_EviiT3_lPKT2_lT1_lS5_lS6_lS2_lPT4_lS6_li
    .private_segment_fixed_size: 0
    .sgpr_count:     46
    .sgpr_spill_count: 0
    .symbol:         _ZL32rocblas_gemvt_warp_reduce_kernelILb1ELi1024EiDF16_PKfDF16_EviiT3_lPKT2_lT1_lS5_lS6_lS2_lPT4_lS6_li.kd
    .uniform_work_group_size: 1
    .uses_dynamic_stack: false
    .vgpr_count:     21
    .vgpr_spill_count: 0
    .wavefront_size: 32
  - .args:
      - .offset:         0
        .size:           4
        .value_kind:     by_value
      - .offset:         4
        .size:           4
        .value_kind:     by_value
      - .address_space:  global
        .offset:         8
        .size:           8
        .value_kind:     global_buffer
      - .offset:         16
        .size:           8
        .value_kind:     by_value
      - .address_space:  global
        .offset:         24
        .size:           8
        .value_kind:     global_buffer
      - .offset:         32
        .size:           8
        .value_kind:     by_value
      - .offset:         40
        .size:           8
        .value_kind:     by_value
      - .offset:         48
        .size:           8
        .value_kind:     by_value
      - .address_space:  global
        .offset:         56
        .size:           8
        .value_kind:     global_buffer
      - .offset:         64
        .size:           8
        .value_kind:     by_value
      - .offset:         72
        .size:           8
        .value_kind:     by_value
      - .offset:         80
        .size:           8
        .value_kind:     by_value
      - .address_space:  global
        .offset:         88
        .size:           8
        .value_kind:     global_buffer
      - .offset:         96
        .size:           8
        .value_kind:     by_value
      - .address_space:  global
        .offset:         104
        .size:           8
        .value_kind:     global_buffer
      - .offset:         112
        .size:           8
        .value_kind:     by_value
      - .offset:         120
        .size:           8
        .value_kind:     by_value
      - .offset:         128
        .size:           8
        .value_kind:     by_value
      - .offset:         136
        .size:           4
        .value_kind:     by_value
    .group_segment_fixed_size: 128
    .kernarg_segment_align: 8
    .kernarg_segment_size: 140
    .language:       OpenCL C
    .language_version:
      - 2
      - 0
    .max_flat_workgroup_size: 1024
    .name:           _ZL32rocblas_gemvt_warp_reduce_kernelILb1ELi1024ElDF16_PKfDF16_EviiT3_lPKT2_lT1_lS5_lS6_lS2_lPT4_lS6_li
    .private_segment_fixed_size: 0
    .sgpr_count:     54
    .sgpr_spill_count: 0
    .symbol:         _ZL32rocblas_gemvt_warp_reduce_kernelILb1ELi1024ElDF16_PKfDF16_EviiT3_lPKT2_lT1_lS5_lS6_lS2_lPT4_lS6_li.kd
    .uniform_work_group_size: 1
    .uses_dynamic_stack: false
    .vgpr_count:     23
    .vgpr_spill_count: 0
    .wavefront_size: 32
  - .args:
      - .offset:         0
        .size:           4
        .value_kind:     by_value
      - .offset:         4
        .size:           4
        .value_kind:     by_value
      - .offset:         8
        .size:           4
        .value_kind:     by_value
      - .offset:         16
        .size:           8
        .value_kind:     by_value
      - .address_space:  global
        .offset:         24
        .size:           8
        .value_kind:     global_buffer
      - .offset:         32
        .size:           8
        .value_kind:     by_value
      - .offset:         40
        .size:           4
        .value_kind:     by_value
      - .offset:         48
        .size:           8
        .value_kind:     by_value
      - .address_space:  global
        .offset:         56
        .size:           8
        .value_kind:     global_buffer
      - .offset:         64
        .size:           8
        .value_kind:     by_value
      - .offset:         72
        .size:           4
        .value_kind:     by_value
      - .offset:         80
        .size:           8
        .value_kind:     by_value
      - .offset:         88
        .size:           4
        .value_kind:     by_value
      - .offset:         96
        .size:           8
        .value_kind:     by_value
      - .address_space:  global
        .offset:         104
        .size:           8
        .value_kind:     global_buffer
      - .offset:         112
        .size:           8
        .value_kind:     by_value
      - .offset:         120
        .size:           4
        .value_kind:     by_value
      - .offset:         128
        .size:           8
        .value_kind:     by_value
      - .offset:         136
        .size:           4
        .value_kind:     by_value
    .group_segment_fixed_size: 128
    .kernarg_segment_align: 8
    .kernarg_segment_size: 140
    .language:       OpenCL C
    .language_version:
      - 2
      - 0
    .max_flat_workgroup_size: 1024
    .name:           _ZL32rocblas_gemvt_warp_reduce_kernelILb1ELi1024EiDF16_fDF16_EviiT3_lPKT2_lT1_lS3_lS4_lS0_lPT4_lS4_li
    .private_segment_fixed_size: 0
    .sgpr_count:     42
    .sgpr_spill_count: 0
    .symbol:         _ZL32rocblas_gemvt_warp_reduce_kernelILb1ELi1024EiDF16_fDF16_EviiT3_lPKT2_lT1_lS3_lS4_lS0_lPT4_lS4_li.kd
    .uniform_work_group_size: 1
    .uses_dynamic_stack: false
    .vgpr_count:     20
    .vgpr_spill_count: 0
    .wavefront_size: 32
  - .args:
      - .offset:         0
        .size:           4
        .value_kind:     by_value
      - .offset:         4
        .size:           4
        .value_kind:     by_value
      - .offset:         8
        .size:           4
        .value_kind:     by_value
      - .offset:         16
        .size:           8
        .value_kind:     by_value
      - .address_space:  global
        .offset:         24
        .size:           8
        .value_kind:     global_buffer
      - .offset:         32
        .size:           8
        .value_kind:     by_value
      - .offset:         40
        .size:           8
        .value_kind:     by_value
      - .offset:         48
        .size:           8
        .value_kind:     by_value
      - .address_space:  global
        .offset:         56
        .size:           8
        .value_kind:     global_buffer
      - .offset:         64
        .size:           8
        .value_kind:     by_value
      - .offset:         72
        .size:           8
        .value_kind:     by_value
      - .offset:         80
        .size:           8
        .value_kind:     by_value
      - .offset:         88
        .size:           4
        .value_kind:     by_value
      - .offset:         96
        .size:           8
        .value_kind:     by_value
      - .address_space:  global
        .offset:         104
        .size:           8
        .value_kind:     global_buffer
      - .offset:         112
        .size:           8
        .value_kind:     by_value
      - .offset:         120
        .size:           8
        .value_kind:     by_value
      - .offset:         128
        .size:           8
        .value_kind:     by_value
      - .offset:         136
        .size:           4
        .value_kind:     by_value
    .group_segment_fixed_size: 128
    .kernarg_segment_align: 8
    .kernarg_segment_size: 140
    .language:       OpenCL C
    .language_version:
      - 2
      - 0
    .max_flat_workgroup_size: 1024
    .name:           _ZL32rocblas_gemvt_warp_reduce_kernelILb1ELi1024ElDF16_fDF16_EviiT3_lPKT2_lT1_lS3_lS4_lS0_lPT4_lS4_li
    .private_segment_fixed_size: 0
    .sgpr_count:     44
    .sgpr_spill_count: 0
    .symbol:         _ZL32rocblas_gemvt_warp_reduce_kernelILb1ELi1024ElDF16_fDF16_EviiT3_lPKT2_lT1_lS3_lS4_lS0_lPT4_lS4_li.kd
    .uniform_work_group_size: 1
    .uses_dynamic_stack: false
    .vgpr_count:     22
    .vgpr_spill_count: 0
    .wavefront_size: 32
  - .args:
      - .offset:         0
        .size:           4
        .value_kind:     by_value
      - .offset:         4
        .size:           4
        .value_kind:     by_value
      - .address_space:  global
        .offset:         8
        .size:           8
        .value_kind:     global_buffer
      - .offset:         16
        .size:           8
        .value_kind:     by_value
      - .address_space:  global
        .offset:         24
        .size:           8
        .value_kind:     global_buffer
      - .offset:         32
        .size:           8
        .value_kind:     by_value
      - .offset:         40
        .size:           4
        .value_kind:     by_value
      - .offset:         48
        .size:           8
        .value_kind:     by_value
      - .address_space:  global
        .offset:         56
        .size:           8
        .value_kind:     global_buffer
      - .offset:         64
        .size:           8
        .value_kind:     by_value
      - .offset:         72
        .size:           4
        .value_kind:     by_value
      - .offset:         80
        .size:           8
        .value_kind:     by_value
      - .address_space:  global
        .offset:         88
        .size:           8
        .value_kind:     global_buffer
      - .offset:         96
        .size:           8
        .value_kind:     by_value
      - .address_space:  global
        .offset:         104
        .size:           8
        .value_kind:     global_buffer
      - .offset:         112
        .size:           8
        .value_kind:     by_value
      - .offset:         120
        .size:           4
        .value_kind:     by_value
      - .offset:         128
        .size:           8
        .value_kind:     by_value
      - .offset:         136
        .size:           4
        .value_kind:     by_value
    .group_segment_fixed_size: 0
    .kernarg_segment_align: 8
    .kernarg_segment_size: 140
    .language:       OpenCL C
    .language_version:
      - 2
      - 0
    .max_flat_workgroup_size: 768
    .name:           _ZL34rocblas_gemvn_sm_mn_batched_kernelILi32ELi24EPKDF16_PKfKPDF16_EviiT2_lPKT1_lilS9_lilS6_lPT3_lili
    .private_segment_fixed_size: 0
    .sgpr_count:     0
    .sgpr_spill_count: 0
    .symbol:         _ZL34rocblas_gemvn_sm_mn_batched_kernelILi32ELi24EPKDF16_PKfKPDF16_EviiT2_lPKT1_lilS9_lilS6_lPT3_lili.kd
    .uniform_work_group_size: 1
    .uses_dynamic_stack: false
    .vgpr_count:     0
    .vgpr_spill_count: 0
    .wavefront_size: 32
  - .args:
      - .offset:         0
        .size:           4
        .value_kind:     by_value
      - .offset:         4
        .size:           4
        .value_kind:     by_value
      - .offset:         8
        .size:           4
        .value_kind:     by_value
      - .offset:         16
        .size:           8
        .value_kind:     by_value
      - .address_space:  global
        .offset:         24
        .size:           8
        .value_kind:     global_buffer
      - .offset:         32
        .size:           8
        .value_kind:     by_value
      - .offset:         40
        .size:           4
        .value_kind:     by_value
      - .offset:         48
        .size:           8
        .value_kind:     by_value
      - .address_space:  global
        .offset:         56
        .size:           8
        .value_kind:     global_buffer
      - .offset:         64
        .size:           8
        .value_kind:     by_value
      - .offset:         72
        .size:           4
        .value_kind:     by_value
      - .offset:         80
        .size:           8
        .value_kind:     by_value
      - .offset:         88
        .size:           4
        .value_kind:     by_value
      - .offset:         96
        .size:           8
        .value_kind:     by_value
      - .address_space:  global
        .offset:         104
        .size:           8
        .value_kind:     global_buffer
      - .offset:         112
        .size:           8
        .value_kind:     by_value
      - .offset:         120
        .size:           4
        .value_kind:     by_value
      - .offset:         128
        .size:           8
        .value_kind:     by_value
      - .offset:         136
        .size:           4
        .value_kind:     by_value
    .group_segment_fixed_size: 0
    .kernarg_segment_align: 8
    .kernarg_segment_size: 140
    .language:       OpenCL C
    .language_version:
      - 2
      - 0
    .max_flat_workgroup_size: 768
    .name:           _ZL34rocblas_gemvn_sm_mn_batched_kernelILi32ELi24EPKDF16_fKPDF16_EviiT2_lPKT1_lilS7_lilS4_lPT3_lili
    .private_segment_fixed_size: 0
    .sgpr_count:     0
    .sgpr_spill_count: 0
    .symbol:         _ZL34rocblas_gemvn_sm_mn_batched_kernelILi32ELi24EPKDF16_fKPDF16_EviiT2_lPKT1_lilS7_lilS4_lPT3_lili.kd
    .uniform_work_group_size: 1
    .uses_dynamic_stack: false
    .vgpr_count:     0
    .vgpr_spill_count: 0
    .wavefront_size: 32
  - .args:
      - .offset:         0
        .size:           4
        .value_kind:     by_value
      - .offset:         4
        .size:           4
        .value_kind:     by_value
      - .address_space:  global
        .offset:         8
        .size:           8
        .value_kind:     global_buffer
      - .offset:         16
        .size:           8
        .value_kind:     by_value
      - .address_space:  global
        .offset:         24
        .size:           8
        .value_kind:     global_buffer
      - .offset:         32
        .size:           8
        .value_kind:     by_value
      - .offset:         40
        .size:           4
        .value_kind:     by_value
      - .offset:         48
        .size:           8
        .value_kind:     by_value
      - .address_space:  global
        .offset:         56
        .size:           8
        .value_kind:     global_buffer
      - .offset:         64
        .size:           8
        .value_kind:     by_value
      - .offset:         72
        .size:           4
        .value_kind:     by_value
      - .offset:         80
        .size:           8
        .value_kind:     by_value
      - .address_space:  global
        .offset:         88
        .size:           8
        .value_kind:     global_buffer
      - .offset:         96
        .size:           8
        .value_kind:     by_value
      - .address_space:  global
        .offset:         104
        .size:           8
        .value_kind:     global_buffer
      - .offset:         112
        .size:           8
        .value_kind:     by_value
      - .offset:         120
        .size:           4
        .value_kind:     by_value
      - .offset:         128
        .size:           8
        .value_kind:     by_value
      - .offset:         136
        .size:           4
        .value_kind:     by_value
      - .offset:         144
        .size:           4
        .value_kind:     hidden_block_count_x
      - .offset:         148
        .size:           4
        .value_kind:     hidden_block_count_y
      - .offset:         152
        .size:           4
        .value_kind:     hidden_block_count_z
      - .offset:         156
        .size:           2
        .value_kind:     hidden_group_size_x
      - .offset:         158
        .size:           2
        .value_kind:     hidden_group_size_y
      - .offset:         160
        .size:           2
        .value_kind:     hidden_group_size_z
      - .offset:         162
        .size:           2
        .value_kind:     hidden_remainder_x
      - .offset:         164
        .size:           2
        .value_kind:     hidden_remainder_y
      - .offset:         166
        .size:           2
        .value_kind:     hidden_remainder_z
      - .offset:         184
        .size:           8
        .value_kind:     hidden_global_offset_x
      - .offset:         192
        .size:           8
        .value_kind:     hidden_global_offset_y
      - .offset:         200
        .size:           8
        .value_kind:     hidden_global_offset_z
      - .offset:         208
        .size:           2
        .value_kind:     hidden_grid_dims
    .group_segment_fixed_size: 4096
    .kernarg_segment_align: 8
    .kernarg_segment_size: 400
    .language:       OpenCL C
    .language_version:
      - 2
      - 0
    .max_flat_workgroup_size: 256
    .name:           _ZL20rocblas_gemvn_kernelILi64ELi4EiPKDF16_PKfKPDF16_EviiT3_lPKT2_lT1_lS9_lSA_lS6_lPT4_lSA_li
    .private_segment_fixed_size: 0
    .sgpr_count:     52
    .sgpr_spill_count: 0
    .symbol:         _ZL20rocblas_gemvn_kernelILi64ELi4EiPKDF16_PKfKPDF16_EviiT3_lPKT2_lT1_lS9_lSA_lS6_lPT4_lSA_li.kd
    .uniform_work_group_size: 1
    .uses_dynamic_stack: false
    .vgpr_count:     65
    .vgpr_spill_count: 0
    .wavefront_size: 32
  - .args:
      - .offset:         0
        .size:           4
        .value_kind:     by_value
      - .offset:         4
        .size:           4
        .value_kind:     by_value
      - .address_space:  global
        .offset:         8
        .size:           8
        .value_kind:     global_buffer
      - .offset:         16
        .size:           8
        .value_kind:     by_value
      - .address_space:  global
        .offset:         24
        .size:           8
        .value_kind:     global_buffer
      - .offset:         32
        .size:           8
        .value_kind:     by_value
      - .offset:         40
        .size:           8
        .value_kind:     by_value
      - .offset:         48
        .size:           8
        .value_kind:     by_value
      - .address_space:  global
        .offset:         56
        .size:           8
        .value_kind:     global_buffer
      - .offset:         64
        .size:           8
        .value_kind:     by_value
      - .offset:         72
        .size:           8
        .value_kind:     by_value
      - .offset:         80
        .size:           8
        .value_kind:     by_value
      - .address_space:  global
        .offset:         88
        .size:           8
        .value_kind:     global_buffer
      - .offset:         96
        .size:           8
        .value_kind:     by_value
      - .address_space:  global
        .offset:         104
        .size:           8
        .value_kind:     global_buffer
      - .offset:         112
        .size:           8
        .value_kind:     by_value
      - .offset:         120
        .size:           8
        .value_kind:     by_value
      - .offset:         128
        .size:           8
        .value_kind:     by_value
      - .offset:         136
        .size:           4
        .value_kind:     by_value
      - .offset:         144
        .size:           4
        .value_kind:     hidden_block_count_x
      - .offset:         148
        .size:           4
        .value_kind:     hidden_block_count_y
      - .offset:         152
        .size:           4
        .value_kind:     hidden_block_count_z
      - .offset:         156
        .size:           2
        .value_kind:     hidden_group_size_x
      - .offset:         158
        .size:           2
        .value_kind:     hidden_group_size_y
      - .offset:         160
        .size:           2
        .value_kind:     hidden_group_size_z
      - .offset:         162
        .size:           2
        .value_kind:     hidden_remainder_x
      - .offset:         164
        .size:           2
        .value_kind:     hidden_remainder_y
      - .offset:         166
        .size:           2
        .value_kind:     hidden_remainder_z
      - .offset:         184
        .size:           8
        .value_kind:     hidden_global_offset_x
      - .offset:         192
        .size:           8
        .value_kind:     hidden_global_offset_y
      - .offset:         200
        .size:           8
        .value_kind:     hidden_global_offset_z
      - .offset:         208
        .size:           2
        .value_kind:     hidden_grid_dims
    .group_segment_fixed_size: 4096
    .kernarg_segment_align: 8
    .kernarg_segment_size: 400
    .language:       OpenCL C
    .language_version:
      - 2
      - 0
    .max_flat_workgroup_size: 256
    .name:           _ZL20rocblas_gemvn_kernelILi64ELi4ElPKDF16_PKfKPDF16_EviiT3_lPKT2_lT1_lS9_lSA_lS6_lPT4_lSA_li
    .private_segment_fixed_size: 0
    .sgpr_count:     53
    .sgpr_spill_count: 0
    .symbol:         _ZL20rocblas_gemvn_kernelILi64ELi4ElPKDF16_PKfKPDF16_EviiT3_lPKT2_lT1_lS9_lSA_lS6_lPT4_lSA_li.kd
    .uniform_work_group_size: 1
    .uses_dynamic_stack: false
    .vgpr_count:     80
    .vgpr_spill_count: 0
    .wavefront_size: 32
  - .args:
      - .offset:         0
        .size:           4
        .value_kind:     by_value
      - .offset:         4
        .size:           4
        .value_kind:     by_value
      - .offset:         8
        .size:           4
        .value_kind:     by_value
      - .offset:         16
        .size:           8
        .value_kind:     by_value
      - .address_space:  global
        .offset:         24
        .size:           8
        .value_kind:     global_buffer
      - .offset:         32
        .size:           8
        .value_kind:     by_value
      - .offset:         40
        .size:           4
        .value_kind:     by_value
      - .offset:         48
        .size:           8
        .value_kind:     by_value
      - .address_space:  global
        .offset:         56
        .size:           8
        .value_kind:     global_buffer
      - .offset:         64
        .size:           8
        .value_kind:     by_value
      - .offset:         72
        .size:           4
        .value_kind:     by_value
      - .offset:         80
        .size:           8
        .value_kind:     by_value
      - .offset:         88
        .size:           4
        .value_kind:     by_value
      - .offset:         96
        .size:           8
        .value_kind:     by_value
      - .address_space:  global
        .offset:         104
        .size:           8
        .value_kind:     global_buffer
      - .offset:         112
        .size:           8
        .value_kind:     by_value
      - .offset:         120
        .size:           4
        .value_kind:     by_value
      - .offset:         128
        .size:           8
        .value_kind:     by_value
      - .offset:         136
        .size:           4
        .value_kind:     by_value
      - .offset:         144
        .size:           4
        .value_kind:     hidden_block_count_x
      - .offset:         148
        .size:           4
        .value_kind:     hidden_block_count_y
      - .offset:         152
        .size:           4
        .value_kind:     hidden_block_count_z
      - .offset:         156
        .size:           2
        .value_kind:     hidden_group_size_x
      - .offset:         158
        .size:           2
        .value_kind:     hidden_group_size_y
      - .offset:         160
        .size:           2
        .value_kind:     hidden_group_size_z
      - .offset:         162
        .size:           2
        .value_kind:     hidden_remainder_x
      - .offset:         164
        .size:           2
        .value_kind:     hidden_remainder_y
      - .offset:         166
        .size:           2
        .value_kind:     hidden_remainder_z
      - .offset:         184
        .size:           8
        .value_kind:     hidden_global_offset_x
      - .offset:         192
        .size:           8
        .value_kind:     hidden_global_offset_y
      - .offset:         200
        .size:           8
        .value_kind:     hidden_global_offset_z
      - .offset:         208
        .size:           2
        .value_kind:     hidden_grid_dims
    .group_segment_fixed_size: 4096
    .kernarg_segment_align: 8
    .kernarg_segment_size: 400
    .language:       OpenCL C
    .language_version:
      - 2
      - 0
    .max_flat_workgroup_size: 256
    .name:           _ZL20rocblas_gemvn_kernelILi64ELi4EiPKDF16_fKPDF16_EviiT3_lPKT2_lT1_lS7_lS8_lS4_lPT4_lS8_li
    .private_segment_fixed_size: 0
    .sgpr_count:     48
    .sgpr_spill_count: 0
    .symbol:         _ZL20rocblas_gemvn_kernelILi64ELi4EiPKDF16_fKPDF16_EviiT3_lPKT2_lT1_lS7_lS8_lS4_lPT4_lS8_li.kd
    .uniform_work_group_size: 1
    .uses_dynamic_stack: false
    .vgpr_count:     64
    .vgpr_spill_count: 0
    .wavefront_size: 32
  - .args:
      - .offset:         0
        .size:           4
        .value_kind:     by_value
      - .offset:         4
        .size:           4
        .value_kind:     by_value
      - .offset:         8
        .size:           4
        .value_kind:     by_value
      - .offset:         16
        .size:           8
        .value_kind:     by_value
      - .address_space:  global
        .offset:         24
        .size:           8
        .value_kind:     global_buffer
      - .offset:         32
        .size:           8
        .value_kind:     by_value
      - .offset:         40
        .size:           8
        .value_kind:     by_value
      - .offset:         48
        .size:           8
        .value_kind:     by_value
      - .address_space:  global
        .offset:         56
        .size:           8
        .value_kind:     global_buffer
      - .offset:         64
        .size:           8
        .value_kind:     by_value
      - .offset:         72
        .size:           8
        .value_kind:     by_value
      - .offset:         80
        .size:           8
        .value_kind:     by_value
      - .offset:         88
        .size:           4
        .value_kind:     by_value
      - .offset:         96
        .size:           8
        .value_kind:     by_value
      - .address_space:  global
        .offset:         104
        .size:           8
        .value_kind:     global_buffer
      - .offset:         112
        .size:           8
        .value_kind:     by_value
      - .offset:         120
        .size:           8
        .value_kind:     by_value
      - .offset:         128
        .size:           8
        .value_kind:     by_value
      - .offset:         136
        .size:           4
        .value_kind:     by_value
      - .offset:         144
        .size:           4
        .value_kind:     hidden_block_count_x
      - .offset:         148
        .size:           4
        .value_kind:     hidden_block_count_y
      - .offset:         152
        .size:           4
        .value_kind:     hidden_block_count_z
      - .offset:         156
        .size:           2
        .value_kind:     hidden_group_size_x
      - .offset:         158
        .size:           2
        .value_kind:     hidden_group_size_y
      - .offset:         160
        .size:           2
        .value_kind:     hidden_group_size_z
      - .offset:         162
        .size:           2
        .value_kind:     hidden_remainder_x
      - .offset:         164
        .size:           2
        .value_kind:     hidden_remainder_y
      - .offset:         166
        .size:           2
        .value_kind:     hidden_remainder_z
      - .offset:         184
        .size:           8
        .value_kind:     hidden_global_offset_x
      - .offset:         192
        .size:           8
        .value_kind:     hidden_global_offset_y
      - .offset:         200
        .size:           8
        .value_kind:     hidden_global_offset_z
      - .offset:         208
        .size:           2
        .value_kind:     hidden_grid_dims
    .group_segment_fixed_size: 4096
    .kernarg_segment_align: 8
    .kernarg_segment_size: 400
    .language:       OpenCL C
    .language_version:
      - 2
      - 0
    .max_flat_workgroup_size: 256
    .name:           _ZL20rocblas_gemvn_kernelILi64ELi4ElPKDF16_fKPDF16_EviiT3_lPKT2_lT1_lS7_lS8_lS4_lPT4_lS8_li
    .private_segment_fixed_size: 0
    .sgpr_count:     49
    .sgpr_spill_count: 0
    .symbol:         _ZL20rocblas_gemvn_kernelILi64ELi4ElPKDF16_fKPDF16_EviiT3_lPKT2_lT1_lS7_lS8_lS4_lPT4_lS8_li.kd
    .uniform_work_group_size: 1
    .uses_dynamic_stack: false
    .vgpr_count:     80
    .vgpr_spill_count: 0
    .wavefront_size: 32
  - .args:
      - .offset:         0
        .size:           4
        .value_kind:     by_value
      - .offset:         4
        .size:           4
        .value_kind:     by_value
      - .address_space:  global
        .offset:         8
        .size:           8
        .value_kind:     global_buffer
      - .offset:         16
        .size:           8
        .value_kind:     by_value
      - .address_space:  global
        .offset:         24
        .size:           8
        .value_kind:     global_buffer
      - .offset:         32
        .size:           8
        .value_kind:     by_value
      - .offset:         40
        .size:           4
        .value_kind:     by_value
      - .offset:         48
        .size:           8
        .value_kind:     by_value
      - .address_space:  global
        .offset:         56
        .size:           8
        .value_kind:     global_buffer
      - .offset:         64
        .size:           8
        .value_kind:     by_value
      - .offset:         72
        .size:           4
        .value_kind:     by_value
      - .offset:         80
        .size:           8
        .value_kind:     by_value
      - .address_space:  global
        .offset:         88
        .size:           8
        .value_kind:     global_buffer
      - .offset:         96
        .size:           8
        .value_kind:     by_value
      - .address_space:  global
        .offset:         104
        .size:           8
        .value_kind:     global_buffer
      - .offset:         112
        .size:           8
        .value_kind:     by_value
      - .offset:         120
        .size:           4
        .value_kind:     by_value
      - .offset:         128
        .size:           8
        .value_kind:     by_value
      - .offset:         136
        .size:           4
        .value_kind:     by_value
      - .offset:         144
        .size:           4
        .value_kind:     hidden_block_count_x
      - .offset:         148
        .size:           4
        .value_kind:     hidden_block_count_y
      - .offset:         152
        .size:           4
        .value_kind:     hidden_block_count_z
      - .offset:         156
        .size:           2
        .value_kind:     hidden_group_size_x
      - .offset:         158
        .size:           2
        .value_kind:     hidden_group_size_y
      - .offset:         160
        .size:           2
        .value_kind:     hidden_group_size_z
      - .offset:         162
        .size:           2
        .value_kind:     hidden_remainder_x
      - .offset:         164
        .size:           2
        .value_kind:     hidden_remainder_y
      - .offset:         166
        .size:           2
        .value_kind:     hidden_remainder_z
      - .offset:         184
        .size:           8
        .value_kind:     hidden_global_offset_x
      - .offset:         192
        .size:           8
        .value_kind:     hidden_global_offset_y
      - .offset:         200
        .size:           8
        .value_kind:     hidden_global_offset_z
      - .offset:         208
        .size:           2
        .value_kind:     hidden_grid_dims
    .group_segment_fixed_size: 8192
    .kernarg_segment_align: 8
    .kernarg_segment_size: 400
    .language:       OpenCL C
    .language_version:
      - 2
      - 0
    .max_flat_workgroup_size: 512
    .name:           _ZL20rocblas_gemvn_kernelILi32ELi16EiPKDF16_PKfKPDF16_EviiT3_lPKT2_lT1_lS9_lSA_lS6_lPT4_lSA_li
    .private_segment_fixed_size: 0
    .sgpr_count:     52
    .sgpr_spill_count: 0
    .symbol:         _ZL20rocblas_gemvn_kernelILi32ELi16EiPKDF16_PKfKPDF16_EviiT3_lPKT2_lT1_lS9_lSA_lS6_lPT4_lSA_li.kd
    .uniform_work_group_size: 1
    .uses_dynamic_stack: false
    .vgpr_count:     65
    .vgpr_spill_count: 0
    .wavefront_size: 32
  - .args:
      - .offset:         0
        .size:           4
        .value_kind:     by_value
      - .offset:         4
        .size:           4
        .value_kind:     by_value
      - .address_space:  global
        .offset:         8
        .size:           8
        .value_kind:     global_buffer
      - .offset:         16
        .size:           8
        .value_kind:     by_value
      - .address_space:  global
        .offset:         24
        .size:           8
        .value_kind:     global_buffer
      - .offset:         32
        .size:           8
        .value_kind:     by_value
      - .offset:         40
        .size:           8
        .value_kind:     by_value
      - .offset:         48
        .size:           8
        .value_kind:     by_value
      - .address_space:  global
        .offset:         56
        .size:           8
        .value_kind:     global_buffer
      - .offset:         64
        .size:           8
        .value_kind:     by_value
      - .offset:         72
        .size:           8
        .value_kind:     by_value
      - .offset:         80
        .size:           8
        .value_kind:     by_value
      - .address_space:  global
        .offset:         88
        .size:           8
        .value_kind:     global_buffer
      - .offset:         96
        .size:           8
        .value_kind:     by_value
      - .address_space:  global
        .offset:         104
        .size:           8
        .value_kind:     global_buffer
      - .offset:         112
        .size:           8
        .value_kind:     by_value
      - .offset:         120
        .size:           8
        .value_kind:     by_value
      - .offset:         128
        .size:           8
        .value_kind:     by_value
      - .offset:         136
        .size:           4
        .value_kind:     by_value
      - .offset:         144
        .size:           4
        .value_kind:     hidden_block_count_x
      - .offset:         148
        .size:           4
        .value_kind:     hidden_block_count_y
      - .offset:         152
        .size:           4
        .value_kind:     hidden_block_count_z
      - .offset:         156
        .size:           2
        .value_kind:     hidden_group_size_x
      - .offset:         158
        .size:           2
        .value_kind:     hidden_group_size_y
      - .offset:         160
        .size:           2
        .value_kind:     hidden_group_size_z
      - .offset:         162
        .size:           2
        .value_kind:     hidden_remainder_x
      - .offset:         164
        .size:           2
        .value_kind:     hidden_remainder_y
      - .offset:         166
        .size:           2
        .value_kind:     hidden_remainder_z
      - .offset:         184
        .size:           8
        .value_kind:     hidden_global_offset_x
      - .offset:         192
        .size:           8
        .value_kind:     hidden_global_offset_y
      - .offset:         200
        .size:           8
        .value_kind:     hidden_global_offset_z
      - .offset:         208
        .size:           2
        .value_kind:     hidden_grid_dims
    .group_segment_fixed_size: 8192
    .kernarg_segment_align: 8
    .kernarg_segment_size: 400
    .language:       OpenCL C
    .language_version:
      - 2
      - 0
    .max_flat_workgroup_size: 512
    .name:           _ZL20rocblas_gemvn_kernelILi32ELi16ElPKDF16_PKfKPDF16_EviiT3_lPKT2_lT1_lS9_lSA_lS6_lPT4_lSA_li
    .private_segment_fixed_size: 0
    .sgpr_count:     53
    .sgpr_spill_count: 0
    .symbol:         _ZL20rocblas_gemvn_kernelILi32ELi16ElPKDF16_PKfKPDF16_EviiT3_lPKT2_lT1_lS9_lSA_lS6_lPT4_lSA_li.kd
    .uniform_work_group_size: 1
    .uses_dynamic_stack: false
    .vgpr_count:     80
    .vgpr_spill_count: 0
    .wavefront_size: 32
  - .args:
      - .offset:         0
        .size:           4
        .value_kind:     by_value
      - .offset:         4
        .size:           4
        .value_kind:     by_value
      - .offset:         8
        .size:           4
        .value_kind:     by_value
      - .offset:         16
        .size:           8
        .value_kind:     by_value
      - .address_space:  global
        .offset:         24
        .size:           8
        .value_kind:     global_buffer
      - .offset:         32
        .size:           8
        .value_kind:     by_value
      - .offset:         40
        .size:           4
        .value_kind:     by_value
      - .offset:         48
        .size:           8
        .value_kind:     by_value
      - .address_space:  global
        .offset:         56
        .size:           8
        .value_kind:     global_buffer
      - .offset:         64
        .size:           8
        .value_kind:     by_value
      - .offset:         72
        .size:           4
        .value_kind:     by_value
      - .offset:         80
        .size:           8
        .value_kind:     by_value
      - .offset:         88
        .size:           4
        .value_kind:     by_value
      - .offset:         96
        .size:           8
        .value_kind:     by_value
      - .address_space:  global
        .offset:         104
        .size:           8
        .value_kind:     global_buffer
      - .offset:         112
        .size:           8
        .value_kind:     by_value
      - .offset:         120
        .size:           4
        .value_kind:     by_value
      - .offset:         128
        .size:           8
        .value_kind:     by_value
      - .offset:         136
        .size:           4
        .value_kind:     by_value
      - .offset:         144
        .size:           4
        .value_kind:     hidden_block_count_x
      - .offset:         148
        .size:           4
        .value_kind:     hidden_block_count_y
      - .offset:         152
        .size:           4
        .value_kind:     hidden_block_count_z
      - .offset:         156
        .size:           2
        .value_kind:     hidden_group_size_x
      - .offset:         158
        .size:           2
        .value_kind:     hidden_group_size_y
      - .offset:         160
        .size:           2
        .value_kind:     hidden_group_size_z
      - .offset:         162
        .size:           2
        .value_kind:     hidden_remainder_x
      - .offset:         164
        .size:           2
        .value_kind:     hidden_remainder_y
      - .offset:         166
        .size:           2
        .value_kind:     hidden_remainder_z
      - .offset:         184
        .size:           8
        .value_kind:     hidden_global_offset_x
      - .offset:         192
        .size:           8
        .value_kind:     hidden_global_offset_y
      - .offset:         200
        .size:           8
        .value_kind:     hidden_global_offset_z
      - .offset:         208
        .size:           2
        .value_kind:     hidden_grid_dims
    .group_segment_fixed_size: 8192
    .kernarg_segment_align: 8
    .kernarg_segment_size: 400
    .language:       OpenCL C
    .language_version:
      - 2
      - 0
    .max_flat_workgroup_size: 512
    .name:           _ZL20rocblas_gemvn_kernelILi32ELi16EiPKDF16_fKPDF16_EviiT3_lPKT2_lT1_lS7_lS8_lS4_lPT4_lS8_li
    .private_segment_fixed_size: 0
    .sgpr_count:     48
    .sgpr_spill_count: 0
    .symbol:         _ZL20rocblas_gemvn_kernelILi32ELi16EiPKDF16_fKPDF16_EviiT3_lPKT2_lT1_lS7_lS8_lS4_lPT4_lS8_li.kd
    .uniform_work_group_size: 1
    .uses_dynamic_stack: false
    .vgpr_count:     64
    .vgpr_spill_count: 0
    .wavefront_size: 32
  - .args:
      - .offset:         0
        .size:           4
        .value_kind:     by_value
      - .offset:         4
        .size:           4
        .value_kind:     by_value
      - .offset:         8
        .size:           4
        .value_kind:     by_value
      - .offset:         16
        .size:           8
        .value_kind:     by_value
      - .address_space:  global
        .offset:         24
        .size:           8
        .value_kind:     global_buffer
      - .offset:         32
        .size:           8
        .value_kind:     by_value
      - .offset:         40
        .size:           8
        .value_kind:     by_value
      - .offset:         48
        .size:           8
        .value_kind:     by_value
      - .address_space:  global
        .offset:         56
        .size:           8
        .value_kind:     global_buffer
      - .offset:         64
        .size:           8
        .value_kind:     by_value
      - .offset:         72
        .size:           8
        .value_kind:     by_value
      - .offset:         80
        .size:           8
        .value_kind:     by_value
      - .offset:         88
        .size:           4
        .value_kind:     by_value
      - .offset:         96
        .size:           8
        .value_kind:     by_value
      - .address_space:  global
        .offset:         104
        .size:           8
        .value_kind:     global_buffer
      - .offset:         112
        .size:           8
        .value_kind:     by_value
      - .offset:         120
        .size:           8
        .value_kind:     by_value
      - .offset:         128
        .size:           8
        .value_kind:     by_value
      - .offset:         136
        .size:           4
        .value_kind:     by_value
      - .offset:         144
        .size:           4
        .value_kind:     hidden_block_count_x
      - .offset:         148
        .size:           4
        .value_kind:     hidden_block_count_y
      - .offset:         152
        .size:           4
        .value_kind:     hidden_block_count_z
      - .offset:         156
        .size:           2
        .value_kind:     hidden_group_size_x
      - .offset:         158
        .size:           2
        .value_kind:     hidden_group_size_y
      - .offset:         160
        .size:           2
        .value_kind:     hidden_group_size_z
      - .offset:         162
        .size:           2
        .value_kind:     hidden_remainder_x
      - .offset:         164
        .size:           2
        .value_kind:     hidden_remainder_y
      - .offset:         166
        .size:           2
        .value_kind:     hidden_remainder_z
      - .offset:         184
        .size:           8
        .value_kind:     hidden_global_offset_x
      - .offset:         192
        .size:           8
        .value_kind:     hidden_global_offset_y
      - .offset:         200
        .size:           8
        .value_kind:     hidden_global_offset_z
      - .offset:         208
        .size:           2
        .value_kind:     hidden_grid_dims
    .group_segment_fixed_size: 8192
    .kernarg_segment_align: 8
    .kernarg_segment_size: 400
    .language:       OpenCL C
    .language_version:
      - 2
      - 0
    .max_flat_workgroup_size: 512
    .name:           _ZL20rocblas_gemvn_kernelILi32ELi16ElPKDF16_fKPDF16_EviiT3_lPKT2_lT1_lS7_lS8_lS4_lPT4_lS8_li
    .private_segment_fixed_size: 0
    .sgpr_count:     49
    .sgpr_spill_count: 0
    .symbol:         _ZL20rocblas_gemvn_kernelILi32ELi16ElPKDF16_fKPDF16_EviiT3_lPKT2_lT1_lS7_lS8_lS4_lPT4_lS8_li.kd
    .uniform_work_group_size: 1
    .uses_dynamic_stack: false
    .vgpr_count:     80
    .vgpr_spill_count: 0
    .wavefront_size: 32
  - .args:
      - .offset:         0
        .size:           4
        .value_kind:     by_value
      - .offset:         4
        .size:           4
        .value_kind:     by_value
      - .address_space:  global
        .offset:         8
        .size:           8
        .value_kind:     global_buffer
      - .offset:         16
        .size:           8
        .value_kind:     by_value
      - .address_space:  global
        .offset:         24
        .size:           8
        .value_kind:     global_buffer
      - .offset:         32
        .size:           8
        .value_kind:     by_value
      - .offset:         40
        .size:           4
        .value_kind:     by_value
      - .offset:         48
        .size:           8
        .value_kind:     by_value
      - .address_space:  global
        .offset:         56
        .size:           8
        .value_kind:     global_buffer
      - .offset:         64
        .size:           8
        .value_kind:     by_value
      - .offset:         72
        .size:           4
        .value_kind:     by_value
      - .offset:         80
        .size:           8
        .value_kind:     by_value
      - .address_space:  global
        .offset:         88
        .size:           8
        .value_kind:     global_buffer
      - .offset:         96
        .size:           8
        .value_kind:     by_value
      - .address_space:  global
        .offset:         104
        .size:           8
        .value_kind:     global_buffer
      - .offset:         112
        .size:           8
        .value_kind:     by_value
      - .offset:         120
        .size:           4
        .value_kind:     by_value
      - .offset:         128
        .size:           8
        .value_kind:     by_value
      - .offset:         136
        .size:           4
        .value_kind:     by_value
      - .offset:         144
        .size:           4
        .value_kind:     hidden_block_count_x
      - .offset:         148
        .size:           4
        .value_kind:     hidden_block_count_y
      - .offset:         152
        .size:           4
        .value_kind:     hidden_block_count_z
      - .offset:         156
        .size:           2
        .value_kind:     hidden_group_size_x
      - .offset:         158
        .size:           2
        .value_kind:     hidden_group_size_y
      - .offset:         160
        .size:           2
        .value_kind:     hidden_group_size_z
      - .offset:         162
        .size:           2
        .value_kind:     hidden_remainder_x
      - .offset:         164
        .size:           2
        .value_kind:     hidden_remainder_y
      - .offset:         166
        .size:           2
        .value_kind:     hidden_remainder_z
      - .offset:         184
        .size:           8
        .value_kind:     hidden_global_offset_x
      - .offset:         192
        .size:           8
        .value_kind:     hidden_global_offset_y
      - .offset:         200
        .size:           8
        .value_kind:     hidden_global_offset_z
      - .offset:         208
        .size:           2
        .value_kind:     hidden_grid_dims
    .group_segment_fixed_size: 16384
    .kernarg_segment_align: 8
    .kernarg_segment_size: 400
    .language:       OpenCL C
    .language_version:
      - 2
      - 0
    .max_flat_workgroup_size: 1024
    .name:           _ZL20rocblas_gemvn_kernelILi64ELi16EiPKDF16_PKfKPDF16_EviiT3_lPKT2_lT1_lS9_lSA_lS6_lPT4_lSA_li
    .private_segment_fixed_size: 0
    .sgpr_count:     52
    .sgpr_spill_count: 0
    .symbol:         _ZL20rocblas_gemvn_kernelILi64ELi16EiPKDF16_PKfKPDF16_EviiT3_lPKT2_lT1_lS9_lSA_lS6_lPT4_lSA_li.kd
    .uniform_work_group_size: 1
    .uses_dynamic_stack: false
    .vgpr_count:     64
    .vgpr_spill_count: 0
    .wavefront_size: 32
  - .args:
      - .offset:         0
        .size:           4
        .value_kind:     by_value
      - .offset:         4
        .size:           4
        .value_kind:     by_value
      - .address_space:  global
        .offset:         8
        .size:           8
        .value_kind:     global_buffer
      - .offset:         16
        .size:           8
        .value_kind:     by_value
      - .address_space:  global
        .offset:         24
        .size:           8
        .value_kind:     global_buffer
      - .offset:         32
        .size:           8
        .value_kind:     by_value
      - .offset:         40
        .size:           8
        .value_kind:     by_value
      - .offset:         48
        .size:           8
        .value_kind:     by_value
      - .address_space:  global
        .offset:         56
        .size:           8
        .value_kind:     global_buffer
      - .offset:         64
        .size:           8
        .value_kind:     by_value
      - .offset:         72
        .size:           8
        .value_kind:     by_value
      - .offset:         80
        .size:           8
        .value_kind:     by_value
      - .address_space:  global
        .offset:         88
        .size:           8
        .value_kind:     global_buffer
      - .offset:         96
        .size:           8
        .value_kind:     by_value
      - .address_space:  global
        .offset:         104
        .size:           8
        .value_kind:     global_buffer
      - .offset:         112
        .size:           8
        .value_kind:     by_value
      - .offset:         120
        .size:           8
        .value_kind:     by_value
      - .offset:         128
        .size:           8
        .value_kind:     by_value
      - .offset:         136
        .size:           4
        .value_kind:     by_value
      - .offset:         144
        .size:           4
        .value_kind:     hidden_block_count_x
      - .offset:         148
        .size:           4
        .value_kind:     hidden_block_count_y
      - .offset:         152
        .size:           4
        .value_kind:     hidden_block_count_z
      - .offset:         156
        .size:           2
        .value_kind:     hidden_group_size_x
      - .offset:         158
        .size:           2
        .value_kind:     hidden_group_size_y
      - .offset:         160
        .size:           2
        .value_kind:     hidden_group_size_z
      - .offset:         162
        .size:           2
        .value_kind:     hidden_remainder_x
      - .offset:         164
        .size:           2
        .value_kind:     hidden_remainder_y
      - .offset:         166
        .size:           2
        .value_kind:     hidden_remainder_z
      - .offset:         184
        .size:           8
        .value_kind:     hidden_global_offset_x
      - .offset:         192
        .size:           8
        .value_kind:     hidden_global_offset_y
      - .offset:         200
        .size:           8
        .value_kind:     hidden_global_offset_z
      - .offset:         208
        .size:           2
        .value_kind:     hidden_grid_dims
    .group_segment_fixed_size: 16384
    .kernarg_segment_align: 8
    .kernarg_segment_size: 400
    .language:       OpenCL C
    .language_version:
      - 2
      - 0
    .max_flat_workgroup_size: 1024
    .name:           _ZL20rocblas_gemvn_kernelILi64ELi16ElPKDF16_PKfKPDF16_EviiT3_lPKT2_lT1_lS9_lSA_lS6_lPT4_lSA_li
    .private_segment_fixed_size: 0
    .sgpr_count:     53
    .sgpr_spill_count: 0
    .symbol:         _ZL20rocblas_gemvn_kernelILi64ELi16ElPKDF16_PKfKPDF16_EviiT3_lPKT2_lT1_lS9_lSA_lS6_lPT4_lSA_li.kd
    .uniform_work_group_size: 1
    .uses_dynamic_stack: false
    .vgpr_count:     76
    .vgpr_spill_count: 0
    .wavefront_size: 32
  - .args:
      - .offset:         0
        .size:           4
        .value_kind:     by_value
      - .offset:         4
        .size:           4
        .value_kind:     by_value
      - .offset:         8
        .size:           4
        .value_kind:     by_value
      - .offset:         16
        .size:           8
        .value_kind:     by_value
      - .address_space:  global
        .offset:         24
        .size:           8
        .value_kind:     global_buffer
      - .offset:         32
        .size:           8
        .value_kind:     by_value
      - .offset:         40
        .size:           4
        .value_kind:     by_value
      - .offset:         48
        .size:           8
        .value_kind:     by_value
      - .address_space:  global
        .offset:         56
        .size:           8
        .value_kind:     global_buffer
      - .offset:         64
        .size:           8
        .value_kind:     by_value
      - .offset:         72
        .size:           4
        .value_kind:     by_value
      - .offset:         80
        .size:           8
        .value_kind:     by_value
      - .offset:         88
        .size:           4
        .value_kind:     by_value
      - .offset:         96
        .size:           8
        .value_kind:     by_value
      - .address_space:  global
        .offset:         104
        .size:           8
        .value_kind:     global_buffer
      - .offset:         112
        .size:           8
        .value_kind:     by_value
      - .offset:         120
        .size:           4
        .value_kind:     by_value
      - .offset:         128
        .size:           8
        .value_kind:     by_value
      - .offset:         136
        .size:           4
        .value_kind:     by_value
      - .offset:         144
        .size:           4
        .value_kind:     hidden_block_count_x
      - .offset:         148
        .size:           4
        .value_kind:     hidden_block_count_y
      - .offset:         152
        .size:           4
        .value_kind:     hidden_block_count_z
      - .offset:         156
        .size:           2
        .value_kind:     hidden_group_size_x
      - .offset:         158
        .size:           2
        .value_kind:     hidden_group_size_y
      - .offset:         160
        .size:           2
        .value_kind:     hidden_group_size_z
      - .offset:         162
        .size:           2
        .value_kind:     hidden_remainder_x
      - .offset:         164
        .size:           2
        .value_kind:     hidden_remainder_y
      - .offset:         166
        .size:           2
        .value_kind:     hidden_remainder_z
      - .offset:         184
        .size:           8
        .value_kind:     hidden_global_offset_x
      - .offset:         192
        .size:           8
        .value_kind:     hidden_global_offset_y
      - .offset:         200
        .size:           8
        .value_kind:     hidden_global_offset_z
      - .offset:         208
        .size:           2
        .value_kind:     hidden_grid_dims
    .group_segment_fixed_size: 16384
    .kernarg_segment_align: 8
    .kernarg_segment_size: 400
    .language:       OpenCL C
    .language_version:
      - 2
      - 0
    .max_flat_workgroup_size: 1024
    .name:           _ZL20rocblas_gemvn_kernelILi64ELi16EiPKDF16_fKPDF16_EviiT3_lPKT2_lT1_lS7_lS8_lS4_lPT4_lS8_li
    .private_segment_fixed_size: 0
    .sgpr_count:     48
    .sgpr_spill_count: 0
    .symbol:         _ZL20rocblas_gemvn_kernelILi64ELi16EiPKDF16_fKPDF16_EviiT3_lPKT2_lT1_lS7_lS8_lS4_lPT4_lS8_li.kd
    .uniform_work_group_size: 1
    .uses_dynamic_stack: false
    .vgpr_count:     64
    .vgpr_spill_count: 0
    .wavefront_size: 32
  - .args:
      - .offset:         0
        .size:           4
        .value_kind:     by_value
      - .offset:         4
        .size:           4
        .value_kind:     by_value
      - .offset:         8
        .size:           4
        .value_kind:     by_value
      - .offset:         16
        .size:           8
        .value_kind:     by_value
      - .address_space:  global
        .offset:         24
        .size:           8
        .value_kind:     global_buffer
      - .offset:         32
        .size:           8
        .value_kind:     by_value
      - .offset:         40
        .size:           8
        .value_kind:     by_value
      - .offset:         48
        .size:           8
        .value_kind:     by_value
      - .address_space:  global
        .offset:         56
        .size:           8
        .value_kind:     global_buffer
      - .offset:         64
        .size:           8
        .value_kind:     by_value
      - .offset:         72
        .size:           8
        .value_kind:     by_value
      - .offset:         80
        .size:           8
        .value_kind:     by_value
      - .offset:         88
        .size:           4
        .value_kind:     by_value
      - .offset:         96
        .size:           8
        .value_kind:     by_value
      - .address_space:  global
        .offset:         104
        .size:           8
        .value_kind:     global_buffer
      - .offset:         112
        .size:           8
        .value_kind:     by_value
      - .offset:         120
        .size:           8
        .value_kind:     by_value
      - .offset:         128
        .size:           8
        .value_kind:     by_value
      - .offset:         136
        .size:           4
        .value_kind:     by_value
      - .offset:         144
        .size:           4
        .value_kind:     hidden_block_count_x
      - .offset:         148
        .size:           4
        .value_kind:     hidden_block_count_y
      - .offset:         152
        .size:           4
        .value_kind:     hidden_block_count_z
      - .offset:         156
        .size:           2
        .value_kind:     hidden_group_size_x
      - .offset:         158
        .size:           2
        .value_kind:     hidden_group_size_y
      - .offset:         160
        .size:           2
        .value_kind:     hidden_group_size_z
      - .offset:         162
        .size:           2
        .value_kind:     hidden_remainder_x
      - .offset:         164
        .size:           2
        .value_kind:     hidden_remainder_y
      - .offset:         166
        .size:           2
        .value_kind:     hidden_remainder_z
      - .offset:         184
        .size:           8
        .value_kind:     hidden_global_offset_x
      - .offset:         192
        .size:           8
        .value_kind:     hidden_global_offset_y
      - .offset:         200
        .size:           8
        .value_kind:     hidden_global_offset_z
      - .offset:         208
        .size:           2
        .value_kind:     hidden_grid_dims
    .group_segment_fixed_size: 16384
    .kernarg_segment_align: 8
    .kernarg_segment_size: 400
    .language:       OpenCL C
    .language_version:
      - 2
      - 0
    .max_flat_workgroup_size: 1024
    .name:           _ZL20rocblas_gemvn_kernelILi64ELi16ElPKDF16_fKPDF16_EviiT3_lPKT2_lT1_lS7_lS8_lS4_lPT4_lS8_li
    .private_segment_fixed_size: 0
    .sgpr_count:     49
    .sgpr_spill_count: 0
    .symbol:         _ZL20rocblas_gemvn_kernelILi64ELi16ElPKDF16_fKPDF16_EviiT3_lPKT2_lT1_lS7_lS8_lS4_lPT4_lS8_li.kd
    .uniform_work_group_size: 1
    .uses_dynamic_stack: false
    .vgpr_count:     76
    .vgpr_spill_count: 0
    .wavefront_size: 32
  - .args:
      - .offset:         0
        .size:           4
        .value_kind:     by_value
      - .offset:         4
        .size:           4
        .value_kind:     by_value
      - .address_space:  global
        .offset:         8
        .size:           8
        .value_kind:     global_buffer
      - .offset:         16
        .size:           8
        .value_kind:     by_value
      - .address_space:  global
        .offset:         24
        .size:           8
        .value_kind:     global_buffer
      - .offset:         32
        .size:           8
        .value_kind:     by_value
      - .offset:         40
        .size:           4
        .value_kind:     by_value
      - .offset:         48
        .size:           8
        .value_kind:     by_value
      - .address_space:  global
        .offset:         56
        .size:           8
        .value_kind:     global_buffer
      - .offset:         64
        .size:           8
        .value_kind:     by_value
      - .offset:         72
        .size:           4
        .value_kind:     by_value
      - .offset:         80
        .size:           8
        .value_kind:     by_value
      - .address_space:  global
        .offset:         88
        .size:           8
        .value_kind:     global_buffer
      - .offset:         96
        .size:           8
        .value_kind:     by_value
      - .address_space:  global
        .offset:         104
        .size:           8
        .value_kind:     global_buffer
      - .offset:         112
        .size:           8
        .value_kind:     by_value
      - .offset:         120
        .size:           4
        .value_kind:     by_value
      - .offset:         128
        .size:           8
        .value_kind:     by_value
    .group_segment_fixed_size: 256
    .kernarg_segment_align: 8
    .kernarg_segment_size: 136
    .language:       OpenCL C
    .language_version:
      - 2
      - 0
    .max_flat_workgroup_size: 256
    .name:           _ZL22rocblas_gemvtsm_kernelILb0ELi256EPKDF16_PKfKPDF16_EviiT2_lPKT1_lilS9_lilS6_lPT3_lil
    .private_segment_fixed_size: 0
    .sgpr_count:     24
    .sgpr_spill_count: 0
    .symbol:         _ZL22rocblas_gemvtsm_kernelILb0ELi256EPKDF16_PKfKPDF16_EviiT2_lPKT1_lilS9_lilS6_lPT3_lil.kd
    .uniform_work_group_size: 1
    .uses_dynamic_stack: false
    .vgpr_count:     24
    .vgpr_spill_count: 0
    .wavefront_size: 32
  - .args:
      - .offset:         0
        .size:           4
        .value_kind:     by_value
      - .offset:         4
        .size:           4
        .value_kind:     by_value
      - .offset:         8
        .size:           4
        .value_kind:     by_value
      - .offset:         16
        .size:           8
        .value_kind:     by_value
      - .address_space:  global
        .offset:         24
        .size:           8
        .value_kind:     global_buffer
      - .offset:         32
        .size:           8
        .value_kind:     by_value
      - .offset:         40
        .size:           4
        .value_kind:     by_value
      - .offset:         48
        .size:           8
        .value_kind:     by_value
      - .address_space:  global
        .offset:         56
        .size:           8
        .value_kind:     global_buffer
      - .offset:         64
        .size:           8
        .value_kind:     by_value
      - .offset:         72
        .size:           4
        .value_kind:     by_value
      - .offset:         80
        .size:           8
        .value_kind:     by_value
      - .offset:         88
        .size:           4
        .value_kind:     by_value
      - .offset:         96
        .size:           8
        .value_kind:     by_value
      - .address_space:  global
        .offset:         104
        .size:           8
        .value_kind:     global_buffer
      - .offset:         112
        .size:           8
        .value_kind:     by_value
      - .offset:         120
        .size:           4
        .value_kind:     by_value
      - .offset:         128
        .size:           8
        .value_kind:     by_value
    .group_segment_fixed_size: 256
    .kernarg_segment_align: 8
    .kernarg_segment_size: 136
    .language:       OpenCL C
    .language_version:
      - 2
      - 0
    .max_flat_workgroup_size: 256
    .name:           _ZL22rocblas_gemvtsm_kernelILb0ELi256EPKDF16_fKPDF16_EviiT2_lPKT1_lilS7_lilS4_lPT3_lil
    .private_segment_fixed_size: 0
    .sgpr_count:     26
    .sgpr_spill_count: 0
    .symbol:         _ZL22rocblas_gemvtsm_kernelILb0ELi256EPKDF16_fKPDF16_EviiT2_lPKT1_lilS7_lilS4_lPT3_lil.kd
    .uniform_work_group_size: 1
    .uses_dynamic_stack: false
    .vgpr_count:     24
    .vgpr_spill_count: 0
    .wavefront_size: 32
  - .args:
      - .offset:         0
        .size:           4
        .value_kind:     by_value
      - .offset:         4
        .size:           4
        .value_kind:     by_value
      - .address_space:  global
        .offset:         8
        .size:           8
        .value_kind:     global_buffer
      - .offset:         16
        .size:           8
        .value_kind:     by_value
      - .address_space:  global
        .offset:         24
        .size:           8
        .value_kind:     global_buffer
      - .offset:         32
        .size:           8
        .value_kind:     by_value
      - .offset:         40
        .size:           4
        .value_kind:     by_value
      - .offset:         48
        .size:           8
        .value_kind:     by_value
      - .address_space:  global
        .offset:         56
        .size:           8
        .value_kind:     global_buffer
      - .offset:         64
        .size:           8
        .value_kind:     by_value
      - .offset:         72
        .size:           4
        .value_kind:     by_value
      - .offset:         80
        .size:           8
        .value_kind:     by_value
      - .address_space:  global
        .offset:         88
        .size:           8
        .value_kind:     global_buffer
      - .offset:         96
        .size:           4
        .value_kind:     by_value
      - .offset:         104
        .size:           4
        .value_kind:     hidden_block_count_x
      - .offset:         108
        .size:           4
        .value_kind:     hidden_block_count_y
      - .offset:         112
        .size:           4
        .value_kind:     hidden_block_count_z
      - .offset:         116
        .size:           2
        .value_kind:     hidden_group_size_x
      - .offset:         118
        .size:           2
        .value_kind:     hidden_group_size_y
      - .offset:         120
        .size:           2
        .value_kind:     hidden_group_size_z
      - .offset:         122
        .size:           2
        .value_kind:     hidden_remainder_x
      - .offset:         124
        .size:           2
        .value_kind:     hidden_remainder_y
      - .offset:         126
        .size:           2
        .value_kind:     hidden_remainder_z
      - .offset:         144
        .size:           8
        .value_kind:     hidden_global_offset_x
      - .offset:         152
        .size:           8
        .value_kind:     hidden_global_offset_y
      - .offset:         160
        .size:           8
        .value_kind:     hidden_global_offset_z
      - .offset:         168
        .size:           2
        .value_kind:     hidden_grid_dims
    .group_segment_fixed_size: 128
    .kernarg_segment_align: 8
    .kernarg_segment_size: 360
    .language:       OpenCL C
    .language_version:
      - 2
      - 0
    .max_flat_workgroup_size: 256
    .name:           _ZL23rocblas_gemvt_sn_kernelILb0ELi256ELi4EiPKDF16_PKffEviiT4_lPKT3_lilS7_lilPT5_i
    .private_segment_fixed_size: 0
    .sgpr_count:     80
    .sgpr_spill_count: 0
    .symbol:         _ZL23rocblas_gemvt_sn_kernelILb0ELi256ELi4EiPKDF16_PKffEviiT4_lPKT3_lilS7_lilPT5_i.kd
    .uniform_work_group_size: 1
    .uses_dynamic_stack: false
    .vgpr_count:     66
    .vgpr_spill_count: 0
    .wavefront_size: 32
  - .args:
      - .offset:         0
        .size:           4
        .value_kind:     by_value
      - .offset:         4
        .size:           4
        .value_kind:     by_value
      - .address_space:  global
        .offset:         8
        .size:           8
        .value_kind:     global_buffer
      - .offset:         16
        .size:           8
        .value_kind:     by_value
      - .address_space:  global
        .offset:         24
        .size:           8
        .value_kind:     global_buffer
      - .offset:         32
        .size:           8
        .value_kind:     by_value
      - .offset:         40
        .size:           4
        .value_kind:     by_value
      - .offset:         48
        .size:           8
        .value_kind:     by_value
      - .address_space:  global
        .offset:         56
        .size:           8
        .value_kind:     global_buffer
      - .offset:         64
        .size:           8
        .value_kind:     by_value
      - .offset:         72
        .size:           4
        .value_kind:     by_value
      - .offset:         80
        .size:           8
        .value_kind:     by_value
      - .address_space:  global
        .offset:         88
        .size:           8
        .value_kind:     global_buffer
      - .offset:         96
        .size:           4
        .value_kind:     by_value
      - .offset:         104
        .size:           4
        .value_kind:     hidden_block_count_x
      - .offset:         108
        .size:           4
        .value_kind:     hidden_block_count_y
      - .offset:         112
        .size:           4
        .value_kind:     hidden_block_count_z
      - .offset:         116
        .size:           2
        .value_kind:     hidden_group_size_x
      - .offset:         118
        .size:           2
        .value_kind:     hidden_group_size_y
      - .offset:         120
        .size:           2
        .value_kind:     hidden_group_size_z
      - .offset:         122
        .size:           2
        .value_kind:     hidden_remainder_x
      - .offset:         124
        .size:           2
        .value_kind:     hidden_remainder_y
      - .offset:         126
        .size:           2
        .value_kind:     hidden_remainder_z
      - .offset:         144
        .size:           8
        .value_kind:     hidden_global_offset_x
      - .offset:         152
        .size:           8
        .value_kind:     hidden_global_offset_y
      - .offset:         160
        .size:           8
        .value_kind:     hidden_global_offset_z
      - .offset:         168
        .size:           2
        .value_kind:     hidden_grid_dims
    .group_segment_fixed_size: 128
    .kernarg_segment_align: 8
    .kernarg_segment_size: 360
    .language:       OpenCL C
    .language_version:
      - 2
      - 0
    .max_flat_workgroup_size: 256
    .name:           _ZL23rocblas_gemvt_sn_kernelILb0ELi256ELi4ElPKDF16_PKffEviiT4_lPKT3_lilS7_lilPT5_i
    .private_segment_fixed_size: 0
    .sgpr_count:     74
    .sgpr_spill_count: 0
    .symbol:         _ZL23rocblas_gemvt_sn_kernelILb0ELi256ELi4ElPKDF16_PKffEviiT4_lPKT3_lilS7_lilPT5_i.kd
    .uniform_work_group_size: 1
    .uses_dynamic_stack: false
    .vgpr_count:     72
    .vgpr_spill_count: 0
    .wavefront_size: 32
  - .args:
      - .offset:         0
        .size:           4
        .value_kind:     by_value
      - .address_space:  global
        .offset:         8
        .size:           8
        .value_kind:     global_buffer
      - .offset:         16
        .size:           8
        .value_kind:     by_value
      - .address_space:  global
        .offset:         24
        .size:           8
        .value_kind:     global_buffer
      - .offset:         32
        .size:           8
        .value_kind:     by_value
      - .offset:         40
        .size:           4
        .value_kind:     by_value
      - .offset:         48
        .size:           8
        .value_kind:     by_value
      - .actual_access:  read_only
        .address_space:  global
        .offset:         56
        .size:           8
        .value_kind:     global_buffer
      - .offset:         64
        .size:           4
        .value_kind:     by_value
      - .offset:         72
        .size:           4
        .value_kind:     hidden_block_count_x
      - .offset:         76
        .size:           4
        .value_kind:     hidden_block_count_y
      - .offset:         80
        .size:           4
        .value_kind:     hidden_block_count_z
      - .offset:         84
        .size:           2
        .value_kind:     hidden_group_size_x
      - .offset:         86
        .size:           2
        .value_kind:     hidden_group_size_y
      - .offset:         88
        .size:           2
        .value_kind:     hidden_group_size_z
      - .offset:         90
        .size:           2
        .value_kind:     hidden_remainder_x
      - .offset:         92
        .size:           2
        .value_kind:     hidden_remainder_y
      - .offset:         94
        .size:           2
        .value_kind:     hidden_remainder_z
      - .offset:         112
        .size:           8
        .value_kind:     hidden_global_offset_x
      - .offset:         120
        .size:           8
        .value_kind:     hidden_global_offset_y
      - .offset:         128
        .size:           8
        .value_kind:     hidden_global_offset_z
      - .offset:         136
        .size:           2
        .value_kind:     hidden_grid_dims
    .group_segment_fixed_size: 128
    .kernarg_segment_align: 8
    .kernarg_segment_size: 328
    .language:       OpenCL C
    .language_version:
      - 2
      - 0
    .max_flat_workgroup_size: 256
    .name:           _ZL23rocblas_gemvt_sn_reduceILi256ELi8EfPKfKPDF16_EviT2_lPT3_lilPT1_i
    .private_segment_fixed_size: 0
    .sgpr_count:     40
    .sgpr_spill_count: 0
    .symbol:         _ZL23rocblas_gemvt_sn_reduceILi256ELi8EfPKfKPDF16_EviT2_lPT3_lilPT1_i.kd
    .uniform_work_group_size: 1
    .uses_dynamic_stack: false
    .vgpr_count:     28
    .vgpr_spill_count: 0
    .wavefront_size: 32
  - .args:
      - .offset:         0
        .size:           4
        .value_kind:     by_value
      - .offset:         4
        .size:           4
        .value_kind:     by_value
      - .offset:         8
        .size:           4
        .value_kind:     by_value
      - .offset:         16
        .size:           8
        .value_kind:     by_value
      - .address_space:  global
        .offset:         24
        .size:           8
        .value_kind:     global_buffer
      - .offset:         32
        .size:           8
        .value_kind:     by_value
      - .offset:         40
        .size:           4
        .value_kind:     by_value
      - .offset:         48
        .size:           8
        .value_kind:     by_value
      - .address_space:  global
        .offset:         56
        .size:           8
        .value_kind:     global_buffer
      - .offset:         64
        .size:           8
        .value_kind:     by_value
      - .offset:         72
        .size:           4
        .value_kind:     by_value
      - .offset:         80
        .size:           8
        .value_kind:     by_value
      - .address_space:  global
        .offset:         88
        .size:           8
        .value_kind:     global_buffer
      - .offset:         96
        .size:           4
        .value_kind:     by_value
      - .offset:         104
        .size:           4
        .value_kind:     hidden_block_count_x
      - .offset:         108
        .size:           4
        .value_kind:     hidden_block_count_y
      - .offset:         112
        .size:           4
        .value_kind:     hidden_block_count_z
      - .offset:         116
        .size:           2
        .value_kind:     hidden_group_size_x
      - .offset:         118
        .size:           2
        .value_kind:     hidden_group_size_y
      - .offset:         120
        .size:           2
        .value_kind:     hidden_group_size_z
      - .offset:         122
        .size:           2
        .value_kind:     hidden_remainder_x
      - .offset:         124
        .size:           2
        .value_kind:     hidden_remainder_y
      - .offset:         126
        .size:           2
        .value_kind:     hidden_remainder_z
      - .offset:         144
        .size:           8
        .value_kind:     hidden_global_offset_x
      - .offset:         152
        .size:           8
        .value_kind:     hidden_global_offset_y
      - .offset:         160
        .size:           8
        .value_kind:     hidden_global_offset_z
      - .offset:         168
        .size:           2
        .value_kind:     hidden_grid_dims
    .group_segment_fixed_size: 128
    .kernarg_segment_align: 8
    .kernarg_segment_size: 360
    .language:       OpenCL C
    .language_version:
      - 2
      - 0
    .max_flat_workgroup_size: 256
    .name:           _ZL23rocblas_gemvt_sn_kernelILb0ELi256ELi4EiPKDF16_ffEviiT4_lPKT3_lilS5_lilPT5_i
    .private_segment_fixed_size: 0
    .sgpr_count:     78
    .sgpr_spill_count: 0
    .symbol:         _ZL23rocblas_gemvt_sn_kernelILb0ELi256ELi4EiPKDF16_ffEviiT4_lPKT3_lilS5_lilPT5_i.kd
    .uniform_work_group_size: 1
    .uses_dynamic_stack: false
    .vgpr_count:     63
    .vgpr_spill_count: 0
    .wavefront_size: 32
  - .args:
      - .offset:         0
        .size:           4
        .value_kind:     by_value
      - .offset:         4
        .size:           4
        .value_kind:     by_value
      - .offset:         8
        .size:           4
        .value_kind:     by_value
      - .offset:         16
        .size:           8
        .value_kind:     by_value
      - .address_space:  global
        .offset:         24
        .size:           8
        .value_kind:     global_buffer
      - .offset:         32
        .size:           8
        .value_kind:     by_value
      - .offset:         40
        .size:           4
        .value_kind:     by_value
      - .offset:         48
        .size:           8
        .value_kind:     by_value
      - .address_space:  global
        .offset:         56
        .size:           8
        .value_kind:     global_buffer
      - .offset:         64
        .size:           8
        .value_kind:     by_value
      - .offset:         72
        .size:           4
        .value_kind:     by_value
      - .offset:         80
        .size:           8
        .value_kind:     by_value
      - .address_space:  global
        .offset:         88
        .size:           8
        .value_kind:     global_buffer
      - .offset:         96
        .size:           4
        .value_kind:     by_value
      - .offset:         104
        .size:           4
        .value_kind:     hidden_block_count_x
      - .offset:         108
        .size:           4
        .value_kind:     hidden_block_count_y
      - .offset:         112
        .size:           4
        .value_kind:     hidden_block_count_z
      - .offset:         116
        .size:           2
        .value_kind:     hidden_group_size_x
      - .offset:         118
        .size:           2
        .value_kind:     hidden_group_size_y
      - .offset:         120
        .size:           2
        .value_kind:     hidden_group_size_z
      - .offset:         122
        .size:           2
        .value_kind:     hidden_remainder_x
      - .offset:         124
        .size:           2
        .value_kind:     hidden_remainder_y
      - .offset:         126
        .size:           2
        .value_kind:     hidden_remainder_z
      - .offset:         144
        .size:           8
        .value_kind:     hidden_global_offset_x
      - .offset:         152
        .size:           8
        .value_kind:     hidden_global_offset_y
      - .offset:         160
        .size:           8
        .value_kind:     hidden_global_offset_z
      - .offset:         168
        .size:           2
        .value_kind:     hidden_grid_dims
    .group_segment_fixed_size: 128
    .kernarg_segment_align: 8
    .kernarg_segment_size: 360
    .language:       OpenCL C
    .language_version:
      - 2
      - 0
    .max_flat_workgroup_size: 256
    .name:           _ZL23rocblas_gemvt_sn_kernelILb0ELi256ELi4ElPKDF16_ffEviiT4_lPKT3_lilS5_lilPT5_i
    .private_segment_fixed_size: 0
    .sgpr_count:     70
    .sgpr_spill_count: 0
    .symbol:         _ZL23rocblas_gemvt_sn_kernelILb0ELi256ELi4ElPKDF16_ffEviiT4_lPKT3_lilS5_lilPT5_i.kd
    .uniform_work_group_size: 1
    .uses_dynamic_stack: false
    .vgpr_count:     70
    .vgpr_spill_count: 0
    .wavefront_size: 32
  - .args:
      - .offset:         0
        .size:           4
        .value_kind:     by_value
      - .offset:         4
        .size:           4
        .value_kind:     by_value
      - .offset:         8
        .size:           8
        .value_kind:     by_value
      - .address_space:  global
        .offset:         16
        .size:           8
        .value_kind:     global_buffer
      - .offset:         24
        .size:           8
        .value_kind:     by_value
      - .offset:         32
        .size:           4
        .value_kind:     by_value
      - .offset:         40
        .size:           8
        .value_kind:     by_value
      - .actual_access:  read_only
        .address_space:  global
        .offset:         48
        .size:           8
        .value_kind:     global_buffer
      - .offset:         56
        .size:           4
        .value_kind:     by_value
      - .offset:         64
        .size:           4
        .value_kind:     hidden_block_count_x
      - .offset:         68
        .size:           4
        .value_kind:     hidden_block_count_y
      - .offset:         72
        .size:           4
        .value_kind:     hidden_block_count_z
      - .offset:         76
        .size:           2
        .value_kind:     hidden_group_size_x
      - .offset:         78
        .size:           2
        .value_kind:     hidden_group_size_y
      - .offset:         80
        .size:           2
        .value_kind:     hidden_group_size_z
      - .offset:         82
        .size:           2
        .value_kind:     hidden_remainder_x
      - .offset:         84
        .size:           2
        .value_kind:     hidden_remainder_y
      - .offset:         86
        .size:           2
        .value_kind:     hidden_remainder_z
      - .offset:         104
        .size:           8
        .value_kind:     hidden_global_offset_x
      - .offset:         112
        .size:           8
        .value_kind:     hidden_global_offset_y
      - .offset:         120
        .size:           8
        .value_kind:     hidden_global_offset_z
      - .offset:         128
        .size:           2
        .value_kind:     hidden_grid_dims
    .group_segment_fixed_size: 128
    .kernarg_segment_align: 8
    .kernarg_segment_size: 320
    .language:       OpenCL C
    .language_version:
      - 2
      - 0
    .max_flat_workgroup_size: 256
    .name:           _ZL23rocblas_gemvt_sn_reduceILi256ELi8EffKPDF16_EviT2_lPT3_lilPT1_i
    .private_segment_fixed_size: 0
    .sgpr_count:     38
    .sgpr_spill_count: 0
    .symbol:         _ZL23rocblas_gemvt_sn_reduceILi256ELi8EffKPDF16_EviT2_lPT3_lilPT1_i.kd
    .uniform_work_group_size: 1
    .uses_dynamic_stack: false
    .vgpr_count:     26
    .vgpr_spill_count: 0
    .wavefront_size: 32
  - .args:
      - .offset:         0
        .size:           4
        .value_kind:     by_value
      - .offset:         4
        .size:           4
        .value_kind:     by_value
      - .address_space:  global
        .offset:         8
        .size:           8
        .value_kind:     global_buffer
      - .offset:         16
        .size:           8
        .value_kind:     by_value
      - .address_space:  global
        .offset:         24
        .size:           8
        .value_kind:     global_buffer
      - .offset:         32
        .size:           8
        .value_kind:     by_value
      - .offset:         40
        .size:           4
        .value_kind:     by_value
      - .offset:         48
        .size:           8
        .value_kind:     by_value
      - .address_space:  global
        .offset:         56
        .size:           8
        .value_kind:     global_buffer
      - .offset:         64
        .size:           8
        .value_kind:     by_value
      - .offset:         72
        .size:           4
        .value_kind:     by_value
      - .offset:         80
        .size:           8
        .value_kind:     by_value
      - .address_space:  global
        .offset:         88
        .size:           8
        .value_kind:     global_buffer
      - .offset:         96
        .size:           8
        .value_kind:     by_value
      - .address_space:  global
        .offset:         104
        .size:           8
        .value_kind:     global_buffer
      - .offset:         112
        .size:           8
        .value_kind:     by_value
      - .offset:         120
        .size:           4
        .value_kind:     by_value
      - .offset:         128
        .size:           8
        .value_kind:     by_value
      - .offset:         136
        .size:           4
        .value_kind:     by_value
    .group_segment_fixed_size: 128
    .kernarg_segment_align: 8
    .kernarg_segment_size: 140
    .language:       OpenCL C
    .language_version:
      - 2
      - 0
    .max_flat_workgroup_size: 256
    .name:           _ZL32rocblas_gemvt_warp_reduce_kernelILb0ELi256EiPKDF16_PKfKPDF16_EviiT3_lPKT2_lT1_lS9_lSA_lS6_lPT4_lSA_li
    .private_segment_fixed_size: 0
    .sgpr_count:     46
    .sgpr_spill_count: 0
    .symbol:         _ZL32rocblas_gemvt_warp_reduce_kernelILb0ELi256EiPKDF16_PKfKPDF16_EviiT3_lPKT2_lT1_lS9_lSA_lS6_lPT4_lSA_li.kd
    .uniform_work_group_size: 1
    .uses_dynamic_stack: false
    .vgpr_count:     24
    .vgpr_spill_count: 0
    .wavefront_size: 32
  - .args:
      - .offset:         0
        .size:           4
        .value_kind:     by_value
      - .offset:         4
        .size:           4
        .value_kind:     by_value
      - .address_space:  global
        .offset:         8
        .size:           8
        .value_kind:     global_buffer
      - .offset:         16
        .size:           8
        .value_kind:     by_value
      - .address_space:  global
        .offset:         24
        .size:           8
        .value_kind:     global_buffer
      - .offset:         32
        .size:           8
        .value_kind:     by_value
      - .offset:         40
        .size:           8
        .value_kind:     by_value
      - .offset:         48
        .size:           8
        .value_kind:     by_value
      - .address_space:  global
        .offset:         56
        .size:           8
        .value_kind:     global_buffer
      - .offset:         64
        .size:           8
        .value_kind:     by_value
      - .offset:         72
        .size:           8
        .value_kind:     by_value
      - .offset:         80
        .size:           8
        .value_kind:     by_value
      - .address_space:  global
        .offset:         88
        .size:           8
        .value_kind:     global_buffer
      - .offset:         96
        .size:           8
        .value_kind:     by_value
      - .address_space:  global
        .offset:         104
        .size:           8
        .value_kind:     global_buffer
      - .offset:         112
        .size:           8
        .value_kind:     by_value
      - .offset:         120
        .size:           8
        .value_kind:     by_value
      - .offset:         128
        .size:           8
        .value_kind:     by_value
      - .offset:         136
        .size:           4
        .value_kind:     by_value
    .group_segment_fixed_size: 128
    .kernarg_segment_align: 8
    .kernarg_segment_size: 140
    .language:       OpenCL C
    .language_version:
      - 2
      - 0
    .max_flat_workgroup_size: 256
    .name:           _ZL32rocblas_gemvt_warp_reduce_kernelILb0ELi256ElPKDF16_PKfKPDF16_EviiT3_lPKT2_lT1_lS9_lSA_lS6_lPT4_lSA_li
    .private_segment_fixed_size: 0
    .sgpr_count:     46
    .sgpr_spill_count: 0
    .symbol:         _ZL32rocblas_gemvt_warp_reduce_kernelILb0ELi256ElPKDF16_PKfKPDF16_EviiT3_lPKT2_lT1_lS9_lSA_lS6_lPT4_lSA_li.kd
    .uniform_work_group_size: 1
    .uses_dynamic_stack: false
    .vgpr_count:     26
    .vgpr_spill_count: 0
    .wavefront_size: 32
  - .args:
      - .offset:         0
        .size:           4
        .value_kind:     by_value
      - .offset:         4
        .size:           4
        .value_kind:     by_value
      - .offset:         8
        .size:           4
        .value_kind:     by_value
      - .offset:         16
        .size:           8
        .value_kind:     by_value
      - .address_space:  global
        .offset:         24
        .size:           8
        .value_kind:     global_buffer
      - .offset:         32
        .size:           8
        .value_kind:     by_value
      - .offset:         40
        .size:           4
        .value_kind:     by_value
      - .offset:         48
        .size:           8
        .value_kind:     by_value
      - .address_space:  global
        .offset:         56
        .size:           8
        .value_kind:     global_buffer
      - .offset:         64
        .size:           8
        .value_kind:     by_value
      - .offset:         72
        .size:           4
        .value_kind:     by_value
      - .offset:         80
        .size:           8
        .value_kind:     by_value
      - .offset:         88
        .size:           4
        .value_kind:     by_value
      - .offset:         96
        .size:           8
        .value_kind:     by_value
      - .address_space:  global
        .offset:         104
        .size:           8
        .value_kind:     global_buffer
      - .offset:         112
        .size:           8
        .value_kind:     by_value
      - .offset:         120
        .size:           4
        .value_kind:     by_value
      - .offset:         128
        .size:           8
        .value_kind:     by_value
      - .offset:         136
        .size:           4
        .value_kind:     by_value
    .group_segment_fixed_size: 128
    .kernarg_segment_align: 8
    .kernarg_segment_size: 140
    .language:       OpenCL C
    .language_version:
      - 2
      - 0
    .max_flat_workgroup_size: 256
    .name:           _ZL32rocblas_gemvt_warp_reduce_kernelILb0ELi256EiPKDF16_fKPDF16_EviiT3_lPKT2_lT1_lS7_lS8_lS4_lPT4_lS8_li
    .private_segment_fixed_size: 0
    .sgpr_count:     42
    .sgpr_spill_count: 0
    .symbol:         _ZL32rocblas_gemvt_warp_reduce_kernelILb0ELi256EiPKDF16_fKPDF16_EviiT3_lPKT2_lT1_lS7_lS8_lS4_lPT4_lS8_li.kd
    .uniform_work_group_size: 1
    .uses_dynamic_stack: false
    .vgpr_count:     24
    .vgpr_spill_count: 0
    .wavefront_size: 32
  - .args:
      - .offset:         0
        .size:           4
        .value_kind:     by_value
      - .offset:         4
        .size:           4
        .value_kind:     by_value
      - .offset:         8
        .size:           4
        .value_kind:     by_value
      - .offset:         16
        .size:           8
        .value_kind:     by_value
      - .address_space:  global
        .offset:         24
        .size:           8
        .value_kind:     global_buffer
      - .offset:         32
        .size:           8
        .value_kind:     by_value
      - .offset:         40
        .size:           8
        .value_kind:     by_value
      - .offset:         48
        .size:           8
        .value_kind:     by_value
      - .address_space:  global
        .offset:         56
        .size:           8
        .value_kind:     global_buffer
      - .offset:         64
        .size:           8
        .value_kind:     by_value
      - .offset:         72
        .size:           8
        .value_kind:     by_value
      - .offset:         80
        .size:           8
        .value_kind:     by_value
      - .offset:         88
        .size:           4
        .value_kind:     by_value
      - .offset:         96
        .size:           8
        .value_kind:     by_value
      - .address_space:  global
        .offset:         104
        .size:           8
        .value_kind:     global_buffer
      - .offset:         112
        .size:           8
        .value_kind:     by_value
      - .offset:         120
        .size:           8
        .value_kind:     by_value
      - .offset:         128
        .size:           8
        .value_kind:     by_value
      - .offset:         136
        .size:           4
        .value_kind:     by_value
    .group_segment_fixed_size: 128
    .kernarg_segment_align: 8
    .kernarg_segment_size: 140
    .language:       OpenCL C
    .language_version:
      - 2
      - 0
    .max_flat_workgroup_size: 256
    .name:           _ZL32rocblas_gemvt_warp_reduce_kernelILb0ELi256ElPKDF16_fKPDF16_EviiT3_lPKT2_lT1_lS7_lS8_lS4_lPT4_lS8_li
    .private_segment_fixed_size: 0
    .sgpr_count:     40
    .sgpr_spill_count: 0
    .symbol:         _ZL32rocblas_gemvt_warp_reduce_kernelILb0ELi256ElPKDF16_fKPDF16_EviiT3_lPKT2_lT1_lS7_lS8_lS4_lPT4_lS8_li.kd
    .uniform_work_group_size: 1
    .uses_dynamic_stack: false
    .vgpr_count:     26
    .vgpr_spill_count: 0
    .wavefront_size: 32
  - .args:
      - .offset:         0
        .size:           4
        .value_kind:     by_value
      - .offset:         4
        .size:           4
        .value_kind:     by_value
      - .address_space:  global
        .offset:         8
        .size:           8
        .value_kind:     global_buffer
      - .offset:         16
        .size:           8
        .value_kind:     by_value
      - .address_space:  global
        .offset:         24
        .size:           8
        .value_kind:     global_buffer
      - .offset:         32
        .size:           8
        .value_kind:     by_value
      - .offset:         40
        .size:           4
        .value_kind:     by_value
      - .offset:         48
        .size:           8
        .value_kind:     by_value
      - .address_space:  global
        .offset:         56
        .size:           8
        .value_kind:     global_buffer
      - .offset:         64
        .size:           8
        .value_kind:     by_value
      - .offset:         72
        .size:           4
        .value_kind:     by_value
      - .offset:         80
        .size:           8
        .value_kind:     by_value
      - .address_space:  global
        .offset:         88
        .size:           8
        .value_kind:     global_buffer
      - .offset:         96
        .size:           8
        .value_kind:     by_value
      - .address_space:  global
        .offset:         104
        .size:           8
        .value_kind:     global_buffer
      - .offset:         112
        .size:           8
        .value_kind:     by_value
      - .offset:         120
        .size:           4
        .value_kind:     by_value
      - .offset:         128
        .size:           8
        .value_kind:     by_value
      - .offset:         136
        .size:           4
        .value_kind:     by_value
    .group_segment_fixed_size: 1024
    .kernarg_segment_align: 8
    .kernarg_segment_size: 140
    .language:       OpenCL C
    .language_version:
      - 2
      - 0
    .max_flat_workgroup_size: 256
    .name:           _ZL20rocblas_gemvt_kernelILb0ELi256EPKDF16_PKfKPDF16_EviiT2_lPKT1_lilS9_lilS6_lPT3_lili
    .private_segment_fixed_size: 0
    .sgpr_count:     50
    .sgpr_spill_count: 0
    .symbol:         _ZL20rocblas_gemvt_kernelILb0ELi256EPKDF16_PKfKPDF16_EviiT2_lPKT1_lilS9_lilS6_lPT3_lili.kd
    .uniform_work_group_size: 1
    .uses_dynamic_stack: false
    .vgpr_count:     21
    .vgpr_spill_count: 0
    .wavefront_size: 32
  - .args:
      - .offset:         0
        .size:           4
        .value_kind:     by_value
      - .offset:         4
        .size:           4
        .value_kind:     by_value
      - .offset:         8
        .size:           4
        .value_kind:     by_value
      - .offset:         16
        .size:           8
        .value_kind:     by_value
      - .address_space:  global
        .offset:         24
        .size:           8
        .value_kind:     global_buffer
      - .offset:         32
        .size:           8
        .value_kind:     by_value
      - .offset:         40
        .size:           4
        .value_kind:     by_value
      - .offset:         48
        .size:           8
        .value_kind:     by_value
      - .address_space:  global
        .offset:         56
        .size:           8
        .value_kind:     global_buffer
      - .offset:         64
        .size:           8
        .value_kind:     by_value
      - .offset:         72
        .size:           4
        .value_kind:     by_value
      - .offset:         80
        .size:           8
        .value_kind:     by_value
      - .offset:         88
        .size:           4
        .value_kind:     by_value
      - .offset:         96
        .size:           8
        .value_kind:     by_value
      - .address_space:  global
        .offset:         104
        .size:           8
        .value_kind:     global_buffer
      - .offset:         112
        .size:           8
        .value_kind:     by_value
      - .offset:         120
        .size:           4
        .value_kind:     by_value
      - .offset:         128
        .size:           8
        .value_kind:     by_value
      - .offset:         136
        .size:           4
        .value_kind:     by_value
    .group_segment_fixed_size: 1024
    .kernarg_segment_align: 8
    .kernarg_segment_size: 140
    .language:       OpenCL C
    .language_version:
      - 2
      - 0
    .max_flat_workgroup_size: 256
    .name:           _ZL20rocblas_gemvt_kernelILb0ELi256EPKDF16_fKPDF16_EviiT2_lPKT1_lilS7_lilS4_lPT3_lili
    .private_segment_fixed_size: 0
    .sgpr_count:     44
    .sgpr_spill_count: 0
    .symbol:         _ZL20rocblas_gemvt_kernelILb0ELi256EPKDF16_fKPDF16_EviiT2_lPKT1_lilS7_lilS4_lPT3_lili.kd
    .uniform_work_group_size: 1
    .uses_dynamic_stack: false
    .vgpr_count:     21
    .vgpr_spill_count: 0
    .wavefront_size: 32
  - .args:
      - .offset:         0
        .size:           4
        .value_kind:     by_value
      - .offset:         4
        .size:           4
        .value_kind:     by_value
      - .address_space:  global
        .offset:         8
        .size:           8
        .value_kind:     global_buffer
      - .offset:         16
        .size:           8
        .value_kind:     by_value
      - .address_space:  global
        .offset:         24
        .size:           8
        .value_kind:     global_buffer
      - .offset:         32
        .size:           8
        .value_kind:     by_value
      - .offset:         40
        .size:           4
        .value_kind:     by_value
      - .offset:         48
        .size:           8
        .value_kind:     by_value
      - .address_space:  global
        .offset:         56
        .size:           8
        .value_kind:     global_buffer
      - .offset:         64
        .size:           8
        .value_kind:     by_value
      - .offset:         72
        .size:           4
        .value_kind:     by_value
      - .offset:         80
        .size:           8
        .value_kind:     by_value
      - .address_space:  global
        .offset:         88
        .size:           8
        .value_kind:     global_buffer
      - .offset:         96
        .size:           8
        .value_kind:     by_value
      - .address_space:  global
        .offset:         104
        .size:           8
        .value_kind:     global_buffer
      - .offset:         112
        .size:           8
        .value_kind:     by_value
      - .offset:         120
        .size:           4
        .value_kind:     by_value
      - .offset:         128
        .size:           8
        .value_kind:     by_value
      - .offset:         136
        .size:           4
        .value_kind:     by_value
    .group_segment_fixed_size: 128
    .kernarg_segment_align: 8
    .kernarg_segment_size: 140
    .language:       OpenCL C
    .language_version:
      - 2
      - 0
    .max_flat_workgroup_size: 1024
    .name:           _ZL32rocblas_gemvt_warp_reduce_kernelILb0ELi1024EiPKDF16_PKfKPDF16_EviiT3_lPKT2_lT1_lS9_lSA_lS6_lPT4_lSA_li
    .private_segment_fixed_size: 0
    .sgpr_count:     44
    .sgpr_spill_count: 0
    .symbol:         _ZL32rocblas_gemvt_warp_reduce_kernelILb0ELi1024EiPKDF16_PKfKPDF16_EviiT3_lPKT2_lT1_lS9_lSA_lS6_lPT4_lSA_li.kd
    .uniform_work_group_size: 1
    .uses_dynamic_stack: false
    .vgpr_count:     24
    .vgpr_spill_count: 0
    .wavefront_size: 32
  - .args:
      - .offset:         0
        .size:           4
        .value_kind:     by_value
      - .offset:         4
        .size:           4
        .value_kind:     by_value
      - .address_space:  global
        .offset:         8
        .size:           8
        .value_kind:     global_buffer
      - .offset:         16
        .size:           8
        .value_kind:     by_value
      - .address_space:  global
        .offset:         24
        .size:           8
        .value_kind:     global_buffer
      - .offset:         32
        .size:           8
        .value_kind:     by_value
      - .offset:         40
        .size:           8
        .value_kind:     by_value
      - .offset:         48
        .size:           8
        .value_kind:     by_value
      - .address_space:  global
        .offset:         56
        .size:           8
        .value_kind:     global_buffer
      - .offset:         64
        .size:           8
        .value_kind:     by_value
      - .offset:         72
        .size:           8
        .value_kind:     by_value
      - .offset:         80
        .size:           8
        .value_kind:     by_value
      - .address_space:  global
        .offset:         88
        .size:           8
        .value_kind:     global_buffer
      - .offset:         96
        .size:           8
        .value_kind:     by_value
      - .address_space:  global
        .offset:         104
        .size:           8
        .value_kind:     global_buffer
      - .offset:         112
        .size:           8
        .value_kind:     by_value
      - .offset:         120
        .size:           8
        .value_kind:     by_value
      - .offset:         128
        .size:           8
        .value_kind:     by_value
      - .offset:         136
        .size:           4
        .value_kind:     by_value
    .group_segment_fixed_size: 128
    .kernarg_segment_align: 8
    .kernarg_segment_size: 140
    .language:       OpenCL C
    .language_version:
      - 2
      - 0
    .max_flat_workgroup_size: 1024
    .name:           _ZL32rocblas_gemvt_warp_reduce_kernelILb0ELi1024ElPKDF16_PKfKPDF16_EviiT3_lPKT2_lT1_lS9_lSA_lS6_lPT4_lSA_li
    .private_segment_fixed_size: 0
    .sgpr_count:     46
    .sgpr_spill_count: 0
    .symbol:         _ZL32rocblas_gemvt_warp_reduce_kernelILb0ELi1024ElPKDF16_PKfKPDF16_EviiT3_lPKT2_lT1_lS9_lSA_lS6_lPT4_lSA_li.kd
    .uniform_work_group_size: 1
    .uses_dynamic_stack: false
    .vgpr_count:     26
    .vgpr_spill_count: 0
    .wavefront_size: 32
  - .args:
      - .offset:         0
        .size:           4
        .value_kind:     by_value
      - .offset:         4
        .size:           4
        .value_kind:     by_value
      - .offset:         8
        .size:           4
        .value_kind:     by_value
      - .offset:         16
        .size:           8
        .value_kind:     by_value
      - .address_space:  global
        .offset:         24
        .size:           8
        .value_kind:     global_buffer
      - .offset:         32
        .size:           8
        .value_kind:     by_value
      - .offset:         40
        .size:           4
        .value_kind:     by_value
      - .offset:         48
        .size:           8
        .value_kind:     by_value
      - .address_space:  global
        .offset:         56
        .size:           8
        .value_kind:     global_buffer
      - .offset:         64
        .size:           8
        .value_kind:     by_value
      - .offset:         72
        .size:           4
        .value_kind:     by_value
      - .offset:         80
        .size:           8
        .value_kind:     by_value
      - .offset:         88
        .size:           4
        .value_kind:     by_value
      - .offset:         96
        .size:           8
        .value_kind:     by_value
      - .address_space:  global
        .offset:         104
        .size:           8
        .value_kind:     global_buffer
      - .offset:         112
        .size:           8
        .value_kind:     by_value
      - .offset:         120
        .size:           4
        .value_kind:     by_value
      - .offset:         128
        .size:           8
        .value_kind:     by_value
      - .offset:         136
        .size:           4
        .value_kind:     by_value
    .group_segment_fixed_size: 128
    .kernarg_segment_align: 8
    .kernarg_segment_size: 140
    .language:       OpenCL C
    .language_version:
      - 2
      - 0
    .max_flat_workgroup_size: 1024
    .name:           _ZL32rocblas_gemvt_warp_reduce_kernelILb0ELi1024EiPKDF16_fKPDF16_EviiT3_lPKT2_lT1_lS7_lS8_lS4_lPT4_lS8_li
    .private_segment_fixed_size: 0
    .sgpr_count:     40
    .sgpr_spill_count: 0
    .symbol:         _ZL32rocblas_gemvt_warp_reduce_kernelILb0ELi1024EiPKDF16_fKPDF16_EviiT3_lPKT2_lT1_lS7_lS8_lS4_lPT4_lS8_li.kd
    .uniform_work_group_size: 1
    .uses_dynamic_stack: false
    .vgpr_count:     24
    .vgpr_spill_count: 0
    .wavefront_size: 32
  - .args:
      - .offset:         0
        .size:           4
        .value_kind:     by_value
      - .offset:         4
        .size:           4
        .value_kind:     by_value
      - .offset:         8
        .size:           4
        .value_kind:     by_value
      - .offset:         16
        .size:           8
        .value_kind:     by_value
      - .address_space:  global
        .offset:         24
        .size:           8
        .value_kind:     global_buffer
      - .offset:         32
        .size:           8
        .value_kind:     by_value
      - .offset:         40
        .size:           8
        .value_kind:     by_value
      - .offset:         48
        .size:           8
        .value_kind:     by_value
      - .address_space:  global
        .offset:         56
        .size:           8
        .value_kind:     global_buffer
      - .offset:         64
        .size:           8
        .value_kind:     by_value
      - .offset:         72
        .size:           8
        .value_kind:     by_value
      - .offset:         80
        .size:           8
        .value_kind:     by_value
      - .offset:         88
        .size:           4
        .value_kind:     by_value
      - .offset:         96
        .size:           8
        .value_kind:     by_value
      - .address_space:  global
        .offset:         104
        .size:           8
        .value_kind:     global_buffer
      - .offset:         112
        .size:           8
        .value_kind:     by_value
      - .offset:         120
        .size:           8
        .value_kind:     by_value
      - .offset:         128
        .size:           8
        .value_kind:     by_value
      - .offset:         136
        .size:           4
        .value_kind:     by_value
    .group_segment_fixed_size: 128
    .kernarg_segment_align: 8
    .kernarg_segment_size: 140
    .language:       OpenCL C
    .language_version:
      - 2
      - 0
    .max_flat_workgroup_size: 1024
    .name:           _ZL32rocblas_gemvt_warp_reduce_kernelILb0ELi1024ElPKDF16_fKPDF16_EviiT3_lPKT2_lT1_lS7_lS8_lS4_lPT4_lS8_li
    .private_segment_fixed_size: 0
    .sgpr_count:     39
    .sgpr_spill_count: 0
    .symbol:         _ZL32rocblas_gemvt_warp_reduce_kernelILb0ELi1024ElPKDF16_fKPDF16_EviiT3_lPKT2_lT1_lS7_lS8_lS4_lPT4_lS8_li.kd
    .uniform_work_group_size: 1
    .uses_dynamic_stack: false
    .vgpr_count:     26
    .vgpr_spill_count: 0
    .wavefront_size: 32
  - .args:
      - .offset:         0
        .size:           4
        .value_kind:     by_value
      - .offset:         4
        .size:           4
        .value_kind:     by_value
      - .address_space:  global
        .offset:         8
        .size:           8
        .value_kind:     global_buffer
      - .offset:         16
        .size:           8
        .value_kind:     by_value
      - .address_space:  global
        .offset:         24
        .size:           8
        .value_kind:     global_buffer
      - .offset:         32
        .size:           8
        .value_kind:     by_value
      - .offset:         40
        .size:           4
        .value_kind:     by_value
      - .offset:         48
        .size:           8
        .value_kind:     by_value
      - .address_space:  global
        .offset:         56
        .size:           8
        .value_kind:     global_buffer
      - .offset:         64
        .size:           8
        .value_kind:     by_value
      - .offset:         72
        .size:           4
        .value_kind:     by_value
      - .offset:         80
        .size:           8
        .value_kind:     by_value
      - .address_space:  global
        .offset:         88
        .size:           8
        .value_kind:     global_buffer
      - .offset:         96
        .size:           8
        .value_kind:     by_value
      - .address_space:  global
        .offset:         104
        .size:           8
        .value_kind:     global_buffer
      - .offset:         112
        .size:           8
        .value_kind:     by_value
      - .offset:         120
        .size:           4
        .value_kind:     by_value
      - .offset:         128
        .size:           8
        .value_kind:     by_value
    .group_segment_fixed_size: 256
    .kernarg_segment_align: 8
    .kernarg_segment_size: 136
    .language:       OpenCL C
    .language_version:
      - 2
      - 0
    .max_flat_workgroup_size: 256
    .name:           _ZL22rocblas_gemvtsm_kernelILb1ELi256EPKDF16_PKfKPDF16_EviiT2_lPKT1_lilS9_lilS6_lPT3_lil
    .private_segment_fixed_size: 0
    .sgpr_count:     24
    .sgpr_spill_count: 0
    .symbol:         _ZL22rocblas_gemvtsm_kernelILb1ELi256EPKDF16_PKfKPDF16_EviiT2_lPKT1_lilS9_lilS6_lPT3_lil.kd
    .uniform_work_group_size: 1
    .uses_dynamic_stack: false
    .vgpr_count:     24
    .vgpr_spill_count: 0
    .wavefront_size: 32
  - .args:
      - .offset:         0
        .size:           4
        .value_kind:     by_value
      - .offset:         4
        .size:           4
        .value_kind:     by_value
      - .offset:         8
        .size:           4
        .value_kind:     by_value
      - .offset:         16
        .size:           8
        .value_kind:     by_value
      - .address_space:  global
        .offset:         24
        .size:           8
        .value_kind:     global_buffer
      - .offset:         32
        .size:           8
        .value_kind:     by_value
      - .offset:         40
        .size:           4
        .value_kind:     by_value
      - .offset:         48
        .size:           8
        .value_kind:     by_value
      - .address_space:  global
        .offset:         56
        .size:           8
        .value_kind:     global_buffer
      - .offset:         64
        .size:           8
        .value_kind:     by_value
      - .offset:         72
        .size:           4
        .value_kind:     by_value
      - .offset:         80
        .size:           8
        .value_kind:     by_value
      - .offset:         88
        .size:           4
        .value_kind:     by_value
      - .offset:         96
        .size:           8
        .value_kind:     by_value
      - .address_space:  global
        .offset:         104
        .size:           8
        .value_kind:     global_buffer
      - .offset:         112
        .size:           8
        .value_kind:     by_value
      - .offset:         120
        .size:           4
        .value_kind:     by_value
      - .offset:         128
        .size:           8
        .value_kind:     by_value
    .group_segment_fixed_size: 256
    .kernarg_segment_align: 8
    .kernarg_segment_size: 136
    .language:       OpenCL C
    .language_version:
      - 2
      - 0
    .max_flat_workgroup_size: 256
    .name:           _ZL22rocblas_gemvtsm_kernelILb1ELi256EPKDF16_fKPDF16_EviiT2_lPKT1_lilS7_lilS4_lPT3_lil
    .private_segment_fixed_size: 0
    .sgpr_count:     26
    .sgpr_spill_count: 0
    .symbol:         _ZL22rocblas_gemvtsm_kernelILb1ELi256EPKDF16_fKPDF16_EviiT2_lPKT1_lilS7_lilS4_lPT3_lil.kd
    .uniform_work_group_size: 1
    .uses_dynamic_stack: false
    .vgpr_count:     24
    .vgpr_spill_count: 0
    .wavefront_size: 32
  - .args:
      - .offset:         0
        .size:           4
        .value_kind:     by_value
      - .offset:         4
        .size:           4
        .value_kind:     by_value
      - .address_space:  global
        .offset:         8
        .size:           8
        .value_kind:     global_buffer
      - .offset:         16
        .size:           8
        .value_kind:     by_value
      - .address_space:  global
        .offset:         24
        .size:           8
        .value_kind:     global_buffer
      - .offset:         32
        .size:           8
        .value_kind:     by_value
      - .offset:         40
        .size:           4
        .value_kind:     by_value
      - .offset:         48
        .size:           8
        .value_kind:     by_value
      - .address_space:  global
        .offset:         56
        .size:           8
        .value_kind:     global_buffer
      - .offset:         64
        .size:           8
        .value_kind:     by_value
      - .offset:         72
        .size:           4
        .value_kind:     by_value
      - .offset:         80
        .size:           8
        .value_kind:     by_value
      - .address_space:  global
        .offset:         88
        .size:           8
        .value_kind:     global_buffer
      - .offset:         96
        .size:           4
        .value_kind:     by_value
      - .offset:         104
        .size:           4
        .value_kind:     hidden_block_count_x
      - .offset:         108
        .size:           4
        .value_kind:     hidden_block_count_y
      - .offset:         112
        .size:           4
        .value_kind:     hidden_block_count_z
      - .offset:         116
        .size:           2
        .value_kind:     hidden_group_size_x
      - .offset:         118
        .size:           2
        .value_kind:     hidden_group_size_y
      - .offset:         120
        .size:           2
        .value_kind:     hidden_group_size_z
      - .offset:         122
        .size:           2
        .value_kind:     hidden_remainder_x
      - .offset:         124
        .size:           2
        .value_kind:     hidden_remainder_y
      - .offset:         126
        .size:           2
        .value_kind:     hidden_remainder_z
      - .offset:         144
        .size:           8
        .value_kind:     hidden_global_offset_x
      - .offset:         152
        .size:           8
        .value_kind:     hidden_global_offset_y
      - .offset:         160
        .size:           8
        .value_kind:     hidden_global_offset_z
      - .offset:         168
        .size:           2
        .value_kind:     hidden_grid_dims
    .group_segment_fixed_size: 128
    .kernarg_segment_align: 8
    .kernarg_segment_size: 360
    .language:       OpenCL C
    .language_version:
      - 2
      - 0
    .max_flat_workgroup_size: 256
    .name:           _ZL23rocblas_gemvt_sn_kernelILb1ELi256ELi4EiPKDF16_PKffEviiT4_lPKT3_lilS7_lilPT5_i
    .private_segment_fixed_size: 0
    .sgpr_count:     80
    .sgpr_spill_count: 0
    .symbol:         _ZL23rocblas_gemvt_sn_kernelILb1ELi256ELi4EiPKDF16_PKffEviiT4_lPKT3_lilS7_lilPT5_i.kd
    .uniform_work_group_size: 1
    .uses_dynamic_stack: false
    .vgpr_count:     66
    .vgpr_spill_count: 0
    .wavefront_size: 32
  - .args:
      - .offset:         0
        .size:           4
        .value_kind:     by_value
      - .offset:         4
        .size:           4
        .value_kind:     by_value
      - .address_space:  global
        .offset:         8
        .size:           8
        .value_kind:     global_buffer
      - .offset:         16
        .size:           8
        .value_kind:     by_value
      - .address_space:  global
        .offset:         24
        .size:           8
        .value_kind:     global_buffer
      - .offset:         32
        .size:           8
        .value_kind:     by_value
      - .offset:         40
        .size:           4
        .value_kind:     by_value
      - .offset:         48
        .size:           8
        .value_kind:     by_value
      - .address_space:  global
        .offset:         56
        .size:           8
        .value_kind:     global_buffer
      - .offset:         64
        .size:           8
        .value_kind:     by_value
      - .offset:         72
        .size:           4
        .value_kind:     by_value
      - .offset:         80
        .size:           8
        .value_kind:     by_value
      - .address_space:  global
        .offset:         88
        .size:           8
        .value_kind:     global_buffer
      - .offset:         96
        .size:           4
        .value_kind:     by_value
      - .offset:         104
        .size:           4
        .value_kind:     hidden_block_count_x
      - .offset:         108
        .size:           4
        .value_kind:     hidden_block_count_y
      - .offset:         112
        .size:           4
        .value_kind:     hidden_block_count_z
      - .offset:         116
        .size:           2
        .value_kind:     hidden_group_size_x
      - .offset:         118
        .size:           2
        .value_kind:     hidden_group_size_y
      - .offset:         120
        .size:           2
        .value_kind:     hidden_group_size_z
      - .offset:         122
        .size:           2
        .value_kind:     hidden_remainder_x
      - .offset:         124
        .size:           2
        .value_kind:     hidden_remainder_y
      - .offset:         126
        .size:           2
        .value_kind:     hidden_remainder_z
      - .offset:         144
        .size:           8
        .value_kind:     hidden_global_offset_x
      - .offset:         152
        .size:           8
        .value_kind:     hidden_global_offset_y
      - .offset:         160
        .size:           8
        .value_kind:     hidden_global_offset_z
      - .offset:         168
        .size:           2
        .value_kind:     hidden_grid_dims
    .group_segment_fixed_size: 128
    .kernarg_segment_align: 8
    .kernarg_segment_size: 360
    .language:       OpenCL C
    .language_version:
      - 2
      - 0
    .max_flat_workgroup_size: 256
    .name:           _ZL23rocblas_gemvt_sn_kernelILb1ELi256ELi4ElPKDF16_PKffEviiT4_lPKT3_lilS7_lilPT5_i
    .private_segment_fixed_size: 0
    .sgpr_count:     74
    .sgpr_spill_count: 0
    .symbol:         _ZL23rocblas_gemvt_sn_kernelILb1ELi256ELi4ElPKDF16_PKffEviiT4_lPKT3_lilS7_lilPT5_i.kd
    .uniform_work_group_size: 1
    .uses_dynamic_stack: false
    .vgpr_count:     72
    .vgpr_spill_count: 0
    .wavefront_size: 32
  - .args:
      - .offset:         0
        .size:           4
        .value_kind:     by_value
      - .offset:         4
        .size:           4
        .value_kind:     by_value
      - .offset:         8
        .size:           4
        .value_kind:     by_value
      - .offset:         16
        .size:           8
        .value_kind:     by_value
      - .address_space:  global
        .offset:         24
        .size:           8
        .value_kind:     global_buffer
      - .offset:         32
        .size:           8
        .value_kind:     by_value
      - .offset:         40
        .size:           4
        .value_kind:     by_value
      - .offset:         48
        .size:           8
        .value_kind:     by_value
      - .address_space:  global
        .offset:         56
        .size:           8
        .value_kind:     global_buffer
      - .offset:         64
        .size:           8
        .value_kind:     by_value
      - .offset:         72
        .size:           4
        .value_kind:     by_value
      - .offset:         80
        .size:           8
        .value_kind:     by_value
      - .address_space:  global
        .offset:         88
        .size:           8
        .value_kind:     global_buffer
      - .offset:         96
        .size:           4
        .value_kind:     by_value
      - .offset:         104
        .size:           4
        .value_kind:     hidden_block_count_x
      - .offset:         108
        .size:           4
        .value_kind:     hidden_block_count_y
      - .offset:         112
        .size:           4
        .value_kind:     hidden_block_count_z
      - .offset:         116
        .size:           2
        .value_kind:     hidden_group_size_x
      - .offset:         118
        .size:           2
        .value_kind:     hidden_group_size_y
      - .offset:         120
        .size:           2
        .value_kind:     hidden_group_size_z
      - .offset:         122
        .size:           2
        .value_kind:     hidden_remainder_x
      - .offset:         124
        .size:           2
        .value_kind:     hidden_remainder_y
      - .offset:         126
        .size:           2
        .value_kind:     hidden_remainder_z
      - .offset:         144
        .size:           8
        .value_kind:     hidden_global_offset_x
      - .offset:         152
        .size:           8
        .value_kind:     hidden_global_offset_y
      - .offset:         160
        .size:           8
        .value_kind:     hidden_global_offset_z
      - .offset:         168
        .size:           2
        .value_kind:     hidden_grid_dims
    .group_segment_fixed_size: 128
    .kernarg_segment_align: 8
    .kernarg_segment_size: 360
    .language:       OpenCL C
    .language_version:
      - 2
      - 0
    .max_flat_workgroup_size: 256
    .name:           _ZL23rocblas_gemvt_sn_kernelILb1ELi256ELi4EiPKDF16_ffEviiT4_lPKT3_lilS5_lilPT5_i
    .private_segment_fixed_size: 0
    .sgpr_count:     78
    .sgpr_spill_count: 0
    .symbol:         _ZL23rocblas_gemvt_sn_kernelILb1ELi256ELi4EiPKDF16_ffEviiT4_lPKT3_lilS5_lilPT5_i.kd
    .uniform_work_group_size: 1
    .uses_dynamic_stack: false
    .vgpr_count:     63
    .vgpr_spill_count: 0
    .wavefront_size: 32
  - .args:
      - .offset:         0
        .size:           4
        .value_kind:     by_value
      - .offset:         4
        .size:           4
        .value_kind:     by_value
      - .offset:         8
        .size:           4
        .value_kind:     by_value
      - .offset:         16
        .size:           8
        .value_kind:     by_value
      - .address_space:  global
        .offset:         24
        .size:           8
        .value_kind:     global_buffer
      - .offset:         32
        .size:           8
        .value_kind:     by_value
      - .offset:         40
        .size:           4
        .value_kind:     by_value
      - .offset:         48
        .size:           8
        .value_kind:     by_value
      - .address_space:  global
        .offset:         56
        .size:           8
        .value_kind:     global_buffer
      - .offset:         64
        .size:           8
        .value_kind:     by_value
      - .offset:         72
        .size:           4
        .value_kind:     by_value
      - .offset:         80
        .size:           8
        .value_kind:     by_value
      - .address_space:  global
        .offset:         88
        .size:           8
        .value_kind:     global_buffer
      - .offset:         96
        .size:           4
        .value_kind:     by_value
      - .offset:         104
        .size:           4
        .value_kind:     hidden_block_count_x
      - .offset:         108
        .size:           4
        .value_kind:     hidden_block_count_y
      - .offset:         112
        .size:           4
        .value_kind:     hidden_block_count_z
      - .offset:         116
        .size:           2
        .value_kind:     hidden_group_size_x
      - .offset:         118
        .size:           2
        .value_kind:     hidden_group_size_y
      - .offset:         120
        .size:           2
        .value_kind:     hidden_group_size_z
      - .offset:         122
        .size:           2
        .value_kind:     hidden_remainder_x
      - .offset:         124
        .size:           2
        .value_kind:     hidden_remainder_y
      - .offset:         126
        .size:           2
        .value_kind:     hidden_remainder_z
      - .offset:         144
        .size:           8
        .value_kind:     hidden_global_offset_x
      - .offset:         152
        .size:           8
        .value_kind:     hidden_global_offset_y
      - .offset:         160
        .size:           8
        .value_kind:     hidden_global_offset_z
      - .offset:         168
        .size:           2
        .value_kind:     hidden_grid_dims
    .group_segment_fixed_size: 128
    .kernarg_segment_align: 8
    .kernarg_segment_size: 360
    .language:       OpenCL C
    .language_version:
      - 2
      - 0
    .max_flat_workgroup_size: 256
    .name:           _ZL23rocblas_gemvt_sn_kernelILb1ELi256ELi4ElPKDF16_ffEviiT4_lPKT3_lilS5_lilPT5_i
    .private_segment_fixed_size: 0
    .sgpr_count:     70
    .sgpr_spill_count: 0
    .symbol:         _ZL23rocblas_gemvt_sn_kernelILb1ELi256ELi4ElPKDF16_ffEviiT4_lPKT3_lilS5_lilPT5_i.kd
    .uniform_work_group_size: 1
    .uses_dynamic_stack: false
    .vgpr_count:     70
    .vgpr_spill_count: 0
    .wavefront_size: 32
  - .args:
      - .offset:         0
        .size:           4
        .value_kind:     by_value
      - .offset:         4
        .size:           4
        .value_kind:     by_value
      - .address_space:  global
        .offset:         8
        .size:           8
        .value_kind:     global_buffer
      - .offset:         16
        .size:           8
        .value_kind:     by_value
      - .address_space:  global
        .offset:         24
        .size:           8
        .value_kind:     global_buffer
      - .offset:         32
        .size:           8
        .value_kind:     by_value
      - .offset:         40
        .size:           4
        .value_kind:     by_value
      - .offset:         48
        .size:           8
        .value_kind:     by_value
      - .address_space:  global
        .offset:         56
        .size:           8
        .value_kind:     global_buffer
      - .offset:         64
        .size:           8
        .value_kind:     by_value
      - .offset:         72
        .size:           4
        .value_kind:     by_value
      - .offset:         80
        .size:           8
        .value_kind:     by_value
      - .address_space:  global
        .offset:         88
        .size:           8
        .value_kind:     global_buffer
      - .offset:         96
        .size:           8
        .value_kind:     by_value
      - .address_space:  global
        .offset:         104
        .size:           8
        .value_kind:     global_buffer
      - .offset:         112
        .size:           8
        .value_kind:     by_value
      - .offset:         120
        .size:           4
        .value_kind:     by_value
      - .offset:         128
        .size:           8
        .value_kind:     by_value
      - .offset:         136
        .size:           4
        .value_kind:     by_value
    .group_segment_fixed_size: 1024
    .kernarg_segment_align: 8
    .kernarg_segment_size: 140
    .language:       OpenCL C
    .language_version:
      - 2
      - 0
    .max_flat_workgroup_size: 256
    .name:           _ZL20rocblas_gemvt_kernelILb1ELi256EPKDF16_PKfKPDF16_EviiT2_lPKT1_lilS9_lilS6_lPT3_lili
    .private_segment_fixed_size: 0
    .sgpr_count:     50
    .sgpr_spill_count: 0
    .symbol:         _ZL20rocblas_gemvt_kernelILb1ELi256EPKDF16_PKfKPDF16_EviiT2_lPKT1_lilS9_lilS6_lPT3_lili.kd
    .uniform_work_group_size: 1
    .uses_dynamic_stack: false
    .vgpr_count:     21
    .vgpr_spill_count: 0
    .wavefront_size: 32
  - .args:
      - .offset:         0
        .size:           4
        .value_kind:     by_value
      - .offset:         4
        .size:           4
        .value_kind:     by_value
      - .offset:         8
        .size:           4
        .value_kind:     by_value
      - .offset:         16
        .size:           8
        .value_kind:     by_value
      - .address_space:  global
        .offset:         24
        .size:           8
        .value_kind:     global_buffer
      - .offset:         32
        .size:           8
        .value_kind:     by_value
      - .offset:         40
        .size:           4
        .value_kind:     by_value
      - .offset:         48
        .size:           8
        .value_kind:     by_value
      - .address_space:  global
        .offset:         56
        .size:           8
        .value_kind:     global_buffer
      - .offset:         64
        .size:           8
        .value_kind:     by_value
      - .offset:         72
        .size:           4
        .value_kind:     by_value
      - .offset:         80
        .size:           8
        .value_kind:     by_value
      - .offset:         88
        .size:           4
        .value_kind:     by_value
      - .offset:         96
        .size:           8
        .value_kind:     by_value
      - .address_space:  global
        .offset:         104
        .size:           8
        .value_kind:     global_buffer
      - .offset:         112
        .size:           8
        .value_kind:     by_value
      - .offset:         120
        .size:           4
        .value_kind:     by_value
      - .offset:         128
        .size:           8
        .value_kind:     by_value
      - .offset:         136
        .size:           4
        .value_kind:     by_value
    .group_segment_fixed_size: 1024
    .kernarg_segment_align: 8
    .kernarg_segment_size: 140
    .language:       OpenCL C
    .language_version:
      - 2
      - 0
    .max_flat_workgroup_size: 256
    .name:           _ZL20rocblas_gemvt_kernelILb1ELi256EPKDF16_fKPDF16_EviiT2_lPKT1_lilS7_lilS4_lPT3_lili
    .private_segment_fixed_size: 0
    .sgpr_count:     44
    .sgpr_spill_count: 0
    .symbol:         _ZL20rocblas_gemvt_kernelILb1ELi256EPKDF16_fKPDF16_EviiT2_lPKT1_lilS7_lilS4_lPT3_lili.kd
    .uniform_work_group_size: 1
    .uses_dynamic_stack: false
    .vgpr_count:     21
    .vgpr_spill_count: 0
    .wavefront_size: 32
  - .args:
      - .offset:         0
        .size:           4
        .value_kind:     by_value
      - .offset:         4
        .size:           4
        .value_kind:     by_value
      - .address_space:  global
        .offset:         8
        .size:           8
        .value_kind:     global_buffer
      - .offset:         16
        .size:           8
        .value_kind:     by_value
      - .address_space:  global
        .offset:         24
        .size:           8
        .value_kind:     global_buffer
      - .offset:         32
        .size:           8
        .value_kind:     by_value
      - .offset:         40
        .size:           4
        .value_kind:     by_value
      - .offset:         48
        .size:           8
        .value_kind:     by_value
      - .address_space:  global
        .offset:         56
        .size:           8
        .value_kind:     global_buffer
      - .offset:         64
        .size:           8
        .value_kind:     by_value
      - .offset:         72
        .size:           4
        .value_kind:     by_value
      - .offset:         80
        .size:           8
        .value_kind:     by_value
      - .address_space:  global
        .offset:         88
        .size:           8
        .value_kind:     global_buffer
      - .offset:         96
        .size:           8
        .value_kind:     by_value
      - .address_space:  global
        .offset:         104
        .size:           8
        .value_kind:     global_buffer
      - .offset:         112
        .size:           8
        .value_kind:     by_value
      - .offset:         120
        .size:           4
        .value_kind:     by_value
      - .offset:         128
        .size:           8
        .value_kind:     by_value
      - .offset:         136
        .size:           4
        .value_kind:     by_value
    .group_segment_fixed_size: 128
    .kernarg_segment_align: 8
    .kernarg_segment_size: 140
    .language:       OpenCL C
    .language_version:
      - 2
      - 0
    .max_flat_workgroup_size: 1024
    .name:           _ZL32rocblas_gemvt_warp_reduce_kernelILb1ELi1024EiPKDF16_PKfKPDF16_EviiT3_lPKT2_lT1_lS9_lSA_lS6_lPT4_lSA_li
    .private_segment_fixed_size: 0
    .sgpr_count:     44
    .sgpr_spill_count: 0
    .symbol:         _ZL32rocblas_gemvt_warp_reduce_kernelILb1ELi1024EiPKDF16_PKfKPDF16_EviiT3_lPKT2_lT1_lS9_lSA_lS6_lPT4_lSA_li.kd
    .uniform_work_group_size: 1
    .uses_dynamic_stack: false
    .vgpr_count:     24
    .vgpr_spill_count: 0
    .wavefront_size: 32
  - .args:
      - .offset:         0
        .size:           4
        .value_kind:     by_value
      - .offset:         4
        .size:           4
        .value_kind:     by_value
      - .address_space:  global
        .offset:         8
        .size:           8
        .value_kind:     global_buffer
      - .offset:         16
        .size:           8
        .value_kind:     by_value
      - .address_space:  global
        .offset:         24
        .size:           8
        .value_kind:     global_buffer
      - .offset:         32
        .size:           8
        .value_kind:     by_value
      - .offset:         40
        .size:           8
        .value_kind:     by_value
      - .offset:         48
        .size:           8
        .value_kind:     by_value
      - .address_space:  global
        .offset:         56
        .size:           8
        .value_kind:     global_buffer
      - .offset:         64
        .size:           8
        .value_kind:     by_value
      - .offset:         72
        .size:           8
        .value_kind:     by_value
      - .offset:         80
        .size:           8
        .value_kind:     by_value
      - .address_space:  global
        .offset:         88
        .size:           8
        .value_kind:     global_buffer
      - .offset:         96
        .size:           8
        .value_kind:     by_value
      - .address_space:  global
        .offset:         104
        .size:           8
        .value_kind:     global_buffer
      - .offset:         112
        .size:           8
        .value_kind:     by_value
      - .offset:         120
        .size:           8
        .value_kind:     by_value
      - .offset:         128
        .size:           8
        .value_kind:     by_value
      - .offset:         136
        .size:           4
        .value_kind:     by_value
    .group_segment_fixed_size: 128
    .kernarg_segment_align: 8
    .kernarg_segment_size: 140
    .language:       OpenCL C
    .language_version:
      - 2
      - 0
    .max_flat_workgroup_size: 1024
    .name:           _ZL32rocblas_gemvt_warp_reduce_kernelILb1ELi1024ElPKDF16_PKfKPDF16_EviiT3_lPKT2_lT1_lS9_lSA_lS6_lPT4_lSA_li
    .private_segment_fixed_size: 0
    .sgpr_count:     46
    .sgpr_spill_count: 0
    .symbol:         _ZL32rocblas_gemvt_warp_reduce_kernelILb1ELi1024ElPKDF16_PKfKPDF16_EviiT3_lPKT2_lT1_lS9_lSA_lS6_lPT4_lSA_li.kd
    .uniform_work_group_size: 1
    .uses_dynamic_stack: false
    .vgpr_count:     26
    .vgpr_spill_count: 0
    .wavefront_size: 32
  - .args:
      - .offset:         0
        .size:           4
        .value_kind:     by_value
      - .offset:         4
        .size:           4
        .value_kind:     by_value
      - .offset:         8
        .size:           4
        .value_kind:     by_value
      - .offset:         16
        .size:           8
        .value_kind:     by_value
      - .address_space:  global
        .offset:         24
        .size:           8
        .value_kind:     global_buffer
      - .offset:         32
        .size:           8
        .value_kind:     by_value
      - .offset:         40
        .size:           4
        .value_kind:     by_value
      - .offset:         48
        .size:           8
        .value_kind:     by_value
      - .address_space:  global
        .offset:         56
        .size:           8
        .value_kind:     global_buffer
      - .offset:         64
        .size:           8
        .value_kind:     by_value
      - .offset:         72
        .size:           4
        .value_kind:     by_value
      - .offset:         80
        .size:           8
        .value_kind:     by_value
      - .offset:         88
        .size:           4
        .value_kind:     by_value
      - .offset:         96
        .size:           8
        .value_kind:     by_value
      - .address_space:  global
        .offset:         104
        .size:           8
        .value_kind:     global_buffer
      - .offset:         112
        .size:           8
        .value_kind:     by_value
      - .offset:         120
        .size:           4
        .value_kind:     by_value
      - .offset:         128
        .size:           8
        .value_kind:     by_value
      - .offset:         136
        .size:           4
        .value_kind:     by_value
    .group_segment_fixed_size: 128
    .kernarg_segment_align: 8
    .kernarg_segment_size: 140
    .language:       OpenCL C
    .language_version:
      - 2
      - 0
    .max_flat_workgroup_size: 1024
    .name:           _ZL32rocblas_gemvt_warp_reduce_kernelILb1ELi1024EiPKDF16_fKPDF16_EviiT3_lPKT2_lT1_lS7_lS8_lS4_lPT4_lS8_li
    .private_segment_fixed_size: 0
    .sgpr_count:     40
    .sgpr_spill_count: 0
    .symbol:         _ZL32rocblas_gemvt_warp_reduce_kernelILb1ELi1024EiPKDF16_fKPDF16_EviiT3_lPKT2_lT1_lS7_lS8_lS4_lPT4_lS8_li.kd
    .uniform_work_group_size: 1
    .uses_dynamic_stack: false
    .vgpr_count:     24
    .vgpr_spill_count: 0
    .wavefront_size: 32
  - .args:
      - .offset:         0
        .size:           4
        .value_kind:     by_value
      - .offset:         4
        .size:           4
        .value_kind:     by_value
      - .offset:         8
        .size:           4
        .value_kind:     by_value
      - .offset:         16
        .size:           8
        .value_kind:     by_value
      - .address_space:  global
        .offset:         24
        .size:           8
        .value_kind:     global_buffer
      - .offset:         32
        .size:           8
        .value_kind:     by_value
      - .offset:         40
        .size:           8
        .value_kind:     by_value
      - .offset:         48
        .size:           8
        .value_kind:     by_value
      - .address_space:  global
        .offset:         56
        .size:           8
        .value_kind:     global_buffer
      - .offset:         64
        .size:           8
        .value_kind:     by_value
      - .offset:         72
        .size:           8
        .value_kind:     by_value
      - .offset:         80
        .size:           8
        .value_kind:     by_value
      - .offset:         88
        .size:           4
        .value_kind:     by_value
      - .offset:         96
        .size:           8
        .value_kind:     by_value
      - .address_space:  global
        .offset:         104
        .size:           8
        .value_kind:     global_buffer
      - .offset:         112
        .size:           8
        .value_kind:     by_value
      - .offset:         120
        .size:           8
        .value_kind:     by_value
      - .offset:         128
        .size:           8
        .value_kind:     by_value
      - .offset:         136
        .size:           4
        .value_kind:     by_value
    .group_segment_fixed_size: 128
    .kernarg_segment_align: 8
    .kernarg_segment_size: 140
    .language:       OpenCL C
    .language_version:
      - 2
      - 0
    .max_flat_workgroup_size: 1024
    .name:           _ZL32rocblas_gemvt_warp_reduce_kernelILb1ELi1024ElPKDF16_fKPDF16_EviiT3_lPKT2_lT1_lS7_lS8_lS4_lPT4_lS8_li
    .private_segment_fixed_size: 0
    .sgpr_count:     39
    .sgpr_spill_count: 0
    .symbol:         _ZL32rocblas_gemvt_warp_reduce_kernelILb1ELi1024ElPKDF16_fKPDF16_EviiT3_lPKT2_lT1_lS7_lS8_lS4_lPT4_lS8_li.kd
    .uniform_work_group_size: 1
    .uses_dynamic_stack: false
    .vgpr_count:     26
    .vgpr_spill_count: 0
    .wavefront_size: 32
  - .args:
      - .offset:         0
        .size:           4
        .value_kind:     by_value
      - .offset:         4
        .size:           4
        .value_kind:     by_value
      - .address_space:  global
        .offset:         8
        .size:           8
        .value_kind:     global_buffer
      - .offset:         16
        .size:           8
        .value_kind:     by_value
      - .address_space:  global
        .offset:         24
        .size:           8
        .value_kind:     global_buffer
      - .offset:         32
        .size:           8
        .value_kind:     by_value
      - .offset:         40
        .size:           4
        .value_kind:     by_value
      - .offset:         48
        .size:           8
        .value_kind:     by_value
      - .address_space:  global
        .offset:         56
        .size:           8
        .value_kind:     global_buffer
      - .offset:         64
        .size:           8
        .value_kind:     by_value
      - .offset:         72
        .size:           4
        .value_kind:     by_value
      - .offset:         80
        .size:           8
        .value_kind:     by_value
      - .address_space:  global
        .offset:         88
        .size:           8
        .value_kind:     global_buffer
      - .offset:         96
        .size:           8
        .value_kind:     by_value
      - .address_space:  global
        .offset:         104
        .size:           8
        .value_kind:     global_buffer
      - .offset:         112
        .size:           8
        .value_kind:     by_value
      - .offset:         120
        .size:           4
        .value_kind:     by_value
      - .offset:         128
        .size:           8
        .value_kind:     by_value
      - .offset:         136
        .size:           4
        .value_kind:     by_value
    .group_segment_fixed_size: 0
    .kernarg_segment_align: 8
    .kernarg_segment_size: 140
    .language:       OpenCL C
    .language_version:
      - 2
      - 0
    .max_flat_workgroup_size: 768
    .name:           _ZL34rocblas_gemvn_sm_mn_batched_kernelILi32ELi24EDF16_PKffEviiT2_lPKT1_lilS5_lilS2_lPT3_lili
    .private_segment_fixed_size: 0
    .sgpr_count:     0
    .sgpr_spill_count: 0
    .symbol:         _ZL34rocblas_gemvn_sm_mn_batched_kernelILi32ELi24EDF16_PKffEviiT2_lPKT1_lilS5_lilS2_lPT3_lili.kd
    .uniform_work_group_size: 1
    .uses_dynamic_stack: false
    .vgpr_count:     0
    .vgpr_spill_count: 0
    .wavefront_size: 32
  - .args:
      - .offset:         0
        .size:           4
        .value_kind:     by_value
      - .offset:         4
        .size:           4
        .value_kind:     by_value
      - .offset:         8
        .size:           4
        .value_kind:     by_value
      - .offset:         16
        .size:           8
        .value_kind:     by_value
      - .address_space:  global
        .offset:         24
        .size:           8
        .value_kind:     global_buffer
      - .offset:         32
        .size:           8
        .value_kind:     by_value
      - .offset:         40
        .size:           4
        .value_kind:     by_value
      - .offset:         48
        .size:           8
        .value_kind:     by_value
      - .address_space:  global
        .offset:         56
        .size:           8
        .value_kind:     global_buffer
      - .offset:         64
        .size:           8
        .value_kind:     by_value
      - .offset:         72
        .size:           4
        .value_kind:     by_value
      - .offset:         80
        .size:           8
        .value_kind:     by_value
      - .offset:         88
        .size:           4
        .value_kind:     by_value
      - .offset:         96
        .size:           8
        .value_kind:     by_value
      - .address_space:  global
        .offset:         104
        .size:           8
        .value_kind:     global_buffer
      - .offset:         112
        .size:           8
        .value_kind:     by_value
      - .offset:         120
        .size:           4
        .value_kind:     by_value
      - .offset:         128
        .size:           8
        .value_kind:     by_value
      - .offset:         136
        .size:           4
        .value_kind:     by_value
    .group_segment_fixed_size: 0
    .kernarg_segment_align: 8
    .kernarg_segment_size: 140
    .language:       OpenCL C
    .language_version:
      - 2
      - 0
    .max_flat_workgroup_size: 768
    .name:           _ZL34rocblas_gemvn_sm_mn_batched_kernelILi32ELi24EDF16_ffEviiT2_lPKT1_lilS3_lilS0_lPT3_lili
    .private_segment_fixed_size: 0
    .sgpr_count:     0
    .sgpr_spill_count: 0
    .symbol:         _ZL34rocblas_gemvn_sm_mn_batched_kernelILi32ELi24EDF16_ffEviiT2_lPKT1_lilS3_lilS0_lPT3_lili.kd
    .uniform_work_group_size: 1
    .uses_dynamic_stack: false
    .vgpr_count:     0
    .vgpr_spill_count: 0
    .wavefront_size: 32
  - .args:
      - .offset:         0
        .size:           4
        .value_kind:     by_value
      - .offset:         4
        .size:           4
        .value_kind:     by_value
      - .address_space:  global
        .offset:         8
        .size:           8
        .value_kind:     global_buffer
      - .offset:         16
        .size:           8
        .value_kind:     by_value
      - .address_space:  global
        .offset:         24
        .size:           8
        .value_kind:     global_buffer
      - .offset:         32
        .size:           8
        .value_kind:     by_value
      - .offset:         40
        .size:           4
        .value_kind:     by_value
      - .offset:         48
        .size:           8
        .value_kind:     by_value
      - .address_space:  global
        .offset:         56
        .size:           8
        .value_kind:     global_buffer
      - .offset:         64
        .size:           8
        .value_kind:     by_value
      - .offset:         72
        .size:           4
        .value_kind:     by_value
      - .offset:         80
        .size:           8
        .value_kind:     by_value
      - .address_space:  global
        .offset:         88
        .size:           8
        .value_kind:     global_buffer
      - .offset:         96
        .size:           8
        .value_kind:     by_value
      - .address_space:  global
        .offset:         104
        .size:           8
        .value_kind:     global_buffer
      - .offset:         112
        .size:           8
        .value_kind:     by_value
      - .offset:         120
        .size:           4
        .value_kind:     by_value
      - .offset:         128
        .size:           8
        .value_kind:     by_value
      - .offset:         136
        .size:           4
        .value_kind:     by_value
      - .offset:         144
        .size:           4
        .value_kind:     hidden_block_count_x
      - .offset:         148
        .size:           4
        .value_kind:     hidden_block_count_y
      - .offset:         152
        .size:           4
        .value_kind:     hidden_block_count_z
      - .offset:         156
        .size:           2
        .value_kind:     hidden_group_size_x
      - .offset:         158
        .size:           2
        .value_kind:     hidden_group_size_y
      - .offset:         160
        .size:           2
        .value_kind:     hidden_group_size_z
      - .offset:         162
        .size:           2
        .value_kind:     hidden_remainder_x
      - .offset:         164
        .size:           2
        .value_kind:     hidden_remainder_y
      - .offset:         166
        .size:           2
        .value_kind:     hidden_remainder_z
      - .offset:         184
        .size:           8
        .value_kind:     hidden_global_offset_x
      - .offset:         192
        .size:           8
        .value_kind:     hidden_global_offset_y
      - .offset:         200
        .size:           8
        .value_kind:     hidden_global_offset_z
      - .offset:         208
        .size:           2
        .value_kind:     hidden_grid_dims
    .group_segment_fixed_size: 4096
    .kernarg_segment_align: 8
    .kernarg_segment_size: 400
    .language:       OpenCL C
    .language_version:
      - 2
      - 0
    .max_flat_workgroup_size: 256
    .name:           _ZL20rocblas_gemvn_kernelILi64ELi4EiDF16_PKffEviiT3_lPKT2_lT1_lS5_lS6_lS2_lPT4_lS6_li
    .private_segment_fixed_size: 0
    .sgpr_count:     57
    .sgpr_spill_count: 0
    .symbol:         _ZL20rocblas_gemvn_kernelILi64ELi4EiDF16_PKffEviiT3_lPKT2_lT1_lS5_lS6_lS2_lPT4_lS6_li.kd
    .uniform_work_group_size: 1
    .uses_dynamic_stack: false
    .vgpr_count:     55
    .vgpr_spill_count: 0
    .wavefront_size: 32
  - .args:
      - .offset:         0
        .size:           4
        .value_kind:     by_value
      - .offset:         4
        .size:           4
        .value_kind:     by_value
      - .address_space:  global
        .offset:         8
        .size:           8
        .value_kind:     global_buffer
      - .offset:         16
        .size:           8
        .value_kind:     by_value
      - .address_space:  global
        .offset:         24
        .size:           8
        .value_kind:     global_buffer
      - .offset:         32
        .size:           8
        .value_kind:     by_value
      - .offset:         40
        .size:           8
        .value_kind:     by_value
      - .offset:         48
        .size:           8
        .value_kind:     by_value
      - .address_space:  global
        .offset:         56
        .size:           8
        .value_kind:     global_buffer
      - .offset:         64
        .size:           8
        .value_kind:     by_value
      - .offset:         72
        .size:           8
        .value_kind:     by_value
      - .offset:         80
        .size:           8
        .value_kind:     by_value
      - .address_space:  global
        .offset:         88
        .size:           8
        .value_kind:     global_buffer
      - .offset:         96
        .size:           8
        .value_kind:     by_value
      - .address_space:  global
        .offset:         104
        .size:           8
        .value_kind:     global_buffer
      - .offset:         112
        .size:           8
        .value_kind:     by_value
      - .offset:         120
        .size:           8
        .value_kind:     by_value
      - .offset:         128
        .size:           8
        .value_kind:     by_value
      - .offset:         136
        .size:           4
        .value_kind:     by_value
      - .offset:         144
        .size:           4
        .value_kind:     hidden_block_count_x
      - .offset:         148
        .size:           4
        .value_kind:     hidden_block_count_y
      - .offset:         152
        .size:           4
        .value_kind:     hidden_block_count_z
      - .offset:         156
        .size:           2
        .value_kind:     hidden_group_size_x
      - .offset:         158
        .size:           2
        .value_kind:     hidden_group_size_y
      - .offset:         160
        .size:           2
        .value_kind:     hidden_group_size_z
      - .offset:         162
        .size:           2
        .value_kind:     hidden_remainder_x
      - .offset:         164
        .size:           2
        .value_kind:     hidden_remainder_y
      - .offset:         166
        .size:           2
        .value_kind:     hidden_remainder_z
      - .offset:         184
        .size:           8
        .value_kind:     hidden_global_offset_x
      - .offset:         192
        .size:           8
        .value_kind:     hidden_global_offset_y
      - .offset:         200
        .size:           8
        .value_kind:     hidden_global_offset_z
      - .offset:         208
        .size:           2
        .value_kind:     hidden_grid_dims
    .group_segment_fixed_size: 4096
    .kernarg_segment_align: 8
    .kernarg_segment_size: 400
    .language:       OpenCL C
    .language_version:
      - 2
      - 0
    .max_flat_workgroup_size: 256
    .name:           _ZL20rocblas_gemvn_kernelILi64ELi4ElDF16_PKffEviiT3_lPKT2_lT1_lS5_lS6_lS2_lPT4_lS6_li
    .private_segment_fixed_size: 0
    .sgpr_count:     62
    .sgpr_spill_count: 0
    .symbol:         _ZL20rocblas_gemvn_kernelILi64ELi4ElDF16_PKffEviiT3_lPKT2_lT1_lS5_lS6_lS2_lPT4_lS6_li.kd
    .uniform_work_group_size: 1
    .uses_dynamic_stack: false
    .vgpr_count:     76
    .vgpr_spill_count: 0
    .wavefront_size: 32
  - .args:
      - .offset:         0
        .size:           4
        .value_kind:     by_value
      - .offset:         4
        .size:           4
        .value_kind:     by_value
      - .offset:         8
        .size:           4
        .value_kind:     by_value
      - .offset:         16
        .size:           8
        .value_kind:     by_value
      - .address_space:  global
        .offset:         24
        .size:           8
        .value_kind:     global_buffer
      - .offset:         32
        .size:           8
        .value_kind:     by_value
      - .offset:         40
        .size:           4
        .value_kind:     by_value
      - .offset:         48
        .size:           8
        .value_kind:     by_value
      - .address_space:  global
        .offset:         56
        .size:           8
        .value_kind:     global_buffer
      - .offset:         64
        .size:           8
        .value_kind:     by_value
      - .offset:         72
        .size:           4
        .value_kind:     by_value
      - .offset:         80
        .size:           8
        .value_kind:     by_value
      - .offset:         88
        .size:           4
        .value_kind:     by_value
      - .offset:         96
        .size:           8
        .value_kind:     by_value
      - .address_space:  global
        .offset:         104
        .size:           8
        .value_kind:     global_buffer
      - .offset:         112
        .size:           8
        .value_kind:     by_value
      - .offset:         120
        .size:           4
        .value_kind:     by_value
      - .offset:         128
        .size:           8
        .value_kind:     by_value
      - .offset:         136
        .size:           4
        .value_kind:     by_value
      - .offset:         144
        .size:           4
        .value_kind:     hidden_block_count_x
      - .offset:         148
        .size:           4
        .value_kind:     hidden_block_count_y
      - .offset:         152
        .size:           4
        .value_kind:     hidden_block_count_z
      - .offset:         156
        .size:           2
        .value_kind:     hidden_group_size_x
      - .offset:         158
        .size:           2
        .value_kind:     hidden_group_size_y
      - .offset:         160
        .size:           2
        .value_kind:     hidden_group_size_z
      - .offset:         162
        .size:           2
        .value_kind:     hidden_remainder_x
      - .offset:         164
        .size:           2
        .value_kind:     hidden_remainder_y
      - .offset:         166
        .size:           2
        .value_kind:     hidden_remainder_z
      - .offset:         184
        .size:           8
        .value_kind:     hidden_global_offset_x
      - .offset:         192
        .size:           8
        .value_kind:     hidden_global_offset_y
      - .offset:         200
        .size:           8
        .value_kind:     hidden_global_offset_z
      - .offset:         208
        .size:           2
        .value_kind:     hidden_grid_dims
    .group_segment_fixed_size: 4096
    .kernarg_segment_align: 8
    .kernarg_segment_size: 400
    .language:       OpenCL C
    .language_version:
      - 2
      - 0
    .max_flat_workgroup_size: 256
    .name:           _ZL20rocblas_gemvn_kernelILi64ELi4EiDF16_ffEviiT3_lPKT2_lT1_lS3_lS4_lS0_lPT4_lS4_li
    .private_segment_fixed_size: 0
    .sgpr_count:     53
    .sgpr_spill_count: 0
    .symbol:         _ZL20rocblas_gemvn_kernelILi64ELi4EiDF16_ffEviiT3_lPKT2_lT1_lS3_lS4_lS0_lPT4_lS4_li.kd
    .uniform_work_group_size: 1
    .uses_dynamic_stack: false
    .vgpr_count:     57
    .vgpr_spill_count: 0
    .wavefront_size: 32
  - .args:
      - .offset:         0
        .size:           4
        .value_kind:     by_value
      - .offset:         4
        .size:           4
        .value_kind:     by_value
      - .offset:         8
        .size:           4
        .value_kind:     by_value
      - .offset:         16
        .size:           8
        .value_kind:     by_value
      - .address_space:  global
        .offset:         24
        .size:           8
        .value_kind:     global_buffer
      - .offset:         32
        .size:           8
        .value_kind:     by_value
      - .offset:         40
        .size:           8
        .value_kind:     by_value
      - .offset:         48
        .size:           8
        .value_kind:     by_value
      - .address_space:  global
        .offset:         56
        .size:           8
        .value_kind:     global_buffer
      - .offset:         64
        .size:           8
        .value_kind:     by_value
      - .offset:         72
        .size:           8
        .value_kind:     by_value
      - .offset:         80
        .size:           8
        .value_kind:     by_value
      - .offset:         88
        .size:           4
        .value_kind:     by_value
      - .offset:         96
        .size:           8
        .value_kind:     by_value
      - .address_space:  global
        .offset:         104
        .size:           8
        .value_kind:     global_buffer
      - .offset:         112
        .size:           8
        .value_kind:     by_value
      - .offset:         120
        .size:           8
        .value_kind:     by_value
      - .offset:         128
        .size:           8
        .value_kind:     by_value
      - .offset:         136
        .size:           4
        .value_kind:     by_value
      - .offset:         144
        .size:           4
        .value_kind:     hidden_block_count_x
      - .offset:         148
        .size:           4
        .value_kind:     hidden_block_count_y
      - .offset:         152
        .size:           4
        .value_kind:     hidden_block_count_z
      - .offset:         156
        .size:           2
        .value_kind:     hidden_group_size_x
      - .offset:         158
        .size:           2
        .value_kind:     hidden_group_size_y
      - .offset:         160
        .size:           2
        .value_kind:     hidden_group_size_z
      - .offset:         162
        .size:           2
        .value_kind:     hidden_remainder_x
      - .offset:         164
        .size:           2
        .value_kind:     hidden_remainder_y
      - .offset:         166
        .size:           2
        .value_kind:     hidden_remainder_z
      - .offset:         184
        .size:           8
        .value_kind:     hidden_global_offset_x
      - .offset:         192
        .size:           8
        .value_kind:     hidden_global_offset_y
      - .offset:         200
        .size:           8
        .value_kind:     hidden_global_offset_z
      - .offset:         208
        .size:           2
        .value_kind:     hidden_grid_dims
    .group_segment_fixed_size: 4096
    .kernarg_segment_align: 8
    .kernarg_segment_size: 400
    .language:       OpenCL C
    .language_version:
      - 2
      - 0
    .max_flat_workgroup_size: 256
    .name:           _ZL20rocblas_gemvn_kernelILi64ELi4ElDF16_ffEviiT3_lPKT2_lT1_lS3_lS4_lS0_lPT4_lS4_li
    .private_segment_fixed_size: 0
    .sgpr_count:     58
    .sgpr_spill_count: 0
    .symbol:         _ZL20rocblas_gemvn_kernelILi64ELi4ElDF16_ffEviiT3_lPKT2_lT1_lS3_lS4_lS0_lPT4_lS4_li.kd
    .uniform_work_group_size: 1
    .uses_dynamic_stack: false
    .vgpr_count:     75
    .vgpr_spill_count: 0
    .wavefront_size: 32
  - .args:
      - .offset:         0
        .size:           4
        .value_kind:     by_value
      - .offset:         4
        .size:           4
        .value_kind:     by_value
      - .address_space:  global
        .offset:         8
        .size:           8
        .value_kind:     global_buffer
      - .offset:         16
        .size:           8
        .value_kind:     by_value
      - .address_space:  global
        .offset:         24
        .size:           8
        .value_kind:     global_buffer
      - .offset:         32
        .size:           8
        .value_kind:     by_value
      - .offset:         40
        .size:           4
        .value_kind:     by_value
      - .offset:         48
        .size:           8
        .value_kind:     by_value
      - .address_space:  global
        .offset:         56
        .size:           8
        .value_kind:     global_buffer
      - .offset:         64
        .size:           8
        .value_kind:     by_value
      - .offset:         72
        .size:           4
        .value_kind:     by_value
      - .offset:         80
        .size:           8
        .value_kind:     by_value
      - .address_space:  global
        .offset:         88
        .size:           8
        .value_kind:     global_buffer
      - .offset:         96
        .size:           8
        .value_kind:     by_value
      - .address_space:  global
        .offset:         104
        .size:           8
        .value_kind:     global_buffer
      - .offset:         112
        .size:           8
        .value_kind:     by_value
      - .offset:         120
        .size:           4
        .value_kind:     by_value
      - .offset:         128
        .size:           8
        .value_kind:     by_value
      - .offset:         136
        .size:           4
        .value_kind:     by_value
      - .offset:         144
        .size:           4
        .value_kind:     hidden_block_count_x
      - .offset:         148
        .size:           4
        .value_kind:     hidden_block_count_y
      - .offset:         152
        .size:           4
        .value_kind:     hidden_block_count_z
      - .offset:         156
        .size:           2
        .value_kind:     hidden_group_size_x
      - .offset:         158
        .size:           2
        .value_kind:     hidden_group_size_y
      - .offset:         160
        .size:           2
        .value_kind:     hidden_group_size_z
      - .offset:         162
        .size:           2
        .value_kind:     hidden_remainder_x
      - .offset:         164
        .size:           2
        .value_kind:     hidden_remainder_y
      - .offset:         166
        .size:           2
        .value_kind:     hidden_remainder_z
      - .offset:         184
        .size:           8
        .value_kind:     hidden_global_offset_x
      - .offset:         192
        .size:           8
        .value_kind:     hidden_global_offset_y
      - .offset:         200
        .size:           8
        .value_kind:     hidden_global_offset_z
      - .offset:         208
        .size:           2
        .value_kind:     hidden_grid_dims
    .group_segment_fixed_size: 8192
    .kernarg_segment_align: 8
    .kernarg_segment_size: 400
    .language:       OpenCL C
    .language_version:
      - 2
      - 0
    .max_flat_workgroup_size: 512
    .name:           _ZL20rocblas_gemvn_kernelILi32ELi16EiDF16_PKffEviiT3_lPKT2_lT1_lS5_lS6_lS2_lPT4_lS6_li
    .private_segment_fixed_size: 0
    .sgpr_count:     57
    .sgpr_spill_count: 0
    .symbol:         _ZL20rocblas_gemvn_kernelILi32ELi16EiDF16_PKffEviiT3_lPKT2_lT1_lS5_lS6_lS2_lPT4_lS6_li.kd
    .uniform_work_group_size: 1
    .uses_dynamic_stack: false
    .vgpr_count:     55
    .vgpr_spill_count: 0
    .wavefront_size: 32
  - .args:
      - .offset:         0
        .size:           4
        .value_kind:     by_value
      - .offset:         4
        .size:           4
        .value_kind:     by_value
      - .address_space:  global
        .offset:         8
        .size:           8
        .value_kind:     global_buffer
      - .offset:         16
        .size:           8
        .value_kind:     by_value
      - .address_space:  global
        .offset:         24
        .size:           8
        .value_kind:     global_buffer
      - .offset:         32
        .size:           8
        .value_kind:     by_value
      - .offset:         40
        .size:           8
        .value_kind:     by_value
      - .offset:         48
        .size:           8
        .value_kind:     by_value
      - .address_space:  global
        .offset:         56
        .size:           8
        .value_kind:     global_buffer
      - .offset:         64
        .size:           8
        .value_kind:     by_value
      - .offset:         72
        .size:           8
        .value_kind:     by_value
      - .offset:         80
        .size:           8
        .value_kind:     by_value
      - .address_space:  global
        .offset:         88
        .size:           8
        .value_kind:     global_buffer
      - .offset:         96
        .size:           8
        .value_kind:     by_value
      - .address_space:  global
        .offset:         104
        .size:           8
        .value_kind:     global_buffer
      - .offset:         112
        .size:           8
        .value_kind:     by_value
      - .offset:         120
        .size:           8
        .value_kind:     by_value
      - .offset:         128
        .size:           8
        .value_kind:     by_value
      - .offset:         136
        .size:           4
        .value_kind:     by_value
      - .offset:         144
        .size:           4
        .value_kind:     hidden_block_count_x
      - .offset:         148
        .size:           4
        .value_kind:     hidden_block_count_y
      - .offset:         152
        .size:           4
        .value_kind:     hidden_block_count_z
      - .offset:         156
        .size:           2
        .value_kind:     hidden_group_size_x
      - .offset:         158
        .size:           2
        .value_kind:     hidden_group_size_y
      - .offset:         160
        .size:           2
        .value_kind:     hidden_group_size_z
      - .offset:         162
        .size:           2
        .value_kind:     hidden_remainder_x
      - .offset:         164
        .size:           2
        .value_kind:     hidden_remainder_y
      - .offset:         166
        .size:           2
        .value_kind:     hidden_remainder_z
      - .offset:         184
        .size:           8
        .value_kind:     hidden_global_offset_x
      - .offset:         192
        .size:           8
        .value_kind:     hidden_global_offset_y
      - .offset:         200
        .size:           8
        .value_kind:     hidden_global_offset_z
      - .offset:         208
        .size:           2
        .value_kind:     hidden_grid_dims
    .group_segment_fixed_size: 8192
    .kernarg_segment_align: 8
    .kernarg_segment_size: 400
    .language:       OpenCL C
    .language_version:
      - 2
      - 0
    .max_flat_workgroup_size: 512
    .name:           _ZL20rocblas_gemvn_kernelILi32ELi16ElDF16_PKffEviiT3_lPKT2_lT1_lS5_lS6_lS2_lPT4_lS6_li
    .private_segment_fixed_size: 0
    .sgpr_count:     62
    .sgpr_spill_count: 0
    .symbol:         _ZL20rocblas_gemvn_kernelILi32ELi16ElDF16_PKffEviiT3_lPKT2_lT1_lS5_lS6_lS2_lPT4_lS6_li.kd
    .uniform_work_group_size: 1
    .uses_dynamic_stack: false
    .vgpr_count:     76
    .vgpr_spill_count: 0
    .wavefront_size: 32
  - .args:
      - .offset:         0
        .size:           4
        .value_kind:     by_value
      - .offset:         4
        .size:           4
        .value_kind:     by_value
      - .offset:         8
        .size:           4
        .value_kind:     by_value
      - .offset:         16
        .size:           8
        .value_kind:     by_value
      - .address_space:  global
        .offset:         24
        .size:           8
        .value_kind:     global_buffer
      - .offset:         32
        .size:           8
        .value_kind:     by_value
      - .offset:         40
        .size:           4
        .value_kind:     by_value
      - .offset:         48
        .size:           8
        .value_kind:     by_value
      - .address_space:  global
        .offset:         56
        .size:           8
        .value_kind:     global_buffer
      - .offset:         64
        .size:           8
        .value_kind:     by_value
      - .offset:         72
        .size:           4
        .value_kind:     by_value
      - .offset:         80
        .size:           8
        .value_kind:     by_value
      - .offset:         88
        .size:           4
        .value_kind:     by_value
      - .offset:         96
        .size:           8
        .value_kind:     by_value
      - .address_space:  global
        .offset:         104
        .size:           8
        .value_kind:     global_buffer
      - .offset:         112
        .size:           8
        .value_kind:     by_value
      - .offset:         120
        .size:           4
        .value_kind:     by_value
      - .offset:         128
        .size:           8
        .value_kind:     by_value
      - .offset:         136
        .size:           4
        .value_kind:     by_value
      - .offset:         144
        .size:           4
        .value_kind:     hidden_block_count_x
      - .offset:         148
        .size:           4
        .value_kind:     hidden_block_count_y
      - .offset:         152
        .size:           4
        .value_kind:     hidden_block_count_z
      - .offset:         156
        .size:           2
        .value_kind:     hidden_group_size_x
      - .offset:         158
        .size:           2
        .value_kind:     hidden_group_size_y
      - .offset:         160
        .size:           2
        .value_kind:     hidden_group_size_z
      - .offset:         162
        .size:           2
        .value_kind:     hidden_remainder_x
      - .offset:         164
        .size:           2
        .value_kind:     hidden_remainder_y
      - .offset:         166
        .size:           2
        .value_kind:     hidden_remainder_z
      - .offset:         184
        .size:           8
        .value_kind:     hidden_global_offset_x
      - .offset:         192
        .size:           8
        .value_kind:     hidden_global_offset_y
      - .offset:         200
        .size:           8
        .value_kind:     hidden_global_offset_z
      - .offset:         208
        .size:           2
        .value_kind:     hidden_grid_dims
    .group_segment_fixed_size: 8192
    .kernarg_segment_align: 8
    .kernarg_segment_size: 400
    .language:       OpenCL C
    .language_version:
      - 2
      - 0
    .max_flat_workgroup_size: 512
    .name:           _ZL20rocblas_gemvn_kernelILi32ELi16EiDF16_ffEviiT3_lPKT2_lT1_lS3_lS4_lS0_lPT4_lS4_li
    .private_segment_fixed_size: 0
    .sgpr_count:     53
    .sgpr_spill_count: 0
    .symbol:         _ZL20rocblas_gemvn_kernelILi32ELi16EiDF16_ffEviiT3_lPKT2_lT1_lS3_lS4_lS0_lPT4_lS4_li.kd
    .uniform_work_group_size: 1
    .uses_dynamic_stack: false
    .vgpr_count:     57
    .vgpr_spill_count: 0
    .wavefront_size: 32
  - .args:
      - .offset:         0
        .size:           4
        .value_kind:     by_value
      - .offset:         4
        .size:           4
        .value_kind:     by_value
      - .offset:         8
        .size:           4
        .value_kind:     by_value
      - .offset:         16
        .size:           8
        .value_kind:     by_value
      - .address_space:  global
        .offset:         24
        .size:           8
        .value_kind:     global_buffer
      - .offset:         32
        .size:           8
        .value_kind:     by_value
      - .offset:         40
        .size:           8
        .value_kind:     by_value
      - .offset:         48
        .size:           8
        .value_kind:     by_value
      - .address_space:  global
        .offset:         56
        .size:           8
        .value_kind:     global_buffer
      - .offset:         64
        .size:           8
        .value_kind:     by_value
      - .offset:         72
        .size:           8
        .value_kind:     by_value
      - .offset:         80
        .size:           8
        .value_kind:     by_value
      - .offset:         88
        .size:           4
        .value_kind:     by_value
      - .offset:         96
        .size:           8
        .value_kind:     by_value
      - .address_space:  global
        .offset:         104
        .size:           8
        .value_kind:     global_buffer
      - .offset:         112
        .size:           8
        .value_kind:     by_value
      - .offset:         120
        .size:           8
        .value_kind:     by_value
      - .offset:         128
        .size:           8
        .value_kind:     by_value
      - .offset:         136
        .size:           4
        .value_kind:     by_value
      - .offset:         144
        .size:           4
        .value_kind:     hidden_block_count_x
      - .offset:         148
        .size:           4
        .value_kind:     hidden_block_count_y
      - .offset:         152
        .size:           4
        .value_kind:     hidden_block_count_z
      - .offset:         156
        .size:           2
        .value_kind:     hidden_group_size_x
      - .offset:         158
        .size:           2
        .value_kind:     hidden_group_size_y
      - .offset:         160
        .size:           2
        .value_kind:     hidden_group_size_z
      - .offset:         162
        .size:           2
        .value_kind:     hidden_remainder_x
      - .offset:         164
        .size:           2
        .value_kind:     hidden_remainder_y
      - .offset:         166
        .size:           2
        .value_kind:     hidden_remainder_z
      - .offset:         184
        .size:           8
        .value_kind:     hidden_global_offset_x
      - .offset:         192
        .size:           8
        .value_kind:     hidden_global_offset_y
      - .offset:         200
        .size:           8
        .value_kind:     hidden_global_offset_z
      - .offset:         208
        .size:           2
        .value_kind:     hidden_grid_dims
    .group_segment_fixed_size: 8192
    .kernarg_segment_align: 8
    .kernarg_segment_size: 400
    .language:       OpenCL C
    .language_version:
      - 2
      - 0
    .max_flat_workgroup_size: 512
    .name:           _ZL20rocblas_gemvn_kernelILi32ELi16ElDF16_ffEviiT3_lPKT2_lT1_lS3_lS4_lS0_lPT4_lS4_li
    .private_segment_fixed_size: 0
    .sgpr_count:     58
    .sgpr_spill_count: 0
    .symbol:         _ZL20rocblas_gemvn_kernelILi32ELi16ElDF16_ffEviiT3_lPKT2_lT1_lS3_lS4_lS0_lPT4_lS4_li.kd
    .uniform_work_group_size: 1
    .uses_dynamic_stack: false
    .vgpr_count:     75
    .vgpr_spill_count: 0
    .wavefront_size: 32
  - .args:
      - .offset:         0
        .size:           4
        .value_kind:     by_value
      - .offset:         4
        .size:           4
        .value_kind:     by_value
      - .address_space:  global
        .offset:         8
        .size:           8
        .value_kind:     global_buffer
      - .offset:         16
        .size:           8
        .value_kind:     by_value
      - .address_space:  global
        .offset:         24
        .size:           8
        .value_kind:     global_buffer
      - .offset:         32
        .size:           8
        .value_kind:     by_value
      - .offset:         40
        .size:           4
        .value_kind:     by_value
      - .offset:         48
        .size:           8
        .value_kind:     by_value
      - .address_space:  global
        .offset:         56
        .size:           8
        .value_kind:     global_buffer
      - .offset:         64
        .size:           8
        .value_kind:     by_value
      - .offset:         72
        .size:           4
        .value_kind:     by_value
      - .offset:         80
        .size:           8
        .value_kind:     by_value
      - .address_space:  global
        .offset:         88
        .size:           8
        .value_kind:     global_buffer
      - .offset:         96
        .size:           8
        .value_kind:     by_value
      - .address_space:  global
        .offset:         104
        .size:           8
        .value_kind:     global_buffer
      - .offset:         112
        .size:           8
        .value_kind:     by_value
      - .offset:         120
        .size:           4
        .value_kind:     by_value
      - .offset:         128
        .size:           8
        .value_kind:     by_value
      - .offset:         136
        .size:           4
        .value_kind:     by_value
      - .offset:         144
        .size:           4
        .value_kind:     hidden_block_count_x
      - .offset:         148
        .size:           4
        .value_kind:     hidden_block_count_y
      - .offset:         152
        .size:           4
        .value_kind:     hidden_block_count_z
      - .offset:         156
        .size:           2
        .value_kind:     hidden_group_size_x
      - .offset:         158
        .size:           2
        .value_kind:     hidden_group_size_y
      - .offset:         160
        .size:           2
        .value_kind:     hidden_group_size_z
      - .offset:         162
        .size:           2
        .value_kind:     hidden_remainder_x
      - .offset:         164
        .size:           2
        .value_kind:     hidden_remainder_y
      - .offset:         166
        .size:           2
        .value_kind:     hidden_remainder_z
      - .offset:         184
        .size:           8
        .value_kind:     hidden_global_offset_x
      - .offset:         192
        .size:           8
        .value_kind:     hidden_global_offset_y
      - .offset:         200
        .size:           8
        .value_kind:     hidden_global_offset_z
      - .offset:         208
        .size:           2
        .value_kind:     hidden_grid_dims
    .group_segment_fixed_size: 16384
    .kernarg_segment_align: 8
    .kernarg_segment_size: 400
    .language:       OpenCL C
    .language_version:
      - 2
      - 0
    .max_flat_workgroup_size: 1024
    .name:           _ZL20rocblas_gemvn_kernelILi64ELi16EiDF16_PKffEviiT3_lPKT2_lT1_lS5_lS6_lS2_lPT4_lS6_li
    .private_segment_fixed_size: 0
    .sgpr_count:     57
    .sgpr_spill_count: 0
    .symbol:         _ZL20rocblas_gemvn_kernelILi64ELi16EiDF16_PKffEviiT3_lPKT2_lT1_lS5_lS6_lS2_lPT4_lS6_li.kd
    .uniform_work_group_size: 1
    .uses_dynamic_stack: false
    .vgpr_count:     55
    .vgpr_spill_count: 0
    .wavefront_size: 32
  - .args:
      - .offset:         0
        .size:           4
        .value_kind:     by_value
      - .offset:         4
        .size:           4
        .value_kind:     by_value
      - .address_space:  global
        .offset:         8
        .size:           8
        .value_kind:     global_buffer
      - .offset:         16
        .size:           8
        .value_kind:     by_value
      - .address_space:  global
        .offset:         24
        .size:           8
        .value_kind:     global_buffer
      - .offset:         32
        .size:           8
        .value_kind:     by_value
      - .offset:         40
        .size:           8
        .value_kind:     by_value
      - .offset:         48
        .size:           8
        .value_kind:     by_value
      - .address_space:  global
        .offset:         56
        .size:           8
        .value_kind:     global_buffer
      - .offset:         64
        .size:           8
        .value_kind:     by_value
      - .offset:         72
        .size:           8
        .value_kind:     by_value
      - .offset:         80
        .size:           8
        .value_kind:     by_value
      - .address_space:  global
        .offset:         88
        .size:           8
        .value_kind:     global_buffer
      - .offset:         96
        .size:           8
        .value_kind:     by_value
      - .address_space:  global
        .offset:         104
        .size:           8
        .value_kind:     global_buffer
      - .offset:         112
        .size:           8
        .value_kind:     by_value
      - .offset:         120
        .size:           8
        .value_kind:     by_value
      - .offset:         128
        .size:           8
        .value_kind:     by_value
      - .offset:         136
        .size:           4
        .value_kind:     by_value
      - .offset:         144
        .size:           4
        .value_kind:     hidden_block_count_x
      - .offset:         148
        .size:           4
        .value_kind:     hidden_block_count_y
      - .offset:         152
        .size:           4
        .value_kind:     hidden_block_count_z
      - .offset:         156
        .size:           2
        .value_kind:     hidden_group_size_x
      - .offset:         158
        .size:           2
        .value_kind:     hidden_group_size_y
      - .offset:         160
        .size:           2
        .value_kind:     hidden_group_size_z
      - .offset:         162
        .size:           2
        .value_kind:     hidden_remainder_x
      - .offset:         164
        .size:           2
        .value_kind:     hidden_remainder_y
      - .offset:         166
        .size:           2
        .value_kind:     hidden_remainder_z
      - .offset:         184
        .size:           8
        .value_kind:     hidden_global_offset_x
      - .offset:         192
        .size:           8
        .value_kind:     hidden_global_offset_y
      - .offset:         200
        .size:           8
        .value_kind:     hidden_global_offset_z
      - .offset:         208
        .size:           2
        .value_kind:     hidden_grid_dims
    .group_segment_fixed_size: 16384
    .kernarg_segment_align: 8
    .kernarg_segment_size: 400
    .language:       OpenCL C
    .language_version:
      - 2
      - 0
    .max_flat_workgroup_size: 1024
    .name:           _ZL20rocblas_gemvn_kernelILi64ELi16ElDF16_PKffEviiT3_lPKT2_lT1_lS5_lS6_lS2_lPT4_lS6_li
    .private_segment_fixed_size: 0
    .sgpr_count:     62
    .sgpr_spill_count: 0
    .symbol:         _ZL20rocblas_gemvn_kernelILi64ELi16ElDF16_PKffEviiT3_lPKT2_lT1_lS5_lS6_lS2_lPT4_lS6_li.kd
    .uniform_work_group_size: 1
    .uses_dynamic_stack: false
    .vgpr_count:     76
    .vgpr_spill_count: 0
    .wavefront_size: 32
  - .args:
      - .offset:         0
        .size:           4
        .value_kind:     by_value
      - .offset:         4
        .size:           4
        .value_kind:     by_value
      - .offset:         8
        .size:           4
        .value_kind:     by_value
      - .offset:         16
        .size:           8
        .value_kind:     by_value
      - .address_space:  global
        .offset:         24
        .size:           8
        .value_kind:     global_buffer
      - .offset:         32
        .size:           8
        .value_kind:     by_value
      - .offset:         40
        .size:           4
        .value_kind:     by_value
      - .offset:         48
        .size:           8
        .value_kind:     by_value
      - .address_space:  global
        .offset:         56
        .size:           8
        .value_kind:     global_buffer
      - .offset:         64
        .size:           8
        .value_kind:     by_value
      - .offset:         72
        .size:           4
        .value_kind:     by_value
      - .offset:         80
        .size:           8
        .value_kind:     by_value
      - .offset:         88
        .size:           4
        .value_kind:     by_value
      - .offset:         96
        .size:           8
        .value_kind:     by_value
      - .address_space:  global
        .offset:         104
        .size:           8
        .value_kind:     global_buffer
      - .offset:         112
        .size:           8
        .value_kind:     by_value
      - .offset:         120
        .size:           4
        .value_kind:     by_value
      - .offset:         128
        .size:           8
        .value_kind:     by_value
      - .offset:         136
        .size:           4
        .value_kind:     by_value
      - .offset:         144
        .size:           4
        .value_kind:     hidden_block_count_x
      - .offset:         148
        .size:           4
        .value_kind:     hidden_block_count_y
      - .offset:         152
        .size:           4
        .value_kind:     hidden_block_count_z
      - .offset:         156
        .size:           2
        .value_kind:     hidden_group_size_x
      - .offset:         158
        .size:           2
        .value_kind:     hidden_group_size_y
      - .offset:         160
        .size:           2
        .value_kind:     hidden_group_size_z
      - .offset:         162
        .size:           2
        .value_kind:     hidden_remainder_x
      - .offset:         164
        .size:           2
        .value_kind:     hidden_remainder_y
      - .offset:         166
        .size:           2
        .value_kind:     hidden_remainder_z
      - .offset:         184
        .size:           8
        .value_kind:     hidden_global_offset_x
      - .offset:         192
        .size:           8
        .value_kind:     hidden_global_offset_y
      - .offset:         200
        .size:           8
        .value_kind:     hidden_global_offset_z
      - .offset:         208
        .size:           2
        .value_kind:     hidden_grid_dims
    .group_segment_fixed_size: 16384
    .kernarg_segment_align: 8
    .kernarg_segment_size: 400
    .language:       OpenCL C
    .language_version:
      - 2
      - 0
    .max_flat_workgroup_size: 1024
    .name:           _ZL20rocblas_gemvn_kernelILi64ELi16EiDF16_ffEviiT3_lPKT2_lT1_lS3_lS4_lS0_lPT4_lS4_li
    .private_segment_fixed_size: 0
    .sgpr_count:     53
    .sgpr_spill_count: 0
    .symbol:         _ZL20rocblas_gemvn_kernelILi64ELi16EiDF16_ffEviiT3_lPKT2_lT1_lS3_lS4_lS0_lPT4_lS4_li.kd
    .uniform_work_group_size: 1
    .uses_dynamic_stack: false
    .vgpr_count:     57
    .vgpr_spill_count: 0
    .wavefront_size: 32
  - .args:
      - .offset:         0
        .size:           4
        .value_kind:     by_value
      - .offset:         4
        .size:           4
        .value_kind:     by_value
      - .offset:         8
        .size:           4
        .value_kind:     by_value
      - .offset:         16
        .size:           8
        .value_kind:     by_value
      - .address_space:  global
        .offset:         24
        .size:           8
        .value_kind:     global_buffer
      - .offset:         32
        .size:           8
        .value_kind:     by_value
      - .offset:         40
        .size:           8
        .value_kind:     by_value
      - .offset:         48
        .size:           8
        .value_kind:     by_value
      - .address_space:  global
        .offset:         56
        .size:           8
        .value_kind:     global_buffer
      - .offset:         64
        .size:           8
        .value_kind:     by_value
      - .offset:         72
        .size:           8
        .value_kind:     by_value
      - .offset:         80
        .size:           8
        .value_kind:     by_value
      - .offset:         88
        .size:           4
        .value_kind:     by_value
      - .offset:         96
        .size:           8
        .value_kind:     by_value
      - .address_space:  global
        .offset:         104
        .size:           8
        .value_kind:     global_buffer
      - .offset:         112
        .size:           8
        .value_kind:     by_value
      - .offset:         120
        .size:           8
        .value_kind:     by_value
      - .offset:         128
        .size:           8
        .value_kind:     by_value
      - .offset:         136
        .size:           4
        .value_kind:     by_value
      - .offset:         144
        .size:           4
        .value_kind:     hidden_block_count_x
      - .offset:         148
        .size:           4
        .value_kind:     hidden_block_count_y
      - .offset:         152
        .size:           4
        .value_kind:     hidden_block_count_z
      - .offset:         156
        .size:           2
        .value_kind:     hidden_group_size_x
      - .offset:         158
        .size:           2
        .value_kind:     hidden_group_size_y
      - .offset:         160
        .size:           2
        .value_kind:     hidden_group_size_z
      - .offset:         162
        .size:           2
        .value_kind:     hidden_remainder_x
      - .offset:         164
        .size:           2
        .value_kind:     hidden_remainder_y
      - .offset:         166
        .size:           2
        .value_kind:     hidden_remainder_z
      - .offset:         184
        .size:           8
        .value_kind:     hidden_global_offset_x
      - .offset:         192
        .size:           8
        .value_kind:     hidden_global_offset_y
      - .offset:         200
        .size:           8
        .value_kind:     hidden_global_offset_z
      - .offset:         208
        .size:           2
        .value_kind:     hidden_grid_dims
    .group_segment_fixed_size: 16384
    .kernarg_segment_align: 8
    .kernarg_segment_size: 400
    .language:       OpenCL C
    .language_version:
      - 2
      - 0
    .max_flat_workgroup_size: 1024
    .name:           _ZL20rocblas_gemvn_kernelILi64ELi16ElDF16_ffEviiT3_lPKT2_lT1_lS3_lS4_lS0_lPT4_lS4_li
    .private_segment_fixed_size: 0
    .sgpr_count:     58
    .sgpr_spill_count: 0
    .symbol:         _ZL20rocblas_gemvn_kernelILi64ELi16ElDF16_ffEviiT3_lPKT2_lT1_lS3_lS4_lS0_lPT4_lS4_li.kd
    .uniform_work_group_size: 1
    .uses_dynamic_stack: false
    .vgpr_count:     75
    .vgpr_spill_count: 0
    .wavefront_size: 32
  - .args:
      - .offset:         0
        .size:           4
        .value_kind:     by_value
      - .offset:         4
        .size:           4
        .value_kind:     by_value
      - .address_space:  global
        .offset:         8
        .size:           8
        .value_kind:     global_buffer
      - .offset:         16
        .size:           8
        .value_kind:     by_value
      - .address_space:  global
        .offset:         24
        .size:           8
        .value_kind:     global_buffer
      - .offset:         32
        .size:           8
        .value_kind:     by_value
      - .offset:         40
        .size:           4
        .value_kind:     by_value
      - .offset:         48
        .size:           8
        .value_kind:     by_value
      - .address_space:  global
        .offset:         56
        .size:           8
        .value_kind:     global_buffer
      - .offset:         64
        .size:           8
        .value_kind:     by_value
      - .offset:         72
        .size:           4
        .value_kind:     by_value
      - .offset:         80
        .size:           8
        .value_kind:     by_value
      - .address_space:  global
        .offset:         88
        .size:           8
        .value_kind:     global_buffer
      - .offset:         96
        .size:           8
        .value_kind:     by_value
      - .address_space:  global
        .offset:         104
        .size:           8
        .value_kind:     global_buffer
      - .offset:         112
        .size:           8
        .value_kind:     by_value
      - .offset:         120
        .size:           4
        .value_kind:     by_value
      - .offset:         128
        .size:           8
        .value_kind:     by_value
    .group_segment_fixed_size: 256
    .kernarg_segment_align: 8
    .kernarg_segment_size: 136
    .language:       OpenCL C
    .language_version:
      - 2
      - 0
    .max_flat_workgroup_size: 256
    .name:           _ZL22rocblas_gemvtsm_kernelILb0ELi256EDF16_PKffEviiT2_lPKT1_lilS5_lilS2_lPT3_lil
    .private_segment_fixed_size: 0
    .sgpr_count:     32
    .sgpr_spill_count: 0
    .symbol:         _ZL22rocblas_gemvtsm_kernelILb0ELi256EDF16_PKffEviiT2_lPKT1_lilS5_lilS2_lPT3_lil.kd
    .uniform_work_group_size: 1
    .uses_dynamic_stack: false
    .vgpr_count:     24
    .vgpr_spill_count: 0
    .wavefront_size: 32
  - .args:
      - .offset:         0
        .size:           4
        .value_kind:     by_value
      - .offset:         4
        .size:           4
        .value_kind:     by_value
      - .offset:         8
        .size:           4
        .value_kind:     by_value
      - .offset:         16
        .size:           8
        .value_kind:     by_value
      - .address_space:  global
        .offset:         24
        .size:           8
        .value_kind:     global_buffer
      - .offset:         32
        .size:           8
        .value_kind:     by_value
      - .offset:         40
        .size:           4
        .value_kind:     by_value
      - .offset:         48
        .size:           8
        .value_kind:     by_value
      - .address_space:  global
        .offset:         56
        .size:           8
        .value_kind:     global_buffer
      - .offset:         64
        .size:           8
        .value_kind:     by_value
      - .offset:         72
        .size:           4
        .value_kind:     by_value
      - .offset:         80
        .size:           8
        .value_kind:     by_value
      - .offset:         88
        .size:           4
        .value_kind:     by_value
      - .offset:         96
        .size:           8
        .value_kind:     by_value
      - .address_space:  global
        .offset:         104
        .size:           8
        .value_kind:     global_buffer
      - .offset:         112
        .size:           8
        .value_kind:     by_value
      - .offset:         120
        .size:           4
        .value_kind:     by_value
      - .offset:         128
        .size:           8
        .value_kind:     by_value
    .group_segment_fixed_size: 256
    .kernarg_segment_align: 8
    .kernarg_segment_size: 136
    .language:       OpenCL C
    .language_version:
      - 2
      - 0
    .max_flat_workgroup_size: 256
    .name:           _ZL22rocblas_gemvtsm_kernelILb0ELi256EDF16_ffEviiT2_lPKT1_lilS3_lilS0_lPT3_lil
    .private_segment_fixed_size: 0
    .sgpr_count:     28
    .sgpr_spill_count: 0
    .symbol:         _ZL22rocblas_gemvtsm_kernelILb0ELi256EDF16_ffEviiT2_lPKT1_lilS3_lilS0_lPT3_lil.kd
    .uniform_work_group_size: 1
    .uses_dynamic_stack: false
    .vgpr_count:     24
    .vgpr_spill_count: 0
    .wavefront_size: 32
  - .args:
      - .offset:         0
        .size:           4
        .value_kind:     by_value
      - .address_space:  global
        .offset:         8
        .size:           8
        .value_kind:     global_buffer
      - .offset:         16
        .size:           8
        .value_kind:     by_value
      - .address_space:  global
        .offset:         24
        .size:           8
        .value_kind:     global_buffer
      - .offset:         32
        .size:           8
        .value_kind:     by_value
      - .offset:         40
        .size:           4
        .value_kind:     by_value
      - .offset:         48
        .size:           8
        .value_kind:     by_value
      - .actual_access:  read_only
        .address_space:  global
        .offset:         56
        .size:           8
        .value_kind:     global_buffer
      - .offset:         64
        .size:           4
        .value_kind:     by_value
      - .offset:         72
        .size:           4
        .value_kind:     hidden_block_count_x
      - .offset:         76
        .size:           4
        .value_kind:     hidden_block_count_y
      - .offset:         80
        .size:           4
        .value_kind:     hidden_block_count_z
      - .offset:         84
        .size:           2
        .value_kind:     hidden_group_size_x
      - .offset:         86
        .size:           2
        .value_kind:     hidden_group_size_y
      - .offset:         88
        .size:           2
        .value_kind:     hidden_group_size_z
      - .offset:         90
        .size:           2
        .value_kind:     hidden_remainder_x
      - .offset:         92
        .size:           2
        .value_kind:     hidden_remainder_y
      - .offset:         94
        .size:           2
        .value_kind:     hidden_remainder_z
      - .offset:         112
        .size:           8
        .value_kind:     hidden_global_offset_x
      - .offset:         120
        .size:           8
        .value_kind:     hidden_global_offset_y
      - .offset:         128
        .size:           8
        .value_kind:     hidden_global_offset_z
      - .offset:         136
        .size:           2
        .value_kind:     hidden_grid_dims
    .group_segment_fixed_size: 128
    .kernarg_segment_align: 8
    .kernarg_segment_size: 328
    .language:       OpenCL C
    .language_version:
      - 2
      - 0
    .max_flat_workgroup_size: 256
    .name:           _ZL23rocblas_gemvt_sn_reduceILi256ELi8EfPKffEviT2_lPT3_lilPT1_i
    .private_segment_fixed_size: 0
    .sgpr_count:     40
    .sgpr_spill_count: 0
    .symbol:         _ZL23rocblas_gemvt_sn_reduceILi256ELi8EfPKffEviT2_lPT3_lilPT1_i.kd
    .uniform_work_group_size: 1
    .uses_dynamic_stack: false
    .vgpr_count:     26
    .vgpr_spill_count: 0
    .wavefront_size: 32
  - .args:
      - .offset:         0
        .size:           4
        .value_kind:     by_value
      - .offset:         4
        .size:           4
        .value_kind:     by_value
      - .offset:         8
        .size:           8
        .value_kind:     by_value
      - .address_space:  global
        .offset:         16
        .size:           8
        .value_kind:     global_buffer
      - .offset:         24
        .size:           8
        .value_kind:     by_value
      - .offset:         32
        .size:           4
        .value_kind:     by_value
      - .offset:         40
        .size:           8
        .value_kind:     by_value
      - .actual_access:  read_only
        .address_space:  global
        .offset:         48
        .size:           8
        .value_kind:     global_buffer
      - .offset:         56
        .size:           4
        .value_kind:     by_value
      - .offset:         64
        .size:           4
        .value_kind:     hidden_block_count_x
      - .offset:         68
        .size:           4
        .value_kind:     hidden_block_count_y
      - .offset:         72
        .size:           4
        .value_kind:     hidden_block_count_z
      - .offset:         76
        .size:           2
        .value_kind:     hidden_group_size_x
      - .offset:         78
        .size:           2
        .value_kind:     hidden_group_size_y
      - .offset:         80
        .size:           2
        .value_kind:     hidden_group_size_z
      - .offset:         82
        .size:           2
        .value_kind:     hidden_remainder_x
      - .offset:         84
        .size:           2
        .value_kind:     hidden_remainder_y
      - .offset:         86
        .size:           2
        .value_kind:     hidden_remainder_z
      - .offset:         104
        .size:           8
        .value_kind:     hidden_global_offset_x
      - .offset:         112
        .size:           8
        .value_kind:     hidden_global_offset_y
      - .offset:         120
        .size:           8
        .value_kind:     hidden_global_offset_z
      - .offset:         128
        .size:           2
        .value_kind:     hidden_grid_dims
    .group_segment_fixed_size: 128
    .kernarg_segment_align: 8
    .kernarg_segment_size: 320
    .language:       OpenCL C
    .language_version:
      - 2
      - 0
    .max_flat_workgroup_size: 256
    .name:           _ZL23rocblas_gemvt_sn_reduceILi256ELi8EfffEviT2_lPT3_lilPT1_i
    .private_segment_fixed_size: 0
    .sgpr_count:     38
    .sgpr_spill_count: 0
    .symbol:         _ZL23rocblas_gemvt_sn_reduceILi256ELi8EfffEviT2_lPT3_lilPT1_i.kd
    .uniform_work_group_size: 1
    .uses_dynamic_stack: false
    .vgpr_count:     24
    .vgpr_spill_count: 0
    .wavefront_size: 32
  - .args:
      - .offset:         0
        .size:           4
        .value_kind:     by_value
      - .offset:         4
        .size:           4
        .value_kind:     by_value
      - .address_space:  global
        .offset:         8
        .size:           8
        .value_kind:     global_buffer
      - .offset:         16
        .size:           8
        .value_kind:     by_value
      - .address_space:  global
        .offset:         24
        .size:           8
        .value_kind:     global_buffer
      - .offset:         32
        .size:           8
        .value_kind:     by_value
      - .offset:         40
        .size:           4
        .value_kind:     by_value
      - .offset:         48
        .size:           8
        .value_kind:     by_value
      - .address_space:  global
        .offset:         56
        .size:           8
        .value_kind:     global_buffer
      - .offset:         64
        .size:           8
        .value_kind:     by_value
      - .offset:         72
        .size:           4
        .value_kind:     by_value
      - .offset:         80
        .size:           8
        .value_kind:     by_value
      - .address_space:  global
        .offset:         88
        .size:           8
        .value_kind:     global_buffer
      - .offset:         96
        .size:           8
        .value_kind:     by_value
      - .address_space:  global
        .offset:         104
        .size:           8
        .value_kind:     global_buffer
      - .offset:         112
        .size:           8
        .value_kind:     by_value
      - .offset:         120
        .size:           4
        .value_kind:     by_value
      - .offset:         128
        .size:           8
        .value_kind:     by_value
      - .offset:         136
        .size:           4
        .value_kind:     by_value
    .group_segment_fixed_size: 128
    .kernarg_segment_align: 8
    .kernarg_segment_size: 140
    .language:       OpenCL C
    .language_version:
      - 2
      - 0
    .max_flat_workgroup_size: 256
    .name:           _ZL32rocblas_gemvt_warp_reduce_kernelILb0ELi256EiDF16_PKffEviiT3_lPKT2_lT1_lS5_lS6_lS2_lPT4_lS6_li
    .private_segment_fixed_size: 0
    .sgpr_count:     46
    .sgpr_spill_count: 0
    .symbol:         _ZL32rocblas_gemvt_warp_reduce_kernelILb0ELi256EiDF16_PKffEviiT3_lPKT2_lT1_lS5_lS6_lS2_lPT4_lS6_li.kd
    .uniform_work_group_size: 1
    .uses_dynamic_stack: false
    .vgpr_count:     21
    .vgpr_spill_count: 0
    .wavefront_size: 32
  - .args:
      - .offset:         0
        .size:           4
        .value_kind:     by_value
      - .offset:         4
        .size:           4
        .value_kind:     by_value
      - .address_space:  global
        .offset:         8
        .size:           8
        .value_kind:     global_buffer
      - .offset:         16
        .size:           8
        .value_kind:     by_value
      - .address_space:  global
        .offset:         24
        .size:           8
        .value_kind:     global_buffer
      - .offset:         32
        .size:           8
        .value_kind:     by_value
      - .offset:         40
        .size:           8
        .value_kind:     by_value
      - .offset:         48
        .size:           8
        .value_kind:     by_value
      - .address_space:  global
        .offset:         56
        .size:           8
        .value_kind:     global_buffer
      - .offset:         64
        .size:           8
        .value_kind:     by_value
      - .offset:         72
        .size:           8
        .value_kind:     by_value
      - .offset:         80
        .size:           8
        .value_kind:     by_value
      - .address_space:  global
        .offset:         88
        .size:           8
        .value_kind:     global_buffer
      - .offset:         96
        .size:           8
        .value_kind:     by_value
      - .address_space:  global
        .offset:         104
        .size:           8
        .value_kind:     global_buffer
      - .offset:         112
        .size:           8
        .value_kind:     by_value
      - .offset:         120
        .size:           8
        .value_kind:     by_value
      - .offset:         128
        .size:           8
        .value_kind:     by_value
      - .offset:         136
        .size:           4
        .value_kind:     by_value
    .group_segment_fixed_size: 128
    .kernarg_segment_align: 8
    .kernarg_segment_size: 140
    .language:       OpenCL C
    .language_version:
      - 2
      - 0
    .max_flat_workgroup_size: 256
    .name:           _ZL32rocblas_gemvt_warp_reduce_kernelILb0ELi256ElDF16_PKffEviiT3_lPKT2_lT1_lS5_lS6_lS2_lPT4_lS6_li
    .private_segment_fixed_size: 0
    .sgpr_count:     54
    .sgpr_spill_count: 0
    .symbol:         _ZL32rocblas_gemvt_warp_reduce_kernelILb0ELi256ElDF16_PKffEviiT3_lPKT2_lT1_lS5_lS6_lS2_lPT4_lS6_li.kd
    .uniform_work_group_size: 1
    .uses_dynamic_stack: false
    .vgpr_count:     23
    .vgpr_spill_count: 0
    .wavefront_size: 32
  - .args:
      - .offset:         0
        .size:           4
        .value_kind:     by_value
      - .offset:         4
        .size:           4
        .value_kind:     by_value
      - .offset:         8
        .size:           4
        .value_kind:     by_value
      - .offset:         16
        .size:           8
        .value_kind:     by_value
      - .address_space:  global
        .offset:         24
        .size:           8
        .value_kind:     global_buffer
      - .offset:         32
        .size:           8
        .value_kind:     by_value
      - .offset:         40
        .size:           4
        .value_kind:     by_value
      - .offset:         48
        .size:           8
        .value_kind:     by_value
      - .address_space:  global
        .offset:         56
        .size:           8
        .value_kind:     global_buffer
      - .offset:         64
        .size:           8
        .value_kind:     by_value
      - .offset:         72
        .size:           4
        .value_kind:     by_value
      - .offset:         80
        .size:           8
        .value_kind:     by_value
      - .offset:         88
        .size:           4
        .value_kind:     by_value
      - .offset:         96
        .size:           8
        .value_kind:     by_value
      - .address_space:  global
        .offset:         104
        .size:           8
        .value_kind:     global_buffer
      - .offset:         112
        .size:           8
        .value_kind:     by_value
      - .offset:         120
        .size:           4
        .value_kind:     by_value
      - .offset:         128
        .size:           8
        .value_kind:     by_value
      - .offset:         136
        .size:           4
        .value_kind:     by_value
    .group_segment_fixed_size: 128
    .kernarg_segment_align: 8
    .kernarg_segment_size: 140
    .language:       OpenCL C
    .language_version:
      - 2
      - 0
    .max_flat_workgroup_size: 256
    .name:           _ZL32rocblas_gemvt_warp_reduce_kernelILb0ELi256EiDF16_ffEviiT3_lPKT2_lT1_lS3_lS4_lS0_lPT4_lS4_li
    .private_segment_fixed_size: 0
    .sgpr_count:     42
    .sgpr_spill_count: 0
    .symbol:         _ZL32rocblas_gemvt_warp_reduce_kernelILb0ELi256EiDF16_ffEviiT3_lPKT2_lT1_lS3_lS4_lS0_lPT4_lS4_li.kd
    .uniform_work_group_size: 1
    .uses_dynamic_stack: false
    .vgpr_count:     20
    .vgpr_spill_count: 0
    .wavefront_size: 32
  - .args:
      - .offset:         0
        .size:           4
        .value_kind:     by_value
      - .offset:         4
        .size:           4
        .value_kind:     by_value
      - .offset:         8
        .size:           4
        .value_kind:     by_value
      - .offset:         16
        .size:           8
        .value_kind:     by_value
      - .address_space:  global
        .offset:         24
        .size:           8
        .value_kind:     global_buffer
      - .offset:         32
        .size:           8
        .value_kind:     by_value
      - .offset:         40
        .size:           8
        .value_kind:     by_value
      - .offset:         48
        .size:           8
        .value_kind:     by_value
      - .address_space:  global
        .offset:         56
        .size:           8
        .value_kind:     global_buffer
      - .offset:         64
        .size:           8
        .value_kind:     by_value
      - .offset:         72
        .size:           8
        .value_kind:     by_value
      - .offset:         80
        .size:           8
        .value_kind:     by_value
      - .offset:         88
        .size:           4
        .value_kind:     by_value
      - .offset:         96
        .size:           8
        .value_kind:     by_value
      - .address_space:  global
        .offset:         104
        .size:           8
        .value_kind:     global_buffer
      - .offset:         112
        .size:           8
        .value_kind:     by_value
      - .offset:         120
        .size:           8
        .value_kind:     by_value
      - .offset:         128
        .size:           8
        .value_kind:     by_value
      - .offset:         136
        .size:           4
        .value_kind:     by_value
    .group_segment_fixed_size: 128
    .kernarg_segment_align: 8
    .kernarg_segment_size: 140
    .language:       OpenCL C
    .language_version:
      - 2
      - 0
    .max_flat_workgroup_size: 256
    .name:           _ZL32rocblas_gemvt_warp_reduce_kernelILb0ELi256ElDF16_ffEviiT3_lPKT2_lT1_lS3_lS4_lS0_lPT4_lS4_li
    .private_segment_fixed_size: 0
    .sgpr_count:     46
    .sgpr_spill_count: 0
    .symbol:         _ZL32rocblas_gemvt_warp_reduce_kernelILb0ELi256ElDF16_ffEviiT3_lPKT2_lT1_lS3_lS4_lS0_lPT4_lS4_li.kd
    .uniform_work_group_size: 1
    .uses_dynamic_stack: false
    .vgpr_count:     22
    .vgpr_spill_count: 0
    .wavefront_size: 32
  - .args:
      - .offset:         0
        .size:           4
        .value_kind:     by_value
      - .offset:         4
        .size:           4
        .value_kind:     by_value
      - .address_space:  global
        .offset:         8
        .size:           8
        .value_kind:     global_buffer
      - .offset:         16
        .size:           8
        .value_kind:     by_value
      - .address_space:  global
        .offset:         24
        .size:           8
        .value_kind:     global_buffer
      - .offset:         32
        .size:           8
        .value_kind:     by_value
      - .offset:         40
        .size:           4
        .value_kind:     by_value
      - .offset:         48
        .size:           8
        .value_kind:     by_value
      - .address_space:  global
        .offset:         56
        .size:           8
        .value_kind:     global_buffer
      - .offset:         64
        .size:           8
        .value_kind:     by_value
      - .offset:         72
        .size:           4
        .value_kind:     by_value
      - .offset:         80
        .size:           8
        .value_kind:     by_value
      - .address_space:  global
        .offset:         88
        .size:           8
        .value_kind:     global_buffer
      - .offset:         96
        .size:           8
        .value_kind:     by_value
      - .address_space:  global
        .offset:         104
        .size:           8
        .value_kind:     global_buffer
      - .offset:         112
        .size:           8
        .value_kind:     by_value
      - .offset:         120
        .size:           4
        .value_kind:     by_value
      - .offset:         128
        .size:           8
        .value_kind:     by_value
      - .offset:         136
        .size:           4
        .value_kind:     by_value
    .group_segment_fixed_size: 1024
    .kernarg_segment_align: 8
    .kernarg_segment_size: 140
    .language:       OpenCL C
    .language_version:
      - 2
      - 0
    .max_flat_workgroup_size: 256
    .name:           _ZL20rocblas_gemvt_kernelILb0ELi256EDF16_PKffEviiT2_lPKT1_lilS5_lilS2_lPT3_lili
    .private_segment_fixed_size: 0
    .sgpr_count:     52
    .sgpr_spill_count: 0
    .symbol:         _ZL20rocblas_gemvt_kernelILb0ELi256EDF16_PKffEviiT2_lPKT1_lilS5_lilS2_lPT3_lili.kd
    .uniform_work_group_size: 1
    .uses_dynamic_stack: false
    .vgpr_count:     19
    .vgpr_spill_count: 0
    .wavefront_size: 32
  - .args:
      - .offset:         0
        .size:           4
        .value_kind:     by_value
      - .offset:         4
        .size:           4
        .value_kind:     by_value
      - .offset:         8
        .size:           4
        .value_kind:     by_value
      - .offset:         16
        .size:           8
        .value_kind:     by_value
      - .address_space:  global
        .offset:         24
        .size:           8
        .value_kind:     global_buffer
      - .offset:         32
        .size:           8
        .value_kind:     by_value
      - .offset:         40
        .size:           4
        .value_kind:     by_value
      - .offset:         48
        .size:           8
        .value_kind:     by_value
      - .address_space:  global
        .offset:         56
        .size:           8
        .value_kind:     global_buffer
      - .offset:         64
        .size:           8
        .value_kind:     by_value
      - .offset:         72
        .size:           4
        .value_kind:     by_value
      - .offset:         80
        .size:           8
        .value_kind:     by_value
      - .offset:         88
        .size:           4
        .value_kind:     by_value
      - .offset:         96
        .size:           8
        .value_kind:     by_value
      - .address_space:  global
        .offset:         104
        .size:           8
        .value_kind:     global_buffer
      - .offset:         112
        .size:           8
        .value_kind:     by_value
      - .offset:         120
        .size:           4
        .value_kind:     by_value
      - .offset:         128
        .size:           8
        .value_kind:     by_value
      - .offset:         136
        .size:           4
        .value_kind:     by_value
    .group_segment_fixed_size: 1024
    .kernarg_segment_align: 8
    .kernarg_segment_size: 140
    .language:       OpenCL C
    .language_version:
      - 2
      - 0
    .max_flat_workgroup_size: 256
    .name:           _ZL20rocblas_gemvt_kernelILb0ELi256EDF16_ffEviiT2_lPKT1_lilS3_lilS0_lPT3_lili
    .private_segment_fixed_size: 0
    .sgpr_count:     50
    .sgpr_spill_count: 0
    .symbol:         _ZL20rocblas_gemvt_kernelILb0ELi256EDF16_ffEviiT2_lPKT1_lilS3_lilS0_lPT3_lili.kd
    .uniform_work_group_size: 1
    .uses_dynamic_stack: false
    .vgpr_count:     17
    .vgpr_spill_count: 0
    .wavefront_size: 32
  - .args:
      - .offset:         0
        .size:           4
        .value_kind:     by_value
      - .offset:         4
        .size:           4
        .value_kind:     by_value
      - .address_space:  global
        .offset:         8
        .size:           8
        .value_kind:     global_buffer
      - .offset:         16
        .size:           8
        .value_kind:     by_value
      - .address_space:  global
        .offset:         24
        .size:           8
        .value_kind:     global_buffer
      - .offset:         32
        .size:           8
        .value_kind:     by_value
      - .offset:         40
        .size:           4
        .value_kind:     by_value
      - .offset:         48
        .size:           8
        .value_kind:     by_value
      - .address_space:  global
        .offset:         56
        .size:           8
        .value_kind:     global_buffer
      - .offset:         64
        .size:           8
        .value_kind:     by_value
      - .offset:         72
        .size:           4
        .value_kind:     by_value
      - .offset:         80
        .size:           8
        .value_kind:     by_value
      - .address_space:  global
        .offset:         88
        .size:           8
        .value_kind:     global_buffer
      - .offset:         96
        .size:           8
        .value_kind:     by_value
      - .address_space:  global
        .offset:         104
        .size:           8
        .value_kind:     global_buffer
      - .offset:         112
        .size:           8
        .value_kind:     by_value
      - .offset:         120
        .size:           4
        .value_kind:     by_value
      - .offset:         128
        .size:           8
        .value_kind:     by_value
      - .offset:         136
        .size:           4
        .value_kind:     by_value
    .group_segment_fixed_size: 128
    .kernarg_segment_align: 8
    .kernarg_segment_size: 140
    .language:       OpenCL C
    .language_version:
      - 2
      - 0
    .max_flat_workgroup_size: 1024
    .name:           _ZL32rocblas_gemvt_warp_reduce_kernelILb0ELi1024EiDF16_PKffEviiT3_lPKT2_lT1_lS5_lS6_lS2_lPT4_lS6_li
    .private_segment_fixed_size: 0
    .sgpr_count:     46
    .sgpr_spill_count: 0
    .symbol:         _ZL32rocblas_gemvt_warp_reduce_kernelILb0ELi1024EiDF16_PKffEviiT3_lPKT2_lT1_lS5_lS6_lS2_lPT4_lS6_li.kd
    .uniform_work_group_size: 1
    .uses_dynamic_stack: false
    .vgpr_count:     21
    .vgpr_spill_count: 0
    .wavefront_size: 32
  - .args:
      - .offset:         0
        .size:           4
        .value_kind:     by_value
      - .offset:         4
        .size:           4
        .value_kind:     by_value
      - .address_space:  global
        .offset:         8
        .size:           8
        .value_kind:     global_buffer
      - .offset:         16
        .size:           8
        .value_kind:     by_value
      - .address_space:  global
        .offset:         24
        .size:           8
        .value_kind:     global_buffer
      - .offset:         32
        .size:           8
        .value_kind:     by_value
      - .offset:         40
        .size:           8
        .value_kind:     by_value
      - .offset:         48
        .size:           8
        .value_kind:     by_value
      - .address_space:  global
        .offset:         56
        .size:           8
        .value_kind:     global_buffer
      - .offset:         64
        .size:           8
        .value_kind:     by_value
      - .offset:         72
        .size:           8
        .value_kind:     by_value
      - .offset:         80
        .size:           8
        .value_kind:     by_value
      - .address_space:  global
        .offset:         88
        .size:           8
        .value_kind:     global_buffer
      - .offset:         96
        .size:           8
        .value_kind:     by_value
      - .address_space:  global
        .offset:         104
        .size:           8
        .value_kind:     global_buffer
      - .offset:         112
        .size:           8
        .value_kind:     by_value
      - .offset:         120
        .size:           8
        .value_kind:     by_value
      - .offset:         128
        .size:           8
        .value_kind:     by_value
      - .offset:         136
        .size:           4
        .value_kind:     by_value
    .group_segment_fixed_size: 128
    .kernarg_segment_align: 8
    .kernarg_segment_size: 140
    .language:       OpenCL C
    .language_version:
      - 2
      - 0
    .max_flat_workgroup_size: 1024
    .name:           _ZL32rocblas_gemvt_warp_reduce_kernelILb0ELi1024ElDF16_PKffEviiT3_lPKT2_lT1_lS5_lS6_lS2_lPT4_lS6_li
    .private_segment_fixed_size: 0
    .sgpr_count:     54
    .sgpr_spill_count: 0
    .symbol:         _ZL32rocblas_gemvt_warp_reduce_kernelILb0ELi1024ElDF16_PKffEviiT3_lPKT2_lT1_lS5_lS6_lS2_lPT4_lS6_li.kd
    .uniform_work_group_size: 1
    .uses_dynamic_stack: false
    .vgpr_count:     23
    .vgpr_spill_count: 0
    .wavefront_size: 32
  - .args:
      - .offset:         0
        .size:           4
        .value_kind:     by_value
      - .offset:         4
        .size:           4
        .value_kind:     by_value
      - .offset:         8
        .size:           4
        .value_kind:     by_value
      - .offset:         16
        .size:           8
        .value_kind:     by_value
      - .address_space:  global
        .offset:         24
        .size:           8
        .value_kind:     global_buffer
      - .offset:         32
        .size:           8
        .value_kind:     by_value
      - .offset:         40
        .size:           4
        .value_kind:     by_value
      - .offset:         48
        .size:           8
        .value_kind:     by_value
      - .address_space:  global
        .offset:         56
        .size:           8
        .value_kind:     global_buffer
      - .offset:         64
        .size:           8
        .value_kind:     by_value
      - .offset:         72
        .size:           4
        .value_kind:     by_value
      - .offset:         80
        .size:           8
        .value_kind:     by_value
      - .offset:         88
        .size:           4
        .value_kind:     by_value
      - .offset:         96
        .size:           8
        .value_kind:     by_value
      - .address_space:  global
        .offset:         104
        .size:           8
        .value_kind:     global_buffer
      - .offset:         112
        .size:           8
        .value_kind:     by_value
      - .offset:         120
        .size:           4
        .value_kind:     by_value
      - .offset:         128
        .size:           8
        .value_kind:     by_value
      - .offset:         136
        .size:           4
        .value_kind:     by_value
    .group_segment_fixed_size: 128
    .kernarg_segment_align: 8
    .kernarg_segment_size: 140
    .language:       OpenCL C
    .language_version:
      - 2
      - 0
    .max_flat_workgroup_size: 1024
    .name:           _ZL32rocblas_gemvt_warp_reduce_kernelILb0ELi1024EiDF16_ffEviiT3_lPKT2_lT1_lS3_lS4_lS0_lPT4_lS4_li
    .private_segment_fixed_size: 0
    .sgpr_count:     42
    .sgpr_spill_count: 0
    .symbol:         _ZL32rocblas_gemvt_warp_reduce_kernelILb0ELi1024EiDF16_ffEviiT3_lPKT2_lT1_lS3_lS4_lS0_lPT4_lS4_li.kd
    .uniform_work_group_size: 1
    .uses_dynamic_stack: false
    .vgpr_count:     20
    .vgpr_spill_count: 0
    .wavefront_size: 32
  - .args:
      - .offset:         0
        .size:           4
        .value_kind:     by_value
      - .offset:         4
        .size:           4
        .value_kind:     by_value
      - .offset:         8
        .size:           4
        .value_kind:     by_value
      - .offset:         16
        .size:           8
        .value_kind:     by_value
      - .address_space:  global
        .offset:         24
        .size:           8
        .value_kind:     global_buffer
      - .offset:         32
        .size:           8
        .value_kind:     by_value
      - .offset:         40
        .size:           8
        .value_kind:     by_value
      - .offset:         48
        .size:           8
        .value_kind:     by_value
      - .address_space:  global
        .offset:         56
        .size:           8
        .value_kind:     global_buffer
      - .offset:         64
        .size:           8
        .value_kind:     by_value
      - .offset:         72
        .size:           8
        .value_kind:     by_value
      - .offset:         80
        .size:           8
        .value_kind:     by_value
      - .offset:         88
        .size:           4
        .value_kind:     by_value
      - .offset:         96
        .size:           8
        .value_kind:     by_value
      - .address_space:  global
        .offset:         104
        .size:           8
        .value_kind:     global_buffer
      - .offset:         112
        .size:           8
        .value_kind:     by_value
      - .offset:         120
        .size:           8
        .value_kind:     by_value
      - .offset:         128
        .size:           8
        .value_kind:     by_value
      - .offset:         136
        .size:           4
        .value_kind:     by_value
    .group_segment_fixed_size: 128
    .kernarg_segment_align: 8
    .kernarg_segment_size: 140
    .language:       OpenCL C
    .language_version:
      - 2
      - 0
    .max_flat_workgroup_size: 1024
    .name:           _ZL32rocblas_gemvt_warp_reduce_kernelILb0ELi1024ElDF16_ffEviiT3_lPKT2_lT1_lS3_lS4_lS0_lPT4_lS4_li
    .private_segment_fixed_size: 0
    .sgpr_count:     44
    .sgpr_spill_count: 0
    .symbol:         _ZL32rocblas_gemvt_warp_reduce_kernelILb0ELi1024ElDF16_ffEviiT3_lPKT2_lT1_lS3_lS4_lS0_lPT4_lS4_li.kd
    .uniform_work_group_size: 1
    .uses_dynamic_stack: false
    .vgpr_count:     22
    .vgpr_spill_count: 0
    .wavefront_size: 32
  - .args:
      - .offset:         0
        .size:           4
        .value_kind:     by_value
      - .offset:         4
        .size:           4
        .value_kind:     by_value
      - .address_space:  global
        .offset:         8
        .size:           8
        .value_kind:     global_buffer
      - .offset:         16
        .size:           8
        .value_kind:     by_value
      - .address_space:  global
        .offset:         24
        .size:           8
        .value_kind:     global_buffer
      - .offset:         32
        .size:           8
        .value_kind:     by_value
      - .offset:         40
        .size:           4
        .value_kind:     by_value
      - .offset:         48
        .size:           8
        .value_kind:     by_value
      - .address_space:  global
        .offset:         56
        .size:           8
        .value_kind:     global_buffer
      - .offset:         64
        .size:           8
        .value_kind:     by_value
      - .offset:         72
        .size:           4
        .value_kind:     by_value
      - .offset:         80
        .size:           8
        .value_kind:     by_value
      - .address_space:  global
        .offset:         88
        .size:           8
        .value_kind:     global_buffer
      - .offset:         96
        .size:           8
        .value_kind:     by_value
      - .address_space:  global
        .offset:         104
        .size:           8
        .value_kind:     global_buffer
      - .offset:         112
        .size:           8
        .value_kind:     by_value
      - .offset:         120
        .size:           4
        .value_kind:     by_value
      - .offset:         128
        .size:           8
        .value_kind:     by_value
    .group_segment_fixed_size: 256
    .kernarg_segment_align: 8
    .kernarg_segment_size: 136
    .language:       OpenCL C
    .language_version:
      - 2
      - 0
    .max_flat_workgroup_size: 256
    .name:           _ZL22rocblas_gemvtsm_kernelILb1ELi256EDF16_PKffEviiT2_lPKT1_lilS5_lilS2_lPT3_lil
    .private_segment_fixed_size: 0
    .sgpr_count:     32
    .sgpr_spill_count: 0
    .symbol:         _ZL22rocblas_gemvtsm_kernelILb1ELi256EDF16_PKffEviiT2_lPKT1_lilS5_lilS2_lPT3_lil.kd
    .uniform_work_group_size: 1
    .uses_dynamic_stack: false
    .vgpr_count:     24
    .vgpr_spill_count: 0
    .wavefront_size: 32
  - .args:
      - .offset:         0
        .size:           4
        .value_kind:     by_value
      - .offset:         4
        .size:           4
        .value_kind:     by_value
      - .offset:         8
        .size:           4
        .value_kind:     by_value
      - .offset:         16
        .size:           8
        .value_kind:     by_value
      - .address_space:  global
        .offset:         24
        .size:           8
        .value_kind:     global_buffer
      - .offset:         32
        .size:           8
        .value_kind:     by_value
      - .offset:         40
        .size:           4
        .value_kind:     by_value
      - .offset:         48
        .size:           8
        .value_kind:     by_value
      - .address_space:  global
        .offset:         56
        .size:           8
        .value_kind:     global_buffer
      - .offset:         64
        .size:           8
        .value_kind:     by_value
      - .offset:         72
        .size:           4
        .value_kind:     by_value
      - .offset:         80
        .size:           8
        .value_kind:     by_value
      - .offset:         88
        .size:           4
        .value_kind:     by_value
      - .offset:         96
        .size:           8
        .value_kind:     by_value
      - .address_space:  global
        .offset:         104
        .size:           8
        .value_kind:     global_buffer
      - .offset:         112
        .size:           8
        .value_kind:     by_value
      - .offset:         120
        .size:           4
        .value_kind:     by_value
      - .offset:         128
        .size:           8
        .value_kind:     by_value
    .group_segment_fixed_size: 256
    .kernarg_segment_align: 8
    .kernarg_segment_size: 136
    .language:       OpenCL C
    .language_version:
      - 2
      - 0
    .max_flat_workgroup_size: 256
    .name:           _ZL22rocblas_gemvtsm_kernelILb1ELi256EDF16_ffEviiT2_lPKT1_lilS3_lilS0_lPT3_lil
    .private_segment_fixed_size: 0
    .sgpr_count:     28
    .sgpr_spill_count: 0
    .symbol:         _ZL22rocblas_gemvtsm_kernelILb1ELi256EDF16_ffEviiT2_lPKT1_lilS3_lilS0_lPT3_lil.kd
    .uniform_work_group_size: 1
    .uses_dynamic_stack: false
    .vgpr_count:     24
    .vgpr_spill_count: 0
    .wavefront_size: 32
  - .args:
      - .offset:         0
        .size:           4
        .value_kind:     by_value
      - .offset:         4
        .size:           4
        .value_kind:     by_value
      - .address_space:  global
        .offset:         8
        .size:           8
        .value_kind:     global_buffer
      - .offset:         16
        .size:           8
        .value_kind:     by_value
      - .address_space:  global
        .offset:         24
        .size:           8
        .value_kind:     global_buffer
      - .offset:         32
        .size:           8
        .value_kind:     by_value
      - .offset:         40
        .size:           4
        .value_kind:     by_value
      - .offset:         48
        .size:           8
        .value_kind:     by_value
      - .address_space:  global
        .offset:         56
        .size:           8
        .value_kind:     global_buffer
      - .offset:         64
        .size:           8
        .value_kind:     by_value
      - .offset:         72
        .size:           4
        .value_kind:     by_value
      - .offset:         80
        .size:           8
        .value_kind:     by_value
      - .address_space:  global
        .offset:         88
        .size:           8
        .value_kind:     global_buffer
      - .offset:         96
        .size:           8
        .value_kind:     by_value
      - .address_space:  global
        .offset:         104
        .size:           8
        .value_kind:     global_buffer
      - .offset:         112
        .size:           8
        .value_kind:     by_value
      - .offset:         120
        .size:           4
        .value_kind:     by_value
      - .offset:         128
        .size:           8
        .value_kind:     by_value
      - .offset:         136
        .size:           4
        .value_kind:     by_value
    .group_segment_fixed_size: 1024
    .kernarg_segment_align: 8
    .kernarg_segment_size: 140
    .language:       OpenCL C
    .language_version:
      - 2
      - 0
    .max_flat_workgroup_size: 256
    .name:           _ZL20rocblas_gemvt_kernelILb1ELi256EDF16_PKffEviiT2_lPKT1_lilS5_lilS2_lPT3_lili
    .private_segment_fixed_size: 0
    .sgpr_count:     52
    .sgpr_spill_count: 0
    .symbol:         _ZL20rocblas_gemvt_kernelILb1ELi256EDF16_PKffEviiT2_lPKT1_lilS5_lilS2_lPT3_lili.kd
    .uniform_work_group_size: 1
    .uses_dynamic_stack: false
    .vgpr_count:     19
    .vgpr_spill_count: 0
    .wavefront_size: 32
  - .args:
      - .offset:         0
        .size:           4
        .value_kind:     by_value
      - .offset:         4
        .size:           4
        .value_kind:     by_value
      - .offset:         8
        .size:           4
        .value_kind:     by_value
      - .offset:         16
        .size:           8
        .value_kind:     by_value
      - .address_space:  global
        .offset:         24
        .size:           8
        .value_kind:     global_buffer
      - .offset:         32
        .size:           8
        .value_kind:     by_value
      - .offset:         40
        .size:           4
        .value_kind:     by_value
      - .offset:         48
        .size:           8
        .value_kind:     by_value
      - .address_space:  global
        .offset:         56
        .size:           8
        .value_kind:     global_buffer
      - .offset:         64
        .size:           8
        .value_kind:     by_value
      - .offset:         72
        .size:           4
        .value_kind:     by_value
      - .offset:         80
        .size:           8
        .value_kind:     by_value
      - .offset:         88
        .size:           4
        .value_kind:     by_value
      - .offset:         96
        .size:           8
        .value_kind:     by_value
      - .address_space:  global
        .offset:         104
        .size:           8
        .value_kind:     global_buffer
      - .offset:         112
        .size:           8
        .value_kind:     by_value
      - .offset:         120
        .size:           4
        .value_kind:     by_value
      - .offset:         128
        .size:           8
        .value_kind:     by_value
      - .offset:         136
        .size:           4
        .value_kind:     by_value
    .group_segment_fixed_size: 1024
    .kernarg_segment_align: 8
    .kernarg_segment_size: 140
    .language:       OpenCL C
    .language_version:
      - 2
      - 0
    .max_flat_workgroup_size: 256
    .name:           _ZL20rocblas_gemvt_kernelILb1ELi256EDF16_ffEviiT2_lPKT1_lilS3_lilS0_lPT3_lili
    .private_segment_fixed_size: 0
    .sgpr_count:     50
    .sgpr_spill_count: 0
    .symbol:         _ZL20rocblas_gemvt_kernelILb1ELi256EDF16_ffEviiT2_lPKT1_lilS3_lilS0_lPT3_lili.kd
    .uniform_work_group_size: 1
    .uses_dynamic_stack: false
    .vgpr_count:     17
    .vgpr_spill_count: 0
    .wavefront_size: 32
  - .args:
      - .offset:         0
        .size:           4
        .value_kind:     by_value
      - .offset:         4
        .size:           4
        .value_kind:     by_value
      - .address_space:  global
        .offset:         8
        .size:           8
        .value_kind:     global_buffer
      - .offset:         16
        .size:           8
        .value_kind:     by_value
      - .address_space:  global
        .offset:         24
        .size:           8
        .value_kind:     global_buffer
      - .offset:         32
        .size:           8
        .value_kind:     by_value
      - .offset:         40
        .size:           4
        .value_kind:     by_value
      - .offset:         48
        .size:           8
        .value_kind:     by_value
      - .address_space:  global
        .offset:         56
        .size:           8
        .value_kind:     global_buffer
      - .offset:         64
        .size:           8
        .value_kind:     by_value
      - .offset:         72
        .size:           4
        .value_kind:     by_value
      - .offset:         80
        .size:           8
        .value_kind:     by_value
      - .address_space:  global
        .offset:         88
        .size:           8
        .value_kind:     global_buffer
      - .offset:         96
        .size:           8
        .value_kind:     by_value
      - .address_space:  global
        .offset:         104
        .size:           8
        .value_kind:     global_buffer
      - .offset:         112
        .size:           8
        .value_kind:     by_value
      - .offset:         120
        .size:           4
        .value_kind:     by_value
      - .offset:         128
        .size:           8
        .value_kind:     by_value
      - .offset:         136
        .size:           4
        .value_kind:     by_value
    .group_segment_fixed_size: 128
    .kernarg_segment_align: 8
    .kernarg_segment_size: 140
    .language:       OpenCL C
    .language_version:
      - 2
      - 0
    .max_flat_workgroup_size: 1024
    .name:           _ZL32rocblas_gemvt_warp_reduce_kernelILb1ELi1024EiDF16_PKffEviiT3_lPKT2_lT1_lS5_lS6_lS2_lPT4_lS6_li
    .private_segment_fixed_size: 0
    .sgpr_count:     46
    .sgpr_spill_count: 0
    .symbol:         _ZL32rocblas_gemvt_warp_reduce_kernelILb1ELi1024EiDF16_PKffEviiT3_lPKT2_lT1_lS5_lS6_lS2_lPT4_lS6_li.kd
    .uniform_work_group_size: 1
    .uses_dynamic_stack: false
    .vgpr_count:     21
    .vgpr_spill_count: 0
    .wavefront_size: 32
  - .args:
      - .offset:         0
        .size:           4
        .value_kind:     by_value
      - .offset:         4
        .size:           4
        .value_kind:     by_value
      - .address_space:  global
        .offset:         8
        .size:           8
        .value_kind:     global_buffer
      - .offset:         16
        .size:           8
        .value_kind:     by_value
      - .address_space:  global
        .offset:         24
        .size:           8
        .value_kind:     global_buffer
      - .offset:         32
        .size:           8
        .value_kind:     by_value
      - .offset:         40
        .size:           8
        .value_kind:     by_value
      - .offset:         48
        .size:           8
        .value_kind:     by_value
      - .address_space:  global
        .offset:         56
        .size:           8
        .value_kind:     global_buffer
      - .offset:         64
        .size:           8
        .value_kind:     by_value
      - .offset:         72
        .size:           8
        .value_kind:     by_value
      - .offset:         80
        .size:           8
        .value_kind:     by_value
      - .address_space:  global
        .offset:         88
        .size:           8
        .value_kind:     global_buffer
      - .offset:         96
        .size:           8
        .value_kind:     by_value
      - .address_space:  global
        .offset:         104
        .size:           8
        .value_kind:     global_buffer
      - .offset:         112
        .size:           8
        .value_kind:     by_value
      - .offset:         120
        .size:           8
        .value_kind:     by_value
      - .offset:         128
        .size:           8
        .value_kind:     by_value
      - .offset:         136
        .size:           4
        .value_kind:     by_value
    .group_segment_fixed_size: 128
    .kernarg_segment_align: 8
    .kernarg_segment_size: 140
    .language:       OpenCL C
    .language_version:
      - 2
      - 0
    .max_flat_workgroup_size: 1024
    .name:           _ZL32rocblas_gemvt_warp_reduce_kernelILb1ELi1024ElDF16_PKffEviiT3_lPKT2_lT1_lS5_lS6_lS2_lPT4_lS6_li
    .private_segment_fixed_size: 0
    .sgpr_count:     54
    .sgpr_spill_count: 0
    .symbol:         _ZL32rocblas_gemvt_warp_reduce_kernelILb1ELi1024ElDF16_PKffEviiT3_lPKT2_lT1_lS5_lS6_lS2_lPT4_lS6_li.kd
    .uniform_work_group_size: 1
    .uses_dynamic_stack: false
    .vgpr_count:     23
    .vgpr_spill_count: 0
    .wavefront_size: 32
  - .args:
      - .offset:         0
        .size:           4
        .value_kind:     by_value
      - .offset:         4
        .size:           4
        .value_kind:     by_value
      - .offset:         8
        .size:           4
        .value_kind:     by_value
      - .offset:         16
        .size:           8
        .value_kind:     by_value
      - .address_space:  global
        .offset:         24
        .size:           8
        .value_kind:     global_buffer
      - .offset:         32
        .size:           8
        .value_kind:     by_value
      - .offset:         40
        .size:           4
        .value_kind:     by_value
      - .offset:         48
        .size:           8
        .value_kind:     by_value
      - .address_space:  global
        .offset:         56
        .size:           8
        .value_kind:     global_buffer
      - .offset:         64
        .size:           8
        .value_kind:     by_value
      - .offset:         72
        .size:           4
        .value_kind:     by_value
      - .offset:         80
        .size:           8
        .value_kind:     by_value
      - .offset:         88
        .size:           4
        .value_kind:     by_value
      - .offset:         96
        .size:           8
        .value_kind:     by_value
      - .address_space:  global
        .offset:         104
        .size:           8
        .value_kind:     global_buffer
      - .offset:         112
        .size:           8
        .value_kind:     by_value
      - .offset:         120
        .size:           4
        .value_kind:     by_value
      - .offset:         128
        .size:           8
        .value_kind:     by_value
      - .offset:         136
        .size:           4
        .value_kind:     by_value
    .group_segment_fixed_size: 128
    .kernarg_segment_align: 8
    .kernarg_segment_size: 140
    .language:       OpenCL C
    .language_version:
      - 2
      - 0
    .max_flat_workgroup_size: 1024
    .name:           _ZL32rocblas_gemvt_warp_reduce_kernelILb1ELi1024EiDF16_ffEviiT3_lPKT2_lT1_lS3_lS4_lS0_lPT4_lS4_li
    .private_segment_fixed_size: 0
    .sgpr_count:     42
    .sgpr_spill_count: 0
    .symbol:         _ZL32rocblas_gemvt_warp_reduce_kernelILb1ELi1024EiDF16_ffEviiT3_lPKT2_lT1_lS3_lS4_lS0_lPT4_lS4_li.kd
    .uniform_work_group_size: 1
    .uses_dynamic_stack: false
    .vgpr_count:     20
    .vgpr_spill_count: 0
    .wavefront_size: 32
  - .args:
      - .offset:         0
        .size:           4
        .value_kind:     by_value
      - .offset:         4
        .size:           4
        .value_kind:     by_value
      - .offset:         8
        .size:           4
        .value_kind:     by_value
      - .offset:         16
        .size:           8
        .value_kind:     by_value
      - .address_space:  global
        .offset:         24
        .size:           8
        .value_kind:     global_buffer
      - .offset:         32
        .size:           8
        .value_kind:     by_value
      - .offset:         40
        .size:           8
        .value_kind:     by_value
      - .offset:         48
        .size:           8
        .value_kind:     by_value
      - .address_space:  global
        .offset:         56
        .size:           8
        .value_kind:     global_buffer
      - .offset:         64
        .size:           8
        .value_kind:     by_value
      - .offset:         72
        .size:           8
        .value_kind:     by_value
      - .offset:         80
        .size:           8
        .value_kind:     by_value
      - .offset:         88
        .size:           4
        .value_kind:     by_value
      - .offset:         96
        .size:           8
        .value_kind:     by_value
      - .address_space:  global
        .offset:         104
        .size:           8
        .value_kind:     global_buffer
      - .offset:         112
        .size:           8
        .value_kind:     by_value
      - .offset:         120
        .size:           8
        .value_kind:     by_value
      - .offset:         128
        .size:           8
        .value_kind:     by_value
      - .offset:         136
        .size:           4
        .value_kind:     by_value
    .group_segment_fixed_size: 128
    .kernarg_segment_align: 8
    .kernarg_segment_size: 140
    .language:       OpenCL C
    .language_version:
      - 2
      - 0
    .max_flat_workgroup_size: 1024
    .name:           _ZL32rocblas_gemvt_warp_reduce_kernelILb1ELi1024ElDF16_ffEviiT3_lPKT2_lT1_lS3_lS4_lS0_lPT4_lS4_li
    .private_segment_fixed_size: 0
    .sgpr_count:     44
    .sgpr_spill_count: 0
    .symbol:         _ZL32rocblas_gemvt_warp_reduce_kernelILb1ELi1024ElDF16_ffEviiT3_lPKT2_lT1_lS3_lS4_lS0_lPT4_lS4_li.kd
    .uniform_work_group_size: 1
    .uses_dynamic_stack: false
    .vgpr_count:     22
    .vgpr_spill_count: 0
    .wavefront_size: 32
  - .args:
      - .offset:         0
        .size:           4
        .value_kind:     by_value
      - .offset:         4
        .size:           4
        .value_kind:     by_value
      - .address_space:  global
        .offset:         8
        .size:           8
        .value_kind:     global_buffer
      - .offset:         16
        .size:           8
        .value_kind:     by_value
      - .address_space:  global
        .offset:         24
        .size:           8
        .value_kind:     global_buffer
      - .offset:         32
        .size:           8
        .value_kind:     by_value
      - .offset:         40
        .size:           4
        .value_kind:     by_value
      - .offset:         48
        .size:           8
        .value_kind:     by_value
      - .address_space:  global
        .offset:         56
        .size:           8
        .value_kind:     global_buffer
      - .offset:         64
        .size:           8
        .value_kind:     by_value
      - .offset:         72
        .size:           4
        .value_kind:     by_value
      - .offset:         80
        .size:           8
        .value_kind:     by_value
      - .address_space:  global
        .offset:         88
        .size:           8
        .value_kind:     global_buffer
      - .offset:         96
        .size:           8
        .value_kind:     by_value
      - .address_space:  global
        .offset:         104
        .size:           8
        .value_kind:     global_buffer
      - .offset:         112
        .size:           8
        .value_kind:     by_value
      - .offset:         120
        .size:           4
        .value_kind:     by_value
      - .offset:         128
        .size:           8
        .value_kind:     by_value
      - .offset:         136
        .size:           4
        .value_kind:     by_value
    .group_segment_fixed_size: 0
    .kernarg_segment_align: 8
    .kernarg_segment_size: 140
    .language:       OpenCL C
    .language_version:
      - 2
      - 0
    .max_flat_workgroup_size: 768
    .name:           _ZL34rocblas_gemvn_sm_mn_batched_kernelILi32ELi24EPKDF16_PKfKPfEviiT2_lPKT1_lilS9_lilS6_lPT3_lili
    .private_segment_fixed_size: 0
    .sgpr_count:     0
    .sgpr_spill_count: 0
    .symbol:         _ZL34rocblas_gemvn_sm_mn_batched_kernelILi32ELi24EPKDF16_PKfKPfEviiT2_lPKT1_lilS9_lilS6_lPT3_lili.kd
    .uniform_work_group_size: 1
    .uses_dynamic_stack: false
    .vgpr_count:     0
    .vgpr_spill_count: 0
    .wavefront_size: 32
  - .args:
      - .offset:         0
        .size:           4
        .value_kind:     by_value
      - .offset:         4
        .size:           4
        .value_kind:     by_value
      - .offset:         8
        .size:           4
        .value_kind:     by_value
      - .offset:         16
        .size:           8
        .value_kind:     by_value
      - .address_space:  global
        .offset:         24
        .size:           8
        .value_kind:     global_buffer
      - .offset:         32
        .size:           8
        .value_kind:     by_value
      - .offset:         40
        .size:           4
        .value_kind:     by_value
      - .offset:         48
        .size:           8
        .value_kind:     by_value
      - .address_space:  global
        .offset:         56
        .size:           8
        .value_kind:     global_buffer
      - .offset:         64
        .size:           8
        .value_kind:     by_value
      - .offset:         72
        .size:           4
        .value_kind:     by_value
      - .offset:         80
        .size:           8
        .value_kind:     by_value
      - .offset:         88
        .size:           4
        .value_kind:     by_value
      - .offset:         96
        .size:           8
        .value_kind:     by_value
      - .address_space:  global
        .offset:         104
        .size:           8
        .value_kind:     global_buffer
      - .offset:         112
        .size:           8
        .value_kind:     by_value
      - .offset:         120
        .size:           4
        .value_kind:     by_value
      - .offset:         128
        .size:           8
        .value_kind:     by_value
      - .offset:         136
        .size:           4
        .value_kind:     by_value
    .group_segment_fixed_size: 0
    .kernarg_segment_align: 8
    .kernarg_segment_size: 140
    .language:       OpenCL C
    .language_version:
      - 2
      - 0
    .max_flat_workgroup_size: 768
    .name:           _ZL34rocblas_gemvn_sm_mn_batched_kernelILi32ELi24EPKDF16_fKPfEviiT2_lPKT1_lilS7_lilS4_lPT3_lili
    .private_segment_fixed_size: 0
    .sgpr_count:     0
    .sgpr_spill_count: 0
    .symbol:         _ZL34rocblas_gemvn_sm_mn_batched_kernelILi32ELi24EPKDF16_fKPfEviiT2_lPKT1_lilS7_lilS4_lPT3_lili.kd
    .uniform_work_group_size: 1
    .uses_dynamic_stack: false
    .vgpr_count:     0
    .vgpr_spill_count: 0
    .wavefront_size: 32
  - .args:
      - .offset:         0
        .size:           4
        .value_kind:     by_value
      - .offset:         4
        .size:           4
        .value_kind:     by_value
      - .address_space:  global
        .offset:         8
        .size:           8
        .value_kind:     global_buffer
      - .offset:         16
        .size:           8
        .value_kind:     by_value
      - .address_space:  global
        .offset:         24
        .size:           8
        .value_kind:     global_buffer
      - .offset:         32
        .size:           8
        .value_kind:     by_value
      - .offset:         40
        .size:           4
        .value_kind:     by_value
      - .offset:         48
        .size:           8
        .value_kind:     by_value
      - .address_space:  global
        .offset:         56
        .size:           8
        .value_kind:     global_buffer
      - .offset:         64
        .size:           8
        .value_kind:     by_value
      - .offset:         72
        .size:           4
        .value_kind:     by_value
      - .offset:         80
        .size:           8
        .value_kind:     by_value
      - .address_space:  global
        .offset:         88
        .size:           8
        .value_kind:     global_buffer
      - .offset:         96
        .size:           8
        .value_kind:     by_value
      - .address_space:  global
        .offset:         104
        .size:           8
        .value_kind:     global_buffer
      - .offset:         112
        .size:           8
        .value_kind:     by_value
      - .offset:         120
        .size:           4
        .value_kind:     by_value
      - .offset:         128
        .size:           8
        .value_kind:     by_value
      - .offset:         136
        .size:           4
        .value_kind:     by_value
      - .offset:         144
        .size:           4
        .value_kind:     hidden_block_count_x
      - .offset:         148
        .size:           4
        .value_kind:     hidden_block_count_y
      - .offset:         152
        .size:           4
        .value_kind:     hidden_block_count_z
      - .offset:         156
        .size:           2
        .value_kind:     hidden_group_size_x
      - .offset:         158
        .size:           2
        .value_kind:     hidden_group_size_y
      - .offset:         160
        .size:           2
        .value_kind:     hidden_group_size_z
      - .offset:         162
        .size:           2
        .value_kind:     hidden_remainder_x
      - .offset:         164
        .size:           2
        .value_kind:     hidden_remainder_y
      - .offset:         166
        .size:           2
        .value_kind:     hidden_remainder_z
      - .offset:         184
        .size:           8
        .value_kind:     hidden_global_offset_x
      - .offset:         192
        .size:           8
        .value_kind:     hidden_global_offset_y
      - .offset:         200
        .size:           8
        .value_kind:     hidden_global_offset_z
      - .offset:         208
        .size:           2
        .value_kind:     hidden_grid_dims
    .group_segment_fixed_size: 4096
    .kernarg_segment_align: 8
    .kernarg_segment_size: 400
    .language:       OpenCL C
    .language_version:
      - 2
      - 0
    .max_flat_workgroup_size: 256
    .name:           _ZL20rocblas_gemvn_kernelILi64ELi4EiPKDF16_PKfKPfEviiT3_lPKT2_lT1_lS9_lSA_lS6_lPT4_lSA_li
    .private_segment_fixed_size: 0
    .sgpr_count:     52
    .sgpr_spill_count: 0
    .symbol:         _ZL20rocblas_gemvn_kernelILi64ELi4EiPKDF16_PKfKPfEviiT3_lPKT2_lT1_lS9_lSA_lS6_lPT4_lSA_li.kd
    .uniform_work_group_size: 1
    .uses_dynamic_stack: false
    .vgpr_count:     65
    .vgpr_spill_count: 0
    .wavefront_size: 32
  - .args:
      - .offset:         0
        .size:           4
        .value_kind:     by_value
      - .offset:         4
        .size:           4
        .value_kind:     by_value
      - .address_space:  global
        .offset:         8
        .size:           8
        .value_kind:     global_buffer
      - .offset:         16
        .size:           8
        .value_kind:     by_value
      - .address_space:  global
        .offset:         24
        .size:           8
        .value_kind:     global_buffer
      - .offset:         32
        .size:           8
        .value_kind:     by_value
      - .offset:         40
        .size:           8
        .value_kind:     by_value
      - .offset:         48
        .size:           8
        .value_kind:     by_value
      - .address_space:  global
        .offset:         56
        .size:           8
        .value_kind:     global_buffer
      - .offset:         64
        .size:           8
        .value_kind:     by_value
      - .offset:         72
        .size:           8
        .value_kind:     by_value
      - .offset:         80
        .size:           8
        .value_kind:     by_value
      - .address_space:  global
        .offset:         88
        .size:           8
        .value_kind:     global_buffer
      - .offset:         96
        .size:           8
        .value_kind:     by_value
      - .address_space:  global
        .offset:         104
        .size:           8
        .value_kind:     global_buffer
      - .offset:         112
        .size:           8
        .value_kind:     by_value
      - .offset:         120
        .size:           8
        .value_kind:     by_value
      - .offset:         128
        .size:           8
        .value_kind:     by_value
      - .offset:         136
        .size:           4
        .value_kind:     by_value
      - .offset:         144
        .size:           4
        .value_kind:     hidden_block_count_x
      - .offset:         148
        .size:           4
        .value_kind:     hidden_block_count_y
      - .offset:         152
        .size:           4
        .value_kind:     hidden_block_count_z
      - .offset:         156
        .size:           2
        .value_kind:     hidden_group_size_x
      - .offset:         158
        .size:           2
        .value_kind:     hidden_group_size_y
      - .offset:         160
        .size:           2
        .value_kind:     hidden_group_size_z
      - .offset:         162
        .size:           2
        .value_kind:     hidden_remainder_x
      - .offset:         164
        .size:           2
        .value_kind:     hidden_remainder_y
      - .offset:         166
        .size:           2
        .value_kind:     hidden_remainder_z
      - .offset:         184
        .size:           8
        .value_kind:     hidden_global_offset_x
      - .offset:         192
        .size:           8
        .value_kind:     hidden_global_offset_y
      - .offset:         200
        .size:           8
        .value_kind:     hidden_global_offset_z
      - .offset:         208
        .size:           2
        .value_kind:     hidden_grid_dims
    .group_segment_fixed_size: 4096
    .kernarg_segment_align: 8
    .kernarg_segment_size: 400
    .language:       OpenCL C
    .language_version:
      - 2
      - 0
    .max_flat_workgroup_size: 256
    .name:           _ZL20rocblas_gemvn_kernelILi64ELi4ElPKDF16_PKfKPfEviiT3_lPKT2_lT1_lS9_lSA_lS6_lPT4_lSA_li
    .private_segment_fixed_size: 0
    .sgpr_count:     53
    .sgpr_spill_count: 0
    .symbol:         _ZL20rocblas_gemvn_kernelILi64ELi4ElPKDF16_PKfKPfEviiT3_lPKT2_lT1_lS9_lSA_lS6_lPT4_lSA_li.kd
    .uniform_work_group_size: 1
    .uses_dynamic_stack: false
    .vgpr_count:     80
    .vgpr_spill_count: 0
    .wavefront_size: 32
  - .args:
      - .offset:         0
        .size:           4
        .value_kind:     by_value
      - .offset:         4
        .size:           4
        .value_kind:     by_value
      - .offset:         8
        .size:           4
        .value_kind:     by_value
      - .offset:         16
        .size:           8
        .value_kind:     by_value
      - .address_space:  global
        .offset:         24
        .size:           8
        .value_kind:     global_buffer
      - .offset:         32
        .size:           8
        .value_kind:     by_value
      - .offset:         40
        .size:           4
        .value_kind:     by_value
      - .offset:         48
        .size:           8
        .value_kind:     by_value
      - .address_space:  global
        .offset:         56
        .size:           8
        .value_kind:     global_buffer
      - .offset:         64
        .size:           8
        .value_kind:     by_value
      - .offset:         72
        .size:           4
        .value_kind:     by_value
      - .offset:         80
        .size:           8
        .value_kind:     by_value
      - .offset:         88
        .size:           4
        .value_kind:     by_value
      - .offset:         96
        .size:           8
        .value_kind:     by_value
      - .address_space:  global
        .offset:         104
        .size:           8
        .value_kind:     global_buffer
      - .offset:         112
        .size:           8
        .value_kind:     by_value
      - .offset:         120
        .size:           4
        .value_kind:     by_value
      - .offset:         128
        .size:           8
        .value_kind:     by_value
      - .offset:         136
        .size:           4
        .value_kind:     by_value
      - .offset:         144
        .size:           4
        .value_kind:     hidden_block_count_x
      - .offset:         148
        .size:           4
        .value_kind:     hidden_block_count_y
      - .offset:         152
        .size:           4
        .value_kind:     hidden_block_count_z
      - .offset:         156
        .size:           2
        .value_kind:     hidden_group_size_x
      - .offset:         158
        .size:           2
        .value_kind:     hidden_group_size_y
      - .offset:         160
        .size:           2
        .value_kind:     hidden_group_size_z
      - .offset:         162
        .size:           2
        .value_kind:     hidden_remainder_x
      - .offset:         164
        .size:           2
        .value_kind:     hidden_remainder_y
      - .offset:         166
        .size:           2
        .value_kind:     hidden_remainder_z
      - .offset:         184
        .size:           8
        .value_kind:     hidden_global_offset_x
      - .offset:         192
        .size:           8
        .value_kind:     hidden_global_offset_y
      - .offset:         200
        .size:           8
        .value_kind:     hidden_global_offset_z
      - .offset:         208
        .size:           2
        .value_kind:     hidden_grid_dims
    .group_segment_fixed_size: 4096
    .kernarg_segment_align: 8
    .kernarg_segment_size: 400
    .language:       OpenCL C
    .language_version:
      - 2
      - 0
    .max_flat_workgroup_size: 256
    .name:           _ZL20rocblas_gemvn_kernelILi64ELi4EiPKDF16_fKPfEviiT3_lPKT2_lT1_lS7_lS8_lS4_lPT4_lS8_li
    .private_segment_fixed_size: 0
    .sgpr_count:     48
    .sgpr_spill_count: 0
    .symbol:         _ZL20rocblas_gemvn_kernelILi64ELi4EiPKDF16_fKPfEviiT3_lPKT2_lT1_lS7_lS8_lS4_lPT4_lS8_li.kd
    .uniform_work_group_size: 1
    .uses_dynamic_stack: false
    .vgpr_count:     64
    .vgpr_spill_count: 0
    .wavefront_size: 32
  - .args:
      - .offset:         0
        .size:           4
        .value_kind:     by_value
      - .offset:         4
        .size:           4
        .value_kind:     by_value
      - .offset:         8
        .size:           4
        .value_kind:     by_value
      - .offset:         16
        .size:           8
        .value_kind:     by_value
      - .address_space:  global
        .offset:         24
        .size:           8
        .value_kind:     global_buffer
      - .offset:         32
        .size:           8
        .value_kind:     by_value
      - .offset:         40
        .size:           8
        .value_kind:     by_value
      - .offset:         48
        .size:           8
        .value_kind:     by_value
      - .address_space:  global
        .offset:         56
        .size:           8
        .value_kind:     global_buffer
      - .offset:         64
        .size:           8
        .value_kind:     by_value
      - .offset:         72
        .size:           8
        .value_kind:     by_value
      - .offset:         80
        .size:           8
        .value_kind:     by_value
      - .offset:         88
        .size:           4
        .value_kind:     by_value
      - .offset:         96
        .size:           8
        .value_kind:     by_value
      - .address_space:  global
        .offset:         104
        .size:           8
        .value_kind:     global_buffer
      - .offset:         112
        .size:           8
        .value_kind:     by_value
      - .offset:         120
        .size:           8
        .value_kind:     by_value
      - .offset:         128
        .size:           8
        .value_kind:     by_value
      - .offset:         136
        .size:           4
        .value_kind:     by_value
      - .offset:         144
        .size:           4
        .value_kind:     hidden_block_count_x
      - .offset:         148
        .size:           4
        .value_kind:     hidden_block_count_y
      - .offset:         152
        .size:           4
        .value_kind:     hidden_block_count_z
      - .offset:         156
        .size:           2
        .value_kind:     hidden_group_size_x
      - .offset:         158
        .size:           2
        .value_kind:     hidden_group_size_y
      - .offset:         160
        .size:           2
        .value_kind:     hidden_group_size_z
      - .offset:         162
        .size:           2
        .value_kind:     hidden_remainder_x
      - .offset:         164
        .size:           2
        .value_kind:     hidden_remainder_y
      - .offset:         166
        .size:           2
        .value_kind:     hidden_remainder_z
      - .offset:         184
        .size:           8
        .value_kind:     hidden_global_offset_x
      - .offset:         192
        .size:           8
        .value_kind:     hidden_global_offset_y
      - .offset:         200
        .size:           8
        .value_kind:     hidden_global_offset_z
      - .offset:         208
        .size:           2
        .value_kind:     hidden_grid_dims
    .group_segment_fixed_size: 4096
    .kernarg_segment_align: 8
    .kernarg_segment_size: 400
    .language:       OpenCL C
    .language_version:
      - 2
      - 0
    .max_flat_workgroup_size: 256
    .name:           _ZL20rocblas_gemvn_kernelILi64ELi4ElPKDF16_fKPfEviiT3_lPKT2_lT1_lS7_lS8_lS4_lPT4_lS8_li
    .private_segment_fixed_size: 0
    .sgpr_count:     49
    .sgpr_spill_count: 0
    .symbol:         _ZL20rocblas_gemvn_kernelILi64ELi4ElPKDF16_fKPfEviiT3_lPKT2_lT1_lS7_lS8_lS4_lPT4_lS8_li.kd
    .uniform_work_group_size: 1
    .uses_dynamic_stack: false
    .vgpr_count:     80
    .vgpr_spill_count: 0
    .wavefront_size: 32
  - .args:
      - .offset:         0
        .size:           4
        .value_kind:     by_value
      - .offset:         4
        .size:           4
        .value_kind:     by_value
      - .address_space:  global
        .offset:         8
        .size:           8
        .value_kind:     global_buffer
      - .offset:         16
        .size:           8
        .value_kind:     by_value
      - .address_space:  global
        .offset:         24
        .size:           8
        .value_kind:     global_buffer
      - .offset:         32
        .size:           8
        .value_kind:     by_value
      - .offset:         40
        .size:           4
        .value_kind:     by_value
      - .offset:         48
        .size:           8
        .value_kind:     by_value
      - .address_space:  global
        .offset:         56
        .size:           8
        .value_kind:     global_buffer
      - .offset:         64
        .size:           8
        .value_kind:     by_value
      - .offset:         72
        .size:           4
        .value_kind:     by_value
      - .offset:         80
        .size:           8
        .value_kind:     by_value
      - .address_space:  global
        .offset:         88
        .size:           8
        .value_kind:     global_buffer
      - .offset:         96
        .size:           8
        .value_kind:     by_value
      - .address_space:  global
        .offset:         104
        .size:           8
        .value_kind:     global_buffer
      - .offset:         112
        .size:           8
        .value_kind:     by_value
      - .offset:         120
        .size:           4
        .value_kind:     by_value
      - .offset:         128
        .size:           8
        .value_kind:     by_value
      - .offset:         136
        .size:           4
        .value_kind:     by_value
      - .offset:         144
        .size:           4
        .value_kind:     hidden_block_count_x
      - .offset:         148
        .size:           4
        .value_kind:     hidden_block_count_y
      - .offset:         152
        .size:           4
        .value_kind:     hidden_block_count_z
      - .offset:         156
        .size:           2
        .value_kind:     hidden_group_size_x
      - .offset:         158
        .size:           2
        .value_kind:     hidden_group_size_y
      - .offset:         160
        .size:           2
        .value_kind:     hidden_group_size_z
      - .offset:         162
        .size:           2
        .value_kind:     hidden_remainder_x
      - .offset:         164
        .size:           2
        .value_kind:     hidden_remainder_y
      - .offset:         166
        .size:           2
        .value_kind:     hidden_remainder_z
      - .offset:         184
        .size:           8
        .value_kind:     hidden_global_offset_x
      - .offset:         192
        .size:           8
        .value_kind:     hidden_global_offset_y
      - .offset:         200
        .size:           8
        .value_kind:     hidden_global_offset_z
      - .offset:         208
        .size:           2
        .value_kind:     hidden_grid_dims
    .group_segment_fixed_size: 8192
    .kernarg_segment_align: 8
    .kernarg_segment_size: 400
    .language:       OpenCL C
    .language_version:
      - 2
      - 0
    .max_flat_workgroup_size: 512
    .name:           _ZL20rocblas_gemvn_kernelILi32ELi16EiPKDF16_PKfKPfEviiT3_lPKT2_lT1_lS9_lSA_lS6_lPT4_lSA_li
    .private_segment_fixed_size: 0
    .sgpr_count:     52
    .sgpr_spill_count: 0
    .symbol:         _ZL20rocblas_gemvn_kernelILi32ELi16EiPKDF16_PKfKPfEviiT3_lPKT2_lT1_lS9_lSA_lS6_lPT4_lSA_li.kd
    .uniform_work_group_size: 1
    .uses_dynamic_stack: false
    .vgpr_count:     65
    .vgpr_spill_count: 0
    .wavefront_size: 32
  - .args:
      - .offset:         0
        .size:           4
        .value_kind:     by_value
      - .offset:         4
        .size:           4
        .value_kind:     by_value
      - .address_space:  global
        .offset:         8
        .size:           8
        .value_kind:     global_buffer
      - .offset:         16
        .size:           8
        .value_kind:     by_value
      - .address_space:  global
        .offset:         24
        .size:           8
        .value_kind:     global_buffer
      - .offset:         32
        .size:           8
        .value_kind:     by_value
      - .offset:         40
        .size:           8
        .value_kind:     by_value
      - .offset:         48
        .size:           8
        .value_kind:     by_value
      - .address_space:  global
        .offset:         56
        .size:           8
        .value_kind:     global_buffer
      - .offset:         64
        .size:           8
        .value_kind:     by_value
      - .offset:         72
        .size:           8
        .value_kind:     by_value
      - .offset:         80
        .size:           8
        .value_kind:     by_value
      - .address_space:  global
        .offset:         88
        .size:           8
        .value_kind:     global_buffer
      - .offset:         96
        .size:           8
        .value_kind:     by_value
      - .address_space:  global
        .offset:         104
        .size:           8
        .value_kind:     global_buffer
      - .offset:         112
        .size:           8
        .value_kind:     by_value
      - .offset:         120
        .size:           8
        .value_kind:     by_value
      - .offset:         128
        .size:           8
        .value_kind:     by_value
      - .offset:         136
        .size:           4
        .value_kind:     by_value
      - .offset:         144
        .size:           4
        .value_kind:     hidden_block_count_x
      - .offset:         148
        .size:           4
        .value_kind:     hidden_block_count_y
      - .offset:         152
        .size:           4
        .value_kind:     hidden_block_count_z
      - .offset:         156
        .size:           2
        .value_kind:     hidden_group_size_x
      - .offset:         158
        .size:           2
        .value_kind:     hidden_group_size_y
      - .offset:         160
        .size:           2
        .value_kind:     hidden_group_size_z
      - .offset:         162
        .size:           2
        .value_kind:     hidden_remainder_x
      - .offset:         164
        .size:           2
        .value_kind:     hidden_remainder_y
      - .offset:         166
        .size:           2
        .value_kind:     hidden_remainder_z
      - .offset:         184
        .size:           8
        .value_kind:     hidden_global_offset_x
      - .offset:         192
        .size:           8
        .value_kind:     hidden_global_offset_y
      - .offset:         200
        .size:           8
        .value_kind:     hidden_global_offset_z
      - .offset:         208
        .size:           2
        .value_kind:     hidden_grid_dims
    .group_segment_fixed_size: 8192
    .kernarg_segment_align: 8
    .kernarg_segment_size: 400
    .language:       OpenCL C
    .language_version:
      - 2
      - 0
    .max_flat_workgroup_size: 512
    .name:           _ZL20rocblas_gemvn_kernelILi32ELi16ElPKDF16_PKfKPfEviiT3_lPKT2_lT1_lS9_lSA_lS6_lPT4_lSA_li
    .private_segment_fixed_size: 0
    .sgpr_count:     53
    .sgpr_spill_count: 0
    .symbol:         _ZL20rocblas_gemvn_kernelILi32ELi16ElPKDF16_PKfKPfEviiT3_lPKT2_lT1_lS9_lSA_lS6_lPT4_lSA_li.kd
    .uniform_work_group_size: 1
    .uses_dynamic_stack: false
    .vgpr_count:     80
    .vgpr_spill_count: 0
    .wavefront_size: 32
  - .args:
      - .offset:         0
        .size:           4
        .value_kind:     by_value
      - .offset:         4
        .size:           4
        .value_kind:     by_value
      - .offset:         8
        .size:           4
        .value_kind:     by_value
      - .offset:         16
        .size:           8
        .value_kind:     by_value
      - .address_space:  global
        .offset:         24
        .size:           8
        .value_kind:     global_buffer
      - .offset:         32
        .size:           8
        .value_kind:     by_value
      - .offset:         40
        .size:           4
        .value_kind:     by_value
      - .offset:         48
        .size:           8
        .value_kind:     by_value
      - .address_space:  global
        .offset:         56
        .size:           8
        .value_kind:     global_buffer
      - .offset:         64
        .size:           8
        .value_kind:     by_value
      - .offset:         72
        .size:           4
        .value_kind:     by_value
      - .offset:         80
        .size:           8
        .value_kind:     by_value
      - .offset:         88
        .size:           4
        .value_kind:     by_value
      - .offset:         96
        .size:           8
        .value_kind:     by_value
      - .address_space:  global
        .offset:         104
        .size:           8
        .value_kind:     global_buffer
      - .offset:         112
        .size:           8
        .value_kind:     by_value
      - .offset:         120
        .size:           4
        .value_kind:     by_value
      - .offset:         128
        .size:           8
        .value_kind:     by_value
      - .offset:         136
        .size:           4
        .value_kind:     by_value
      - .offset:         144
        .size:           4
        .value_kind:     hidden_block_count_x
      - .offset:         148
        .size:           4
        .value_kind:     hidden_block_count_y
      - .offset:         152
        .size:           4
        .value_kind:     hidden_block_count_z
      - .offset:         156
        .size:           2
        .value_kind:     hidden_group_size_x
      - .offset:         158
        .size:           2
        .value_kind:     hidden_group_size_y
      - .offset:         160
        .size:           2
        .value_kind:     hidden_group_size_z
      - .offset:         162
        .size:           2
        .value_kind:     hidden_remainder_x
      - .offset:         164
        .size:           2
        .value_kind:     hidden_remainder_y
      - .offset:         166
        .size:           2
        .value_kind:     hidden_remainder_z
      - .offset:         184
        .size:           8
        .value_kind:     hidden_global_offset_x
      - .offset:         192
        .size:           8
        .value_kind:     hidden_global_offset_y
      - .offset:         200
        .size:           8
        .value_kind:     hidden_global_offset_z
      - .offset:         208
        .size:           2
        .value_kind:     hidden_grid_dims
    .group_segment_fixed_size: 8192
    .kernarg_segment_align: 8
    .kernarg_segment_size: 400
    .language:       OpenCL C
    .language_version:
      - 2
      - 0
    .max_flat_workgroup_size: 512
    .name:           _ZL20rocblas_gemvn_kernelILi32ELi16EiPKDF16_fKPfEviiT3_lPKT2_lT1_lS7_lS8_lS4_lPT4_lS8_li
    .private_segment_fixed_size: 0
    .sgpr_count:     48
    .sgpr_spill_count: 0
    .symbol:         _ZL20rocblas_gemvn_kernelILi32ELi16EiPKDF16_fKPfEviiT3_lPKT2_lT1_lS7_lS8_lS4_lPT4_lS8_li.kd
    .uniform_work_group_size: 1
    .uses_dynamic_stack: false
    .vgpr_count:     64
    .vgpr_spill_count: 0
    .wavefront_size: 32
  - .args:
      - .offset:         0
        .size:           4
        .value_kind:     by_value
      - .offset:         4
        .size:           4
        .value_kind:     by_value
      - .offset:         8
        .size:           4
        .value_kind:     by_value
      - .offset:         16
        .size:           8
        .value_kind:     by_value
      - .address_space:  global
        .offset:         24
        .size:           8
        .value_kind:     global_buffer
      - .offset:         32
        .size:           8
        .value_kind:     by_value
      - .offset:         40
        .size:           8
        .value_kind:     by_value
      - .offset:         48
        .size:           8
        .value_kind:     by_value
      - .address_space:  global
        .offset:         56
        .size:           8
        .value_kind:     global_buffer
      - .offset:         64
        .size:           8
        .value_kind:     by_value
      - .offset:         72
        .size:           8
        .value_kind:     by_value
      - .offset:         80
        .size:           8
        .value_kind:     by_value
      - .offset:         88
        .size:           4
        .value_kind:     by_value
      - .offset:         96
        .size:           8
        .value_kind:     by_value
      - .address_space:  global
        .offset:         104
        .size:           8
        .value_kind:     global_buffer
      - .offset:         112
        .size:           8
        .value_kind:     by_value
      - .offset:         120
        .size:           8
        .value_kind:     by_value
      - .offset:         128
        .size:           8
        .value_kind:     by_value
      - .offset:         136
        .size:           4
        .value_kind:     by_value
      - .offset:         144
        .size:           4
        .value_kind:     hidden_block_count_x
      - .offset:         148
        .size:           4
        .value_kind:     hidden_block_count_y
      - .offset:         152
        .size:           4
        .value_kind:     hidden_block_count_z
      - .offset:         156
        .size:           2
        .value_kind:     hidden_group_size_x
      - .offset:         158
        .size:           2
        .value_kind:     hidden_group_size_y
      - .offset:         160
        .size:           2
        .value_kind:     hidden_group_size_z
      - .offset:         162
        .size:           2
        .value_kind:     hidden_remainder_x
      - .offset:         164
        .size:           2
        .value_kind:     hidden_remainder_y
      - .offset:         166
        .size:           2
        .value_kind:     hidden_remainder_z
      - .offset:         184
        .size:           8
        .value_kind:     hidden_global_offset_x
      - .offset:         192
        .size:           8
        .value_kind:     hidden_global_offset_y
      - .offset:         200
        .size:           8
        .value_kind:     hidden_global_offset_z
      - .offset:         208
        .size:           2
        .value_kind:     hidden_grid_dims
    .group_segment_fixed_size: 8192
    .kernarg_segment_align: 8
    .kernarg_segment_size: 400
    .language:       OpenCL C
    .language_version:
      - 2
      - 0
    .max_flat_workgroup_size: 512
    .name:           _ZL20rocblas_gemvn_kernelILi32ELi16ElPKDF16_fKPfEviiT3_lPKT2_lT1_lS7_lS8_lS4_lPT4_lS8_li
    .private_segment_fixed_size: 0
    .sgpr_count:     49
    .sgpr_spill_count: 0
    .symbol:         _ZL20rocblas_gemvn_kernelILi32ELi16ElPKDF16_fKPfEviiT3_lPKT2_lT1_lS7_lS8_lS4_lPT4_lS8_li.kd
    .uniform_work_group_size: 1
    .uses_dynamic_stack: false
    .vgpr_count:     80
    .vgpr_spill_count: 0
    .wavefront_size: 32
  - .args:
      - .offset:         0
        .size:           4
        .value_kind:     by_value
      - .offset:         4
        .size:           4
        .value_kind:     by_value
      - .address_space:  global
        .offset:         8
        .size:           8
        .value_kind:     global_buffer
      - .offset:         16
        .size:           8
        .value_kind:     by_value
      - .address_space:  global
        .offset:         24
        .size:           8
        .value_kind:     global_buffer
      - .offset:         32
        .size:           8
        .value_kind:     by_value
      - .offset:         40
        .size:           4
        .value_kind:     by_value
      - .offset:         48
        .size:           8
        .value_kind:     by_value
      - .address_space:  global
        .offset:         56
        .size:           8
        .value_kind:     global_buffer
      - .offset:         64
        .size:           8
        .value_kind:     by_value
      - .offset:         72
        .size:           4
        .value_kind:     by_value
      - .offset:         80
        .size:           8
        .value_kind:     by_value
      - .address_space:  global
        .offset:         88
        .size:           8
        .value_kind:     global_buffer
      - .offset:         96
        .size:           8
        .value_kind:     by_value
      - .address_space:  global
        .offset:         104
        .size:           8
        .value_kind:     global_buffer
      - .offset:         112
        .size:           8
        .value_kind:     by_value
      - .offset:         120
        .size:           4
        .value_kind:     by_value
      - .offset:         128
        .size:           8
        .value_kind:     by_value
      - .offset:         136
        .size:           4
        .value_kind:     by_value
      - .offset:         144
        .size:           4
        .value_kind:     hidden_block_count_x
      - .offset:         148
        .size:           4
        .value_kind:     hidden_block_count_y
      - .offset:         152
        .size:           4
        .value_kind:     hidden_block_count_z
      - .offset:         156
        .size:           2
        .value_kind:     hidden_group_size_x
      - .offset:         158
        .size:           2
        .value_kind:     hidden_group_size_y
      - .offset:         160
        .size:           2
        .value_kind:     hidden_group_size_z
      - .offset:         162
        .size:           2
        .value_kind:     hidden_remainder_x
      - .offset:         164
        .size:           2
        .value_kind:     hidden_remainder_y
      - .offset:         166
        .size:           2
        .value_kind:     hidden_remainder_z
      - .offset:         184
        .size:           8
        .value_kind:     hidden_global_offset_x
      - .offset:         192
        .size:           8
        .value_kind:     hidden_global_offset_y
      - .offset:         200
        .size:           8
        .value_kind:     hidden_global_offset_z
      - .offset:         208
        .size:           2
        .value_kind:     hidden_grid_dims
    .group_segment_fixed_size: 16384
    .kernarg_segment_align: 8
    .kernarg_segment_size: 400
    .language:       OpenCL C
    .language_version:
      - 2
      - 0
    .max_flat_workgroup_size: 1024
    .name:           _ZL20rocblas_gemvn_kernelILi64ELi16EiPKDF16_PKfKPfEviiT3_lPKT2_lT1_lS9_lSA_lS6_lPT4_lSA_li
    .private_segment_fixed_size: 0
    .sgpr_count:     52
    .sgpr_spill_count: 0
    .symbol:         _ZL20rocblas_gemvn_kernelILi64ELi16EiPKDF16_PKfKPfEviiT3_lPKT2_lT1_lS9_lSA_lS6_lPT4_lSA_li.kd
    .uniform_work_group_size: 1
    .uses_dynamic_stack: false
    .vgpr_count:     64
    .vgpr_spill_count: 0
    .wavefront_size: 32
  - .args:
      - .offset:         0
        .size:           4
        .value_kind:     by_value
      - .offset:         4
        .size:           4
        .value_kind:     by_value
      - .address_space:  global
        .offset:         8
        .size:           8
        .value_kind:     global_buffer
      - .offset:         16
        .size:           8
        .value_kind:     by_value
      - .address_space:  global
        .offset:         24
        .size:           8
        .value_kind:     global_buffer
      - .offset:         32
        .size:           8
        .value_kind:     by_value
      - .offset:         40
        .size:           8
        .value_kind:     by_value
      - .offset:         48
        .size:           8
        .value_kind:     by_value
      - .address_space:  global
        .offset:         56
        .size:           8
        .value_kind:     global_buffer
      - .offset:         64
        .size:           8
        .value_kind:     by_value
      - .offset:         72
        .size:           8
        .value_kind:     by_value
      - .offset:         80
        .size:           8
        .value_kind:     by_value
      - .address_space:  global
        .offset:         88
        .size:           8
        .value_kind:     global_buffer
      - .offset:         96
        .size:           8
        .value_kind:     by_value
      - .address_space:  global
        .offset:         104
        .size:           8
        .value_kind:     global_buffer
      - .offset:         112
        .size:           8
        .value_kind:     by_value
      - .offset:         120
        .size:           8
        .value_kind:     by_value
      - .offset:         128
        .size:           8
        .value_kind:     by_value
      - .offset:         136
        .size:           4
        .value_kind:     by_value
      - .offset:         144
        .size:           4
        .value_kind:     hidden_block_count_x
      - .offset:         148
        .size:           4
        .value_kind:     hidden_block_count_y
      - .offset:         152
        .size:           4
        .value_kind:     hidden_block_count_z
      - .offset:         156
        .size:           2
        .value_kind:     hidden_group_size_x
      - .offset:         158
        .size:           2
        .value_kind:     hidden_group_size_y
      - .offset:         160
        .size:           2
        .value_kind:     hidden_group_size_z
      - .offset:         162
        .size:           2
        .value_kind:     hidden_remainder_x
      - .offset:         164
        .size:           2
        .value_kind:     hidden_remainder_y
      - .offset:         166
        .size:           2
        .value_kind:     hidden_remainder_z
      - .offset:         184
        .size:           8
        .value_kind:     hidden_global_offset_x
      - .offset:         192
        .size:           8
        .value_kind:     hidden_global_offset_y
      - .offset:         200
        .size:           8
        .value_kind:     hidden_global_offset_z
      - .offset:         208
        .size:           2
        .value_kind:     hidden_grid_dims
    .group_segment_fixed_size: 16384
    .kernarg_segment_align: 8
    .kernarg_segment_size: 400
    .language:       OpenCL C
    .language_version:
      - 2
      - 0
    .max_flat_workgroup_size: 1024
    .name:           _ZL20rocblas_gemvn_kernelILi64ELi16ElPKDF16_PKfKPfEviiT3_lPKT2_lT1_lS9_lSA_lS6_lPT4_lSA_li
    .private_segment_fixed_size: 0
    .sgpr_count:     53
    .sgpr_spill_count: 0
    .symbol:         _ZL20rocblas_gemvn_kernelILi64ELi16ElPKDF16_PKfKPfEviiT3_lPKT2_lT1_lS9_lSA_lS6_lPT4_lSA_li.kd
    .uniform_work_group_size: 1
    .uses_dynamic_stack: false
    .vgpr_count:     76
    .vgpr_spill_count: 0
    .wavefront_size: 32
  - .args:
      - .offset:         0
        .size:           4
        .value_kind:     by_value
      - .offset:         4
        .size:           4
        .value_kind:     by_value
      - .offset:         8
        .size:           4
        .value_kind:     by_value
      - .offset:         16
        .size:           8
        .value_kind:     by_value
      - .address_space:  global
        .offset:         24
        .size:           8
        .value_kind:     global_buffer
      - .offset:         32
        .size:           8
        .value_kind:     by_value
      - .offset:         40
        .size:           4
        .value_kind:     by_value
      - .offset:         48
        .size:           8
        .value_kind:     by_value
      - .address_space:  global
        .offset:         56
        .size:           8
        .value_kind:     global_buffer
      - .offset:         64
        .size:           8
        .value_kind:     by_value
      - .offset:         72
        .size:           4
        .value_kind:     by_value
      - .offset:         80
        .size:           8
        .value_kind:     by_value
      - .offset:         88
        .size:           4
        .value_kind:     by_value
      - .offset:         96
        .size:           8
        .value_kind:     by_value
      - .address_space:  global
        .offset:         104
        .size:           8
        .value_kind:     global_buffer
      - .offset:         112
        .size:           8
        .value_kind:     by_value
      - .offset:         120
        .size:           4
        .value_kind:     by_value
      - .offset:         128
        .size:           8
        .value_kind:     by_value
      - .offset:         136
        .size:           4
        .value_kind:     by_value
      - .offset:         144
        .size:           4
        .value_kind:     hidden_block_count_x
      - .offset:         148
        .size:           4
        .value_kind:     hidden_block_count_y
      - .offset:         152
        .size:           4
        .value_kind:     hidden_block_count_z
      - .offset:         156
        .size:           2
        .value_kind:     hidden_group_size_x
      - .offset:         158
        .size:           2
        .value_kind:     hidden_group_size_y
      - .offset:         160
        .size:           2
        .value_kind:     hidden_group_size_z
      - .offset:         162
        .size:           2
        .value_kind:     hidden_remainder_x
      - .offset:         164
        .size:           2
        .value_kind:     hidden_remainder_y
      - .offset:         166
        .size:           2
        .value_kind:     hidden_remainder_z
      - .offset:         184
        .size:           8
        .value_kind:     hidden_global_offset_x
      - .offset:         192
        .size:           8
        .value_kind:     hidden_global_offset_y
      - .offset:         200
        .size:           8
        .value_kind:     hidden_global_offset_z
      - .offset:         208
        .size:           2
        .value_kind:     hidden_grid_dims
    .group_segment_fixed_size: 16384
    .kernarg_segment_align: 8
    .kernarg_segment_size: 400
    .language:       OpenCL C
    .language_version:
      - 2
      - 0
    .max_flat_workgroup_size: 1024
    .name:           _ZL20rocblas_gemvn_kernelILi64ELi16EiPKDF16_fKPfEviiT3_lPKT2_lT1_lS7_lS8_lS4_lPT4_lS8_li
    .private_segment_fixed_size: 0
    .sgpr_count:     48
    .sgpr_spill_count: 0
    .symbol:         _ZL20rocblas_gemvn_kernelILi64ELi16EiPKDF16_fKPfEviiT3_lPKT2_lT1_lS7_lS8_lS4_lPT4_lS8_li.kd
    .uniform_work_group_size: 1
    .uses_dynamic_stack: false
    .vgpr_count:     64
    .vgpr_spill_count: 0
    .wavefront_size: 32
  - .args:
      - .offset:         0
        .size:           4
        .value_kind:     by_value
      - .offset:         4
        .size:           4
        .value_kind:     by_value
      - .offset:         8
        .size:           4
        .value_kind:     by_value
      - .offset:         16
        .size:           8
        .value_kind:     by_value
      - .address_space:  global
        .offset:         24
        .size:           8
        .value_kind:     global_buffer
      - .offset:         32
        .size:           8
        .value_kind:     by_value
      - .offset:         40
        .size:           8
        .value_kind:     by_value
      - .offset:         48
        .size:           8
        .value_kind:     by_value
      - .address_space:  global
        .offset:         56
        .size:           8
        .value_kind:     global_buffer
      - .offset:         64
        .size:           8
        .value_kind:     by_value
      - .offset:         72
        .size:           8
        .value_kind:     by_value
      - .offset:         80
        .size:           8
        .value_kind:     by_value
      - .offset:         88
        .size:           4
        .value_kind:     by_value
      - .offset:         96
        .size:           8
        .value_kind:     by_value
      - .address_space:  global
        .offset:         104
        .size:           8
        .value_kind:     global_buffer
      - .offset:         112
        .size:           8
        .value_kind:     by_value
      - .offset:         120
        .size:           8
        .value_kind:     by_value
      - .offset:         128
        .size:           8
        .value_kind:     by_value
      - .offset:         136
        .size:           4
        .value_kind:     by_value
      - .offset:         144
        .size:           4
        .value_kind:     hidden_block_count_x
      - .offset:         148
        .size:           4
        .value_kind:     hidden_block_count_y
      - .offset:         152
        .size:           4
        .value_kind:     hidden_block_count_z
      - .offset:         156
        .size:           2
        .value_kind:     hidden_group_size_x
      - .offset:         158
        .size:           2
        .value_kind:     hidden_group_size_y
      - .offset:         160
        .size:           2
        .value_kind:     hidden_group_size_z
      - .offset:         162
        .size:           2
        .value_kind:     hidden_remainder_x
      - .offset:         164
        .size:           2
        .value_kind:     hidden_remainder_y
      - .offset:         166
        .size:           2
        .value_kind:     hidden_remainder_z
      - .offset:         184
        .size:           8
        .value_kind:     hidden_global_offset_x
      - .offset:         192
        .size:           8
        .value_kind:     hidden_global_offset_y
      - .offset:         200
        .size:           8
        .value_kind:     hidden_global_offset_z
      - .offset:         208
        .size:           2
        .value_kind:     hidden_grid_dims
    .group_segment_fixed_size: 16384
    .kernarg_segment_align: 8
    .kernarg_segment_size: 400
    .language:       OpenCL C
    .language_version:
      - 2
      - 0
    .max_flat_workgroup_size: 1024
    .name:           _ZL20rocblas_gemvn_kernelILi64ELi16ElPKDF16_fKPfEviiT3_lPKT2_lT1_lS7_lS8_lS4_lPT4_lS8_li
    .private_segment_fixed_size: 0
    .sgpr_count:     49
    .sgpr_spill_count: 0
    .symbol:         _ZL20rocblas_gemvn_kernelILi64ELi16ElPKDF16_fKPfEviiT3_lPKT2_lT1_lS7_lS8_lS4_lPT4_lS8_li.kd
    .uniform_work_group_size: 1
    .uses_dynamic_stack: false
    .vgpr_count:     76
    .vgpr_spill_count: 0
    .wavefront_size: 32
  - .args:
      - .offset:         0
        .size:           4
        .value_kind:     by_value
      - .offset:         4
        .size:           4
        .value_kind:     by_value
      - .address_space:  global
        .offset:         8
        .size:           8
        .value_kind:     global_buffer
      - .offset:         16
        .size:           8
        .value_kind:     by_value
      - .address_space:  global
        .offset:         24
        .size:           8
        .value_kind:     global_buffer
      - .offset:         32
        .size:           8
        .value_kind:     by_value
      - .offset:         40
        .size:           4
        .value_kind:     by_value
      - .offset:         48
        .size:           8
        .value_kind:     by_value
      - .address_space:  global
        .offset:         56
        .size:           8
        .value_kind:     global_buffer
      - .offset:         64
        .size:           8
        .value_kind:     by_value
      - .offset:         72
        .size:           4
        .value_kind:     by_value
      - .offset:         80
        .size:           8
        .value_kind:     by_value
      - .address_space:  global
        .offset:         88
        .size:           8
        .value_kind:     global_buffer
      - .offset:         96
        .size:           8
        .value_kind:     by_value
      - .address_space:  global
        .offset:         104
        .size:           8
        .value_kind:     global_buffer
      - .offset:         112
        .size:           8
        .value_kind:     by_value
      - .offset:         120
        .size:           4
        .value_kind:     by_value
      - .offset:         128
        .size:           8
        .value_kind:     by_value
    .group_segment_fixed_size: 256
    .kernarg_segment_align: 8
    .kernarg_segment_size: 136
    .language:       OpenCL C
    .language_version:
      - 2
      - 0
    .max_flat_workgroup_size: 256
    .name:           _ZL22rocblas_gemvtsm_kernelILb0ELi256EPKDF16_PKfKPfEviiT2_lPKT1_lilS9_lilS6_lPT3_lil
    .private_segment_fixed_size: 0
    .sgpr_count:     24
    .sgpr_spill_count: 0
    .symbol:         _ZL22rocblas_gemvtsm_kernelILb0ELi256EPKDF16_PKfKPfEviiT2_lPKT1_lilS9_lilS6_lPT3_lil.kd
    .uniform_work_group_size: 1
    .uses_dynamic_stack: false
    .vgpr_count:     24
    .vgpr_spill_count: 0
    .wavefront_size: 32
  - .args:
      - .offset:         0
        .size:           4
        .value_kind:     by_value
      - .offset:         4
        .size:           4
        .value_kind:     by_value
      - .offset:         8
        .size:           4
        .value_kind:     by_value
      - .offset:         16
        .size:           8
        .value_kind:     by_value
      - .address_space:  global
        .offset:         24
        .size:           8
        .value_kind:     global_buffer
      - .offset:         32
        .size:           8
        .value_kind:     by_value
      - .offset:         40
        .size:           4
        .value_kind:     by_value
      - .offset:         48
        .size:           8
        .value_kind:     by_value
      - .address_space:  global
        .offset:         56
        .size:           8
        .value_kind:     global_buffer
      - .offset:         64
        .size:           8
        .value_kind:     by_value
      - .offset:         72
        .size:           4
        .value_kind:     by_value
      - .offset:         80
        .size:           8
        .value_kind:     by_value
      - .offset:         88
        .size:           4
        .value_kind:     by_value
      - .offset:         96
        .size:           8
        .value_kind:     by_value
      - .address_space:  global
        .offset:         104
        .size:           8
        .value_kind:     global_buffer
      - .offset:         112
        .size:           8
        .value_kind:     by_value
      - .offset:         120
        .size:           4
        .value_kind:     by_value
      - .offset:         128
        .size:           8
        .value_kind:     by_value
    .group_segment_fixed_size: 256
    .kernarg_segment_align: 8
    .kernarg_segment_size: 136
    .language:       OpenCL C
    .language_version:
      - 2
      - 0
    .max_flat_workgroup_size: 256
    .name:           _ZL22rocblas_gemvtsm_kernelILb0ELi256EPKDF16_fKPfEviiT2_lPKT1_lilS7_lilS4_lPT3_lil
    .private_segment_fixed_size: 0
    .sgpr_count:     26
    .sgpr_spill_count: 0
    .symbol:         _ZL22rocblas_gemvtsm_kernelILb0ELi256EPKDF16_fKPfEviiT2_lPKT1_lilS7_lilS4_lPT3_lil.kd
    .uniform_work_group_size: 1
    .uses_dynamic_stack: false
    .vgpr_count:     24
    .vgpr_spill_count: 0
    .wavefront_size: 32
  - .args:
      - .offset:         0
        .size:           4
        .value_kind:     by_value
      - .address_space:  global
        .offset:         8
        .size:           8
        .value_kind:     global_buffer
      - .offset:         16
        .size:           8
        .value_kind:     by_value
      - .address_space:  global
        .offset:         24
        .size:           8
        .value_kind:     global_buffer
      - .offset:         32
        .size:           8
        .value_kind:     by_value
      - .offset:         40
        .size:           4
        .value_kind:     by_value
      - .offset:         48
        .size:           8
        .value_kind:     by_value
      - .actual_access:  read_only
        .address_space:  global
        .offset:         56
        .size:           8
        .value_kind:     global_buffer
      - .offset:         64
        .size:           4
        .value_kind:     by_value
      - .offset:         72
        .size:           4
        .value_kind:     hidden_block_count_x
      - .offset:         76
        .size:           4
        .value_kind:     hidden_block_count_y
      - .offset:         80
        .size:           4
        .value_kind:     hidden_block_count_z
      - .offset:         84
        .size:           2
        .value_kind:     hidden_group_size_x
      - .offset:         86
        .size:           2
        .value_kind:     hidden_group_size_y
      - .offset:         88
        .size:           2
        .value_kind:     hidden_group_size_z
      - .offset:         90
        .size:           2
        .value_kind:     hidden_remainder_x
      - .offset:         92
        .size:           2
        .value_kind:     hidden_remainder_y
      - .offset:         94
        .size:           2
        .value_kind:     hidden_remainder_z
      - .offset:         112
        .size:           8
        .value_kind:     hidden_global_offset_x
      - .offset:         120
        .size:           8
        .value_kind:     hidden_global_offset_y
      - .offset:         128
        .size:           8
        .value_kind:     hidden_global_offset_z
      - .offset:         136
        .size:           2
        .value_kind:     hidden_grid_dims
    .group_segment_fixed_size: 128
    .kernarg_segment_align: 8
    .kernarg_segment_size: 328
    .language:       OpenCL C
    .language_version:
      - 2
      - 0
    .max_flat_workgroup_size: 256
    .name:           _ZL23rocblas_gemvt_sn_reduceILi256ELi8EfPKfKPfEviT2_lPT3_lilPT1_i
    .private_segment_fixed_size: 0
    .sgpr_count:     40
    .sgpr_spill_count: 0
    .symbol:         _ZL23rocblas_gemvt_sn_reduceILi256ELi8EfPKfKPfEviT2_lPT3_lilPT1_i.kd
    .uniform_work_group_size: 1
    .uses_dynamic_stack: false
    .vgpr_count:     28
    .vgpr_spill_count: 0
    .wavefront_size: 32
  - .args:
      - .offset:         0
        .size:           4
        .value_kind:     by_value
      - .offset:         4
        .size:           4
        .value_kind:     by_value
      - .offset:         8
        .size:           8
        .value_kind:     by_value
      - .address_space:  global
        .offset:         16
        .size:           8
        .value_kind:     global_buffer
      - .offset:         24
        .size:           8
        .value_kind:     by_value
      - .offset:         32
        .size:           4
        .value_kind:     by_value
      - .offset:         40
        .size:           8
        .value_kind:     by_value
      - .actual_access:  read_only
        .address_space:  global
        .offset:         48
        .size:           8
        .value_kind:     global_buffer
      - .offset:         56
        .size:           4
        .value_kind:     by_value
      - .offset:         64
        .size:           4
        .value_kind:     hidden_block_count_x
      - .offset:         68
        .size:           4
        .value_kind:     hidden_block_count_y
      - .offset:         72
        .size:           4
        .value_kind:     hidden_block_count_z
      - .offset:         76
        .size:           2
        .value_kind:     hidden_group_size_x
      - .offset:         78
        .size:           2
        .value_kind:     hidden_group_size_y
      - .offset:         80
        .size:           2
        .value_kind:     hidden_group_size_z
      - .offset:         82
        .size:           2
        .value_kind:     hidden_remainder_x
      - .offset:         84
        .size:           2
        .value_kind:     hidden_remainder_y
      - .offset:         86
        .size:           2
        .value_kind:     hidden_remainder_z
      - .offset:         104
        .size:           8
        .value_kind:     hidden_global_offset_x
      - .offset:         112
        .size:           8
        .value_kind:     hidden_global_offset_y
      - .offset:         120
        .size:           8
        .value_kind:     hidden_global_offset_z
      - .offset:         128
        .size:           2
        .value_kind:     hidden_grid_dims
    .group_segment_fixed_size: 128
    .kernarg_segment_align: 8
    .kernarg_segment_size: 320
    .language:       OpenCL C
    .language_version:
      - 2
      - 0
    .max_flat_workgroup_size: 256
    .name:           _ZL23rocblas_gemvt_sn_reduceILi256ELi8EffKPfEviT2_lPT3_lilPT1_i
    .private_segment_fixed_size: 0
    .sgpr_count:     38
    .sgpr_spill_count: 0
    .symbol:         _ZL23rocblas_gemvt_sn_reduceILi256ELi8EffKPfEviT2_lPT3_lilPT1_i.kd
    .uniform_work_group_size: 1
    .uses_dynamic_stack: false
    .vgpr_count:     26
    .vgpr_spill_count: 0
    .wavefront_size: 32
  - .args:
      - .offset:         0
        .size:           4
        .value_kind:     by_value
      - .offset:         4
        .size:           4
        .value_kind:     by_value
      - .address_space:  global
        .offset:         8
        .size:           8
        .value_kind:     global_buffer
      - .offset:         16
        .size:           8
        .value_kind:     by_value
      - .address_space:  global
        .offset:         24
        .size:           8
        .value_kind:     global_buffer
      - .offset:         32
        .size:           8
        .value_kind:     by_value
      - .offset:         40
        .size:           4
        .value_kind:     by_value
      - .offset:         48
        .size:           8
        .value_kind:     by_value
      - .address_space:  global
        .offset:         56
        .size:           8
        .value_kind:     global_buffer
      - .offset:         64
        .size:           8
        .value_kind:     by_value
      - .offset:         72
        .size:           4
        .value_kind:     by_value
      - .offset:         80
        .size:           8
        .value_kind:     by_value
      - .address_space:  global
        .offset:         88
        .size:           8
        .value_kind:     global_buffer
      - .offset:         96
        .size:           8
        .value_kind:     by_value
      - .address_space:  global
        .offset:         104
        .size:           8
        .value_kind:     global_buffer
      - .offset:         112
        .size:           8
        .value_kind:     by_value
      - .offset:         120
        .size:           4
        .value_kind:     by_value
      - .offset:         128
        .size:           8
        .value_kind:     by_value
      - .offset:         136
        .size:           4
        .value_kind:     by_value
    .group_segment_fixed_size: 128
    .kernarg_segment_align: 8
    .kernarg_segment_size: 140
    .language:       OpenCL C
    .language_version:
      - 2
      - 0
    .max_flat_workgroup_size: 256
    .name:           _ZL32rocblas_gemvt_warp_reduce_kernelILb0ELi256EiPKDF16_PKfKPfEviiT3_lPKT2_lT1_lS9_lSA_lS6_lPT4_lSA_li
    .private_segment_fixed_size: 0
    .sgpr_count:     46
    .sgpr_spill_count: 0
    .symbol:         _ZL32rocblas_gemvt_warp_reduce_kernelILb0ELi256EiPKDF16_PKfKPfEviiT3_lPKT2_lT1_lS9_lSA_lS6_lPT4_lSA_li.kd
    .uniform_work_group_size: 1
    .uses_dynamic_stack: false
    .vgpr_count:     24
    .vgpr_spill_count: 0
    .wavefront_size: 32
  - .args:
      - .offset:         0
        .size:           4
        .value_kind:     by_value
      - .offset:         4
        .size:           4
        .value_kind:     by_value
      - .address_space:  global
        .offset:         8
        .size:           8
        .value_kind:     global_buffer
      - .offset:         16
        .size:           8
        .value_kind:     by_value
      - .address_space:  global
        .offset:         24
        .size:           8
        .value_kind:     global_buffer
      - .offset:         32
        .size:           8
        .value_kind:     by_value
      - .offset:         40
        .size:           8
        .value_kind:     by_value
      - .offset:         48
        .size:           8
        .value_kind:     by_value
      - .address_space:  global
        .offset:         56
        .size:           8
        .value_kind:     global_buffer
      - .offset:         64
        .size:           8
        .value_kind:     by_value
      - .offset:         72
        .size:           8
        .value_kind:     by_value
      - .offset:         80
        .size:           8
        .value_kind:     by_value
      - .address_space:  global
        .offset:         88
        .size:           8
        .value_kind:     global_buffer
      - .offset:         96
        .size:           8
        .value_kind:     by_value
      - .address_space:  global
        .offset:         104
        .size:           8
        .value_kind:     global_buffer
      - .offset:         112
        .size:           8
        .value_kind:     by_value
      - .offset:         120
        .size:           8
        .value_kind:     by_value
      - .offset:         128
        .size:           8
        .value_kind:     by_value
      - .offset:         136
        .size:           4
        .value_kind:     by_value
    .group_segment_fixed_size: 128
    .kernarg_segment_align: 8
    .kernarg_segment_size: 140
    .language:       OpenCL C
    .language_version:
      - 2
      - 0
    .max_flat_workgroup_size: 256
    .name:           _ZL32rocblas_gemvt_warp_reduce_kernelILb0ELi256ElPKDF16_PKfKPfEviiT3_lPKT2_lT1_lS9_lSA_lS6_lPT4_lSA_li
    .private_segment_fixed_size: 0
    .sgpr_count:     46
    .sgpr_spill_count: 0
    .symbol:         _ZL32rocblas_gemvt_warp_reduce_kernelILb0ELi256ElPKDF16_PKfKPfEviiT3_lPKT2_lT1_lS9_lSA_lS6_lPT4_lSA_li.kd
    .uniform_work_group_size: 1
    .uses_dynamic_stack: false
    .vgpr_count:     26
    .vgpr_spill_count: 0
    .wavefront_size: 32
  - .args:
      - .offset:         0
        .size:           4
        .value_kind:     by_value
      - .offset:         4
        .size:           4
        .value_kind:     by_value
      - .offset:         8
        .size:           4
        .value_kind:     by_value
      - .offset:         16
        .size:           8
        .value_kind:     by_value
      - .address_space:  global
        .offset:         24
        .size:           8
        .value_kind:     global_buffer
      - .offset:         32
        .size:           8
        .value_kind:     by_value
      - .offset:         40
        .size:           4
        .value_kind:     by_value
      - .offset:         48
        .size:           8
        .value_kind:     by_value
      - .address_space:  global
        .offset:         56
        .size:           8
        .value_kind:     global_buffer
      - .offset:         64
        .size:           8
        .value_kind:     by_value
      - .offset:         72
        .size:           4
        .value_kind:     by_value
      - .offset:         80
        .size:           8
        .value_kind:     by_value
      - .offset:         88
        .size:           4
        .value_kind:     by_value
      - .offset:         96
        .size:           8
        .value_kind:     by_value
      - .address_space:  global
        .offset:         104
        .size:           8
        .value_kind:     global_buffer
      - .offset:         112
        .size:           8
        .value_kind:     by_value
      - .offset:         120
        .size:           4
        .value_kind:     by_value
      - .offset:         128
        .size:           8
        .value_kind:     by_value
      - .offset:         136
        .size:           4
        .value_kind:     by_value
    .group_segment_fixed_size: 128
    .kernarg_segment_align: 8
    .kernarg_segment_size: 140
    .language:       OpenCL C
    .language_version:
      - 2
      - 0
    .max_flat_workgroup_size: 256
    .name:           _ZL32rocblas_gemvt_warp_reduce_kernelILb0ELi256EiPKDF16_fKPfEviiT3_lPKT2_lT1_lS7_lS8_lS4_lPT4_lS8_li
    .private_segment_fixed_size: 0
    .sgpr_count:     42
    .sgpr_spill_count: 0
    .symbol:         _ZL32rocblas_gemvt_warp_reduce_kernelILb0ELi256EiPKDF16_fKPfEviiT3_lPKT2_lT1_lS7_lS8_lS4_lPT4_lS8_li.kd
    .uniform_work_group_size: 1
    .uses_dynamic_stack: false
    .vgpr_count:     24
    .vgpr_spill_count: 0
    .wavefront_size: 32
  - .args:
      - .offset:         0
        .size:           4
        .value_kind:     by_value
      - .offset:         4
        .size:           4
        .value_kind:     by_value
      - .offset:         8
        .size:           4
        .value_kind:     by_value
      - .offset:         16
        .size:           8
        .value_kind:     by_value
      - .address_space:  global
        .offset:         24
        .size:           8
        .value_kind:     global_buffer
      - .offset:         32
        .size:           8
        .value_kind:     by_value
      - .offset:         40
        .size:           8
        .value_kind:     by_value
      - .offset:         48
        .size:           8
        .value_kind:     by_value
      - .address_space:  global
        .offset:         56
        .size:           8
        .value_kind:     global_buffer
      - .offset:         64
        .size:           8
        .value_kind:     by_value
      - .offset:         72
        .size:           8
        .value_kind:     by_value
      - .offset:         80
        .size:           8
        .value_kind:     by_value
      - .offset:         88
        .size:           4
        .value_kind:     by_value
      - .offset:         96
        .size:           8
        .value_kind:     by_value
      - .address_space:  global
        .offset:         104
        .size:           8
        .value_kind:     global_buffer
      - .offset:         112
        .size:           8
        .value_kind:     by_value
      - .offset:         120
        .size:           8
        .value_kind:     by_value
      - .offset:         128
        .size:           8
        .value_kind:     by_value
      - .offset:         136
        .size:           4
        .value_kind:     by_value
    .group_segment_fixed_size: 128
    .kernarg_segment_align: 8
    .kernarg_segment_size: 140
    .language:       OpenCL C
    .language_version:
      - 2
      - 0
    .max_flat_workgroup_size: 256
    .name:           _ZL32rocblas_gemvt_warp_reduce_kernelILb0ELi256ElPKDF16_fKPfEviiT3_lPKT2_lT1_lS7_lS8_lS4_lPT4_lS8_li
    .private_segment_fixed_size: 0
    .sgpr_count:     40
    .sgpr_spill_count: 0
    .symbol:         _ZL32rocblas_gemvt_warp_reduce_kernelILb0ELi256ElPKDF16_fKPfEviiT3_lPKT2_lT1_lS7_lS8_lS4_lPT4_lS8_li.kd
    .uniform_work_group_size: 1
    .uses_dynamic_stack: false
    .vgpr_count:     26
    .vgpr_spill_count: 0
    .wavefront_size: 32
  - .args:
      - .offset:         0
        .size:           4
        .value_kind:     by_value
      - .offset:         4
        .size:           4
        .value_kind:     by_value
      - .address_space:  global
        .offset:         8
        .size:           8
        .value_kind:     global_buffer
      - .offset:         16
        .size:           8
        .value_kind:     by_value
      - .address_space:  global
        .offset:         24
        .size:           8
        .value_kind:     global_buffer
      - .offset:         32
        .size:           8
        .value_kind:     by_value
      - .offset:         40
        .size:           4
        .value_kind:     by_value
      - .offset:         48
        .size:           8
        .value_kind:     by_value
      - .address_space:  global
        .offset:         56
        .size:           8
        .value_kind:     global_buffer
      - .offset:         64
        .size:           8
        .value_kind:     by_value
      - .offset:         72
        .size:           4
        .value_kind:     by_value
      - .offset:         80
        .size:           8
        .value_kind:     by_value
      - .address_space:  global
        .offset:         88
        .size:           8
        .value_kind:     global_buffer
      - .offset:         96
        .size:           8
        .value_kind:     by_value
      - .address_space:  global
        .offset:         104
        .size:           8
        .value_kind:     global_buffer
      - .offset:         112
        .size:           8
        .value_kind:     by_value
      - .offset:         120
        .size:           4
        .value_kind:     by_value
      - .offset:         128
        .size:           8
        .value_kind:     by_value
      - .offset:         136
        .size:           4
        .value_kind:     by_value
    .group_segment_fixed_size: 1024
    .kernarg_segment_align: 8
    .kernarg_segment_size: 140
    .language:       OpenCL C
    .language_version:
      - 2
      - 0
    .max_flat_workgroup_size: 256
    .name:           _ZL20rocblas_gemvt_kernelILb0ELi256EPKDF16_PKfKPfEviiT2_lPKT1_lilS9_lilS6_lPT3_lili
    .private_segment_fixed_size: 0
    .sgpr_count:     50
    .sgpr_spill_count: 0
    .symbol:         _ZL20rocblas_gemvt_kernelILb0ELi256EPKDF16_PKfKPfEviiT2_lPKT1_lilS9_lilS6_lPT3_lili.kd
    .uniform_work_group_size: 1
    .uses_dynamic_stack: false
    .vgpr_count:     21
    .vgpr_spill_count: 0
    .wavefront_size: 32
  - .args:
      - .offset:         0
        .size:           4
        .value_kind:     by_value
      - .offset:         4
        .size:           4
        .value_kind:     by_value
      - .offset:         8
        .size:           4
        .value_kind:     by_value
      - .offset:         16
        .size:           8
        .value_kind:     by_value
      - .address_space:  global
        .offset:         24
        .size:           8
        .value_kind:     global_buffer
      - .offset:         32
        .size:           8
        .value_kind:     by_value
      - .offset:         40
        .size:           4
        .value_kind:     by_value
      - .offset:         48
        .size:           8
        .value_kind:     by_value
      - .address_space:  global
        .offset:         56
        .size:           8
        .value_kind:     global_buffer
      - .offset:         64
        .size:           8
        .value_kind:     by_value
      - .offset:         72
        .size:           4
        .value_kind:     by_value
      - .offset:         80
        .size:           8
        .value_kind:     by_value
      - .offset:         88
        .size:           4
        .value_kind:     by_value
      - .offset:         96
        .size:           8
        .value_kind:     by_value
      - .address_space:  global
        .offset:         104
        .size:           8
        .value_kind:     global_buffer
      - .offset:         112
        .size:           8
        .value_kind:     by_value
      - .offset:         120
        .size:           4
        .value_kind:     by_value
      - .offset:         128
        .size:           8
        .value_kind:     by_value
      - .offset:         136
        .size:           4
        .value_kind:     by_value
    .group_segment_fixed_size: 1024
    .kernarg_segment_align: 8
    .kernarg_segment_size: 140
    .language:       OpenCL C
    .language_version:
      - 2
      - 0
    .max_flat_workgroup_size: 256
    .name:           _ZL20rocblas_gemvt_kernelILb0ELi256EPKDF16_fKPfEviiT2_lPKT1_lilS7_lilS4_lPT3_lili
    .private_segment_fixed_size: 0
    .sgpr_count:     44
    .sgpr_spill_count: 0
    .symbol:         _ZL20rocblas_gemvt_kernelILb0ELi256EPKDF16_fKPfEviiT2_lPKT1_lilS7_lilS4_lPT3_lili.kd
    .uniform_work_group_size: 1
    .uses_dynamic_stack: false
    .vgpr_count:     21
    .vgpr_spill_count: 0
    .wavefront_size: 32
  - .args:
      - .offset:         0
        .size:           4
        .value_kind:     by_value
      - .offset:         4
        .size:           4
        .value_kind:     by_value
      - .address_space:  global
        .offset:         8
        .size:           8
        .value_kind:     global_buffer
      - .offset:         16
        .size:           8
        .value_kind:     by_value
      - .address_space:  global
        .offset:         24
        .size:           8
        .value_kind:     global_buffer
      - .offset:         32
        .size:           8
        .value_kind:     by_value
      - .offset:         40
        .size:           4
        .value_kind:     by_value
      - .offset:         48
        .size:           8
        .value_kind:     by_value
      - .address_space:  global
        .offset:         56
        .size:           8
        .value_kind:     global_buffer
      - .offset:         64
        .size:           8
        .value_kind:     by_value
      - .offset:         72
        .size:           4
        .value_kind:     by_value
      - .offset:         80
        .size:           8
        .value_kind:     by_value
      - .address_space:  global
        .offset:         88
        .size:           8
        .value_kind:     global_buffer
      - .offset:         96
        .size:           8
        .value_kind:     by_value
      - .address_space:  global
        .offset:         104
        .size:           8
        .value_kind:     global_buffer
      - .offset:         112
        .size:           8
        .value_kind:     by_value
      - .offset:         120
        .size:           4
        .value_kind:     by_value
      - .offset:         128
        .size:           8
        .value_kind:     by_value
      - .offset:         136
        .size:           4
        .value_kind:     by_value
    .group_segment_fixed_size: 128
    .kernarg_segment_align: 8
    .kernarg_segment_size: 140
    .language:       OpenCL C
    .language_version:
      - 2
      - 0
    .max_flat_workgroup_size: 1024
    .name:           _ZL32rocblas_gemvt_warp_reduce_kernelILb0ELi1024EiPKDF16_PKfKPfEviiT3_lPKT2_lT1_lS9_lSA_lS6_lPT4_lSA_li
    .private_segment_fixed_size: 0
    .sgpr_count:     44
    .sgpr_spill_count: 0
    .symbol:         _ZL32rocblas_gemvt_warp_reduce_kernelILb0ELi1024EiPKDF16_PKfKPfEviiT3_lPKT2_lT1_lS9_lSA_lS6_lPT4_lSA_li.kd
    .uniform_work_group_size: 1
    .uses_dynamic_stack: false
    .vgpr_count:     24
    .vgpr_spill_count: 0
    .wavefront_size: 32
  - .args:
      - .offset:         0
        .size:           4
        .value_kind:     by_value
      - .offset:         4
        .size:           4
        .value_kind:     by_value
      - .address_space:  global
        .offset:         8
        .size:           8
        .value_kind:     global_buffer
      - .offset:         16
        .size:           8
        .value_kind:     by_value
      - .address_space:  global
        .offset:         24
        .size:           8
        .value_kind:     global_buffer
      - .offset:         32
        .size:           8
        .value_kind:     by_value
      - .offset:         40
        .size:           8
        .value_kind:     by_value
      - .offset:         48
        .size:           8
        .value_kind:     by_value
      - .address_space:  global
        .offset:         56
        .size:           8
        .value_kind:     global_buffer
      - .offset:         64
        .size:           8
        .value_kind:     by_value
      - .offset:         72
        .size:           8
        .value_kind:     by_value
      - .offset:         80
        .size:           8
        .value_kind:     by_value
      - .address_space:  global
        .offset:         88
        .size:           8
        .value_kind:     global_buffer
      - .offset:         96
        .size:           8
        .value_kind:     by_value
      - .address_space:  global
        .offset:         104
        .size:           8
        .value_kind:     global_buffer
      - .offset:         112
        .size:           8
        .value_kind:     by_value
      - .offset:         120
        .size:           8
        .value_kind:     by_value
      - .offset:         128
        .size:           8
        .value_kind:     by_value
      - .offset:         136
        .size:           4
        .value_kind:     by_value
    .group_segment_fixed_size: 128
    .kernarg_segment_align: 8
    .kernarg_segment_size: 140
    .language:       OpenCL C
    .language_version:
      - 2
      - 0
    .max_flat_workgroup_size: 1024
    .name:           _ZL32rocblas_gemvt_warp_reduce_kernelILb0ELi1024ElPKDF16_PKfKPfEviiT3_lPKT2_lT1_lS9_lSA_lS6_lPT4_lSA_li
    .private_segment_fixed_size: 0
    .sgpr_count:     46
    .sgpr_spill_count: 0
    .symbol:         _ZL32rocblas_gemvt_warp_reduce_kernelILb0ELi1024ElPKDF16_PKfKPfEviiT3_lPKT2_lT1_lS9_lSA_lS6_lPT4_lSA_li.kd
    .uniform_work_group_size: 1
    .uses_dynamic_stack: false
    .vgpr_count:     26
    .vgpr_spill_count: 0
    .wavefront_size: 32
  - .args:
      - .offset:         0
        .size:           4
        .value_kind:     by_value
      - .offset:         4
        .size:           4
        .value_kind:     by_value
      - .offset:         8
        .size:           4
        .value_kind:     by_value
      - .offset:         16
        .size:           8
        .value_kind:     by_value
      - .address_space:  global
        .offset:         24
        .size:           8
        .value_kind:     global_buffer
      - .offset:         32
        .size:           8
        .value_kind:     by_value
      - .offset:         40
        .size:           4
        .value_kind:     by_value
      - .offset:         48
        .size:           8
        .value_kind:     by_value
      - .address_space:  global
        .offset:         56
        .size:           8
        .value_kind:     global_buffer
      - .offset:         64
        .size:           8
        .value_kind:     by_value
      - .offset:         72
        .size:           4
        .value_kind:     by_value
      - .offset:         80
        .size:           8
        .value_kind:     by_value
      - .offset:         88
        .size:           4
        .value_kind:     by_value
      - .offset:         96
        .size:           8
        .value_kind:     by_value
      - .address_space:  global
        .offset:         104
        .size:           8
        .value_kind:     global_buffer
      - .offset:         112
        .size:           8
        .value_kind:     by_value
      - .offset:         120
        .size:           4
        .value_kind:     by_value
      - .offset:         128
        .size:           8
        .value_kind:     by_value
      - .offset:         136
        .size:           4
        .value_kind:     by_value
    .group_segment_fixed_size: 128
    .kernarg_segment_align: 8
    .kernarg_segment_size: 140
    .language:       OpenCL C
    .language_version:
      - 2
      - 0
    .max_flat_workgroup_size: 1024
    .name:           _ZL32rocblas_gemvt_warp_reduce_kernelILb0ELi1024EiPKDF16_fKPfEviiT3_lPKT2_lT1_lS7_lS8_lS4_lPT4_lS8_li
    .private_segment_fixed_size: 0
    .sgpr_count:     40
    .sgpr_spill_count: 0
    .symbol:         _ZL32rocblas_gemvt_warp_reduce_kernelILb0ELi1024EiPKDF16_fKPfEviiT3_lPKT2_lT1_lS7_lS8_lS4_lPT4_lS8_li.kd
    .uniform_work_group_size: 1
    .uses_dynamic_stack: false
    .vgpr_count:     24
    .vgpr_spill_count: 0
    .wavefront_size: 32
  - .args:
      - .offset:         0
        .size:           4
        .value_kind:     by_value
      - .offset:         4
        .size:           4
        .value_kind:     by_value
      - .offset:         8
        .size:           4
        .value_kind:     by_value
      - .offset:         16
        .size:           8
        .value_kind:     by_value
      - .address_space:  global
        .offset:         24
        .size:           8
        .value_kind:     global_buffer
      - .offset:         32
        .size:           8
        .value_kind:     by_value
      - .offset:         40
        .size:           8
        .value_kind:     by_value
      - .offset:         48
        .size:           8
        .value_kind:     by_value
      - .address_space:  global
        .offset:         56
        .size:           8
        .value_kind:     global_buffer
      - .offset:         64
        .size:           8
        .value_kind:     by_value
      - .offset:         72
        .size:           8
        .value_kind:     by_value
      - .offset:         80
        .size:           8
        .value_kind:     by_value
      - .offset:         88
        .size:           4
        .value_kind:     by_value
      - .offset:         96
        .size:           8
        .value_kind:     by_value
      - .address_space:  global
        .offset:         104
        .size:           8
        .value_kind:     global_buffer
      - .offset:         112
        .size:           8
        .value_kind:     by_value
      - .offset:         120
        .size:           8
        .value_kind:     by_value
      - .offset:         128
        .size:           8
        .value_kind:     by_value
      - .offset:         136
        .size:           4
        .value_kind:     by_value
    .group_segment_fixed_size: 128
    .kernarg_segment_align: 8
    .kernarg_segment_size: 140
    .language:       OpenCL C
    .language_version:
      - 2
      - 0
    .max_flat_workgroup_size: 1024
    .name:           _ZL32rocblas_gemvt_warp_reduce_kernelILb0ELi1024ElPKDF16_fKPfEviiT3_lPKT2_lT1_lS7_lS8_lS4_lPT4_lS8_li
    .private_segment_fixed_size: 0
    .sgpr_count:     39
    .sgpr_spill_count: 0
    .symbol:         _ZL32rocblas_gemvt_warp_reduce_kernelILb0ELi1024ElPKDF16_fKPfEviiT3_lPKT2_lT1_lS7_lS8_lS4_lPT4_lS8_li.kd
    .uniform_work_group_size: 1
    .uses_dynamic_stack: false
    .vgpr_count:     26
    .vgpr_spill_count: 0
    .wavefront_size: 32
  - .args:
      - .offset:         0
        .size:           4
        .value_kind:     by_value
      - .offset:         4
        .size:           4
        .value_kind:     by_value
      - .address_space:  global
        .offset:         8
        .size:           8
        .value_kind:     global_buffer
      - .offset:         16
        .size:           8
        .value_kind:     by_value
      - .address_space:  global
        .offset:         24
        .size:           8
        .value_kind:     global_buffer
      - .offset:         32
        .size:           8
        .value_kind:     by_value
      - .offset:         40
        .size:           4
        .value_kind:     by_value
      - .offset:         48
        .size:           8
        .value_kind:     by_value
      - .address_space:  global
        .offset:         56
        .size:           8
        .value_kind:     global_buffer
      - .offset:         64
        .size:           8
        .value_kind:     by_value
      - .offset:         72
        .size:           4
        .value_kind:     by_value
      - .offset:         80
        .size:           8
        .value_kind:     by_value
      - .address_space:  global
        .offset:         88
        .size:           8
        .value_kind:     global_buffer
      - .offset:         96
        .size:           8
        .value_kind:     by_value
      - .address_space:  global
        .offset:         104
        .size:           8
        .value_kind:     global_buffer
      - .offset:         112
        .size:           8
        .value_kind:     by_value
      - .offset:         120
        .size:           4
        .value_kind:     by_value
      - .offset:         128
        .size:           8
        .value_kind:     by_value
    .group_segment_fixed_size: 256
    .kernarg_segment_align: 8
    .kernarg_segment_size: 136
    .language:       OpenCL C
    .language_version:
      - 2
      - 0
    .max_flat_workgroup_size: 256
    .name:           _ZL22rocblas_gemvtsm_kernelILb1ELi256EPKDF16_PKfKPfEviiT2_lPKT1_lilS9_lilS6_lPT3_lil
    .private_segment_fixed_size: 0
    .sgpr_count:     24
    .sgpr_spill_count: 0
    .symbol:         _ZL22rocblas_gemvtsm_kernelILb1ELi256EPKDF16_PKfKPfEviiT2_lPKT1_lilS9_lilS6_lPT3_lil.kd
    .uniform_work_group_size: 1
    .uses_dynamic_stack: false
    .vgpr_count:     24
    .vgpr_spill_count: 0
    .wavefront_size: 32
  - .args:
      - .offset:         0
        .size:           4
        .value_kind:     by_value
      - .offset:         4
        .size:           4
        .value_kind:     by_value
      - .offset:         8
        .size:           4
        .value_kind:     by_value
      - .offset:         16
        .size:           8
        .value_kind:     by_value
      - .address_space:  global
        .offset:         24
        .size:           8
        .value_kind:     global_buffer
      - .offset:         32
        .size:           8
        .value_kind:     by_value
      - .offset:         40
        .size:           4
        .value_kind:     by_value
      - .offset:         48
        .size:           8
        .value_kind:     by_value
      - .address_space:  global
        .offset:         56
        .size:           8
        .value_kind:     global_buffer
      - .offset:         64
        .size:           8
        .value_kind:     by_value
      - .offset:         72
        .size:           4
        .value_kind:     by_value
      - .offset:         80
        .size:           8
        .value_kind:     by_value
      - .offset:         88
        .size:           4
        .value_kind:     by_value
      - .offset:         96
        .size:           8
        .value_kind:     by_value
      - .address_space:  global
        .offset:         104
        .size:           8
        .value_kind:     global_buffer
      - .offset:         112
        .size:           8
        .value_kind:     by_value
      - .offset:         120
        .size:           4
        .value_kind:     by_value
      - .offset:         128
        .size:           8
        .value_kind:     by_value
    .group_segment_fixed_size: 256
    .kernarg_segment_align: 8
    .kernarg_segment_size: 136
    .language:       OpenCL C
    .language_version:
      - 2
      - 0
    .max_flat_workgroup_size: 256
    .name:           _ZL22rocblas_gemvtsm_kernelILb1ELi256EPKDF16_fKPfEviiT2_lPKT1_lilS7_lilS4_lPT3_lil
    .private_segment_fixed_size: 0
    .sgpr_count:     26
    .sgpr_spill_count: 0
    .symbol:         _ZL22rocblas_gemvtsm_kernelILb1ELi256EPKDF16_fKPfEviiT2_lPKT1_lilS7_lilS4_lPT3_lil.kd
    .uniform_work_group_size: 1
    .uses_dynamic_stack: false
    .vgpr_count:     24
    .vgpr_spill_count: 0
    .wavefront_size: 32
  - .args:
      - .offset:         0
        .size:           4
        .value_kind:     by_value
      - .offset:         4
        .size:           4
        .value_kind:     by_value
      - .address_space:  global
        .offset:         8
        .size:           8
        .value_kind:     global_buffer
      - .offset:         16
        .size:           8
        .value_kind:     by_value
      - .address_space:  global
        .offset:         24
        .size:           8
        .value_kind:     global_buffer
      - .offset:         32
        .size:           8
        .value_kind:     by_value
      - .offset:         40
        .size:           4
        .value_kind:     by_value
      - .offset:         48
        .size:           8
        .value_kind:     by_value
      - .address_space:  global
        .offset:         56
        .size:           8
        .value_kind:     global_buffer
      - .offset:         64
        .size:           8
        .value_kind:     by_value
      - .offset:         72
        .size:           4
        .value_kind:     by_value
      - .offset:         80
        .size:           8
        .value_kind:     by_value
      - .address_space:  global
        .offset:         88
        .size:           8
        .value_kind:     global_buffer
      - .offset:         96
        .size:           8
        .value_kind:     by_value
      - .address_space:  global
        .offset:         104
        .size:           8
        .value_kind:     global_buffer
      - .offset:         112
        .size:           8
        .value_kind:     by_value
      - .offset:         120
        .size:           4
        .value_kind:     by_value
      - .offset:         128
        .size:           8
        .value_kind:     by_value
      - .offset:         136
        .size:           4
        .value_kind:     by_value
    .group_segment_fixed_size: 1024
    .kernarg_segment_align: 8
    .kernarg_segment_size: 140
    .language:       OpenCL C
    .language_version:
      - 2
      - 0
    .max_flat_workgroup_size: 256
    .name:           _ZL20rocblas_gemvt_kernelILb1ELi256EPKDF16_PKfKPfEviiT2_lPKT1_lilS9_lilS6_lPT3_lili
    .private_segment_fixed_size: 0
    .sgpr_count:     50
    .sgpr_spill_count: 0
    .symbol:         _ZL20rocblas_gemvt_kernelILb1ELi256EPKDF16_PKfKPfEviiT2_lPKT1_lilS9_lilS6_lPT3_lili.kd
    .uniform_work_group_size: 1
    .uses_dynamic_stack: false
    .vgpr_count:     21
    .vgpr_spill_count: 0
    .wavefront_size: 32
  - .args:
      - .offset:         0
        .size:           4
        .value_kind:     by_value
      - .offset:         4
        .size:           4
        .value_kind:     by_value
      - .offset:         8
        .size:           4
        .value_kind:     by_value
      - .offset:         16
        .size:           8
        .value_kind:     by_value
      - .address_space:  global
        .offset:         24
        .size:           8
        .value_kind:     global_buffer
      - .offset:         32
        .size:           8
        .value_kind:     by_value
      - .offset:         40
        .size:           4
        .value_kind:     by_value
      - .offset:         48
        .size:           8
        .value_kind:     by_value
      - .address_space:  global
        .offset:         56
        .size:           8
        .value_kind:     global_buffer
      - .offset:         64
        .size:           8
        .value_kind:     by_value
      - .offset:         72
        .size:           4
        .value_kind:     by_value
      - .offset:         80
        .size:           8
        .value_kind:     by_value
      - .offset:         88
        .size:           4
        .value_kind:     by_value
      - .offset:         96
        .size:           8
        .value_kind:     by_value
      - .address_space:  global
        .offset:         104
        .size:           8
        .value_kind:     global_buffer
      - .offset:         112
        .size:           8
        .value_kind:     by_value
      - .offset:         120
        .size:           4
        .value_kind:     by_value
      - .offset:         128
        .size:           8
        .value_kind:     by_value
      - .offset:         136
        .size:           4
        .value_kind:     by_value
    .group_segment_fixed_size: 1024
    .kernarg_segment_align: 8
    .kernarg_segment_size: 140
    .language:       OpenCL C
    .language_version:
      - 2
      - 0
    .max_flat_workgroup_size: 256
    .name:           _ZL20rocblas_gemvt_kernelILb1ELi256EPKDF16_fKPfEviiT2_lPKT1_lilS7_lilS4_lPT3_lili
    .private_segment_fixed_size: 0
    .sgpr_count:     44
    .sgpr_spill_count: 0
    .symbol:         _ZL20rocblas_gemvt_kernelILb1ELi256EPKDF16_fKPfEviiT2_lPKT1_lilS7_lilS4_lPT3_lili.kd
    .uniform_work_group_size: 1
    .uses_dynamic_stack: false
    .vgpr_count:     21
    .vgpr_spill_count: 0
    .wavefront_size: 32
  - .args:
      - .offset:         0
        .size:           4
        .value_kind:     by_value
      - .offset:         4
        .size:           4
        .value_kind:     by_value
      - .address_space:  global
        .offset:         8
        .size:           8
        .value_kind:     global_buffer
      - .offset:         16
        .size:           8
        .value_kind:     by_value
      - .address_space:  global
        .offset:         24
        .size:           8
        .value_kind:     global_buffer
      - .offset:         32
        .size:           8
        .value_kind:     by_value
      - .offset:         40
        .size:           4
        .value_kind:     by_value
      - .offset:         48
        .size:           8
        .value_kind:     by_value
      - .address_space:  global
        .offset:         56
        .size:           8
        .value_kind:     global_buffer
      - .offset:         64
        .size:           8
        .value_kind:     by_value
      - .offset:         72
        .size:           4
        .value_kind:     by_value
      - .offset:         80
        .size:           8
        .value_kind:     by_value
      - .address_space:  global
        .offset:         88
        .size:           8
        .value_kind:     global_buffer
      - .offset:         96
        .size:           8
        .value_kind:     by_value
      - .address_space:  global
        .offset:         104
        .size:           8
        .value_kind:     global_buffer
      - .offset:         112
        .size:           8
        .value_kind:     by_value
      - .offset:         120
        .size:           4
        .value_kind:     by_value
      - .offset:         128
        .size:           8
        .value_kind:     by_value
      - .offset:         136
        .size:           4
        .value_kind:     by_value
    .group_segment_fixed_size: 128
    .kernarg_segment_align: 8
    .kernarg_segment_size: 140
    .language:       OpenCL C
    .language_version:
      - 2
      - 0
    .max_flat_workgroup_size: 1024
    .name:           _ZL32rocblas_gemvt_warp_reduce_kernelILb1ELi1024EiPKDF16_PKfKPfEviiT3_lPKT2_lT1_lS9_lSA_lS6_lPT4_lSA_li
    .private_segment_fixed_size: 0
    .sgpr_count:     44
    .sgpr_spill_count: 0
    .symbol:         _ZL32rocblas_gemvt_warp_reduce_kernelILb1ELi1024EiPKDF16_PKfKPfEviiT3_lPKT2_lT1_lS9_lSA_lS6_lPT4_lSA_li.kd
    .uniform_work_group_size: 1
    .uses_dynamic_stack: false
    .vgpr_count:     24
    .vgpr_spill_count: 0
    .wavefront_size: 32
  - .args:
      - .offset:         0
        .size:           4
        .value_kind:     by_value
      - .offset:         4
        .size:           4
        .value_kind:     by_value
      - .address_space:  global
        .offset:         8
        .size:           8
        .value_kind:     global_buffer
      - .offset:         16
        .size:           8
        .value_kind:     by_value
      - .address_space:  global
        .offset:         24
        .size:           8
        .value_kind:     global_buffer
      - .offset:         32
        .size:           8
        .value_kind:     by_value
      - .offset:         40
        .size:           8
        .value_kind:     by_value
      - .offset:         48
        .size:           8
        .value_kind:     by_value
      - .address_space:  global
        .offset:         56
        .size:           8
        .value_kind:     global_buffer
      - .offset:         64
        .size:           8
        .value_kind:     by_value
      - .offset:         72
        .size:           8
        .value_kind:     by_value
      - .offset:         80
        .size:           8
        .value_kind:     by_value
      - .address_space:  global
        .offset:         88
        .size:           8
        .value_kind:     global_buffer
      - .offset:         96
        .size:           8
        .value_kind:     by_value
      - .address_space:  global
        .offset:         104
        .size:           8
        .value_kind:     global_buffer
      - .offset:         112
        .size:           8
        .value_kind:     by_value
      - .offset:         120
        .size:           8
        .value_kind:     by_value
      - .offset:         128
        .size:           8
        .value_kind:     by_value
      - .offset:         136
        .size:           4
        .value_kind:     by_value
    .group_segment_fixed_size: 128
    .kernarg_segment_align: 8
    .kernarg_segment_size: 140
    .language:       OpenCL C
    .language_version:
      - 2
      - 0
    .max_flat_workgroup_size: 1024
    .name:           _ZL32rocblas_gemvt_warp_reduce_kernelILb1ELi1024ElPKDF16_PKfKPfEviiT3_lPKT2_lT1_lS9_lSA_lS6_lPT4_lSA_li
    .private_segment_fixed_size: 0
    .sgpr_count:     46
    .sgpr_spill_count: 0
    .symbol:         _ZL32rocblas_gemvt_warp_reduce_kernelILb1ELi1024ElPKDF16_PKfKPfEviiT3_lPKT2_lT1_lS9_lSA_lS6_lPT4_lSA_li.kd
    .uniform_work_group_size: 1
    .uses_dynamic_stack: false
    .vgpr_count:     26
    .vgpr_spill_count: 0
    .wavefront_size: 32
  - .args:
      - .offset:         0
        .size:           4
        .value_kind:     by_value
      - .offset:         4
        .size:           4
        .value_kind:     by_value
      - .offset:         8
        .size:           4
        .value_kind:     by_value
      - .offset:         16
        .size:           8
        .value_kind:     by_value
      - .address_space:  global
        .offset:         24
        .size:           8
        .value_kind:     global_buffer
      - .offset:         32
        .size:           8
        .value_kind:     by_value
      - .offset:         40
        .size:           4
        .value_kind:     by_value
      - .offset:         48
        .size:           8
        .value_kind:     by_value
      - .address_space:  global
        .offset:         56
        .size:           8
        .value_kind:     global_buffer
      - .offset:         64
        .size:           8
        .value_kind:     by_value
      - .offset:         72
        .size:           4
        .value_kind:     by_value
      - .offset:         80
        .size:           8
        .value_kind:     by_value
      - .offset:         88
        .size:           4
        .value_kind:     by_value
      - .offset:         96
        .size:           8
        .value_kind:     by_value
      - .address_space:  global
        .offset:         104
        .size:           8
        .value_kind:     global_buffer
      - .offset:         112
        .size:           8
        .value_kind:     by_value
      - .offset:         120
        .size:           4
        .value_kind:     by_value
      - .offset:         128
        .size:           8
        .value_kind:     by_value
      - .offset:         136
        .size:           4
        .value_kind:     by_value
    .group_segment_fixed_size: 128
    .kernarg_segment_align: 8
    .kernarg_segment_size: 140
    .language:       OpenCL C
    .language_version:
      - 2
      - 0
    .max_flat_workgroup_size: 1024
    .name:           _ZL32rocblas_gemvt_warp_reduce_kernelILb1ELi1024EiPKDF16_fKPfEviiT3_lPKT2_lT1_lS7_lS8_lS4_lPT4_lS8_li
    .private_segment_fixed_size: 0
    .sgpr_count:     40
    .sgpr_spill_count: 0
    .symbol:         _ZL32rocblas_gemvt_warp_reduce_kernelILb1ELi1024EiPKDF16_fKPfEviiT3_lPKT2_lT1_lS7_lS8_lS4_lPT4_lS8_li.kd
    .uniform_work_group_size: 1
    .uses_dynamic_stack: false
    .vgpr_count:     24
    .vgpr_spill_count: 0
    .wavefront_size: 32
  - .args:
      - .offset:         0
        .size:           4
        .value_kind:     by_value
      - .offset:         4
        .size:           4
        .value_kind:     by_value
      - .offset:         8
        .size:           4
        .value_kind:     by_value
      - .offset:         16
        .size:           8
        .value_kind:     by_value
      - .address_space:  global
        .offset:         24
        .size:           8
        .value_kind:     global_buffer
      - .offset:         32
        .size:           8
        .value_kind:     by_value
      - .offset:         40
        .size:           8
        .value_kind:     by_value
      - .offset:         48
        .size:           8
        .value_kind:     by_value
      - .address_space:  global
        .offset:         56
        .size:           8
        .value_kind:     global_buffer
      - .offset:         64
        .size:           8
        .value_kind:     by_value
      - .offset:         72
        .size:           8
        .value_kind:     by_value
      - .offset:         80
        .size:           8
        .value_kind:     by_value
      - .offset:         88
        .size:           4
        .value_kind:     by_value
      - .offset:         96
        .size:           8
        .value_kind:     by_value
      - .address_space:  global
        .offset:         104
        .size:           8
        .value_kind:     global_buffer
      - .offset:         112
        .size:           8
        .value_kind:     by_value
      - .offset:         120
        .size:           8
        .value_kind:     by_value
      - .offset:         128
        .size:           8
        .value_kind:     by_value
      - .offset:         136
        .size:           4
        .value_kind:     by_value
    .group_segment_fixed_size: 128
    .kernarg_segment_align: 8
    .kernarg_segment_size: 140
    .language:       OpenCL C
    .language_version:
      - 2
      - 0
    .max_flat_workgroup_size: 1024
    .name:           _ZL32rocblas_gemvt_warp_reduce_kernelILb1ELi1024ElPKDF16_fKPfEviiT3_lPKT2_lT1_lS7_lS8_lS4_lPT4_lS8_li
    .private_segment_fixed_size: 0
    .sgpr_count:     39
    .sgpr_spill_count: 0
    .symbol:         _ZL32rocblas_gemvt_warp_reduce_kernelILb1ELi1024ElPKDF16_fKPfEviiT3_lPKT2_lT1_lS7_lS8_lS4_lPT4_lS8_li.kd
    .uniform_work_group_size: 1
    .uses_dynamic_stack: false
    .vgpr_count:     26
    .vgpr_spill_count: 0
    .wavefront_size: 32
  - .args:
      - .offset:         0
        .size:           4
        .value_kind:     by_value
      - .offset:         4
        .size:           4
        .value_kind:     by_value
      - .address_space:  global
        .offset:         8
        .size:           8
        .value_kind:     global_buffer
      - .offset:         16
        .size:           8
        .value_kind:     by_value
      - .address_space:  global
        .offset:         24
        .size:           8
        .value_kind:     global_buffer
      - .offset:         32
        .size:           8
        .value_kind:     by_value
      - .offset:         40
        .size:           4
        .value_kind:     by_value
      - .offset:         48
        .size:           8
        .value_kind:     by_value
      - .address_space:  global
        .offset:         56
        .size:           8
        .value_kind:     global_buffer
      - .offset:         64
        .size:           8
        .value_kind:     by_value
      - .offset:         72
        .size:           4
        .value_kind:     by_value
      - .offset:         80
        .size:           8
        .value_kind:     by_value
      - .address_space:  global
        .offset:         88
        .size:           8
        .value_kind:     global_buffer
      - .offset:         96
        .size:           8
        .value_kind:     by_value
      - .address_space:  global
        .offset:         104
        .size:           8
        .value_kind:     global_buffer
      - .offset:         112
        .size:           8
        .value_kind:     by_value
      - .offset:         120
        .size:           4
        .value_kind:     by_value
      - .offset:         128
        .size:           8
        .value_kind:     by_value
      - .offset:         136
        .size:           4
        .value_kind:     by_value
    .group_segment_fixed_size: 0
    .kernarg_segment_align: 8
    .kernarg_segment_size: 140
    .language:       OpenCL C
    .language_version:
      - 2
      - 0
    .max_flat_workgroup_size: 768
    .name:           _ZL34rocblas_gemvn_sm_mn_batched_kernelILi32ELi24E16rocblas_bfloat16PKfS0_EviiT2_lPKT1_lilS6_lilS3_lPT3_lili
    .private_segment_fixed_size: 0
    .sgpr_count:     0
    .sgpr_spill_count: 0
    .symbol:         _ZL34rocblas_gemvn_sm_mn_batched_kernelILi32ELi24E16rocblas_bfloat16PKfS0_EviiT2_lPKT1_lilS6_lilS3_lPT3_lili.kd
    .uniform_work_group_size: 1
    .uses_dynamic_stack: false
    .vgpr_count:     0
    .vgpr_spill_count: 0
    .wavefront_size: 32
  - .args:
      - .offset:         0
        .size:           4
        .value_kind:     by_value
      - .offset:         4
        .size:           4
        .value_kind:     by_value
      - .offset:         8
        .size:           4
        .value_kind:     by_value
      - .offset:         16
        .size:           8
        .value_kind:     by_value
      - .address_space:  global
        .offset:         24
        .size:           8
        .value_kind:     global_buffer
      - .offset:         32
        .size:           8
        .value_kind:     by_value
      - .offset:         40
        .size:           4
        .value_kind:     by_value
      - .offset:         48
        .size:           8
        .value_kind:     by_value
      - .address_space:  global
        .offset:         56
        .size:           8
        .value_kind:     global_buffer
      - .offset:         64
        .size:           8
        .value_kind:     by_value
      - .offset:         72
        .size:           4
        .value_kind:     by_value
      - .offset:         80
        .size:           8
        .value_kind:     by_value
      - .offset:         88
        .size:           4
        .value_kind:     by_value
      - .offset:         96
        .size:           8
        .value_kind:     by_value
      - .address_space:  global
        .offset:         104
        .size:           8
        .value_kind:     global_buffer
      - .offset:         112
        .size:           8
        .value_kind:     by_value
      - .offset:         120
        .size:           4
        .value_kind:     by_value
      - .offset:         128
        .size:           8
        .value_kind:     by_value
      - .offset:         136
        .size:           4
        .value_kind:     by_value
    .group_segment_fixed_size: 0
    .kernarg_segment_align: 8
    .kernarg_segment_size: 140
    .language:       OpenCL C
    .language_version:
      - 2
      - 0
    .max_flat_workgroup_size: 768
    .name:           _ZL34rocblas_gemvn_sm_mn_batched_kernelILi32ELi24E16rocblas_bfloat16fS0_EviiT2_lPKT1_lilS4_lilS1_lPT3_lili
    .private_segment_fixed_size: 0
    .sgpr_count:     0
    .sgpr_spill_count: 0
    .symbol:         _ZL34rocblas_gemvn_sm_mn_batched_kernelILi32ELi24E16rocblas_bfloat16fS0_EviiT2_lPKT1_lilS4_lilS1_lPT3_lili.kd
    .uniform_work_group_size: 1
    .uses_dynamic_stack: false
    .vgpr_count:     0
    .vgpr_spill_count: 0
    .wavefront_size: 32
  - .args:
      - .offset:         0
        .size:           4
        .value_kind:     by_value
      - .offset:         4
        .size:           4
        .value_kind:     by_value
      - .address_space:  global
        .offset:         8
        .size:           8
        .value_kind:     global_buffer
      - .offset:         16
        .size:           8
        .value_kind:     by_value
      - .address_space:  global
        .offset:         24
        .size:           8
        .value_kind:     global_buffer
      - .offset:         32
        .size:           8
        .value_kind:     by_value
      - .offset:         40
        .size:           4
        .value_kind:     by_value
      - .offset:         48
        .size:           8
        .value_kind:     by_value
      - .address_space:  global
        .offset:         56
        .size:           8
        .value_kind:     global_buffer
      - .offset:         64
        .size:           8
        .value_kind:     by_value
      - .offset:         72
        .size:           4
        .value_kind:     by_value
      - .offset:         80
        .size:           8
        .value_kind:     by_value
      - .address_space:  global
        .offset:         88
        .size:           8
        .value_kind:     global_buffer
      - .offset:         96
        .size:           8
        .value_kind:     by_value
      - .address_space:  global
        .offset:         104
        .size:           8
        .value_kind:     global_buffer
      - .offset:         112
        .size:           8
        .value_kind:     by_value
      - .offset:         120
        .size:           4
        .value_kind:     by_value
      - .offset:         128
        .size:           8
        .value_kind:     by_value
      - .offset:         136
        .size:           4
        .value_kind:     by_value
      - .offset:         144
        .size:           4
        .value_kind:     hidden_block_count_x
      - .offset:         148
        .size:           4
        .value_kind:     hidden_block_count_y
      - .offset:         152
        .size:           4
        .value_kind:     hidden_block_count_z
      - .offset:         156
        .size:           2
        .value_kind:     hidden_group_size_x
      - .offset:         158
        .size:           2
        .value_kind:     hidden_group_size_y
      - .offset:         160
        .size:           2
        .value_kind:     hidden_group_size_z
      - .offset:         162
        .size:           2
        .value_kind:     hidden_remainder_x
      - .offset:         164
        .size:           2
        .value_kind:     hidden_remainder_y
      - .offset:         166
        .size:           2
        .value_kind:     hidden_remainder_z
      - .offset:         184
        .size:           8
        .value_kind:     hidden_global_offset_x
      - .offset:         192
        .size:           8
        .value_kind:     hidden_global_offset_y
      - .offset:         200
        .size:           8
        .value_kind:     hidden_global_offset_z
      - .offset:         208
        .size:           2
        .value_kind:     hidden_grid_dims
    .group_segment_fixed_size: 4096
    .kernarg_segment_align: 8
    .kernarg_segment_size: 400
    .language:       OpenCL C
    .language_version:
      - 2
      - 0
    .max_flat_workgroup_size: 256
    .name:           _ZL20rocblas_gemvn_kernelILi64ELi4Ei16rocblas_bfloat16PKfS0_EviiT3_lPKT2_lT1_lS6_lS7_lS3_lPT4_lS7_li
    .private_segment_fixed_size: 0
    .sgpr_count:     57
    .sgpr_spill_count: 0
    .symbol:         _ZL20rocblas_gemvn_kernelILi64ELi4Ei16rocblas_bfloat16PKfS0_EviiT3_lPKT2_lT1_lS6_lS7_lS3_lPT4_lS7_li.kd
    .uniform_work_group_size: 1
    .uses_dynamic_stack: false
    .vgpr_count:     51
    .vgpr_spill_count: 0
    .wavefront_size: 32
  - .args:
      - .offset:         0
        .size:           4
        .value_kind:     by_value
      - .offset:         4
        .size:           4
        .value_kind:     by_value
      - .address_space:  global
        .offset:         8
        .size:           8
        .value_kind:     global_buffer
      - .offset:         16
        .size:           8
        .value_kind:     by_value
      - .address_space:  global
        .offset:         24
        .size:           8
        .value_kind:     global_buffer
      - .offset:         32
        .size:           8
        .value_kind:     by_value
      - .offset:         40
        .size:           8
        .value_kind:     by_value
      - .offset:         48
        .size:           8
        .value_kind:     by_value
      - .address_space:  global
        .offset:         56
        .size:           8
        .value_kind:     global_buffer
      - .offset:         64
        .size:           8
        .value_kind:     by_value
      - .offset:         72
        .size:           8
        .value_kind:     by_value
      - .offset:         80
        .size:           8
        .value_kind:     by_value
      - .address_space:  global
        .offset:         88
        .size:           8
        .value_kind:     global_buffer
      - .offset:         96
        .size:           8
        .value_kind:     by_value
      - .address_space:  global
        .offset:         104
        .size:           8
        .value_kind:     global_buffer
      - .offset:         112
        .size:           8
        .value_kind:     by_value
      - .offset:         120
        .size:           8
        .value_kind:     by_value
      - .offset:         128
        .size:           8
        .value_kind:     by_value
      - .offset:         136
        .size:           4
        .value_kind:     by_value
      - .offset:         144
        .size:           4
        .value_kind:     hidden_block_count_x
      - .offset:         148
        .size:           4
        .value_kind:     hidden_block_count_y
      - .offset:         152
        .size:           4
        .value_kind:     hidden_block_count_z
      - .offset:         156
        .size:           2
        .value_kind:     hidden_group_size_x
      - .offset:         158
        .size:           2
        .value_kind:     hidden_group_size_y
      - .offset:         160
        .size:           2
        .value_kind:     hidden_group_size_z
      - .offset:         162
        .size:           2
        .value_kind:     hidden_remainder_x
      - .offset:         164
        .size:           2
        .value_kind:     hidden_remainder_y
      - .offset:         166
        .size:           2
        .value_kind:     hidden_remainder_z
      - .offset:         184
        .size:           8
        .value_kind:     hidden_global_offset_x
      - .offset:         192
        .size:           8
        .value_kind:     hidden_global_offset_y
      - .offset:         200
        .size:           8
        .value_kind:     hidden_global_offset_z
      - .offset:         208
        .size:           2
        .value_kind:     hidden_grid_dims
    .group_segment_fixed_size: 4096
    .kernarg_segment_align: 8
    .kernarg_segment_size: 400
    .language:       OpenCL C
    .language_version:
      - 2
      - 0
    .max_flat_workgroup_size: 256
    .name:           _ZL20rocblas_gemvn_kernelILi64ELi4El16rocblas_bfloat16PKfS0_EviiT3_lPKT2_lT1_lS6_lS7_lS3_lPT4_lS7_li
    .private_segment_fixed_size: 0
    .sgpr_count:     62
    .sgpr_spill_count: 0
    .symbol:         _ZL20rocblas_gemvn_kernelILi64ELi4El16rocblas_bfloat16PKfS0_EviiT3_lPKT2_lT1_lS6_lS7_lS3_lPT4_lS7_li.kd
    .uniform_work_group_size: 1
    .uses_dynamic_stack: false
    .vgpr_count:     72
    .vgpr_spill_count: 0
    .wavefront_size: 32
  - .args:
      - .offset:         0
        .size:           4
        .value_kind:     by_value
      - .offset:         4
        .size:           4
        .value_kind:     by_value
      - .offset:         8
        .size:           4
        .value_kind:     by_value
      - .offset:         16
        .size:           8
        .value_kind:     by_value
      - .address_space:  global
        .offset:         24
        .size:           8
        .value_kind:     global_buffer
      - .offset:         32
        .size:           8
        .value_kind:     by_value
      - .offset:         40
        .size:           4
        .value_kind:     by_value
      - .offset:         48
        .size:           8
        .value_kind:     by_value
      - .address_space:  global
        .offset:         56
        .size:           8
        .value_kind:     global_buffer
      - .offset:         64
        .size:           8
        .value_kind:     by_value
      - .offset:         72
        .size:           4
        .value_kind:     by_value
      - .offset:         80
        .size:           8
        .value_kind:     by_value
      - .offset:         88
        .size:           4
        .value_kind:     by_value
      - .offset:         96
        .size:           8
        .value_kind:     by_value
      - .address_space:  global
        .offset:         104
        .size:           8
        .value_kind:     global_buffer
      - .offset:         112
        .size:           8
        .value_kind:     by_value
      - .offset:         120
        .size:           4
        .value_kind:     by_value
      - .offset:         128
        .size:           8
        .value_kind:     by_value
      - .offset:         136
        .size:           4
        .value_kind:     by_value
      - .offset:         144
        .size:           4
        .value_kind:     hidden_block_count_x
      - .offset:         148
        .size:           4
        .value_kind:     hidden_block_count_y
      - .offset:         152
        .size:           4
        .value_kind:     hidden_block_count_z
      - .offset:         156
        .size:           2
        .value_kind:     hidden_group_size_x
      - .offset:         158
        .size:           2
        .value_kind:     hidden_group_size_y
      - .offset:         160
        .size:           2
        .value_kind:     hidden_group_size_z
      - .offset:         162
        .size:           2
        .value_kind:     hidden_remainder_x
      - .offset:         164
        .size:           2
        .value_kind:     hidden_remainder_y
      - .offset:         166
        .size:           2
        .value_kind:     hidden_remainder_z
      - .offset:         184
        .size:           8
        .value_kind:     hidden_global_offset_x
      - .offset:         192
        .size:           8
        .value_kind:     hidden_global_offset_y
      - .offset:         200
        .size:           8
        .value_kind:     hidden_global_offset_z
      - .offset:         208
        .size:           2
        .value_kind:     hidden_grid_dims
    .group_segment_fixed_size: 4096
    .kernarg_segment_align: 8
    .kernarg_segment_size: 400
    .language:       OpenCL C
    .language_version:
      - 2
      - 0
    .max_flat_workgroup_size: 256
    .name:           _ZL20rocblas_gemvn_kernelILi64ELi4Ei16rocblas_bfloat16fS0_EviiT3_lPKT2_lT1_lS4_lS5_lS1_lPT4_lS5_li
    .private_segment_fixed_size: 0
    .sgpr_count:     54
    .sgpr_spill_count: 0
    .symbol:         _ZL20rocblas_gemvn_kernelILi64ELi4Ei16rocblas_bfloat16fS0_EviiT3_lPKT2_lT1_lS4_lS5_lS1_lPT4_lS5_li.kd
    .uniform_work_group_size: 1
    .uses_dynamic_stack: false
    .vgpr_count:     53
    .vgpr_spill_count: 0
    .wavefront_size: 32
  - .args:
      - .offset:         0
        .size:           4
        .value_kind:     by_value
      - .offset:         4
        .size:           4
        .value_kind:     by_value
      - .offset:         8
        .size:           4
        .value_kind:     by_value
      - .offset:         16
        .size:           8
        .value_kind:     by_value
      - .address_space:  global
        .offset:         24
        .size:           8
        .value_kind:     global_buffer
      - .offset:         32
        .size:           8
        .value_kind:     by_value
      - .offset:         40
        .size:           8
        .value_kind:     by_value
      - .offset:         48
        .size:           8
        .value_kind:     by_value
      - .address_space:  global
        .offset:         56
        .size:           8
        .value_kind:     global_buffer
      - .offset:         64
        .size:           8
        .value_kind:     by_value
      - .offset:         72
        .size:           8
        .value_kind:     by_value
      - .offset:         80
        .size:           8
        .value_kind:     by_value
      - .offset:         88
        .size:           4
        .value_kind:     by_value
      - .offset:         96
        .size:           8
        .value_kind:     by_value
      - .address_space:  global
        .offset:         104
        .size:           8
        .value_kind:     global_buffer
      - .offset:         112
        .size:           8
        .value_kind:     by_value
      - .offset:         120
        .size:           8
        .value_kind:     by_value
      - .offset:         128
        .size:           8
        .value_kind:     by_value
      - .offset:         136
        .size:           4
        .value_kind:     by_value
      - .offset:         144
        .size:           4
        .value_kind:     hidden_block_count_x
      - .offset:         148
        .size:           4
        .value_kind:     hidden_block_count_y
      - .offset:         152
        .size:           4
        .value_kind:     hidden_block_count_z
      - .offset:         156
        .size:           2
        .value_kind:     hidden_group_size_x
      - .offset:         158
        .size:           2
        .value_kind:     hidden_group_size_y
      - .offset:         160
        .size:           2
        .value_kind:     hidden_group_size_z
      - .offset:         162
        .size:           2
        .value_kind:     hidden_remainder_x
      - .offset:         164
        .size:           2
        .value_kind:     hidden_remainder_y
      - .offset:         166
        .size:           2
        .value_kind:     hidden_remainder_z
      - .offset:         184
        .size:           8
        .value_kind:     hidden_global_offset_x
      - .offset:         192
        .size:           8
        .value_kind:     hidden_global_offset_y
      - .offset:         200
        .size:           8
        .value_kind:     hidden_global_offset_z
      - .offset:         208
        .size:           2
        .value_kind:     hidden_grid_dims
    .group_segment_fixed_size: 4096
    .kernarg_segment_align: 8
    .kernarg_segment_size: 400
    .language:       OpenCL C
    .language_version:
      - 2
      - 0
    .max_flat_workgroup_size: 256
    .name:           _ZL20rocblas_gemvn_kernelILi64ELi4El16rocblas_bfloat16fS0_EviiT3_lPKT2_lT1_lS4_lS5_lS1_lPT4_lS5_li
    .private_segment_fixed_size: 0
    .sgpr_count:     59
    .sgpr_spill_count: 0
    .symbol:         _ZL20rocblas_gemvn_kernelILi64ELi4El16rocblas_bfloat16fS0_EviiT3_lPKT2_lT1_lS4_lS5_lS1_lPT4_lS5_li.kd
    .uniform_work_group_size: 1
    .uses_dynamic_stack: false
    .vgpr_count:     71
    .vgpr_spill_count: 0
    .wavefront_size: 32
  - .args:
      - .offset:         0
        .size:           4
        .value_kind:     by_value
      - .offset:         4
        .size:           4
        .value_kind:     by_value
      - .address_space:  global
        .offset:         8
        .size:           8
        .value_kind:     global_buffer
      - .offset:         16
        .size:           8
        .value_kind:     by_value
      - .address_space:  global
        .offset:         24
        .size:           8
        .value_kind:     global_buffer
      - .offset:         32
        .size:           8
        .value_kind:     by_value
      - .offset:         40
        .size:           4
        .value_kind:     by_value
      - .offset:         48
        .size:           8
        .value_kind:     by_value
      - .address_space:  global
        .offset:         56
        .size:           8
        .value_kind:     global_buffer
      - .offset:         64
        .size:           8
        .value_kind:     by_value
      - .offset:         72
        .size:           4
        .value_kind:     by_value
      - .offset:         80
        .size:           8
        .value_kind:     by_value
      - .address_space:  global
        .offset:         88
        .size:           8
        .value_kind:     global_buffer
      - .offset:         96
        .size:           8
        .value_kind:     by_value
      - .address_space:  global
        .offset:         104
        .size:           8
        .value_kind:     global_buffer
      - .offset:         112
        .size:           8
        .value_kind:     by_value
      - .offset:         120
        .size:           4
        .value_kind:     by_value
      - .offset:         128
        .size:           8
        .value_kind:     by_value
      - .offset:         136
        .size:           4
        .value_kind:     by_value
      - .offset:         144
        .size:           4
        .value_kind:     hidden_block_count_x
      - .offset:         148
        .size:           4
        .value_kind:     hidden_block_count_y
      - .offset:         152
        .size:           4
        .value_kind:     hidden_block_count_z
      - .offset:         156
        .size:           2
        .value_kind:     hidden_group_size_x
      - .offset:         158
        .size:           2
        .value_kind:     hidden_group_size_y
      - .offset:         160
        .size:           2
        .value_kind:     hidden_group_size_z
      - .offset:         162
        .size:           2
        .value_kind:     hidden_remainder_x
      - .offset:         164
        .size:           2
        .value_kind:     hidden_remainder_y
      - .offset:         166
        .size:           2
        .value_kind:     hidden_remainder_z
      - .offset:         184
        .size:           8
        .value_kind:     hidden_global_offset_x
      - .offset:         192
        .size:           8
        .value_kind:     hidden_global_offset_y
      - .offset:         200
        .size:           8
        .value_kind:     hidden_global_offset_z
      - .offset:         208
        .size:           2
        .value_kind:     hidden_grid_dims
    .group_segment_fixed_size: 8192
    .kernarg_segment_align: 8
    .kernarg_segment_size: 400
    .language:       OpenCL C
    .language_version:
      - 2
      - 0
    .max_flat_workgroup_size: 512
    .name:           _ZL20rocblas_gemvn_kernelILi32ELi16Ei16rocblas_bfloat16PKfS0_EviiT3_lPKT2_lT1_lS6_lS7_lS3_lPT4_lS7_li
    .private_segment_fixed_size: 0
    .sgpr_count:     57
    .sgpr_spill_count: 0
    .symbol:         _ZL20rocblas_gemvn_kernelILi32ELi16Ei16rocblas_bfloat16PKfS0_EviiT3_lPKT2_lT1_lS6_lS7_lS3_lPT4_lS7_li.kd
    .uniform_work_group_size: 1
    .uses_dynamic_stack: false
    .vgpr_count:     51
    .vgpr_spill_count: 0
    .wavefront_size: 32
  - .args:
      - .offset:         0
        .size:           4
        .value_kind:     by_value
      - .offset:         4
        .size:           4
        .value_kind:     by_value
      - .address_space:  global
        .offset:         8
        .size:           8
        .value_kind:     global_buffer
      - .offset:         16
        .size:           8
        .value_kind:     by_value
      - .address_space:  global
        .offset:         24
        .size:           8
        .value_kind:     global_buffer
      - .offset:         32
        .size:           8
        .value_kind:     by_value
      - .offset:         40
        .size:           8
        .value_kind:     by_value
      - .offset:         48
        .size:           8
        .value_kind:     by_value
      - .address_space:  global
        .offset:         56
        .size:           8
        .value_kind:     global_buffer
      - .offset:         64
        .size:           8
        .value_kind:     by_value
      - .offset:         72
        .size:           8
        .value_kind:     by_value
      - .offset:         80
        .size:           8
        .value_kind:     by_value
      - .address_space:  global
        .offset:         88
        .size:           8
        .value_kind:     global_buffer
      - .offset:         96
        .size:           8
        .value_kind:     by_value
      - .address_space:  global
        .offset:         104
        .size:           8
        .value_kind:     global_buffer
      - .offset:         112
        .size:           8
        .value_kind:     by_value
      - .offset:         120
        .size:           8
        .value_kind:     by_value
      - .offset:         128
        .size:           8
        .value_kind:     by_value
      - .offset:         136
        .size:           4
        .value_kind:     by_value
      - .offset:         144
        .size:           4
        .value_kind:     hidden_block_count_x
      - .offset:         148
        .size:           4
        .value_kind:     hidden_block_count_y
      - .offset:         152
        .size:           4
        .value_kind:     hidden_block_count_z
      - .offset:         156
        .size:           2
        .value_kind:     hidden_group_size_x
      - .offset:         158
        .size:           2
        .value_kind:     hidden_group_size_y
      - .offset:         160
        .size:           2
        .value_kind:     hidden_group_size_z
      - .offset:         162
        .size:           2
        .value_kind:     hidden_remainder_x
      - .offset:         164
        .size:           2
        .value_kind:     hidden_remainder_y
      - .offset:         166
        .size:           2
        .value_kind:     hidden_remainder_z
      - .offset:         184
        .size:           8
        .value_kind:     hidden_global_offset_x
      - .offset:         192
        .size:           8
        .value_kind:     hidden_global_offset_y
      - .offset:         200
        .size:           8
        .value_kind:     hidden_global_offset_z
      - .offset:         208
        .size:           2
        .value_kind:     hidden_grid_dims
    .group_segment_fixed_size: 8192
    .kernarg_segment_align: 8
    .kernarg_segment_size: 400
    .language:       OpenCL C
    .language_version:
      - 2
      - 0
    .max_flat_workgroup_size: 512
    .name:           _ZL20rocblas_gemvn_kernelILi32ELi16El16rocblas_bfloat16PKfS0_EviiT3_lPKT2_lT1_lS6_lS7_lS3_lPT4_lS7_li
    .private_segment_fixed_size: 0
    .sgpr_count:     62
    .sgpr_spill_count: 0
    .symbol:         _ZL20rocblas_gemvn_kernelILi32ELi16El16rocblas_bfloat16PKfS0_EviiT3_lPKT2_lT1_lS6_lS7_lS3_lPT4_lS7_li.kd
    .uniform_work_group_size: 1
    .uses_dynamic_stack: false
    .vgpr_count:     72
    .vgpr_spill_count: 0
    .wavefront_size: 32
  - .args:
      - .offset:         0
        .size:           4
        .value_kind:     by_value
      - .offset:         4
        .size:           4
        .value_kind:     by_value
      - .offset:         8
        .size:           4
        .value_kind:     by_value
      - .offset:         16
        .size:           8
        .value_kind:     by_value
      - .address_space:  global
        .offset:         24
        .size:           8
        .value_kind:     global_buffer
      - .offset:         32
        .size:           8
        .value_kind:     by_value
      - .offset:         40
        .size:           4
        .value_kind:     by_value
      - .offset:         48
        .size:           8
        .value_kind:     by_value
      - .address_space:  global
        .offset:         56
        .size:           8
        .value_kind:     global_buffer
      - .offset:         64
        .size:           8
        .value_kind:     by_value
      - .offset:         72
        .size:           4
        .value_kind:     by_value
      - .offset:         80
        .size:           8
        .value_kind:     by_value
      - .offset:         88
        .size:           4
        .value_kind:     by_value
      - .offset:         96
        .size:           8
        .value_kind:     by_value
      - .address_space:  global
        .offset:         104
        .size:           8
        .value_kind:     global_buffer
      - .offset:         112
        .size:           8
        .value_kind:     by_value
      - .offset:         120
        .size:           4
        .value_kind:     by_value
      - .offset:         128
        .size:           8
        .value_kind:     by_value
      - .offset:         136
        .size:           4
        .value_kind:     by_value
      - .offset:         144
        .size:           4
        .value_kind:     hidden_block_count_x
      - .offset:         148
        .size:           4
        .value_kind:     hidden_block_count_y
      - .offset:         152
        .size:           4
        .value_kind:     hidden_block_count_z
      - .offset:         156
        .size:           2
        .value_kind:     hidden_group_size_x
      - .offset:         158
        .size:           2
        .value_kind:     hidden_group_size_y
      - .offset:         160
        .size:           2
        .value_kind:     hidden_group_size_z
      - .offset:         162
        .size:           2
        .value_kind:     hidden_remainder_x
      - .offset:         164
        .size:           2
        .value_kind:     hidden_remainder_y
      - .offset:         166
        .size:           2
        .value_kind:     hidden_remainder_z
      - .offset:         184
        .size:           8
        .value_kind:     hidden_global_offset_x
      - .offset:         192
        .size:           8
        .value_kind:     hidden_global_offset_y
      - .offset:         200
        .size:           8
        .value_kind:     hidden_global_offset_z
      - .offset:         208
        .size:           2
        .value_kind:     hidden_grid_dims
    .group_segment_fixed_size: 8192
    .kernarg_segment_align: 8
    .kernarg_segment_size: 400
    .language:       OpenCL C
    .language_version:
      - 2
      - 0
    .max_flat_workgroup_size: 512
    .name:           _ZL20rocblas_gemvn_kernelILi32ELi16Ei16rocblas_bfloat16fS0_EviiT3_lPKT2_lT1_lS4_lS5_lS1_lPT4_lS5_li
    .private_segment_fixed_size: 0
    .sgpr_count:     54
    .sgpr_spill_count: 0
    .symbol:         _ZL20rocblas_gemvn_kernelILi32ELi16Ei16rocblas_bfloat16fS0_EviiT3_lPKT2_lT1_lS4_lS5_lS1_lPT4_lS5_li.kd
    .uniform_work_group_size: 1
    .uses_dynamic_stack: false
    .vgpr_count:     53
    .vgpr_spill_count: 0
    .wavefront_size: 32
  - .args:
      - .offset:         0
        .size:           4
        .value_kind:     by_value
      - .offset:         4
        .size:           4
        .value_kind:     by_value
      - .offset:         8
        .size:           4
        .value_kind:     by_value
      - .offset:         16
        .size:           8
        .value_kind:     by_value
      - .address_space:  global
        .offset:         24
        .size:           8
        .value_kind:     global_buffer
      - .offset:         32
        .size:           8
        .value_kind:     by_value
      - .offset:         40
        .size:           8
        .value_kind:     by_value
      - .offset:         48
        .size:           8
        .value_kind:     by_value
      - .address_space:  global
        .offset:         56
        .size:           8
        .value_kind:     global_buffer
      - .offset:         64
        .size:           8
        .value_kind:     by_value
      - .offset:         72
        .size:           8
        .value_kind:     by_value
      - .offset:         80
        .size:           8
        .value_kind:     by_value
      - .offset:         88
        .size:           4
        .value_kind:     by_value
      - .offset:         96
        .size:           8
        .value_kind:     by_value
      - .address_space:  global
        .offset:         104
        .size:           8
        .value_kind:     global_buffer
      - .offset:         112
        .size:           8
        .value_kind:     by_value
      - .offset:         120
        .size:           8
        .value_kind:     by_value
      - .offset:         128
        .size:           8
        .value_kind:     by_value
      - .offset:         136
        .size:           4
        .value_kind:     by_value
      - .offset:         144
        .size:           4
        .value_kind:     hidden_block_count_x
      - .offset:         148
        .size:           4
        .value_kind:     hidden_block_count_y
      - .offset:         152
        .size:           4
        .value_kind:     hidden_block_count_z
      - .offset:         156
        .size:           2
        .value_kind:     hidden_group_size_x
      - .offset:         158
        .size:           2
        .value_kind:     hidden_group_size_y
      - .offset:         160
        .size:           2
        .value_kind:     hidden_group_size_z
      - .offset:         162
        .size:           2
        .value_kind:     hidden_remainder_x
      - .offset:         164
        .size:           2
        .value_kind:     hidden_remainder_y
      - .offset:         166
        .size:           2
        .value_kind:     hidden_remainder_z
      - .offset:         184
        .size:           8
        .value_kind:     hidden_global_offset_x
      - .offset:         192
        .size:           8
        .value_kind:     hidden_global_offset_y
      - .offset:         200
        .size:           8
        .value_kind:     hidden_global_offset_z
      - .offset:         208
        .size:           2
        .value_kind:     hidden_grid_dims
    .group_segment_fixed_size: 8192
    .kernarg_segment_align: 8
    .kernarg_segment_size: 400
    .language:       OpenCL C
    .language_version:
      - 2
      - 0
    .max_flat_workgroup_size: 512
    .name:           _ZL20rocblas_gemvn_kernelILi32ELi16El16rocblas_bfloat16fS0_EviiT3_lPKT2_lT1_lS4_lS5_lS1_lPT4_lS5_li
    .private_segment_fixed_size: 0
    .sgpr_count:     59
    .sgpr_spill_count: 0
    .symbol:         _ZL20rocblas_gemvn_kernelILi32ELi16El16rocblas_bfloat16fS0_EviiT3_lPKT2_lT1_lS4_lS5_lS1_lPT4_lS5_li.kd
    .uniform_work_group_size: 1
    .uses_dynamic_stack: false
    .vgpr_count:     71
    .vgpr_spill_count: 0
    .wavefront_size: 32
  - .args:
      - .offset:         0
        .size:           4
        .value_kind:     by_value
      - .offset:         4
        .size:           4
        .value_kind:     by_value
      - .address_space:  global
        .offset:         8
        .size:           8
        .value_kind:     global_buffer
      - .offset:         16
        .size:           8
        .value_kind:     by_value
      - .address_space:  global
        .offset:         24
        .size:           8
        .value_kind:     global_buffer
      - .offset:         32
        .size:           8
        .value_kind:     by_value
      - .offset:         40
        .size:           4
        .value_kind:     by_value
      - .offset:         48
        .size:           8
        .value_kind:     by_value
      - .address_space:  global
        .offset:         56
        .size:           8
        .value_kind:     global_buffer
      - .offset:         64
        .size:           8
        .value_kind:     by_value
      - .offset:         72
        .size:           4
        .value_kind:     by_value
      - .offset:         80
        .size:           8
        .value_kind:     by_value
      - .address_space:  global
        .offset:         88
        .size:           8
        .value_kind:     global_buffer
      - .offset:         96
        .size:           8
        .value_kind:     by_value
      - .address_space:  global
        .offset:         104
        .size:           8
        .value_kind:     global_buffer
      - .offset:         112
        .size:           8
        .value_kind:     by_value
      - .offset:         120
        .size:           4
        .value_kind:     by_value
      - .offset:         128
        .size:           8
        .value_kind:     by_value
      - .offset:         136
        .size:           4
        .value_kind:     by_value
      - .offset:         144
        .size:           4
        .value_kind:     hidden_block_count_x
      - .offset:         148
        .size:           4
        .value_kind:     hidden_block_count_y
      - .offset:         152
        .size:           4
        .value_kind:     hidden_block_count_z
      - .offset:         156
        .size:           2
        .value_kind:     hidden_group_size_x
      - .offset:         158
        .size:           2
        .value_kind:     hidden_group_size_y
      - .offset:         160
        .size:           2
        .value_kind:     hidden_group_size_z
      - .offset:         162
        .size:           2
        .value_kind:     hidden_remainder_x
      - .offset:         164
        .size:           2
        .value_kind:     hidden_remainder_y
      - .offset:         166
        .size:           2
        .value_kind:     hidden_remainder_z
      - .offset:         184
        .size:           8
        .value_kind:     hidden_global_offset_x
      - .offset:         192
        .size:           8
        .value_kind:     hidden_global_offset_y
      - .offset:         200
        .size:           8
        .value_kind:     hidden_global_offset_z
      - .offset:         208
        .size:           2
        .value_kind:     hidden_grid_dims
    .group_segment_fixed_size: 16384
    .kernarg_segment_align: 8
    .kernarg_segment_size: 400
    .language:       OpenCL C
    .language_version:
      - 2
      - 0
    .max_flat_workgroup_size: 1024
    .name:           _ZL20rocblas_gemvn_kernelILi64ELi16Ei16rocblas_bfloat16PKfS0_EviiT3_lPKT2_lT1_lS6_lS7_lS3_lPT4_lS7_li
    .private_segment_fixed_size: 0
    .sgpr_count:     57
    .sgpr_spill_count: 0
    .symbol:         _ZL20rocblas_gemvn_kernelILi64ELi16Ei16rocblas_bfloat16PKfS0_EviiT3_lPKT2_lT1_lS6_lS7_lS3_lPT4_lS7_li.kd
    .uniform_work_group_size: 1
    .uses_dynamic_stack: false
    .vgpr_count:     51
    .vgpr_spill_count: 0
    .wavefront_size: 32
  - .args:
      - .offset:         0
        .size:           4
        .value_kind:     by_value
      - .offset:         4
        .size:           4
        .value_kind:     by_value
      - .address_space:  global
        .offset:         8
        .size:           8
        .value_kind:     global_buffer
      - .offset:         16
        .size:           8
        .value_kind:     by_value
      - .address_space:  global
        .offset:         24
        .size:           8
        .value_kind:     global_buffer
      - .offset:         32
        .size:           8
        .value_kind:     by_value
      - .offset:         40
        .size:           8
        .value_kind:     by_value
      - .offset:         48
        .size:           8
        .value_kind:     by_value
      - .address_space:  global
        .offset:         56
        .size:           8
        .value_kind:     global_buffer
      - .offset:         64
        .size:           8
        .value_kind:     by_value
      - .offset:         72
        .size:           8
        .value_kind:     by_value
      - .offset:         80
        .size:           8
        .value_kind:     by_value
      - .address_space:  global
        .offset:         88
        .size:           8
        .value_kind:     global_buffer
      - .offset:         96
        .size:           8
        .value_kind:     by_value
      - .address_space:  global
        .offset:         104
        .size:           8
        .value_kind:     global_buffer
      - .offset:         112
        .size:           8
        .value_kind:     by_value
      - .offset:         120
        .size:           8
        .value_kind:     by_value
      - .offset:         128
        .size:           8
        .value_kind:     by_value
      - .offset:         136
        .size:           4
        .value_kind:     by_value
      - .offset:         144
        .size:           4
        .value_kind:     hidden_block_count_x
      - .offset:         148
        .size:           4
        .value_kind:     hidden_block_count_y
      - .offset:         152
        .size:           4
        .value_kind:     hidden_block_count_z
      - .offset:         156
        .size:           2
        .value_kind:     hidden_group_size_x
      - .offset:         158
        .size:           2
        .value_kind:     hidden_group_size_y
      - .offset:         160
        .size:           2
        .value_kind:     hidden_group_size_z
      - .offset:         162
        .size:           2
        .value_kind:     hidden_remainder_x
      - .offset:         164
        .size:           2
        .value_kind:     hidden_remainder_y
      - .offset:         166
        .size:           2
        .value_kind:     hidden_remainder_z
      - .offset:         184
        .size:           8
        .value_kind:     hidden_global_offset_x
      - .offset:         192
        .size:           8
        .value_kind:     hidden_global_offset_y
      - .offset:         200
        .size:           8
        .value_kind:     hidden_global_offset_z
      - .offset:         208
        .size:           2
        .value_kind:     hidden_grid_dims
    .group_segment_fixed_size: 16384
    .kernarg_segment_align: 8
    .kernarg_segment_size: 400
    .language:       OpenCL C
    .language_version:
      - 2
      - 0
    .max_flat_workgroup_size: 1024
    .name:           _ZL20rocblas_gemvn_kernelILi64ELi16El16rocblas_bfloat16PKfS0_EviiT3_lPKT2_lT1_lS6_lS7_lS3_lPT4_lS7_li
    .private_segment_fixed_size: 0
    .sgpr_count:     62
    .sgpr_spill_count: 0
    .symbol:         _ZL20rocblas_gemvn_kernelILi64ELi16El16rocblas_bfloat16PKfS0_EviiT3_lPKT2_lT1_lS6_lS7_lS3_lPT4_lS7_li.kd
    .uniform_work_group_size: 1
    .uses_dynamic_stack: false
    .vgpr_count:     72
    .vgpr_spill_count: 0
    .wavefront_size: 32
  - .args:
      - .offset:         0
        .size:           4
        .value_kind:     by_value
      - .offset:         4
        .size:           4
        .value_kind:     by_value
      - .offset:         8
        .size:           4
        .value_kind:     by_value
      - .offset:         16
        .size:           8
        .value_kind:     by_value
      - .address_space:  global
        .offset:         24
        .size:           8
        .value_kind:     global_buffer
      - .offset:         32
        .size:           8
        .value_kind:     by_value
      - .offset:         40
        .size:           4
        .value_kind:     by_value
      - .offset:         48
        .size:           8
        .value_kind:     by_value
      - .address_space:  global
        .offset:         56
        .size:           8
        .value_kind:     global_buffer
      - .offset:         64
        .size:           8
        .value_kind:     by_value
      - .offset:         72
        .size:           4
        .value_kind:     by_value
      - .offset:         80
        .size:           8
        .value_kind:     by_value
      - .offset:         88
        .size:           4
        .value_kind:     by_value
      - .offset:         96
        .size:           8
        .value_kind:     by_value
      - .address_space:  global
        .offset:         104
        .size:           8
        .value_kind:     global_buffer
      - .offset:         112
        .size:           8
        .value_kind:     by_value
      - .offset:         120
        .size:           4
        .value_kind:     by_value
      - .offset:         128
        .size:           8
        .value_kind:     by_value
      - .offset:         136
        .size:           4
        .value_kind:     by_value
      - .offset:         144
        .size:           4
        .value_kind:     hidden_block_count_x
      - .offset:         148
        .size:           4
        .value_kind:     hidden_block_count_y
      - .offset:         152
        .size:           4
        .value_kind:     hidden_block_count_z
      - .offset:         156
        .size:           2
        .value_kind:     hidden_group_size_x
      - .offset:         158
        .size:           2
        .value_kind:     hidden_group_size_y
      - .offset:         160
        .size:           2
        .value_kind:     hidden_group_size_z
      - .offset:         162
        .size:           2
        .value_kind:     hidden_remainder_x
      - .offset:         164
        .size:           2
        .value_kind:     hidden_remainder_y
      - .offset:         166
        .size:           2
        .value_kind:     hidden_remainder_z
      - .offset:         184
        .size:           8
        .value_kind:     hidden_global_offset_x
      - .offset:         192
        .size:           8
        .value_kind:     hidden_global_offset_y
      - .offset:         200
        .size:           8
        .value_kind:     hidden_global_offset_z
      - .offset:         208
        .size:           2
        .value_kind:     hidden_grid_dims
    .group_segment_fixed_size: 16384
    .kernarg_segment_align: 8
    .kernarg_segment_size: 400
    .language:       OpenCL C
    .language_version:
      - 2
      - 0
    .max_flat_workgroup_size: 1024
    .name:           _ZL20rocblas_gemvn_kernelILi64ELi16Ei16rocblas_bfloat16fS0_EviiT3_lPKT2_lT1_lS4_lS5_lS1_lPT4_lS5_li
    .private_segment_fixed_size: 0
    .sgpr_count:     54
    .sgpr_spill_count: 0
    .symbol:         _ZL20rocblas_gemvn_kernelILi64ELi16Ei16rocblas_bfloat16fS0_EviiT3_lPKT2_lT1_lS4_lS5_lS1_lPT4_lS5_li.kd
    .uniform_work_group_size: 1
    .uses_dynamic_stack: false
    .vgpr_count:     53
    .vgpr_spill_count: 0
    .wavefront_size: 32
  - .args:
      - .offset:         0
        .size:           4
        .value_kind:     by_value
      - .offset:         4
        .size:           4
        .value_kind:     by_value
      - .offset:         8
        .size:           4
        .value_kind:     by_value
      - .offset:         16
        .size:           8
        .value_kind:     by_value
      - .address_space:  global
        .offset:         24
        .size:           8
        .value_kind:     global_buffer
      - .offset:         32
        .size:           8
        .value_kind:     by_value
      - .offset:         40
        .size:           8
        .value_kind:     by_value
      - .offset:         48
        .size:           8
        .value_kind:     by_value
      - .address_space:  global
        .offset:         56
        .size:           8
        .value_kind:     global_buffer
      - .offset:         64
        .size:           8
        .value_kind:     by_value
      - .offset:         72
        .size:           8
        .value_kind:     by_value
      - .offset:         80
        .size:           8
        .value_kind:     by_value
      - .offset:         88
        .size:           4
        .value_kind:     by_value
      - .offset:         96
        .size:           8
        .value_kind:     by_value
      - .address_space:  global
        .offset:         104
        .size:           8
        .value_kind:     global_buffer
      - .offset:         112
        .size:           8
        .value_kind:     by_value
      - .offset:         120
        .size:           8
        .value_kind:     by_value
      - .offset:         128
        .size:           8
        .value_kind:     by_value
      - .offset:         136
        .size:           4
        .value_kind:     by_value
      - .offset:         144
        .size:           4
        .value_kind:     hidden_block_count_x
      - .offset:         148
        .size:           4
        .value_kind:     hidden_block_count_y
      - .offset:         152
        .size:           4
        .value_kind:     hidden_block_count_z
      - .offset:         156
        .size:           2
        .value_kind:     hidden_group_size_x
      - .offset:         158
        .size:           2
        .value_kind:     hidden_group_size_y
      - .offset:         160
        .size:           2
        .value_kind:     hidden_group_size_z
      - .offset:         162
        .size:           2
        .value_kind:     hidden_remainder_x
      - .offset:         164
        .size:           2
        .value_kind:     hidden_remainder_y
      - .offset:         166
        .size:           2
        .value_kind:     hidden_remainder_z
      - .offset:         184
        .size:           8
        .value_kind:     hidden_global_offset_x
      - .offset:         192
        .size:           8
        .value_kind:     hidden_global_offset_y
      - .offset:         200
        .size:           8
        .value_kind:     hidden_global_offset_z
      - .offset:         208
        .size:           2
        .value_kind:     hidden_grid_dims
    .group_segment_fixed_size: 16384
    .kernarg_segment_align: 8
    .kernarg_segment_size: 400
    .language:       OpenCL C
    .language_version:
      - 2
      - 0
    .max_flat_workgroup_size: 1024
    .name:           _ZL20rocblas_gemvn_kernelILi64ELi16El16rocblas_bfloat16fS0_EviiT3_lPKT2_lT1_lS4_lS5_lS1_lPT4_lS5_li
    .private_segment_fixed_size: 0
    .sgpr_count:     59
    .sgpr_spill_count: 0
    .symbol:         _ZL20rocblas_gemvn_kernelILi64ELi16El16rocblas_bfloat16fS0_EviiT3_lPKT2_lT1_lS4_lS5_lS1_lPT4_lS5_li.kd
    .uniform_work_group_size: 1
    .uses_dynamic_stack: false
    .vgpr_count:     71
    .vgpr_spill_count: 0
    .wavefront_size: 32
  - .args:
      - .offset:         0
        .size:           4
        .value_kind:     by_value
      - .offset:         4
        .size:           4
        .value_kind:     by_value
      - .address_space:  global
        .offset:         8
        .size:           8
        .value_kind:     global_buffer
      - .offset:         16
        .size:           8
        .value_kind:     by_value
      - .address_space:  global
        .offset:         24
        .size:           8
        .value_kind:     global_buffer
      - .offset:         32
        .size:           8
        .value_kind:     by_value
      - .offset:         40
        .size:           4
        .value_kind:     by_value
      - .offset:         48
        .size:           8
        .value_kind:     by_value
      - .address_space:  global
        .offset:         56
        .size:           8
        .value_kind:     global_buffer
      - .offset:         64
        .size:           8
        .value_kind:     by_value
      - .offset:         72
        .size:           4
        .value_kind:     by_value
      - .offset:         80
        .size:           8
        .value_kind:     by_value
      - .address_space:  global
        .offset:         88
        .size:           8
        .value_kind:     global_buffer
      - .offset:         96
        .size:           8
        .value_kind:     by_value
      - .address_space:  global
        .offset:         104
        .size:           8
        .value_kind:     global_buffer
      - .offset:         112
        .size:           8
        .value_kind:     by_value
      - .offset:         120
        .size:           4
        .value_kind:     by_value
      - .offset:         128
        .size:           8
        .value_kind:     by_value
    .group_segment_fixed_size: 256
    .kernarg_segment_align: 8
    .kernarg_segment_size: 136
    .language:       OpenCL C
    .language_version:
      - 2
      - 0
    .max_flat_workgroup_size: 256
    .name:           _ZL22rocblas_gemvtsm_kernelILb0ELi256E16rocblas_bfloat16PKfS0_EviiT2_lPKT1_lilS6_lilS3_lPT3_lil
    .private_segment_fixed_size: 0
    .sgpr_count:     32
    .sgpr_spill_count: 0
    .symbol:         _ZL22rocblas_gemvtsm_kernelILb0ELi256E16rocblas_bfloat16PKfS0_EviiT2_lPKT1_lilS6_lilS3_lPT3_lil.kd
    .uniform_work_group_size: 1
    .uses_dynamic_stack: false
    .vgpr_count:     17
    .vgpr_spill_count: 0
    .wavefront_size: 32
  - .args:
      - .offset:         0
        .size:           4
        .value_kind:     by_value
      - .offset:         4
        .size:           4
        .value_kind:     by_value
      - .offset:         8
        .size:           4
        .value_kind:     by_value
      - .offset:         16
        .size:           8
        .value_kind:     by_value
      - .address_space:  global
        .offset:         24
        .size:           8
        .value_kind:     global_buffer
      - .offset:         32
        .size:           8
        .value_kind:     by_value
      - .offset:         40
        .size:           4
        .value_kind:     by_value
      - .offset:         48
        .size:           8
        .value_kind:     by_value
      - .address_space:  global
        .offset:         56
        .size:           8
        .value_kind:     global_buffer
      - .offset:         64
        .size:           8
        .value_kind:     by_value
      - .offset:         72
        .size:           4
        .value_kind:     by_value
      - .offset:         80
        .size:           8
        .value_kind:     by_value
      - .offset:         88
        .size:           4
        .value_kind:     by_value
      - .offset:         96
        .size:           8
        .value_kind:     by_value
      - .address_space:  global
        .offset:         104
        .size:           8
        .value_kind:     global_buffer
      - .offset:         112
        .size:           8
        .value_kind:     by_value
      - .offset:         120
        .size:           4
        .value_kind:     by_value
      - .offset:         128
        .size:           8
        .value_kind:     by_value
    .group_segment_fixed_size: 256
    .kernarg_segment_align: 8
    .kernarg_segment_size: 136
    .language:       OpenCL C
    .language_version:
      - 2
      - 0
    .max_flat_workgroup_size: 256
    .name:           _ZL22rocblas_gemvtsm_kernelILb0ELi256E16rocblas_bfloat16fS0_EviiT2_lPKT1_lilS4_lilS1_lPT3_lil
    .private_segment_fixed_size: 0
    .sgpr_count:     28
    .sgpr_spill_count: 0
    .symbol:         _ZL22rocblas_gemvtsm_kernelILb0ELi256E16rocblas_bfloat16fS0_EviiT2_lPKT1_lilS4_lilS1_lPT3_lil.kd
    .uniform_work_group_size: 1
    .uses_dynamic_stack: false
    .vgpr_count:     17
    .vgpr_spill_count: 0
    .wavefront_size: 32
  - .args:
      - .offset:         0
        .size:           4
        .value_kind:     by_value
      - .offset:         4
        .size:           4
        .value_kind:     by_value
      - .address_space:  global
        .offset:         8
        .size:           8
        .value_kind:     global_buffer
      - .offset:         16
        .size:           8
        .value_kind:     by_value
      - .address_space:  global
        .offset:         24
        .size:           8
        .value_kind:     global_buffer
      - .offset:         32
        .size:           8
        .value_kind:     by_value
      - .offset:         40
        .size:           4
        .value_kind:     by_value
      - .offset:         48
        .size:           8
        .value_kind:     by_value
      - .address_space:  global
        .offset:         56
        .size:           8
        .value_kind:     global_buffer
      - .offset:         64
        .size:           8
        .value_kind:     by_value
      - .offset:         72
        .size:           4
        .value_kind:     by_value
      - .offset:         80
        .size:           8
        .value_kind:     by_value
      - .address_space:  global
        .offset:         88
        .size:           8
        .value_kind:     global_buffer
      - .offset:         96
        .size:           4
        .value_kind:     by_value
      - .offset:         104
        .size:           4
        .value_kind:     hidden_block_count_x
      - .offset:         108
        .size:           4
        .value_kind:     hidden_block_count_y
      - .offset:         112
        .size:           4
        .value_kind:     hidden_block_count_z
      - .offset:         116
        .size:           2
        .value_kind:     hidden_group_size_x
      - .offset:         118
        .size:           2
        .value_kind:     hidden_group_size_y
      - .offset:         120
        .size:           2
        .value_kind:     hidden_group_size_z
      - .offset:         122
        .size:           2
        .value_kind:     hidden_remainder_x
      - .offset:         124
        .size:           2
        .value_kind:     hidden_remainder_y
      - .offset:         126
        .size:           2
        .value_kind:     hidden_remainder_z
      - .offset:         144
        .size:           8
        .value_kind:     hidden_global_offset_x
      - .offset:         152
        .size:           8
        .value_kind:     hidden_global_offset_y
      - .offset:         160
        .size:           8
        .value_kind:     hidden_global_offset_z
      - .offset:         168
        .size:           2
        .value_kind:     hidden_grid_dims
    .group_segment_fixed_size: 128
    .kernarg_segment_align: 8
    .kernarg_segment_size: 360
    .language:       OpenCL C
    .language_version:
      - 2
      - 0
    .max_flat_workgroup_size: 256
    .name:           _ZL23rocblas_gemvt_sn_kernelILb0ELi256ELi4Ei16rocblas_bfloat16PKffEviiT4_lPKT3_lilS6_lilPT5_i
    .private_segment_fixed_size: 0
    .sgpr_count:     82
    .sgpr_spill_count: 0
    .symbol:         _ZL23rocblas_gemvt_sn_kernelILb0ELi256ELi4Ei16rocblas_bfloat16PKffEviiT4_lPKT3_lilS6_lilPT5_i.kd
    .uniform_work_group_size: 1
    .uses_dynamic_stack: false
    .vgpr_count:     64
    .vgpr_spill_count: 0
    .wavefront_size: 32
  - .args:
      - .offset:         0
        .size:           4
        .value_kind:     by_value
      - .offset:         4
        .size:           4
        .value_kind:     by_value
      - .address_space:  global
        .offset:         8
        .size:           8
        .value_kind:     global_buffer
      - .offset:         16
        .size:           8
        .value_kind:     by_value
      - .address_space:  global
        .offset:         24
        .size:           8
        .value_kind:     global_buffer
      - .offset:         32
        .size:           8
        .value_kind:     by_value
      - .offset:         40
        .size:           4
        .value_kind:     by_value
      - .offset:         48
        .size:           8
        .value_kind:     by_value
      - .address_space:  global
        .offset:         56
        .size:           8
        .value_kind:     global_buffer
      - .offset:         64
        .size:           8
        .value_kind:     by_value
      - .offset:         72
        .size:           4
        .value_kind:     by_value
      - .offset:         80
        .size:           8
        .value_kind:     by_value
      - .address_space:  global
        .offset:         88
        .size:           8
        .value_kind:     global_buffer
      - .offset:         96
        .size:           4
        .value_kind:     by_value
      - .offset:         104
        .size:           4
        .value_kind:     hidden_block_count_x
      - .offset:         108
        .size:           4
        .value_kind:     hidden_block_count_y
      - .offset:         112
        .size:           4
        .value_kind:     hidden_block_count_z
      - .offset:         116
        .size:           2
        .value_kind:     hidden_group_size_x
      - .offset:         118
        .size:           2
        .value_kind:     hidden_group_size_y
      - .offset:         120
        .size:           2
        .value_kind:     hidden_group_size_z
      - .offset:         122
        .size:           2
        .value_kind:     hidden_remainder_x
      - .offset:         124
        .size:           2
        .value_kind:     hidden_remainder_y
      - .offset:         126
        .size:           2
        .value_kind:     hidden_remainder_z
      - .offset:         144
        .size:           8
        .value_kind:     hidden_global_offset_x
      - .offset:         152
        .size:           8
        .value_kind:     hidden_global_offset_y
      - .offset:         160
        .size:           8
        .value_kind:     hidden_global_offset_z
      - .offset:         168
        .size:           2
        .value_kind:     hidden_grid_dims
    .group_segment_fixed_size: 128
    .kernarg_segment_align: 8
    .kernarg_segment_size: 360
    .language:       OpenCL C
    .language_version:
      - 2
      - 0
    .max_flat_workgroup_size: 256
    .name:           _ZL23rocblas_gemvt_sn_kernelILb0ELi256ELi4El16rocblas_bfloat16PKffEviiT4_lPKT3_lilS6_lilPT5_i
    .private_segment_fixed_size: 0
    .sgpr_count:     76
    .sgpr_spill_count: 0
    .symbol:         _ZL23rocblas_gemvt_sn_kernelILb0ELi256ELi4El16rocblas_bfloat16PKffEviiT4_lPKT3_lilS6_lilPT5_i.kd
    .uniform_work_group_size: 1
    .uses_dynamic_stack: false
    .vgpr_count:     68
    .vgpr_spill_count: 0
    .wavefront_size: 32
  - .args:
      - .offset:         0
        .size:           4
        .value_kind:     by_value
      - .address_space:  global
        .offset:         8
        .size:           8
        .value_kind:     global_buffer
      - .offset:         16
        .size:           8
        .value_kind:     by_value
      - .address_space:  global
        .offset:         24
        .size:           8
        .value_kind:     global_buffer
      - .offset:         32
        .size:           8
        .value_kind:     by_value
      - .offset:         40
        .size:           4
        .value_kind:     by_value
      - .offset:         48
        .size:           8
        .value_kind:     by_value
      - .actual_access:  read_only
        .address_space:  global
        .offset:         56
        .size:           8
        .value_kind:     global_buffer
      - .offset:         64
        .size:           4
        .value_kind:     by_value
      - .offset:         72
        .size:           4
        .value_kind:     hidden_block_count_x
      - .offset:         76
        .size:           4
        .value_kind:     hidden_block_count_y
      - .offset:         80
        .size:           4
        .value_kind:     hidden_block_count_z
      - .offset:         84
        .size:           2
        .value_kind:     hidden_group_size_x
      - .offset:         86
        .size:           2
        .value_kind:     hidden_group_size_y
      - .offset:         88
        .size:           2
        .value_kind:     hidden_group_size_z
      - .offset:         90
        .size:           2
        .value_kind:     hidden_remainder_x
      - .offset:         92
        .size:           2
        .value_kind:     hidden_remainder_y
      - .offset:         94
        .size:           2
        .value_kind:     hidden_remainder_z
      - .offset:         112
        .size:           8
        .value_kind:     hidden_global_offset_x
      - .offset:         120
        .size:           8
        .value_kind:     hidden_global_offset_y
      - .offset:         128
        .size:           8
        .value_kind:     hidden_global_offset_z
      - .offset:         136
        .size:           2
        .value_kind:     hidden_grid_dims
    .group_segment_fixed_size: 128
    .kernarg_segment_align: 8
    .kernarg_segment_size: 328
    .language:       OpenCL C
    .language_version:
      - 2
      - 0
    .max_flat_workgroup_size: 256
    .name:           _ZL23rocblas_gemvt_sn_reduceILi256ELi8EfPKf16rocblas_bfloat16EviT2_lPT3_lilPT1_i
    .private_segment_fixed_size: 0
    .sgpr_count:     42
    .sgpr_spill_count: 0
    .symbol:         _ZL23rocblas_gemvt_sn_reduceILi256ELi8EfPKf16rocblas_bfloat16EviT2_lPT3_lilPT1_i.kd
    .uniform_work_group_size: 1
    .uses_dynamic_stack: false
    .vgpr_count:     26
    .vgpr_spill_count: 0
    .wavefront_size: 32
  - .args:
      - .offset:         0
        .size:           4
        .value_kind:     by_value
      - .offset:         4
        .size:           4
        .value_kind:     by_value
      - .offset:         8
        .size:           4
        .value_kind:     by_value
      - .offset:         16
        .size:           8
        .value_kind:     by_value
      - .address_space:  global
        .offset:         24
        .size:           8
        .value_kind:     global_buffer
      - .offset:         32
        .size:           8
        .value_kind:     by_value
      - .offset:         40
        .size:           4
        .value_kind:     by_value
      - .offset:         48
        .size:           8
        .value_kind:     by_value
      - .address_space:  global
        .offset:         56
        .size:           8
        .value_kind:     global_buffer
      - .offset:         64
        .size:           8
        .value_kind:     by_value
      - .offset:         72
        .size:           4
        .value_kind:     by_value
      - .offset:         80
        .size:           8
        .value_kind:     by_value
      - .address_space:  global
        .offset:         88
        .size:           8
        .value_kind:     global_buffer
      - .offset:         96
        .size:           4
        .value_kind:     by_value
      - .offset:         104
        .size:           4
        .value_kind:     hidden_block_count_x
      - .offset:         108
        .size:           4
        .value_kind:     hidden_block_count_y
      - .offset:         112
        .size:           4
        .value_kind:     hidden_block_count_z
      - .offset:         116
        .size:           2
        .value_kind:     hidden_group_size_x
      - .offset:         118
        .size:           2
        .value_kind:     hidden_group_size_y
      - .offset:         120
        .size:           2
        .value_kind:     hidden_group_size_z
      - .offset:         122
        .size:           2
        .value_kind:     hidden_remainder_x
      - .offset:         124
        .size:           2
        .value_kind:     hidden_remainder_y
      - .offset:         126
        .size:           2
        .value_kind:     hidden_remainder_z
      - .offset:         144
        .size:           8
        .value_kind:     hidden_global_offset_x
      - .offset:         152
        .size:           8
        .value_kind:     hidden_global_offset_y
      - .offset:         160
        .size:           8
        .value_kind:     hidden_global_offset_z
      - .offset:         168
        .size:           2
        .value_kind:     hidden_grid_dims
    .group_segment_fixed_size: 128
    .kernarg_segment_align: 8
    .kernarg_segment_size: 360
    .language:       OpenCL C
    .language_version:
      - 2
      - 0
    .max_flat_workgroup_size: 256
    .name:           _ZL23rocblas_gemvt_sn_kernelILb0ELi256ELi4Ei16rocblas_bfloat16ffEviiT4_lPKT3_lilS4_lilPT5_i
    .private_segment_fixed_size: 0
    .sgpr_count:     80
    .sgpr_spill_count: 0
    .symbol:         _ZL23rocblas_gemvt_sn_kernelILb0ELi256ELi4Ei16rocblas_bfloat16ffEviiT4_lPKT3_lilS4_lilPT5_i.kd
    .uniform_work_group_size: 1
    .uses_dynamic_stack: false
    .vgpr_count:     63
    .vgpr_spill_count: 0
    .wavefront_size: 32
  - .args:
      - .offset:         0
        .size:           4
        .value_kind:     by_value
      - .offset:         4
        .size:           4
        .value_kind:     by_value
      - .offset:         8
        .size:           4
        .value_kind:     by_value
      - .offset:         16
        .size:           8
        .value_kind:     by_value
      - .address_space:  global
        .offset:         24
        .size:           8
        .value_kind:     global_buffer
      - .offset:         32
        .size:           8
        .value_kind:     by_value
      - .offset:         40
        .size:           4
        .value_kind:     by_value
      - .offset:         48
        .size:           8
        .value_kind:     by_value
      - .address_space:  global
        .offset:         56
        .size:           8
        .value_kind:     global_buffer
      - .offset:         64
        .size:           8
        .value_kind:     by_value
      - .offset:         72
        .size:           4
        .value_kind:     by_value
      - .offset:         80
        .size:           8
        .value_kind:     by_value
      - .address_space:  global
        .offset:         88
        .size:           8
        .value_kind:     global_buffer
      - .offset:         96
        .size:           4
        .value_kind:     by_value
      - .offset:         104
        .size:           4
        .value_kind:     hidden_block_count_x
      - .offset:         108
        .size:           4
        .value_kind:     hidden_block_count_y
      - .offset:         112
        .size:           4
        .value_kind:     hidden_block_count_z
      - .offset:         116
        .size:           2
        .value_kind:     hidden_group_size_x
      - .offset:         118
        .size:           2
        .value_kind:     hidden_group_size_y
      - .offset:         120
        .size:           2
        .value_kind:     hidden_group_size_z
      - .offset:         122
        .size:           2
        .value_kind:     hidden_remainder_x
      - .offset:         124
        .size:           2
        .value_kind:     hidden_remainder_y
      - .offset:         126
        .size:           2
        .value_kind:     hidden_remainder_z
      - .offset:         144
        .size:           8
        .value_kind:     hidden_global_offset_x
      - .offset:         152
        .size:           8
        .value_kind:     hidden_global_offset_y
      - .offset:         160
        .size:           8
        .value_kind:     hidden_global_offset_z
      - .offset:         168
        .size:           2
        .value_kind:     hidden_grid_dims
    .group_segment_fixed_size: 128
    .kernarg_segment_align: 8
    .kernarg_segment_size: 360
    .language:       OpenCL C
    .language_version:
      - 2
      - 0
    .max_flat_workgroup_size: 256
    .name:           _ZL23rocblas_gemvt_sn_kernelILb0ELi256ELi4El16rocblas_bfloat16ffEviiT4_lPKT3_lilS4_lilPT5_i
    .private_segment_fixed_size: 0
    .sgpr_count:     74
    .sgpr_spill_count: 0
    .symbol:         _ZL23rocblas_gemvt_sn_kernelILb0ELi256ELi4El16rocblas_bfloat16ffEviiT4_lPKT3_lilS4_lilPT5_i.kd
    .uniform_work_group_size: 1
    .uses_dynamic_stack: false
    .vgpr_count:     67
    .vgpr_spill_count: 0
    .wavefront_size: 32
  - .args:
      - .offset:         0
        .size:           4
        .value_kind:     by_value
      - .offset:         4
        .size:           4
        .value_kind:     by_value
      - .offset:         8
        .size:           8
        .value_kind:     by_value
      - .address_space:  global
        .offset:         16
        .size:           8
        .value_kind:     global_buffer
      - .offset:         24
        .size:           8
        .value_kind:     by_value
      - .offset:         32
        .size:           4
        .value_kind:     by_value
      - .offset:         40
        .size:           8
        .value_kind:     by_value
      - .actual_access:  read_only
        .address_space:  global
        .offset:         48
        .size:           8
        .value_kind:     global_buffer
      - .offset:         56
        .size:           4
        .value_kind:     by_value
      - .offset:         64
        .size:           4
        .value_kind:     hidden_block_count_x
      - .offset:         68
        .size:           4
        .value_kind:     hidden_block_count_y
      - .offset:         72
        .size:           4
        .value_kind:     hidden_block_count_z
      - .offset:         76
        .size:           2
        .value_kind:     hidden_group_size_x
      - .offset:         78
        .size:           2
        .value_kind:     hidden_group_size_y
      - .offset:         80
        .size:           2
        .value_kind:     hidden_group_size_z
      - .offset:         82
        .size:           2
        .value_kind:     hidden_remainder_x
      - .offset:         84
        .size:           2
        .value_kind:     hidden_remainder_y
      - .offset:         86
        .size:           2
        .value_kind:     hidden_remainder_z
      - .offset:         104
        .size:           8
        .value_kind:     hidden_global_offset_x
      - .offset:         112
        .size:           8
        .value_kind:     hidden_global_offset_y
      - .offset:         120
        .size:           8
        .value_kind:     hidden_global_offset_z
      - .offset:         128
        .size:           2
        .value_kind:     hidden_grid_dims
    .group_segment_fixed_size: 128
    .kernarg_segment_align: 8
    .kernarg_segment_size: 320
    .language:       OpenCL C
    .language_version:
      - 2
      - 0
    .max_flat_workgroup_size: 256
    .name:           _ZL23rocblas_gemvt_sn_reduceILi256ELi8Eff16rocblas_bfloat16EviT2_lPT3_lilPT1_i
    .private_segment_fixed_size: 0
    .sgpr_count:     40
    .sgpr_spill_count: 0
    .symbol:         _ZL23rocblas_gemvt_sn_reduceILi256ELi8Eff16rocblas_bfloat16EviT2_lPT3_lilPT1_i.kd
    .uniform_work_group_size: 1
    .uses_dynamic_stack: false
    .vgpr_count:     24
    .vgpr_spill_count: 0
    .wavefront_size: 32
  - .args:
      - .offset:         0
        .size:           4
        .value_kind:     by_value
      - .offset:         4
        .size:           4
        .value_kind:     by_value
      - .address_space:  global
        .offset:         8
        .size:           8
        .value_kind:     global_buffer
      - .offset:         16
        .size:           8
        .value_kind:     by_value
      - .address_space:  global
        .offset:         24
        .size:           8
        .value_kind:     global_buffer
      - .offset:         32
        .size:           8
        .value_kind:     by_value
      - .offset:         40
        .size:           4
        .value_kind:     by_value
      - .offset:         48
        .size:           8
        .value_kind:     by_value
      - .address_space:  global
        .offset:         56
        .size:           8
        .value_kind:     global_buffer
      - .offset:         64
        .size:           8
        .value_kind:     by_value
      - .offset:         72
        .size:           4
        .value_kind:     by_value
      - .offset:         80
        .size:           8
        .value_kind:     by_value
      - .address_space:  global
        .offset:         88
        .size:           8
        .value_kind:     global_buffer
      - .offset:         96
        .size:           8
        .value_kind:     by_value
      - .address_space:  global
        .offset:         104
        .size:           8
        .value_kind:     global_buffer
      - .offset:         112
        .size:           8
        .value_kind:     by_value
      - .offset:         120
        .size:           4
        .value_kind:     by_value
      - .offset:         128
        .size:           8
        .value_kind:     by_value
      - .offset:         136
        .size:           4
        .value_kind:     by_value
    .group_segment_fixed_size: 128
    .kernarg_segment_align: 8
    .kernarg_segment_size: 140
    .language:       OpenCL C
    .language_version:
      - 2
      - 0
    .max_flat_workgroup_size: 256
    .name:           _ZL32rocblas_gemvt_warp_reduce_kernelILb0ELi256Ei16rocblas_bfloat16PKfS0_EviiT3_lPKT2_lT1_lS6_lS7_lS3_lPT4_lS7_li
    .private_segment_fixed_size: 0
    .sgpr_count:     46
    .sgpr_spill_count: 0
    .symbol:         _ZL32rocblas_gemvt_warp_reduce_kernelILb0ELi256Ei16rocblas_bfloat16PKfS0_EviiT3_lPKT2_lT1_lS6_lS7_lS3_lPT4_lS7_li.kd
    .uniform_work_group_size: 1
    .uses_dynamic_stack: false
    .vgpr_count:     22
    .vgpr_spill_count: 0
    .wavefront_size: 32
  - .args:
      - .offset:         0
        .size:           4
        .value_kind:     by_value
      - .offset:         4
        .size:           4
        .value_kind:     by_value
      - .address_space:  global
        .offset:         8
        .size:           8
        .value_kind:     global_buffer
      - .offset:         16
        .size:           8
        .value_kind:     by_value
      - .address_space:  global
        .offset:         24
        .size:           8
        .value_kind:     global_buffer
      - .offset:         32
        .size:           8
        .value_kind:     by_value
      - .offset:         40
        .size:           8
        .value_kind:     by_value
      - .offset:         48
        .size:           8
        .value_kind:     by_value
      - .address_space:  global
        .offset:         56
        .size:           8
        .value_kind:     global_buffer
      - .offset:         64
        .size:           8
        .value_kind:     by_value
      - .offset:         72
        .size:           8
        .value_kind:     by_value
      - .offset:         80
        .size:           8
        .value_kind:     by_value
      - .address_space:  global
        .offset:         88
        .size:           8
        .value_kind:     global_buffer
      - .offset:         96
        .size:           8
        .value_kind:     by_value
      - .address_space:  global
        .offset:         104
        .size:           8
        .value_kind:     global_buffer
      - .offset:         112
        .size:           8
        .value_kind:     by_value
      - .offset:         120
        .size:           8
        .value_kind:     by_value
      - .offset:         128
        .size:           8
        .value_kind:     by_value
      - .offset:         136
        .size:           4
        .value_kind:     by_value
    .group_segment_fixed_size: 128
    .kernarg_segment_align: 8
    .kernarg_segment_size: 140
    .language:       OpenCL C
    .language_version:
      - 2
      - 0
    .max_flat_workgroup_size: 256
    .name:           _ZL32rocblas_gemvt_warp_reduce_kernelILb0ELi256El16rocblas_bfloat16PKfS0_EviiT3_lPKT2_lT1_lS6_lS7_lS3_lPT4_lS7_li
    .private_segment_fixed_size: 0
    .sgpr_count:     54
    .sgpr_spill_count: 0
    .symbol:         _ZL32rocblas_gemvt_warp_reduce_kernelILb0ELi256El16rocblas_bfloat16PKfS0_EviiT3_lPKT2_lT1_lS6_lS7_lS3_lPT4_lS7_li.kd
    .uniform_work_group_size: 1
    .uses_dynamic_stack: false
    .vgpr_count:     24
    .vgpr_spill_count: 0
    .wavefront_size: 32
  - .args:
      - .offset:         0
        .size:           4
        .value_kind:     by_value
      - .offset:         4
        .size:           4
        .value_kind:     by_value
      - .offset:         8
        .size:           4
        .value_kind:     by_value
      - .offset:         16
        .size:           8
        .value_kind:     by_value
      - .address_space:  global
        .offset:         24
        .size:           8
        .value_kind:     global_buffer
      - .offset:         32
        .size:           8
        .value_kind:     by_value
      - .offset:         40
        .size:           4
        .value_kind:     by_value
      - .offset:         48
        .size:           8
        .value_kind:     by_value
      - .address_space:  global
        .offset:         56
        .size:           8
        .value_kind:     global_buffer
      - .offset:         64
        .size:           8
        .value_kind:     by_value
      - .offset:         72
        .size:           4
        .value_kind:     by_value
      - .offset:         80
        .size:           8
        .value_kind:     by_value
      - .offset:         88
        .size:           4
        .value_kind:     by_value
      - .offset:         96
        .size:           8
        .value_kind:     by_value
      - .address_space:  global
        .offset:         104
        .size:           8
        .value_kind:     global_buffer
      - .offset:         112
        .size:           8
        .value_kind:     by_value
      - .offset:         120
        .size:           4
        .value_kind:     by_value
      - .offset:         128
        .size:           8
        .value_kind:     by_value
      - .offset:         136
        .size:           4
        .value_kind:     by_value
    .group_segment_fixed_size: 128
    .kernarg_segment_align: 8
    .kernarg_segment_size: 140
    .language:       OpenCL C
    .language_version:
      - 2
      - 0
    .max_flat_workgroup_size: 256
    .name:           _ZL32rocblas_gemvt_warp_reduce_kernelILb0ELi256Ei16rocblas_bfloat16fS0_EviiT3_lPKT2_lT1_lS4_lS5_lS1_lPT4_lS5_li
    .private_segment_fixed_size: 0
    .sgpr_count:     44
    .sgpr_spill_count: 0
    .symbol:         _ZL32rocblas_gemvt_warp_reduce_kernelILb0ELi256Ei16rocblas_bfloat16fS0_EviiT3_lPKT2_lT1_lS4_lS5_lS1_lPT4_lS5_li.kd
    .uniform_work_group_size: 1
    .uses_dynamic_stack: false
    .vgpr_count:     21
    .vgpr_spill_count: 0
    .wavefront_size: 32
  - .args:
      - .offset:         0
        .size:           4
        .value_kind:     by_value
      - .offset:         4
        .size:           4
        .value_kind:     by_value
      - .offset:         8
        .size:           4
        .value_kind:     by_value
      - .offset:         16
        .size:           8
        .value_kind:     by_value
      - .address_space:  global
        .offset:         24
        .size:           8
        .value_kind:     global_buffer
      - .offset:         32
        .size:           8
        .value_kind:     by_value
      - .offset:         40
        .size:           8
        .value_kind:     by_value
      - .offset:         48
        .size:           8
        .value_kind:     by_value
      - .address_space:  global
        .offset:         56
        .size:           8
        .value_kind:     global_buffer
      - .offset:         64
        .size:           8
        .value_kind:     by_value
      - .offset:         72
        .size:           8
        .value_kind:     by_value
      - .offset:         80
        .size:           8
        .value_kind:     by_value
      - .offset:         88
        .size:           4
        .value_kind:     by_value
      - .offset:         96
        .size:           8
        .value_kind:     by_value
      - .address_space:  global
        .offset:         104
        .size:           8
        .value_kind:     global_buffer
      - .offset:         112
        .size:           8
        .value_kind:     by_value
      - .offset:         120
        .size:           8
        .value_kind:     by_value
      - .offset:         128
        .size:           8
        .value_kind:     by_value
      - .offset:         136
        .size:           4
        .value_kind:     by_value
    .group_segment_fixed_size: 128
    .kernarg_segment_align: 8
    .kernarg_segment_size: 140
    .language:       OpenCL C
    .language_version:
      - 2
      - 0
    .max_flat_workgroup_size: 256
    .name:           _ZL32rocblas_gemvt_warp_reduce_kernelILb0ELi256El16rocblas_bfloat16fS0_EviiT3_lPKT2_lT1_lS4_lS5_lS1_lPT4_lS5_li
    .private_segment_fixed_size: 0
    .sgpr_count:     46
    .sgpr_spill_count: 0
    .symbol:         _ZL32rocblas_gemvt_warp_reduce_kernelILb0ELi256El16rocblas_bfloat16fS0_EviiT3_lPKT2_lT1_lS4_lS5_lS1_lPT4_lS5_li.kd
    .uniform_work_group_size: 1
    .uses_dynamic_stack: false
    .vgpr_count:     23
    .vgpr_spill_count: 0
    .wavefront_size: 32
  - .args:
      - .offset:         0
        .size:           4
        .value_kind:     by_value
      - .offset:         4
        .size:           4
        .value_kind:     by_value
      - .address_space:  global
        .offset:         8
        .size:           8
        .value_kind:     global_buffer
      - .offset:         16
        .size:           8
        .value_kind:     by_value
      - .address_space:  global
        .offset:         24
        .size:           8
        .value_kind:     global_buffer
      - .offset:         32
        .size:           8
        .value_kind:     by_value
      - .offset:         40
        .size:           4
        .value_kind:     by_value
      - .offset:         48
        .size:           8
        .value_kind:     by_value
      - .address_space:  global
        .offset:         56
        .size:           8
        .value_kind:     global_buffer
      - .offset:         64
        .size:           8
        .value_kind:     by_value
      - .offset:         72
        .size:           4
        .value_kind:     by_value
      - .offset:         80
        .size:           8
        .value_kind:     by_value
      - .address_space:  global
        .offset:         88
        .size:           8
        .value_kind:     global_buffer
      - .offset:         96
        .size:           8
        .value_kind:     by_value
      - .address_space:  global
        .offset:         104
        .size:           8
        .value_kind:     global_buffer
      - .offset:         112
        .size:           8
        .value_kind:     by_value
      - .offset:         120
        .size:           4
        .value_kind:     by_value
      - .offset:         128
        .size:           8
        .value_kind:     by_value
      - .offset:         136
        .size:           4
        .value_kind:     by_value
    .group_segment_fixed_size: 1024
    .kernarg_segment_align: 8
    .kernarg_segment_size: 140
    .language:       OpenCL C
    .language_version:
      - 2
      - 0
    .max_flat_workgroup_size: 256
    .name:           _ZL20rocblas_gemvt_kernelILb0ELi256E16rocblas_bfloat16PKfS0_EviiT2_lPKT1_lilS6_lilS3_lPT3_lili
    .private_segment_fixed_size: 0
    .sgpr_count:     54
    .sgpr_spill_count: 0
    .symbol:         _ZL20rocblas_gemvt_kernelILb0ELi256E16rocblas_bfloat16PKfS0_EviiT2_lPKT1_lilS6_lilS3_lPT3_lili.kd
    .uniform_work_group_size: 1
    .uses_dynamic_stack: false
    .vgpr_count:     18
    .vgpr_spill_count: 0
    .wavefront_size: 32
  - .args:
      - .offset:         0
        .size:           4
        .value_kind:     by_value
      - .offset:         4
        .size:           4
        .value_kind:     by_value
      - .offset:         8
        .size:           4
        .value_kind:     by_value
      - .offset:         16
        .size:           8
        .value_kind:     by_value
      - .address_space:  global
        .offset:         24
        .size:           8
        .value_kind:     global_buffer
      - .offset:         32
        .size:           8
        .value_kind:     by_value
      - .offset:         40
        .size:           4
        .value_kind:     by_value
      - .offset:         48
        .size:           8
        .value_kind:     by_value
      - .address_space:  global
        .offset:         56
        .size:           8
        .value_kind:     global_buffer
      - .offset:         64
        .size:           8
        .value_kind:     by_value
      - .offset:         72
        .size:           4
        .value_kind:     by_value
      - .offset:         80
        .size:           8
        .value_kind:     by_value
      - .offset:         88
        .size:           4
        .value_kind:     by_value
      - .offset:         96
        .size:           8
        .value_kind:     by_value
      - .address_space:  global
        .offset:         104
        .size:           8
        .value_kind:     global_buffer
      - .offset:         112
        .size:           8
        .value_kind:     by_value
      - .offset:         120
        .size:           4
        .value_kind:     by_value
      - .offset:         128
        .size:           8
        .value_kind:     by_value
      - .offset:         136
        .size:           4
        .value_kind:     by_value
    .group_segment_fixed_size: 1024
    .kernarg_segment_align: 8
    .kernarg_segment_size: 140
    .language:       OpenCL C
    .language_version:
      - 2
      - 0
    .max_flat_workgroup_size: 256
    .name:           _ZL20rocblas_gemvt_kernelILb0ELi256E16rocblas_bfloat16fS0_EviiT2_lPKT1_lilS4_lilS1_lPT3_lili
    .private_segment_fixed_size: 0
    .sgpr_count:     50
    .sgpr_spill_count: 0
    .symbol:         _ZL20rocblas_gemvt_kernelILb0ELi256E16rocblas_bfloat16fS0_EviiT2_lPKT1_lilS4_lilS1_lPT3_lili.kd
    .uniform_work_group_size: 1
    .uses_dynamic_stack: false
    .vgpr_count:     18
    .vgpr_spill_count: 0
    .wavefront_size: 32
  - .args:
      - .offset:         0
        .size:           4
        .value_kind:     by_value
      - .offset:         4
        .size:           4
        .value_kind:     by_value
      - .address_space:  global
        .offset:         8
        .size:           8
        .value_kind:     global_buffer
      - .offset:         16
        .size:           8
        .value_kind:     by_value
      - .address_space:  global
        .offset:         24
        .size:           8
        .value_kind:     global_buffer
      - .offset:         32
        .size:           8
        .value_kind:     by_value
      - .offset:         40
        .size:           4
        .value_kind:     by_value
      - .offset:         48
        .size:           8
        .value_kind:     by_value
      - .address_space:  global
        .offset:         56
        .size:           8
        .value_kind:     global_buffer
      - .offset:         64
        .size:           8
        .value_kind:     by_value
      - .offset:         72
        .size:           4
        .value_kind:     by_value
      - .offset:         80
        .size:           8
        .value_kind:     by_value
      - .address_space:  global
        .offset:         88
        .size:           8
        .value_kind:     global_buffer
      - .offset:         96
        .size:           8
        .value_kind:     by_value
      - .address_space:  global
        .offset:         104
        .size:           8
        .value_kind:     global_buffer
      - .offset:         112
        .size:           8
        .value_kind:     by_value
      - .offset:         120
        .size:           4
        .value_kind:     by_value
      - .offset:         128
        .size:           8
        .value_kind:     by_value
      - .offset:         136
        .size:           4
        .value_kind:     by_value
    .group_segment_fixed_size: 128
    .kernarg_segment_align: 8
    .kernarg_segment_size: 140
    .language:       OpenCL C
    .language_version:
      - 2
      - 0
    .max_flat_workgroup_size: 1024
    .name:           _ZL32rocblas_gemvt_warp_reduce_kernelILb0ELi1024Ei16rocblas_bfloat16PKfS0_EviiT3_lPKT2_lT1_lS6_lS7_lS3_lPT4_lS7_li
    .private_segment_fixed_size: 0
    .sgpr_count:     46
    .sgpr_spill_count: 0
    .symbol:         _ZL32rocblas_gemvt_warp_reduce_kernelILb0ELi1024Ei16rocblas_bfloat16PKfS0_EviiT3_lPKT2_lT1_lS6_lS7_lS3_lPT4_lS7_li.kd
    .uniform_work_group_size: 1
    .uses_dynamic_stack: false
    .vgpr_count:     22
    .vgpr_spill_count: 0
    .wavefront_size: 32
  - .args:
      - .offset:         0
        .size:           4
        .value_kind:     by_value
      - .offset:         4
        .size:           4
        .value_kind:     by_value
      - .address_space:  global
        .offset:         8
        .size:           8
        .value_kind:     global_buffer
      - .offset:         16
        .size:           8
        .value_kind:     by_value
      - .address_space:  global
        .offset:         24
        .size:           8
        .value_kind:     global_buffer
      - .offset:         32
        .size:           8
        .value_kind:     by_value
      - .offset:         40
        .size:           8
        .value_kind:     by_value
      - .offset:         48
        .size:           8
        .value_kind:     by_value
      - .address_space:  global
        .offset:         56
        .size:           8
        .value_kind:     global_buffer
      - .offset:         64
        .size:           8
        .value_kind:     by_value
      - .offset:         72
        .size:           8
        .value_kind:     by_value
      - .offset:         80
        .size:           8
        .value_kind:     by_value
      - .address_space:  global
        .offset:         88
        .size:           8
        .value_kind:     global_buffer
      - .offset:         96
        .size:           8
        .value_kind:     by_value
      - .address_space:  global
        .offset:         104
        .size:           8
        .value_kind:     global_buffer
      - .offset:         112
        .size:           8
        .value_kind:     by_value
      - .offset:         120
        .size:           8
        .value_kind:     by_value
      - .offset:         128
        .size:           8
        .value_kind:     by_value
      - .offset:         136
        .size:           4
        .value_kind:     by_value
    .group_segment_fixed_size: 128
    .kernarg_segment_align: 8
    .kernarg_segment_size: 140
    .language:       OpenCL C
    .language_version:
      - 2
      - 0
    .max_flat_workgroup_size: 1024
    .name:           _ZL32rocblas_gemvt_warp_reduce_kernelILb0ELi1024El16rocblas_bfloat16PKfS0_EviiT3_lPKT2_lT1_lS6_lS7_lS3_lPT4_lS7_li
    .private_segment_fixed_size: 0
    .sgpr_count:     54
    .sgpr_spill_count: 0
    .symbol:         _ZL32rocblas_gemvt_warp_reduce_kernelILb0ELi1024El16rocblas_bfloat16PKfS0_EviiT3_lPKT2_lT1_lS6_lS7_lS3_lPT4_lS7_li.kd
    .uniform_work_group_size: 1
    .uses_dynamic_stack: false
    .vgpr_count:     24
    .vgpr_spill_count: 0
    .wavefront_size: 32
  - .args:
      - .offset:         0
        .size:           4
        .value_kind:     by_value
      - .offset:         4
        .size:           4
        .value_kind:     by_value
      - .offset:         8
        .size:           4
        .value_kind:     by_value
      - .offset:         16
        .size:           8
        .value_kind:     by_value
      - .address_space:  global
        .offset:         24
        .size:           8
        .value_kind:     global_buffer
      - .offset:         32
        .size:           8
        .value_kind:     by_value
      - .offset:         40
        .size:           4
        .value_kind:     by_value
      - .offset:         48
        .size:           8
        .value_kind:     by_value
      - .address_space:  global
        .offset:         56
        .size:           8
        .value_kind:     global_buffer
      - .offset:         64
        .size:           8
        .value_kind:     by_value
      - .offset:         72
        .size:           4
        .value_kind:     by_value
      - .offset:         80
        .size:           8
        .value_kind:     by_value
      - .offset:         88
        .size:           4
        .value_kind:     by_value
      - .offset:         96
        .size:           8
        .value_kind:     by_value
      - .address_space:  global
        .offset:         104
        .size:           8
        .value_kind:     global_buffer
      - .offset:         112
        .size:           8
        .value_kind:     by_value
      - .offset:         120
        .size:           4
        .value_kind:     by_value
      - .offset:         128
        .size:           8
        .value_kind:     by_value
      - .offset:         136
        .size:           4
        .value_kind:     by_value
    .group_segment_fixed_size: 128
    .kernarg_segment_align: 8
    .kernarg_segment_size: 140
    .language:       OpenCL C
    .language_version:
      - 2
      - 0
    .max_flat_workgroup_size: 1024
    .name:           _ZL32rocblas_gemvt_warp_reduce_kernelILb0ELi1024Ei16rocblas_bfloat16fS0_EviiT3_lPKT2_lT1_lS4_lS5_lS1_lPT4_lS5_li
    .private_segment_fixed_size: 0
    .sgpr_count:     42
    .sgpr_spill_count: 0
    .symbol:         _ZL32rocblas_gemvt_warp_reduce_kernelILb0ELi1024Ei16rocblas_bfloat16fS0_EviiT3_lPKT2_lT1_lS4_lS5_lS1_lPT4_lS5_li.kd
    .uniform_work_group_size: 1
    .uses_dynamic_stack: false
    .vgpr_count:     21
    .vgpr_spill_count: 0
    .wavefront_size: 32
  - .args:
      - .offset:         0
        .size:           4
        .value_kind:     by_value
      - .offset:         4
        .size:           4
        .value_kind:     by_value
      - .offset:         8
        .size:           4
        .value_kind:     by_value
      - .offset:         16
        .size:           8
        .value_kind:     by_value
      - .address_space:  global
        .offset:         24
        .size:           8
        .value_kind:     global_buffer
      - .offset:         32
        .size:           8
        .value_kind:     by_value
      - .offset:         40
        .size:           8
        .value_kind:     by_value
      - .offset:         48
        .size:           8
        .value_kind:     by_value
      - .address_space:  global
        .offset:         56
        .size:           8
        .value_kind:     global_buffer
      - .offset:         64
        .size:           8
        .value_kind:     by_value
      - .offset:         72
        .size:           8
        .value_kind:     by_value
      - .offset:         80
        .size:           8
        .value_kind:     by_value
      - .offset:         88
        .size:           4
        .value_kind:     by_value
      - .offset:         96
        .size:           8
        .value_kind:     by_value
      - .address_space:  global
        .offset:         104
        .size:           8
        .value_kind:     global_buffer
      - .offset:         112
        .size:           8
        .value_kind:     by_value
      - .offset:         120
        .size:           8
        .value_kind:     by_value
      - .offset:         128
        .size:           8
        .value_kind:     by_value
      - .offset:         136
        .size:           4
        .value_kind:     by_value
    .group_segment_fixed_size: 128
    .kernarg_segment_align: 8
    .kernarg_segment_size: 140
    .language:       OpenCL C
    .language_version:
      - 2
      - 0
    .max_flat_workgroup_size: 1024
    .name:           _ZL32rocblas_gemvt_warp_reduce_kernelILb0ELi1024El16rocblas_bfloat16fS0_EviiT3_lPKT2_lT1_lS4_lS5_lS1_lPT4_lS5_li
    .private_segment_fixed_size: 0
    .sgpr_count:     46
    .sgpr_spill_count: 0
    .symbol:         _ZL32rocblas_gemvt_warp_reduce_kernelILb0ELi1024El16rocblas_bfloat16fS0_EviiT3_lPKT2_lT1_lS4_lS5_lS1_lPT4_lS5_li.kd
    .uniform_work_group_size: 1
    .uses_dynamic_stack: false
    .vgpr_count:     23
    .vgpr_spill_count: 0
    .wavefront_size: 32
  - .args:
      - .offset:         0
        .size:           4
        .value_kind:     by_value
      - .offset:         4
        .size:           4
        .value_kind:     by_value
      - .address_space:  global
        .offset:         8
        .size:           8
        .value_kind:     global_buffer
      - .offset:         16
        .size:           8
        .value_kind:     by_value
      - .address_space:  global
        .offset:         24
        .size:           8
        .value_kind:     global_buffer
      - .offset:         32
        .size:           8
        .value_kind:     by_value
      - .offset:         40
        .size:           4
        .value_kind:     by_value
      - .offset:         48
        .size:           8
        .value_kind:     by_value
      - .address_space:  global
        .offset:         56
        .size:           8
        .value_kind:     global_buffer
      - .offset:         64
        .size:           8
        .value_kind:     by_value
      - .offset:         72
        .size:           4
        .value_kind:     by_value
      - .offset:         80
        .size:           8
        .value_kind:     by_value
      - .address_space:  global
        .offset:         88
        .size:           8
        .value_kind:     global_buffer
      - .offset:         96
        .size:           8
        .value_kind:     by_value
      - .address_space:  global
        .offset:         104
        .size:           8
        .value_kind:     global_buffer
      - .offset:         112
        .size:           8
        .value_kind:     by_value
      - .offset:         120
        .size:           4
        .value_kind:     by_value
      - .offset:         128
        .size:           8
        .value_kind:     by_value
    .group_segment_fixed_size: 256
    .kernarg_segment_align: 8
    .kernarg_segment_size: 136
    .language:       OpenCL C
    .language_version:
      - 2
      - 0
    .max_flat_workgroup_size: 256
    .name:           _ZL22rocblas_gemvtsm_kernelILb1ELi256E16rocblas_bfloat16PKfS0_EviiT2_lPKT1_lilS6_lilS3_lPT3_lil
    .private_segment_fixed_size: 0
    .sgpr_count:     32
    .sgpr_spill_count: 0
    .symbol:         _ZL22rocblas_gemvtsm_kernelILb1ELi256E16rocblas_bfloat16PKfS0_EviiT2_lPKT1_lilS6_lilS3_lPT3_lil.kd
    .uniform_work_group_size: 1
    .uses_dynamic_stack: false
    .vgpr_count:     17
    .vgpr_spill_count: 0
    .wavefront_size: 32
  - .args:
      - .offset:         0
        .size:           4
        .value_kind:     by_value
      - .offset:         4
        .size:           4
        .value_kind:     by_value
      - .offset:         8
        .size:           4
        .value_kind:     by_value
      - .offset:         16
        .size:           8
        .value_kind:     by_value
      - .address_space:  global
        .offset:         24
        .size:           8
        .value_kind:     global_buffer
      - .offset:         32
        .size:           8
        .value_kind:     by_value
      - .offset:         40
        .size:           4
        .value_kind:     by_value
      - .offset:         48
        .size:           8
        .value_kind:     by_value
      - .address_space:  global
        .offset:         56
        .size:           8
        .value_kind:     global_buffer
      - .offset:         64
        .size:           8
        .value_kind:     by_value
      - .offset:         72
        .size:           4
        .value_kind:     by_value
      - .offset:         80
        .size:           8
        .value_kind:     by_value
      - .offset:         88
        .size:           4
        .value_kind:     by_value
      - .offset:         96
        .size:           8
        .value_kind:     by_value
      - .address_space:  global
        .offset:         104
        .size:           8
        .value_kind:     global_buffer
      - .offset:         112
        .size:           8
        .value_kind:     by_value
      - .offset:         120
        .size:           4
        .value_kind:     by_value
      - .offset:         128
        .size:           8
        .value_kind:     by_value
    .group_segment_fixed_size: 256
    .kernarg_segment_align: 8
    .kernarg_segment_size: 136
    .language:       OpenCL C
    .language_version:
      - 2
      - 0
    .max_flat_workgroup_size: 256
    .name:           _ZL22rocblas_gemvtsm_kernelILb1ELi256E16rocblas_bfloat16fS0_EviiT2_lPKT1_lilS4_lilS1_lPT3_lil
    .private_segment_fixed_size: 0
    .sgpr_count:     28
    .sgpr_spill_count: 0
    .symbol:         _ZL22rocblas_gemvtsm_kernelILb1ELi256E16rocblas_bfloat16fS0_EviiT2_lPKT1_lilS4_lilS1_lPT3_lil.kd
    .uniform_work_group_size: 1
    .uses_dynamic_stack: false
    .vgpr_count:     17
    .vgpr_spill_count: 0
    .wavefront_size: 32
  - .args:
      - .offset:         0
        .size:           4
        .value_kind:     by_value
      - .offset:         4
        .size:           4
        .value_kind:     by_value
      - .address_space:  global
        .offset:         8
        .size:           8
        .value_kind:     global_buffer
      - .offset:         16
        .size:           8
        .value_kind:     by_value
      - .address_space:  global
        .offset:         24
        .size:           8
        .value_kind:     global_buffer
      - .offset:         32
        .size:           8
        .value_kind:     by_value
      - .offset:         40
        .size:           4
        .value_kind:     by_value
      - .offset:         48
        .size:           8
        .value_kind:     by_value
      - .address_space:  global
        .offset:         56
        .size:           8
        .value_kind:     global_buffer
      - .offset:         64
        .size:           8
        .value_kind:     by_value
      - .offset:         72
        .size:           4
        .value_kind:     by_value
      - .offset:         80
        .size:           8
        .value_kind:     by_value
      - .address_space:  global
        .offset:         88
        .size:           8
        .value_kind:     global_buffer
      - .offset:         96
        .size:           4
        .value_kind:     by_value
      - .offset:         104
        .size:           4
        .value_kind:     hidden_block_count_x
      - .offset:         108
        .size:           4
        .value_kind:     hidden_block_count_y
      - .offset:         112
        .size:           4
        .value_kind:     hidden_block_count_z
      - .offset:         116
        .size:           2
        .value_kind:     hidden_group_size_x
      - .offset:         118
        .size:           2
        .value_kind:     hidden_group_size_y
      - .offset:         120
        .size:           2
        .value_kind:     hidden_group_size_z
      - .offset:         122
        .size:           2
        .value_kind:     hidden_remainder_x
      - .offset:         124
        .size:           2
        .value_kind:     hidden_remainder_y
      - .offset:         126
        .size:           2
        .value_kind:     hidden_remainder_z
      - .offset:         144
        .size:           8
        .value_kind:     hidden_global_offset_x
      - .offset:         152
        .size:           8
        .value_kind:     hidden_global_offset_y
      - .offset:         160
        .size:           8
        .value_kind:     hidden_global_offset_z
      - .offset:         168
        .size:           2
        .value_kind:     hidden_grid_dims
    .group_segment_fixed_size: 128
    .kernarg_segment_align: 8
    .kernarg_segment_size: 360
    .language:       OpenCL C
    .language_version:
      - 2
      - 0
    .max_flat_workgroup_size: 256
    .name:           _ZL23rocblas_gemvt_sn_kernelILb1ELi256ELi4Ei16rocblas_bfloat16PKffEviiT4_lPKT3_lilS6_lilPT5_i
    .private_segment_fixed_size: 0
    .sgpr_count:     82
    .sgpr_spill_count: 0
    .symbol:         _ZL23rocblas_gemvt_sn_kernelILb1ELi256ELi4Ei16rocblas_bfloat16PKffEviiT4_lPKT3_lilS6_lilPT5_i.kd
    .uniform_work_group_size: 1
    .uses_dynamic_stack: false
    .vgpr_count:     64
    .vgpr_spill_count: 0
    .wavefront_size: 32
  - .args:
      - .offset:         0
        .size:           4
        .value_kind:     by_value
      - .offset:         4
        .size:           4
        .value_kind:     by_value
      - .address_space:  global
        .offset:         8
        .size:           8
        .value_kind:     global_buffer
      - .offset:         16
        .size:           8
        .value_kind:     by_value
      - .address_space:  global
        .offset:         24
        .size:           8
        .value_kind:     global_buffer
      - .offset:         32
        .size:           8
        .value_kind:     by_value
      - .offset:         40
        .size:           4
        .value_kind:     by_value
      - .offset:         48
        .size:           8
        .value_kind:     by_value
      - .address_space:  global
        .offset:         56
        .size:           8
        .value_kind:     global_buffer
      - .offset:         64
        .size:           8
        .value_kind:     by_value
      - .offset:         72
        .size:           4
        .value_kind:     by_value
      - .offset:         80
        .size:           8
        .value_kind:     by_value
      - .address_space:  global
        .offset:         88
        .size:           8
        .value_kind:     global_buffer
      - .offset:         96
        .size:           4
        .value_kind:     by_value
      - .offset:         104
        .size:           4
        .value_kind:     hidden_block_count_x
      - .offset:         108
        .size:           4
        .value_kind:     hidden_block_count_y
      - .offset:         112
        .size:           4
        .value_kind:     hidden_block_count_z
      - .offset:         116
        .size:           2
        .value_kind:     hidden_group_size_x
      - .offset:         118
        .size:           2
        .value_kind:     hidden_group_size_y
      - .offset:         120
        .size:           2
        .value_kind:     hidden_group_size_z
      - .offset:         122
        .size:           2
        .value_kind:     hidden_remainder_x
      - .offset:         124
        .size:           2
        .value_kind:     hidden_remainder_y
      - .offset:         126
        .size:           2
        .value_kind:     hidden_remainder_z
      - .offset:         144
        .size:           8
        .value_kind:     hidden_global_offset_x
      - .offset:         152
        .size:           8
        .value_kind:     hidden_global_offset_y
      - .offset:         160
        .size:           8
        .value_kind:     hidden_global_offset_z
      - .offset:         168
        .size:           2
        .value_kind:     hidden_grid_dims
    .group_segment_fixed_size: 128
    .kernarg_segment_align: 8
    .kernarg_segment_size: 360
    .language:       OpenCL C
    .language_version:
      - 2
      - 0
    .max_flat_workgroup_size: 256
    .name:           _ZL23rocblas_gemvt_sn_kernelILb1ELi256ELi4El16rocblas_bfloat16PKffEviiT4_lPKT3_lilS6_lilPT5_i
    .private_segment_fixed_size: 0
    .sgpr_count:     76
    .sgpr_spill_count: 0
    .symbol:         _ZL23rocblas_gemvt_sn_kernelILb1ELi256ELi4El16rocblas_bfloat16PKffEviiT4_lPKT3_lilS6_lilPT5_i.kd
    .uniform_work_group_size: 1
    .uses_dynamic_stack: false
    .vgpr_count:     68
    .vgpr_spill_count: 0
    .wavefront_size: 32
  - .args:
      - .offset:         0
        .size:           4
        .value_kind:     by_value
      - .offset:         4
        .size:           4
        .value_kind:     by_value
      - .offset:         8
        .size:           4
        .value_kind:     by_value
      - .offset:         16
        .size:           8
        .value_kind:     by_value
      - .address_space:  global
        .offset:         24
        .size:           8
        .value_kind:     global_buffer
      - .offset:         32
        .size:           8
        .value_kind:     by_value
      - .offset:         40
        .size:           4
        .value_kind:     by_value
      - .offset:         48
        .size:           8
        .value_kind:     by_value
      - .address_space:  global
        .offset:         56
        .size:           8
        .value_kind:     global_buffer
      - .offset:         64
        .size:           8
        .value_kind:     by_value
      - .offset:         72
        .size:           4
        .value_kind:     by_value
      - .offset:         80
        .size:           8
        .value_kind:     by_value
      - .address_space:  global
        .offset:         88
        .size:           8
        .value_kind:     global_buffer
      - .offset:         96
        .size:           4
        .value_kind:     by_value
      - .offset:         104
        .size:           4
        .value_kind:     hidden_block_count_x
      - .offset:         108
        .size:           4
        .value_kind:     hidden_block_count_y
      - .offset:         112
        .size:           4
        .value_kind:     hidden_block_count_z
      - .offset:         116
        .size:           2
        .value_kind:     hidden_group_size_x
      - .offset:         118
        .size:           2
        .value_kind:     hidden_group_size_y
      - .offset:         120
        .size:           2
        .value_kind:     hidden_group_size_z
      - .offset:         122
        .size:           2
        .value_kind:     hidden_remainder_x
      - .offset:         124
        .size:           2
        .value_kind:     hidden_remainder_y
      - .offset:         126
        .size:           2
        .value_kind:     hidden_remainder_z
      - .offset:         144
        .size:           8
        .value_kind:     hidden_global_offset_x
      - .offset:         152
        .size:           8
        .value_kind:     hidden_global_offset_y
      - .offset:         160
        .size:           8
        .value_kind:     hidden_global_offset_z
      - .offset:         168
        .size:           2
        .value_kind:     hidden_grid_dims
    .group_segment_fixed_size: 128
    .kernarg_segment_align: 8
    .kernarg_segment_size: 360
    .language:       OpenCL C
    .language_version:
      - 2
      - 0
    .max_flat_workgroup_size: 256
    .name:           _ZL23rocblas_gemvt_sn_kernelILb1ELi256ELi4Ei16rocblas_bfloat16ffEviiT4_lPKT3_lilS4_lilPT5_i
    .private_segment_fixed_size: 0
    .sgpr_count:     80
    .sgpr_spill_count: 0
    .symbol:         _ZL23rocblas_gemvt_sn_kernelILb1ELi256ELi4Ei16rocblas_bfloat16ffEviiT4_lPKT3_lilS4_lilPT5_i.kd
    .uniform_work_group_size: 1
    .uses_dynamic_stack: false
    .vgpr_count:     63
    .vgpr_spill_count: 0
    .wavefront_size: 32
  - .args:
      - .offset:         0
        .size:           4
        .value_kind:     by_value
      - .offset:         4
        .size:           4
        .value_kind:     by_value
      - .offset:         8
        .size:           4
        .value_kind:     by_value
      - .offset:         16
        .size:           8
        .value_kind:     by_value
      - .address_space:  global
        .offset:         24
        .size:           8
        .value_kind:     global_buffer
      - .offset:         32
        .size:           8
        .value_kind:     by_value
      - .offset:         40
        .size:           4
        .value_kind:     by_value
      - .offset:         48
        .size:           8
        .value_kind:     by_value
      - .address_space:  global
        .offset:         56
        .size:           8
        .value_kind:     global_buffer
      - .offset:         64
        .size:           8
        .value_kind:     by_value
      - .offset:         72
        .size:           4
        .value_kind:     by_value
      - .offset:         80
        .size:           8
        .value_kind:     by_value
      - .address_space:  global
        .offset:         88
        .size:           8
        .value_kind:     global_buffer
      - .offset:         96
        .size:           4
        .value_kind:     by_value
      - .offset:         104
        .size:           4
        .value_kind:     hidden_block_count_x
      - .offset:         108
        .size:           4
        .value_kind:     hidden_block_count_y
      - .offset:         112
        .size:           4
        .value_kind:     hidden_block_count_z
      - .offset:         116
        .size:           2
        .value_kind:     hidden_group_size_x
      - .offset:         118
        .size:           2
        .value_kind:     hidden_group_size_y
      - .offset:         120
        .size:           2
        .value_kind:     hidden_group_size_z
      - .offset:         122
        .size:           2
        .value_kind:     hidden_remainder_x
      - .offset:         124
        .size:           2
        .value_kind:     hidden_remainder_y
      - .offset:         126
        .size:           2
        .value_kind:     hidden_remainder_z
      - .offset:         144
        .size:           8
        .value_kind:     hidden_global_offset_x
      - .offset:         152
        .size:           8
        .value_kind:     hidden_global_offset_y
      - .offset:         160
        .size:           8
        .value_kind:     hidden_global_offset_z
      - .offset:         168
        .size:           2
        .value_kind:     hidden_grid_dims
    .group_segment_fixed_size: 128
    .kernarg_segment_align: 8
    .kernarg_segment_size: 360
    .language:       OpenCL C
    .language_version:
      - 2
      - 0
    .max_flat_workgroup_size: 256
    .name:           _ZL23rocblas_gemvt_sn_kernelILb1ELi256ELi4El16rocblas_bfloat16ffEviiT4_lPKT3_lilS4_lilPT5_i
    .private_segment_fixed_size: 0
    .sgpr_count:     74
    .sgpr_spill_count: 0
    .symbol:         _ZL23rocblas_gemvt_sn_kernelILb1ELi256ELi4El16rocblas_bfloat16ffEviiT4_lPKT3_lilS4_lilPT5_i.kd
    .uniform_work_group_size: 1
    .uses_dynamic_stack: false
    .vgpr_count:     67
    .vgpr_spill_count: 0
    .wavefront_size: 32
  - .args:
      - .offset:         0
        .size:           4
        .value_kind:     by_value
      - .offset:         4
        .size:           4
        .value_kind:     by_value
      - .address_space:  global
        .offset:         8
        .size:           8
        .value_kind:     global_buffer
      - .offset:         16
        .size:           8
        .value_kind:     by_value
      - .address_space:  global
        .offset:         24
        .size:           8
        .value_kind:     global_buffer
      - .offset:         32
        .size:           8
        .value_kind:     by_value
      - .offset:         40
        .size:           4
        .value_kind:     by_value
      - .offset:         48
        .size:           8
        .value_kind:     by_value
      - .address_space:  global
        .offset:         56
        .size:           8
        .value_kind:     global_buffer
      - .offset:         64
        .size:           8
        .value_kind:     by_value
      - .offset:         72
        .size:           4
        .value_kind:     by_value
      - .offset:         80
        .size:           8
        .value_kind:     by_value
      - .address_space:  global
        .offset:         88
        .size:           8
        .value_kind:     global_buffer
      - .offset:         96
        .size:           8
        .value_kind:     by_value
      - .address_space:  global
        .offset:         104
        .size:           8
        .value_kind:     global_buffer
      - .offset:         112
        .size:           8
        .value_kind:     by_value
      - .offset:         120
        .size:           4
        .value_kind:     by_value
      - .offset:         128
        .size:           8
        .value_kind:     by_value
      - .offset:         136
        .size:           4
        .value_kind:     by_value
    .group_segment_fixed_size: 1024
    .kernarg_segment_align: 8
    .kernarg_segment_size: 140
    .language:       OpenCL C
    .language_version:
      - 2
      - 0
    .max_flat_workgroup_size: 256
    .name:           _ZL20rocblas_gemvt_kernelILb1ELi256E16rocblas_bfloat16PKfS0_EviiT2_lPKT1_lilS6_lilS3_lPT3_lili
    .private_segment_fixed_size: 0
    .sgpr_count:     54
    .sgpr_spill_count: 0
    .symbol:         _ZL20rocblas_gemvt_kernelILb1ELi256E16rocblas_bfloat16PKfS0_EviiT2_lPKT1_lilS6_lilS3_lPT3_lili.kd
    .uniform_work_group_size: 1
    .uses_dynamic_stack: false
    .vgpr_count:     18
    .vgpr_spill_count: 0
    .wavefront_size: 32
  - .args:
      - .offset:         0
        .size:           4
        .value_kind:     by_value
      - .offset:         4
        .size:           4
        .value_kind:     by_value
      - .offset:         8
        .size:           4
        .value_kind:     by_value
      - .offset:         16
        .size:           8
        .value_kind:     by_value
      - .address_space:  global
        .offset:         24
        .size:           8
        .value_kind:     global_buffer
      - .offset:         32
        .size:           8
        .value_kind:     by_value
      - .offset:         40
        .size:           4
        .value_kind:     by_value
      - .offset:         48
        .size:           8
        .value_kind:     by_value
      - .address_space:  global
        .offset:         56
        .size:           8
        .value_kind:     global_buffer
      - .offset:         64
        .size:           8
        .value_kind:     by_value
      - .offset:         72
        .size:           4
        .value_kind:     by_value
      - .offset:         80
        .size:           8
        .value_kind:     by_value
      - .offset:         88
        .size:           4
        .value_kind:     by_value
      - .offset:         96
        .size:           8
        .value_kind:     by_value
      - .address_space:  global
        .offset:         104
        .size:           8
        .value_kind:     global_buffer
      - .offset:         112
        .size:           8
        .value_kind:     by_value
      - .offset:         120
        .size:           4
        .value_kind:     by_value
      - .offset:         128
        .size:           8
        .value_kind:     by_value
      - .offset:         136
        .size:           4
        .value_kind:     by_value
    .group_segment_fixed_size: 1024
    .kernarg_segment_align: 8
    .kernarg_segment_size: 140
    .language:       OpenCL C
    .language_version:
      - 2
      - 0
    .max_flat_workgroup_size: 256
    .name:           _ZL20rocblas_gemvt_kernelILb1ELi256E16rocblas_bfloat16fS0_EviiT2_lPKT1_lilS4_lilS1_lPT3_lili
    .private_segment_fixed_size: 0
    .sgpr_count:     50
    .sgpr_spill_count: 0
    .symbol:         _ZL20rocblas_gemvt_kernelILb1ELi256E16rocblas_bfloat16fS0_EviiT2_lPKT1_lilS4_lilS1_lPT3_lili.kd
    .uniform_work_group_size: 1
    .uses_dynamic_stack: false
    .vgpr_count:     18
    .vgpr_spill_count: 0
    .wavefront_size: 32
  - .args:
      - .offset:         0
        .size:           4
        .value_kind:     by_value
      - .offset:         4
        .size:           4
        .value_kind:     by_value
      - .address_space:  global
        .offset:         8
        .size:           8
        .value_kind:     global_buffer
      - .offset:         16
        .size:           8
        .value_kind:     by_value
      - .address_space:  global
        .offset:         24
        .size:           8
        .value_kind:     global_buffer
      - .offset:         32
        .size:           8
        .value_kind:     by_value
      - .offset:         40
        .size:           4
        .value_kind:     by_value
      - .offset:         48
        .size:           8
        .value_kind:     by_value
      - .address_space:  global
        .offset:         56
        .size:           8
        .value_kind:     global_buffer
      - .offset:         64
        .size:           8
        .value_kind:     by_value
      - .offset:         72
        .size:           4
        .value_kind:     by_value
      - .offset:         80
        .size:           8
        .value_kind:     by_value
      - .address_space:  global
        .offset:         88
        .size:           8
        .value_kind:     global_buffer
      - .offset:         96
        .size:           8
        .value_kind:     by_value
      - .address_space:  global
        .offset:         104
        .size:           8
        .value_kind:     global_buffer
      - .offset:         112
        .size:           8
        .value_kind:     by_value
      - .offset:         120
        .size:           4
        .value_kind:     by_value
      - .offset:         128
        .size:           8
        .value_kind:     by_value
      - .offset:         136
        .size:           4
        .value_kind:     by_value
    .group_segment_fixed_size: 128
    .kernarg_segment_align: 8
    .kernarg_segment_size: 140
    .language:       OpenCL C
    .language_version:
      - 2
      - 0
    .max_flat_workgroup_size: 1024
    .name:           _ZL32rocblas_gemvt_warp_reduce_kernelILb1ELi1024Ei16rocblas_bfloat16PKfS0_EviiT3_lPKT2_lT1_lS6_lS7_lS3_lPT4_lS7_li
    .private_segment_fixed_size: 0
    .sgpr_count:     46
    .sgpr_spill_count: 0
    .symbol:         _ZL32rocblas_gemvt_warp_reduce_kernelILb1ELi1024Ei16rocblas_bfloat16PKfS0_EviiT3_lPKT2_lT1_lS6_lS7_lS3_lPT4_lS7_li.kd
    .uniform_work_group_size: 1
    .uses_dynamic_stack: false
    .vgpr_count:     22
    .vgpr_spill_count: 0
    .wavefront_size: 32
  - .args:
      - .offset:         0
        .size:           4
        .value_kind:     by_value
      - .offset:         4
        .size:           4
        .value_kind:     by_value
      - .address_space:  global
        .offset:         8
        .size:           8
        .value_kind:     global_buffer
      - .offset:         16
        .size:           8
        .value_kind:     by_value
      - .address_space:  global
        .offset:         24
        .size:           8
        .value_kind:     global_buffer
      - .offset:         32
        .size:           8
        .value_kind:     by_value
      - .offset:         40
        .size:           8
        .value_kind:     by_value
      - .offset:         48
        .size:           8
        .value_kind:     by_value
      - .address_space:  global
        .offset:         56
        .size:           8
        .value_kind:     global_buffer
      - .offset:         64
        .size:           8
        .value_kind:     by_value
      - .offset:         72
        .size:           8
        .value_kind:     by_value
      - .offset:         80
        .size:           8
        .value_kind:     by_value
      - .address_space:  global
        .offset:         88
        .size:           8
        .value_kind:     global_buffer
      - .offset:         96
        .size:           8
        .value_kind:     by_value
      - .address_space:  global
        .offset:         104
        .size:           8
        .value_kind:     global_buffer
      - .offset:         112
        .size:           8
        .value_kind:     by_value
      - .offset:         120
        .size:           8
        .value_kind:     by_value
      - .offset:         128
        .size:           8
        .value_kind:     by_value
      - .offset:         136
        .size:           4
        .value_kind:     by_value
    .group_segment_fixed_size: 128
    .kernarg_segment_align: 8
    .kernarg_segment_size: 140
    .language:       OpenCL C
    .language_version:
      - 2
      - 0
    .max_flat_workgroup_size: 1024
    .name:           _ZL32rocblas_gemvt_warp_reduce_kernelILb1ELi1024El16rocblas_bfloat16PKfS0_EviiT3_lPKT2_lT1_lS6_lS7_lS3_lPT4_lS7_li
    .private_segment_fixed_size: 0
    .sgpr_count:     54
    .sgpr_spill_count: 0
    .symbol:         _ZL32rocblas_gemvt_warp_reduce_kernelILb1ELi1024El16rocblas_bfloat16PKfS0_EviiT3_lPKT2_lT1_lS6_lS7_lS3_lPT4_lS7_li.kd
    .uniform_work_group_size: 1
    .uses_dynamic_stack: false
    .vgpr_count:     24
    .vgpr_spill_count: 0
    .wavefront_size: 32
  - .args:
      - .offset:         0
        .size:           4
        .value_kind:     by_value
      - .offset:         4
        .size:           4
        .value_kind:     by_value
      - .offset:         8
        .size:           4
        .value_kind:     by_value
      - .offset:         16
        .size:           8
        .value_kind:     by_value
      - .address_space:  global
        .offset:         24
        .size:           8
        .value_kind:     global_buffer
      - .offset:         32
        .size:           8
        .value_kind:     by_value
      - .offset:         40
        .size:           4
        .value_kind:     by_value
      - .offset:         48
        .size:           8
        .value_kind:     by_value
      - .address_space:  global
        .offset:         56
        .size:           8
        .value_kind:     global_buffer
      - .offset:         64
        .size:           8
        .value_kind:     by_value
      - .offset:         72
        .size:           4
        .value_kind:     by_value
      - .offset:         80
        .size:           8
        .value_kind:     by_value
      - .offset:         88
        .size:           4
        .value_kind:     by_value
      - .offset:         96
        .size:           8
        .value_kind:     by_value
      - .address_space:  global
        .offset:         104
        .size:           8
        .value_kind:     global_buffer
      - .offset:         112
        .size:           8
        .value_kind:     by_value
      - .offset:         120
        .size:           4
        .value_kind:     by_value
      - .offset:         128
        .size:           8
        .value_kind:     by_value
      - .offset:         136
        .size:           4
        .value_kind:     by_value
    .group_segment_fixed_size: 128
    .kernarg_segment_align: 8
    .kernarg_segment_size: 140
    .language:       OpenCL C
    .language_version:
      - 2
      - 0
    .max_flat_workgroup_size: 1024
    .name:           _ZL32rocblas_gemvt_warp_reduce_kernelILb1ELi1024Ei16rocblas_bfloat16fS0_EviiT3_lPKT2_lT1_lS4_lS5_lS1_lPT4_lS5_li
    .private_segment_fixed_size: 0
    .sgpr_count:     42
    .sgpr_spill_count: 0
    .symbol:         _ZL32rocblas_gemvt_warp_reduce_kernelILb1ELi1024Ei16rocblas_bfloat16fS0_EviiT3_lPKT2_lT1_lS4_lS5_lS1_lPT4_lS5_li.kd
    .uniform_work_group_size: 1
    .uses_dynamic_stack: false
    .vgpr_count:     21
    .vgpr_spill_count: 0
    .wavefront_size: 32
  - .args:
      - .offset:         0
        .size:           4
        .value_kind:     by_value
      - .offset:         4
        .size:           4
        .value_kind:     by_value
      - .offset:         8
        .size:           4
        .value_kind:     by_value
      - .offset:         16
        .size:           8
        .value_kind:     by_value
      - .address_space:  global
        .offset:         24
        .size:           8
        .value_kind:     global_buffer
      - .offset:         32
        .size:           8
        .value_kind:     by_value
      - .offset:         40
        .size:           8
        .value_kind:     by_value
      - .offset:         48
        .size:           8
        .value_kind:     by_value
      - .address_space:  global
        .offset:         56
        .size:           8
        .value_kind:     global_buffer
      - .offset:         64
        .size:           8
        .value_kind:     by_value
      - .offset:         72
        .size:           8
        .value_kind:     by_value
      - .offset:         80
        .size:           8
        .value_kind:     by_value
      - .offset:         88
        .size:           4
        .value_kind:     by_value
      - .offset:         96
        .size:           8
        .value_kind:     by_value
      - .address_space:  global
        .offset:         104
        .size:           8
        .value_kind:     global_buffer
      - .offset:         112
        .size:           8
        .value_kind:     by_value
      - .offset:         120
        .size:           8
        .value_kind:     by_value
      - .offset:         128
        .size:           8
        .value_kind:     by_value
      - .offset:         136
        .size:           4
        .value_kind:     by_value
    .group_segment_fixed_size: 128
    .kernarg_segment_align: 8
    .kernarg_segment_size: 140
    .language:       OpenCL C
    .language_version:
      - 2
      - 0
    .max_flat_workgroup_size: 1024
    .name:           _ZL32rocblas_gemvt_warp_reduce_kernelILb1ELi1024El16rocblas_bfloat16fS0_EviiT3_lPKT2_lT1_lS4_lS5_lS1_lPT4_lS5_li
    .private_segment_fixed_size: 0
    .sgpr_count:     46
    .sgpr_spill_count: 0
    .symbol:         _ZL32rocblas_gemvt_warp_reduce_kernelILb1ELi1024El16rocblas_bfloat16fS0_EviiT3_lPKT2_lT1_lS4_lS5_lS1_lPT4_lS5_li.kd
    .uniform_work_group_size: 1
    .uses_dynamic_stack: false
    .vgpr_count:     23
    .vgpr_spill_count: 0
    .wavefront_size: 32
  - .args:
      - .offset:         0
        .size:           4
        .value_kind:     by_value
      - .offset:         4
        .size:           4
        .value_kind:     by_value
      - .address_space:  global
        .offset:         8
        .size:           8
        .value_kind:     global_buffer
      - .offset:         16
        .size:           8
        .value_kind:     by_value
      - .address_space:  global
        .offset:         24
        .size:           8
        .value_kind:     global_buffer
      - .offset:         32
        .size:           8
        .value_kind:     by_value
      - .offset:         40
        .size:           4
        .value_kind:     by_value
      - .offset:         48
        .size:           8
        .value_kind:     by_value
      - .address_space:  global
        .offset:         56
        .size:           8
        .value_kind:     global_buffer
      - .offset:         64
        .size:           8
        .value_kind:     by_value
      - .offset:         72
        .size:           4
        .value_kind:     by_value
      - .offset:         80
        .size:           8
        .value_kind:     by_value
      - .address_space:  global
        .offset:         88
        .size:           8
        .value_kind:     global_buffer
      - .offset:         96
        .size:           8
        .value_kind:     by_value
      - .address_space:  global
        .offset:         104
        .size:           8
        .value_kind:     global_buffer
      - .offset:         112
        .size:           8
        .value_kind:     by_value
      - .offset:         120
        .size:           4
        .value_kind:     by_value
      - .offset:         128
        .size:           8
        .value_kind:     by_value
      - .offset:         136
        .size:           4
        .value_kind:     by_value
    .group_segment_fixed_size: 0
    .kernarg_segment_align: 8
    .kernarg_segment_size: 140
    .language:       OpenCL C
    .language_version:
      - 2
      - 0
    .max_flat_workgroup_size: 768
    .name:           _ZL34rocblas_gemvn_sm_mn_batched_kernelILi32ELi24EPK16rocblas_bfloat16PKfKPS0_EviiT2_lPKT1_lilSA_lilS7_lPT3_lili
    .private_segment_fixed_size: 0
    .sgpr_count:     0
    .sgpr_spill_count: 0
    .symbol:         _ZL34rocblas_gemvn_sm_mn_batched_kernelILi32ELi24EPK16rocblas_bfloat16PKfKPS0_EviiT2_lPKT1_lilSA_lilS7_lPT3_lili.kd
    .uniform_work_group_size: 1
    .uses_dynamic_stack: false
    .vgpr_count:     0
    .vgpr_spill_count: 0
    .wavefront_size: 32
  - .args:
      - .offset:         0
        .size:           4
        .value_kind:     by_value
      - .offset:         4
        .size:           4
        .value_kind:     by_value
      - .offset:         8
        .size:           4
        .value_kind:     by_value
      - .offset:         16
        .size:           8
        .value_kind:     by_value
      - .address_space:  global
        .offset:         24
        .size:           8
        .value_kind:     global_buffer
      - .offset:         32
        .size:           8
        .value_kind:     by_value
      - .offset:         40
        .size:           4
        .value_kind:     by_value
      - .offset:         48
        .size:           8
        .value_kind:     by_value
      - .address_space:  global
        .offset:         56
        .size:           8
        .value_kind:     global_buffer
      - .offset:         64
        .size:           8
        .value_kind:     by_value
      - .offset:         72
        .size:           4
        .value_kind:     by_value
      - .offset:         80
        .size:           8
        .value_kind:     by_value
      - .offset:         88
        .size:           4
        .value_kind:     by_value
      - .offset:         96
        .size:           8
        .value_kind:     by_value
      - .address_space:  global
        .offset:         104
        .size:           8
        .value_kind:     global_buffer
      - .offset:         112
        .size:           8
        .value_kind:     by_value
      - .offset:         120
        .size:           4
        .value_kind:     by_value
      - .offset:         128
        .size:           8
        .value_kind:     by_value
      - .offset:         136
        .size:           4
        .value_kind:     by_value
    .group_segment_fixed_size: 0
    .kernarg_segment_align: 8
    .kernarg_segment_size: 140
    .language:       OpenCL C
    .language_version:
      - 2
      - 0
    .max_flat_workgroup_size: 768
    .name:           _ZL34rocblas_gemvn_sm_mn_batched_kernelILi32ELi24EPK16rocblas_bfloat16fKPS0_EviiT2_lPKT1_lilS8_lilS5_lPT3_lili
    .private_segment_fixed_size: 0
    .sgpr_count:     0
    .sgpr_spill_count: 0
    .symbol:         _ZL34rocblas_gemvn_sm_mn_batched_kernelILi32ELi24EPK16rocblas_bfloat16fKPS0_EviiT2_lPKT1_lilS8_lilS5_lPT3_lili.kd
    .uniform_work_group_size: 1
    .uses_dynamic_stack: false
    .vgpr_count:     0
    .vgpr_spill_count: 0
    .wavefront_size: 32
  - .args:
      - .offset:         0
        .size:           4
        .value_kind:     by_value
      - .offset:         4
        .size:           4
        .value_kind:     by_value
      - .address_space:  global
        .offset:         8
        .size:           8
        .value_kind:     global_buffer
      - .offset:         16
        .size:           8
        .value_kind:     by_value
      - .address_space:  global
        .offset:         24
        .size:           8
        .value_kind:     global_buffer
      - .offset:         32
        .size:           8
        .value_kind:     by_value
      - .offset:         40
        .size:           4
        .value_kind:     by_value
      - .offset:         48
        .size:           8
        .value_kind:     by_value
      - .address_space:  global
        .offset:         56
        .size:           8
        .value_kind:     global_buffer
      - .offset:         64
        .size:           8
        .value_kind:     by_value
      - .offset:         72
        .size:           4
        .value_kind:     by_value
      - .offset:         80
        .size:           8
        .value_kind:     by_value
      - .address_space:  global
        .offset:         88
        .size:           8
        .value_kind:     global_buffer
      - .offset:         96
        .size:           8
        .value_kind:     by_value
      - .address_space:  global
        .offset:         104
        .size:           8
        .value_kind:     global_buffer
      - .offset:         112
        .size:           8
        .value_kind:     by_value
      - .offset:         120
        .size:           4
        .value_kind:     by_value
      - .offset:         128
        .size:           8
        .value_kind:     by_value
      - .offset:         136
        .size:           4
        .value_kind:     by_value
      - .offset:         144
        .size:           4
        .value_kind:     hidden_block_count_x
      - .offset:         148
        .size:           4
        .value_kind:     hidden_block_count_y
      - .offset:         152
        .size:           4
        .value_kind:     hidden_block_count_z
      - .offset:         156
        .size:           2
        .value_kind:     hidden_group_size_x
      - .offset:         158
        .size:           2
        .value_kind:     hidden_group_size_y
      - .offset:         160
        .size:           2
        .value_kind:     hidden_group_size_z
      - .offset:         162
        .size:           2
        .value_kind:     hidden_remainder_x
      - .offset:         164
        .size:           2
        .value_kind:     hidden_remainder_y
      - .offset:         166
        .size:           2
        .value_kind:     hidden_remainder_z
      - .offset:         184
        .size:           8
        .value_kind:     hidden_global_offset_x
      - .offset:         192
        .size:           8
        .value_kind:     hidden_global_offset_y
      - .offset:         200
        .size:           8
        .value_kind:     hidden_global_offset_z
      - .offset:         208
        .size:           2
        .value_kind:     hidden_grid_dims
    .group_segment_fixed_size: 4096
    .kernarg_segment_align: 8
    .kernarg_segment_size: 400
    .language:       OpenCL C
    .language_version:
      - 2
      - 0
    .max_flat_workgroup_size: 256
    .name:           _ZL20rocblas_gemvn_kernelILi64ELi4EiPK16rocblas_bfloat16PKfKPS0_EviiT3_lPKT2_lT1_lSA_lSB_lS7_lPT4_lSB_li
    .private_segment_fixed_size: 0
    .sgpr_count:     52
    .sgpr_spill_count: 0
    .symbol:         _ZL20rocblas_gemvn_kernelILi64ELi4EiPK16rocblas_bfloat16PKfKPS0_EviiT3_lPKT2_lT1_lSA_lSB_lS7_lPT4_lSB_li.kd
    .uniform_work_group_size: 1
    .uses_dynamic_stack: false
    .vgpr_count:     61
    .vgpr_spill_count: 0
    .wavefront_size: 32
  - .args:
      - .offset:         0
        .size:           4
        .value_kind:     by_value
      - .offset:         4
        .size:           4
        .value_kind:     by_value
      - .address_space:  global
        .offset:         8
        .size:           8
        .value_kind:     global_buffer
      - .offset:         16
        .size:           8
        .value_kind:     by_value
      - .address_space:  global
        .offset:         24
        .size:           8
        .value_kind:     global_buffer
      - .offset:         32
        .size:           8
        .value_kind:     by_value
      - .offset:         40
        .size:           8
        .value_kind:     by_value
      - .offset:         48
        .size:           8
        .value_kind:     by_value
      - .address_space:  global
        .offset:         56
        .size:           8
        .value_kind:     global_buffer
      - .offset:         64
        .size:           8
        .value_kind:     by_value
      - .offset:         72
        .size:           8
        .value_kind:     by_value
      - .offset:         80
        .size:           8
        .value_kind:     by_value
      - .address_space:  global
        .offset:         88
        .size:           8
        .value_kind:     global_buffer
      - .offset:         96
        .size:           8
        .value_kind:     by_value
      - .address_space:  global
        .offset:         104
        .size:           8
        .value_kind:     global_buffer
      - .offset:         112
        .size:           8
        .value_kind:     by_value
      - .offset:         120
        .size:           8
        .value_kind:     by_value
      - .offset:         128
        .size:           8
        .value_kind:     by_value
      - .offset:         136
        .size:           4
        .value_kind:     by_value
      - .offset:         144
        .size:           4
        .value_kind:     hidden_block_count_x
      - .offset:         148
        .size:           4
        .value_kind:     hidden_block_count_y
      - .offset:         152
        .size:           4
        .value_kind:     hidden_block_count_z
      - .offset:         156
        .size:           2
        .value_kind:     hidden_group_size_x
      - .offset:         158
        .size:           2
        .value_kind:     hidden_group_size_y
      - .offset:         160
        .size:           2
        .value_kind:     hidden_group_size_z
      - .offset:         162
        .size:           2
        .value_kind:     hidden_remainder_x
      - .offset:         164
        .size:           2
        .value_kind:     hidden_remainder_y
      - .offset:         166
        .size:           2
        .value_kind:     hidden_remainder_z
      - .offset:         184
        .size:           8
        .value_kind:     hidden_global_offset_x
      - .offset:         192
        .size:           8
        .value_kind:     hidden_global_offset_y
      - .offset:         200
        .size:           8
        .value_kind:     hidden_global_offset_z
      - .offset:         208
        .size:           2
        .value_kind:     hidden_grid_dims
    .group_segment_fixed_size: 4096
    .kernarg_segment_align: 8
    .kernarg_segment_size: 400
    .language:       OpenCL C
    .language_version:
      - 2
      - 0
    .max_flat_workgroup_size: 256
    .name:           _ZL20rocblas_gemvn_kernelILi64ELi4ElPK16rocblas_bfloat16PKfKPS0_EviiT3_lPKT2_lT1_lSA_lSB_lS7_lPT4_lSB_li
    .private_segment_fixed_size: 0
    .sgpr_count:     53
    .sgpr_spill_count: 0
    .symbol:         _ZL20rocblas_gemvn_kernelILi64ELi4ElPK16rocblas_bfloat16PKfKPS0_EviiT3_lPKT2_lT1_lSA_lSB_lS7_lPT4_lSB_li.kd
    .uniform_work_group_size: 1
    .uses_dynamic_stack: false
    .vgpr_count:     76
    .vgpr_spill_count: 0
    .wavefront_size: 32
  - .args:
      - .offset:         0
        .size:           4
        .value_kind:     by_value
      - .offset:         4
        .size:           4
        .value_kind:     by_value
      - .offset:         8
        .size:           4
        .value_kind:     by_value
      - .offset:         16
        .size:           8
        .value_kind:     by_value
      - .address_space:  global
        .offset:         24
        .size:           8
        .value_kind:     global_buffer
      - .offset:         32
        .size:           8
        .value_kind:     by_value
      - .offset:         40
        .size:           4
        .value_kind:     by_value
      - .offset:         48
        .size:           8
        .value_kind:     by_value
      - .address_space:  global
        .offset:         56
        .size:           8
        .value_kind:     global_buffer
      - .offset:         64
        .size:           8
        .value_kind:     by_value
      - .offset:         72
        .size:           4
        .value_kind:     by_value
      - .offset:         80
        .size:           8
        .value_kind:     by_value
      - .offset:         88
        .size:           4
        .value_kind:     by_value
      - .offset:         96
        .size:           8
        .value_kind:     by_value
      - .address_space:  global
        .offset:         104
        .size:           8
        .value_kind:     global_buffer
      - .offset:         112
        .size:           8
        .value_kind:     by_value
      - .offset:         120
        .size:           4
        .value_kind:     by_value
      - .offset:         128
        .size:           8
        .value_kind:     by_value
      - .offset:         136
        .size:           4
        .value_kind:     by_value
      - .offset:         144
        .size:           4
        .value_kind:     hidden_block_count_x
      - .offset:         148
        .size:           4
        .value_kind:     hidden_block_count_y
      - .offset:         152
        .size:           4
        .value_kind:     hidden_block_count_z
      - .offset:         156
        .size:           2
        .value_kind:     hidden_group_size_x
      - .offset:         158
        .size:           2
        .value_kind:     hidden_group_size_y
      - .offset:         160
        .size:           2
        .value_kind:     hidden_group_size_z
      - .offset:         162
        .size:           2
        .value_kind:     hidden_remainder_x
      - .offset:         164
        .size:           2
        .value_kind:     hidden_remainder_y
      - .offset:         166
        .size:           2
        .value_kind:     hidden_remainder_z
      - .offset:         184
        .size:           8
        .value_kind:     hidden_global_offset_x
      - .offset:         192
        .size:           8
        .value_kind:     hidden_global_offset_y
      - .offset:         200
        .size:           8
        .value_kind:     hidden_global_offset_z
      - .offset:         208
        .size:           2
        .value_kind:     hidden_grid_dims
    .group_segment_fixed_size: 4096
    .kernarg_segment_align: 8
    .kernarg_segment_size: 400
    .language:       OpenCL C
    .language_version:
      - 2
      - 0
    .max_flat_workgroup_size: 256
    .name:           _ZL20rocblas_gemvn_kernelILi64ELi4EiPK16rocblas_bfloat16fKPS0_EviiT3_lPKT2_lT1_lS8_lS9_lS5_lPT4_lS9_li
    .private_segment_fixed_size: 0
    .sgpr_count:     48
    .sgpr_spill_count: 0
    .symbol:         _ZL20rocblas_gemvn_kernelILi64ELi4EiPK16rocblas_bfloat16fKPS0_EviiT3_lPKT2_lT1_lS8_lS9_lS5_lPT4_lS9_li.kd
    .uniform_work_group_size: 1
    .uses_dynamic_stack: false
    .vgpr_count:     61
    .vgpr_spill_count: 0
    .wavefront_size: 32
  - .args:
      - .offset:         0
        .size:           4
        .value_kind:     by_value
      - .offset:         4
        .size:           4
        .value_kind:     by_value
      - .offset:         8
        .size:           4
        .value_kind:     by_value
      - .offset:         16
        .size:           8
        .value_kind:     by_value
      - .address_space:  global
        .offset:         24
        .size:           8
        .value_kind:     global_buffer
      - .offset:         32
        .size:           8
        .value_kind:     by_value
      - .offset:         40
        .size:           8
        .value_kind:     by_value
      - .offset:         48
        .size:           8
        .value_kind:     by_value
      - .address_space:  global
        .offset:         56
        .size:           8
        .value_kind:     global_buffer
      - .offset:         64
        .size:           8
        .value_kind:     by_value
      - .offset:         72
        .size:           8
        .value_kind:     by_value
      - .offset:         80
        .size:           8
        .value_kind:     by_value
      - .offset:         88
        .size:           4
        .value_kind:     by_value
      - .offset:         96
        .size:           8
        .value_kind:     by_value
      - .address_space:  global
        .offset:         104
        .size:           8
        .value_kind:     global_buffer
      - .offset:         112
        .size:           8
        .value_kind:     by_value
      - .offset:         120
        .size:           8
        .value_kind:     by_value
      - .offset:         128
        .size:           8
        .value_kind:     by_value
      - .offset:         136
        .size:           4
        .value_kind:     by_value
      - .offset:         144
        .size:           4
        .value_kind:     hidden_block_count_x
      - .offset:         148
        .size:           4
        .value_kind:     hidden_block_count_y
      - .offset:         152
        .size:           4
        .value_kind:     hidden_block_count_z
      - .offset:         156
        .size:           2
        .value_kind:     hidden_group_size_x
      - .offset:         158
        .size:           2
        .value_kind:     hidden_group_size_y
      - .offset:         160
        .size:           2
        .value_kind:     hidden_group_size_z
      - .offset:         162
        .size:           2
        .value_kind:     hidden_remainder_x
      - .offset:         164
        .size:           2
        .value_kind:     hidden_remainder_y
      - .offset:         166
        .size:           2
        .value_kind:     hidden_remainder_z
      - .offset:         184
        .size:           8
        .value_kind:     hidden_global_offset_x
      - .offset:         192
        .size:           8
        .value_kind:     hidden_global_offset_y
      - .offset:         200
        .size:           8
        .value_kind:     hidden_global_offset_z
      - .offset:         208
        .size:           2
        .value_kind:     hidden_grid_dims
    .group_segment_fixed_size: 4096
    .kernarg_segment_align: 8
    .kernarg_segment_size: 400
    .language:       OpenCL C
    .language_version:
      - 2
      - 0
    .max_flat_workgroup_size: 256
    .name:           _ZL20rocblas_gemvn_kernelILi64ELi4ElPK16rocblas_bfloat16fKPS0_EviiT3_lPKT2_lT1_lS8_lS9_lS5_lPT4_lS9_li
    .private_segment_fixed_size: 0
    .sgpr_count:     50
    .sgpr_spill_count: 0
    .symbol:         _ZL20rocblas_gemvn_kernelILi64ELi4ElPK16rocblas_bfloat16fKPS0_EviiT3_lPKT2_lT1_lS8_lS9_lS5_lPT4_lS9_li.kd
    .uniform_work_group_size: 1
    .uses_dynamic_stack: false
    .vgpr_count:     76
    .vgpr_spill_count: 0
    .wavefront_size: 32
  - .args:
      - .offset:         0
        .size:           4
        .value_kind:     by_value
      - .offset:         4
        .size:           4
        .value_kind:     by_value
      - .address_space:  global
        .offset:         8
        .size:           8
        .value_kind:     global_buffer
      - .offset:         16
        .size:           8
        .value_kind:     by_value
      - .address_space:  global
        .offset:         24
        .size:           8
        .value_kind:     global_buffer
      - .offset:         32
        .size:           8
        .value_kind:     by_value
      - .offset:         40
        .size:           4
        .value_kind:     by_value
      - .offset:         48
        .size:           8
        .value_kind:     by_value
      - .address_space:  global
        .offset:         56
        .size:           8
        .value_kind:     global_buffer
      - .offset:         64
        .size:           8
        .value_kind:     by_value
      - .offset:         72
        .size:           4
        .value_kind:     by_value
      - .offset:         80
        .size:           8
        .value_kind:     by_value
      - .address_space:  global
        .offset:         88
        .size:           8
        .value_kind:     global_buffer
      - .offset:         96
        .size:           8
        .value_kind:     by_value
      - .address_space:  global
        .offset:         104
        .size:           8
        .value_kind:     global_buffer
      - .offset:         112
        .size:           8
        .value_kind:     by_value
      - .offset:         120
        .size:           4
        .value_kind:     by_value
      - .offset:         128
        .size:           8
        .value_kind:     by_value
      - .offset:         136
        .size:           4
        .value_kind:     by_value
      - .offset:         144
        .size:           4
        .value_kind:     hidden_block_count_x
      - .offset:         148
        .size:           4
        .value_kind:     hidden_block_count_y
      - .offset:         152
        .size:           4
        .value_kind:     hidden_block_count_z
      - .offset:         156
        .size:           2
        .value_kind:     hidden_group_size_x
      - .offset:         158
        .size:           2
        .value_kind:     hidden_group_size_y
      - .offset:         160
        .size:           2
        .value_kind:     hidden_group_size_z
      - .offset:         162
        .size:           2
        .value_kind:     hidden_remainder_x
      - .offset:         164
        .size:           2
        .value_kind:     hidden_remainder_y
      - .offset:         166
        .size:           2
        .value_kind:     hidden_remainder_z
      - .offset:         184
        .size:           8
        .value_kind:     hidden_global_offset_x
      - .offset:         192
        .size:           8
        .value_kind:     hidden_global_offset_y
      - .offset:         200
        .size:           8
        .value_kind:     hidden_global_offset_z
      - .offset:         208
        .size:           2
        .value_kind:     hidden_grid_dims
    .group_segment_fixed_size: 8192
    .kernarg_segment_align: 8
    .kernarg_segment_size: 400
    .language:       OpenCL C
    .language_version:
      - 2
      - 0
    .max_flat_workgroup_size: 512
    .name:           _ZL20rocblas_gemvn_kernelILi32ELi16EiPK16rocblas_bfloat16PKfKPS0_EviiT3_lPKT2_lT1_lSA_lSB_lS7_lPT4_lSB_li
    .private_segment_fixed_size: 0
    .sgpr_count:     52
    .sgpr_spill_count: 0
    .symbol:         _ZL20rocblas_gemvn_kernelILi32ELi16EiPK16rocblas_bfloat16PKfKPS0_EviiT3_lPKT2_lT1_lSA_lSB_lS7_lPT4_lSB_li.kd
    .uniform_work_group_size: 1
    .uses_dynamic_stack: false
    .vgpr_count:     61
    .vgpr_spill_count: 0
    .wavefront_size: 32
  - .args:
      - .offset:         0
        .size:           4
        .value_kind:     by_value
      - .offset:         4
        .size:           4
        .value_kind:     by_value
      - .address_space:  global
        .offset:         8
        .size:           8
        .value_kind:     global_buffer
      - .offset:         16
        .size:           8
        .value_kind:     by_value
      - .address_space:  global
        .offset:         24
        .size:           8
        .value_kind:     global_buffer
      - .offset:         32
        .size:           8
        .value_kind:     by_value
      - .offset:         40
        .size:           8
        .value_kind:     by_value
      - .offset:         48
        .size:           8
        .value_kind:     by_value
      - .address_space:  global
        .offset:         56
        .size:           8
        .value_kind:     global_buffer
      - .offset:         64
        .size:           8
        .value_kind:     by_value
      - .offset:         72
        .size:           8
        .value_kind:     by_value
      - .offset:         80
        .size:           8
        .value_kind:     by_value
      - .address_space:  global
        .offset:         88
        .size:           8
        .value_kind:     global_buffer
      - .offset:         96
        .size:           8
        .value_kind:     by_value
      - .address_space:  global
        .offset:         104
        .size:           8
        .value_kind:     global_buffer
      - .offset:         112
        .size:           8
        .value_kind:     by_value
      - .offset:         120
        .size:           8
        .value_kind:     by_value
      - .offset:         128
        .size:           8
        .value_kind:     by_value
      - .offset:         136
        .size:           4
        .value_kind:     by_value
      - .offset:         144
        .size:           4
        .value_kind:     hidden_block_count_x
      - .offset:         148
        .size:           4
        .value_kind:     hidden_block_count_y
      - .offset:         152
        .size:           4
        .value_kind:     hidden_block_count_z
      - .offset:         156
        .size:           2
        .value_kind:     hidden_group_size_x
      - .offset:         158
        .size:           2
        .value_kind:     hidden_group_size_y
      - .offset:         160
        .size:           2
        .value_kind:     hidden_group_size_z
      - .offset:         162
        .size:           2
        .value_kind:     hidden_remainder_x
      - .offset:         164
        .size:           2
        .value_kind:     hidden_remainder_y
      - .offset:         166
        .size:           2
        .value_kind:     hidden_remainder_z
      - .offset:         184
        .size:           8
        .value_kind:     hidden_global_offset_x
      - .offset:         192
        .size:           8
        .value_kind:     hidden_global_offset_y
      - .offset:         200
        .size:           8
        .value_kind:     hidden_global_offset_z
      - .offset:         208
        .size:           2
        .value_kind:     hidden_grid_dims
    .group_segment_fixed_size: 8192
    .kernarg_segment_align: 8
    .kernarg_segment_size: 400
    .language:       OpenCL C
    .language_version:
      - 2
      - 0
    .max_flat_workgroup_size: 512
    .name:           _ZL20rocblas_gemvn_kernelILi32ELi16ElPK16rocblas_bfloat16PKfKPS0_EviiT3_lPKT2_lT1_lSA_lSB_lS7_lPT4_lSB_li
    .private_segment_fixed_size: 0
    .sgpr_count:     53
    .sgpr_spill_count: 0
    .symbol:         _ZL20rocblas_gemvn_kernelILi32ELi16ElPK16rocblas_bfloat16PKfKPS0_EviiT3_lPKT2_lT1_lSA_lSB_lS7_lPT4_lSB_li.kd
    .uniform_work_group_size: 1
    .uses_dynamic_stack: false
    .vgpr_count:     76
    .vgpr_spill_count: 0
    .wavefront_size: 32
  - .args:
      - .offset:         0
        .size:           4
        .value_kind:     by_value
      - .offset:         4
        .size:           4
        .value_kind:     by_value
      - .offset:         8
        .size:           4
        .value_kind:     by_value
      - .offset:         16
        .size:           8
        .value_kind:     by_value
      - .address_space:  global
        .offset:         24
        .size:           8
        .value_kind:     global_buffer
      - .offset:         32
        .size:           8
        .value_kind:     by_value
      - .offset:         40
        .size:           4
        .value_kind:     by_value
      - .offset:         48
        .size:           8
        .value_kind:     by_value
      - .address_space:  global
        .offset:         56
        .size:           8
        .value_kind:     global_buffer
      - .offset:         64
        .size:           8
        .value_kind:     by_value
      - .offset:         72
        .size:           4
        .value_kind:     by_value
      - .offset:         80
        .size:           8
        .value_kind:     by_value
      - .offset:         88
        .size:           4
        .value_kind:     by_value
      - .offset:         96
        .size:           8
        .value_kind:     by_value
      - .address_space:  global
        .offset:         104
        .size:           8
        .value_kind:     global_buffer
      - .offset:         112
        .size:           8
        .value_kind:     by_value
      - .offset:         120
        .size:           4
        .value_kind:     by_value
      - .offset:         128
        .size:           8
        .value_kind:     by_value
      - .offset:         136
        .size:           4
        .value_kind:     by_value
      - .offset:         144
        .size:           4
        .value_kind:     hidden_block_count_x
      - .offset:         148
        .size:           4
        .value_kind:     hidden_block_count_y
      - .offset:         152
        .size:           4
        .value_kind:     hidden_block_count_z
      - .offset:         156
        .size:           2
        .value_kind:     hidden_group_size_x
      - .offset:         158
        .size:           2
        .value_kind:     hidden_group_size_y
      - .offset:         160
        .size:           2
        .value_kind:     hidden_group_size_z
      - .offset:         162
        .size:           2
        .value_kind:     hidden_remainder_x
      - .offset:         164
        .size:           2
        .value_kind:     hidden_remainder_y
      - .offset:         166
        .size:           2
        .value_kind:     hidden_remainder_z
      - .offset:         184
        .size:           8
        .value_kind:     hidden_global_offset_x
      - .offset:         192
        .size:           8
        .value_kind:     hidden_global_offset_y
      - .offset:         200
        .size:           8
        .value_kind:     hidden_global_offset_z
      - .offset:         208
        .size:           2
        .value_kind:     hidden_grid_dims
    .group_segment_fixed_size: 8192
    .kernarg_segment_align: 8
    .kernarg_segment_size: 400
    .language:       OpenCL C
    .language_version:
      - 2
      - 0
    .max_flat_workgroup_size: 512
    .name:           _ZL20rocblas_gemvn_kernelILi32ELi16EiPK16rocblas_bfloat16fKPS0_EviiT3_lPKT2_lT1_lS8_lS9_lS5_lPT4_lS9_li
    .private_segment_fixed_size: 0
    .sgpr_count:     48
    .sgpr_spill_count: 0
    .symbol:         _ZL20rocblas_gemvn_kernelILi32ELi16EiPK16rocblas_bfloat16fKPS0_EviiT3_lPKT2_lT1_lS8_lS9_lS5_lPT4_lS9_li.kd
    .uniform_work_group_size: 1
    .uses_dynamic_stack: false
    .vgpr_count:     61
    .vgpr_spill_count: 0
    .wavefront_size: 32
  - .args:
      - .offset:         0
        .size:           4
        .value_kind:     by_value
      - .offset:         4
        .size:           4
        .value_kind:     by_value
      - .offset:         8
        .size:           4
        .value_kind:     by_value
      - .offset:         16
        .size:           8
        .value_kind:     by_value
      - .address_space:  global
        .offset:         24
        .size:           8
        .value_kind:     global_buffer
      - .offset:         32
        .size:           8
        .value_kind:     by_value
      - .offset:         40
        .size:           8
        .value_kind:     by_value
      - .offset:         48
        .size:           8
        .value_kind:     by_value
      - .address_space:  global
        .offset:         56
        .size:           8
        .value_kind:     global_buffer
      - .offset:         64
        .size:           8
        .value_kind:     by_value
      - .offset:         72
        .size:           8
        .value_kind:     by_value
      - .offset:         80
        .size:           8
        .value_kind:     by_value
      - .offset:         88
        .size:           4
        .value_kind:     by_value
      - .offset:         96
        .size:           8
        .value_kind:     by_value
      - .address_space:  global
        .offset:         104
        .size:           8
        .value_kind:     global_buffer
      - .offset:         112
        .size:           8
        .value_kind:     by_value
      - .offset:         120
        .size:           8
        .value_kind:     by_value
      - .offset:         128
        .size:           8
        .value_kind:     by_value
      - .offset:         136
        .size:           4
        .value_kind:     by_value
      - .offset:         144
        .size:           4
        .value_kind:     hidden_block_count_x
      - .offset:         148
        .size:           4
        .value_kind:     hidden_block_count_y
      - .offset:         152
        .size:           4
        .value_kind:     hidden_block_count_z
      - .offset:         156
        .size:           2
        .value_kind:     hidden_group_size_x
      - .offset:         158
        .size:           2
        .value_kind:     hidden_group_size_y
      - .offset:         160
        .size:           2
        .value_kind:     hidden_group_size_z
      - .offset:         162
        .size:           2
        .value_kind:     hidden_remainder_x
      - .offset:         164
        .size:           2
        .value_kind:     hidden_remainder_y
      - .offset:         166
        .size:           2
        .value_kind:     hidden_remainder_z
      - .offset:         184
        .size:           8
        .value_kind:     hidden_global_offset_x
      - .offset:         192
        .size:           8
        .value_kind:     hidden_global_offset_y
      - .offset:         200
        .size:           8
        .value_kind:     hidden_global_offset_z
      - .offset:         208
        .size:           2
        .value_kind:     hidden_grid_dims
    .group_segment_fixed_size: 8192
    .kernarg_segment_align: 8
    .kernarg_segment_size: 400
    .language:       OpenCL C
    .language_version:
      - 2
      - 0
    .max_flat_workgroup_size: 512
    .name:           _ZL20rocblas_gemvn_kernelILi32ELi16ElPK16rocblas_bfloat16fKPS0_EviiT3_lPKT2_lT1_lS8_lS9_lS5_lPT4_lS9_li
    .private_segment_fixed_size: 0
    .sgpr_count:     50
    .sgpr_spill_count: 0
    .symbol:         _ZL20rocblas_gemvn_kernelILi32ELi16ElPK16rocblas_bfloat16fKPS0_EviiT3_lPKT2_lT1_lS8_lS9_lS5_lPT4_lS9_li.kd
    .uniform_work_group_size: 1
    .uses_dynamic_stack: false
    .vgpr_count:     76
    .vgpr_spill_count: 0
    .wavefront_size: 32
  - .args:
      - .offset:         0
        .size:           4
        .value_kind:     by_value
      - .offset:         4
        .size:           4
        .value_kind:     by_value
      - .address_space:  global
        .offset:         8
        .size:           8
        .value_kind:     global_buffer
      - .offset:         16
        .size:           8
        .value_kind:     by_value
      - .address_space:  global
        .offset:         24
        .size:           8
        .value_kind:     global_buffer
      - .offset:         32
        .size:           8
        .value_kind:     by_value
      - .offset:         40
        .size:           4
        .value_kind:     by_value
      - .offset:         48
        .size:           8
        .value_kind:     by_value
      - .address_space:  global
        .offset:         56
        .size:           8
        .value_kind:     global_buffer
      - .offset:         64
        .size:           8
        .value_kind:     by_value
      - .offset:         72
        .size:           4
        .value_kind:     by_value
      - .offset:         80
        .size:           8
        .value_kind:     by_value
      - .address_space:  global
        .offset:         88
        .size:           8
        .value_kind:     global_buffer
      - .offset:         96
        .size:           8
        .value_kind:     by_value
      - .address_space:  global
        .offset:         104
        .size:           8
        .value_kind:     global_buffer
      - .offset:         112
        .size:           8
        .value_kind:     by_value
      - .offset:         120
        .size:           4
        .value_kind:     by_value
      - .offset:         128
        .size:           8
        .value_kind:     by_value
      - .offset:         136
        .size:           4
        .value_kind:     by_value
      - .offset:         144
        .size:           4
        .value_kind:     hidden_block_count_x
      - .offset:         148
        .size:           4
        .value_kind:     hidden_block_count_y
      - .offset:         152
        .size:           4
        .value_kind:     hidden_block_count_z
      - .offset:         156
        .size:           2
        .value_kind:     hidden_group_size_x
      - .offset:         158
        .size:           2
        .value_kind:     hidden_group_size_y
      - .offset:         160
        .size:           2
        .value_kind:     hidden_group_size_z
      - .offset:         162
        .size:           2
        .value_kind:     hidden_remainder_x
      - .offset:         164
        .size:           2
        .value_kind:     hidden_remainder_y
      - .offset:         166
        .size:           2
        .value_kind:     hidden_remainder_z
      - .offset:         184
        .size:           8
        .value_kind:     hidden_global_offset_x
      - .offset:         192
        .size:           8
        .value_kind:     hidden_global_offset_y
      - .offset:         200
        .size:           8
        .value_kind:     hidden_global_offset_z
      - .offset:         208
        .size:           2
        .value_kind:     hidden_grid_dims
    .group_segment_fixed_size: 16384
    .kernarg_segment_align: 8
    .kernarg_segment_size: 400
    .language:       OpenCL C
    .language_version:
      - 2
      - 0
    .max_flat_workgroup_size: 1024
    .name:           _ZL20rocblas_gemvn_kernelILi64ELi16EiPK16rocblas_bfloat16PKfKPS0_EviiT3_lPKT2_lT1_lSA_lSB_lS7_lPT4_lSB_li
    .private_segment_fixed_size: 0
    .sgpr_count:     52
    .sgpr_spill_count: 0
    .symbol:         _ZL20rocblas_gemvn_kernelILi64ELi16EiPK16rocblas_bfloat16PKfKPS0_EviiT3_lPKT2_lT1_lSA_lSB_lS7_lPT4_lSB_li.kd
    .uniform_work_group_size: 1
    .uses_dynamic_stack: false
    .vgpr_count:     61
    .vgpr_spill_count: 0
    .wavefront_size: 32
  - .args:
      - .offset:         0
        .size:           4
        .value_kind:     by_value
      - .offset:         4
        .size:           4
        .value_kind:     by_value
      - .address_space:  global
        .offset:         8
        .size:           8
        .value_kind:     global_buffer
      - .offset:         16
        .size:           8
        .value_kind:     by_value
      - .address_space:  global
        .offset:         24
        .size:           8
        .value_kind:     global_buffer
      - .offset:         32
        .size:           8
        .value_kind:     by_value
      - .offset:         40
        .size:           8
        .value_kind:     by_value
      - .offset:         48
        .size:           8
        .value_kind:     by_value
      - .address_space:  global
        .offset:         56
        .size:           8
        .value_kind:     global_buffer
      - .offset:         64
        .size:           8
        .value_kind:     by_value
      - .offset:         72
        .size:           8
        .value_kind:     by_value
      - .offset:         80
        .size:           8
        .value_kind:     by_value
      - .address_space:  global
        .offset:         88
        .size:           8
        .value_kind:     global_buffer
      - .offset:         96
        .size:           8
        .value_kind:     by_value
      - .address_space:  global
        .offset:         104
        .size:           8
        .value_kind:     global_buffer
      - .offset:         112
        .size:           8
        .value_kind:     by_value
      - .offset:         120
        .size:           8
        .value_kind:     by_value
      - .offset:         128
        .size:           8
        .value_kind:     by_value
      - .offset:         136
        .size:           4
        .value_kind:     by_value
      - .offset:         144
        .size:           4
        .value_kind:     hidden_block_count_x
      - .offset:         148
        .size:           4
        .value_kind:     hidden_block_count_y
      - .offset:         152
        .size:           4
        .value_kind:     hidden_block_count_z
      - .offset:         156
        .size:           2
        .value_kind:     hidden_group_size_x
      - .offset:         158
        .size:           2
        .value_kind:     hidden_group_size_y
      - .offset:         160
        .size:           2
        .value_kind:     hidden_group_size_z
      - .offset:         162
        .size:           2
        .value_kind:     hidden_remainder_x
      - .offset:         164
        .size:           2
        .value_kind:     hidden_remainder_y
      - .offset:         166
        .size:           2
        .value_kind:     hidden_remainder_z
      - .offset:         184
        .size:           8
        .value_kind:     hidden_global_offset_x
      - .offset:         192
        .size:           8
        .value_kind:     hidden_global_offset_y
      - .offset:         200
        .size:           8
        .value_kind:     hidden_global_offset_z
      - .offset:         208
        .size:           2
        .value_kind:     hidden_grid_dims
    .group_segment_fixed_size: 16384
    .kernarg_segment_align: 8
    .kernarg_segment_size: 400
    .language:       OpenCL C
    .language_version:
      - 2
      - 0
    .max_flat_workgroup_size: 1024
    .name:           _ZL20rocblas_gemvn_kernelILi64ELi16ElPK16rocblas_bfloat16PKfKPS0_EviiT3_lPKT2_lT1_lSA_lSB_lS7_lPT4_lSB_li
    .private_segment_fixed_size: 0
    .sgpr_count:     53
    .sgpr_spill_count: 0
    .symbol:         _ZL20rocblas_gemvn_kernelILi64ELi16ElPK16rocblas_bfloat16PKfKPS0_EviiT3_lPKT2_lT1_lSA_lSB_lS7_lPT4_lSB_li.kd
    .uniform_work_group_size: 1
    .uses_dynamic_stack: false
    .vgpr_count:     72
    .vgpr_spill_count: 0
    .wavefront_size: 32
  - .args:
      - .offset:         0
        .size:           4
        .value_kind:     by_value
      - .offset:         4
        .size:           4
        .value_kind:     by_value
      - .offset:         8
        .size:           4
        .value_kind:     by_value
      - .offset:         16
        .size:           8
        .value_kind:     by_value
      - .address_space:  global
        .offset:         24
        .size:           8
        .value_kind:     global_buffer
      - .offset:         32
        .size:           8
        .value_kind:     by_value
      - .offset:         40
        .size:           4
        .value_kind:     by_value
      - .offset:         48
        .size:           8
        .value_kind:     by_value
      - .address_space:  global
        .offset:         56
        .size:           8
        .value_kind:     global_buffer
      - .offset:         64
        .size:           8
        .value_kind:     by_value
      - .offset:         72
        .size:           4
        .value_kind:     by_value
      - .offset:         80
        .size:           8
        .value_kind:     by_value
      - .offset:         88
        .size:           4
        .value_kind:     by_value
      - .offset:         96
        .size:           8
        .value_kind:     by_value
      - .address_space:  global
        .offset:         104
        .size:           8
        .value_kind:     global_buffer
      - .offset:         112
        .size:           8
        .value_kind:     by_value
      - .offset:         120
        .size:           4
        .value_kind:     by_value
      - .offset:         128
        .size:           8
        .value_kind:     by_value
      - .offset:         136
        .size:           4
        .value_kind:     by_value
      - .offset:         144
        .size:           4
        .value_kind:     hidden_block_count_x
      - .offset:         148
        .size:           4
        .value_kind:     hidden_block_count_y
      - .offset:         152
        .size:           4
        .value_kind:     hidden_block_count_z
      - .offset:         156
        .size:           2
        .value_kind:     hidden_group_size_x
      - .offset:         158
        .size:           2
        .value_kind:     hidden_group_size_y
      - .offset:         160
        .size:           2
        .value_kind:     hidden_group_size_z
      - .offset:         162
        .size:           2
        .value_kind:     hidden_remainder_x
      - .offset:         164
        .size:           2
        .value_kind:     hidden_remainder_y
      - .offset:         166
        .size:           2
        .value_kind:     hidden_remainder_z
      - .offset:         184
        .size:           8
        .value_kind:     hidden_global_offset_x
      - .offset:         192
        .size:           8
        .value_kind:     hidden_global_offset_y
      - .offset:         200
        .size:           8
        .value_kind:     hidden_global_offset_z
      - .offset:         208
        .size:           2
        .value_kind:     hidden_grid_dims
    .group_segment_fixed_size: 16384
    .kernarg_segment_align: 8
    .kernarg_segment_size: 400
    .language:       OpenCL C
    .language_version:
      - 2
      - 0
    .max_flat_workgroup_size: 1024
    .name:           _ZL20rocblas_gemvn_kernelILi64ELi16EiPK16rocblas_bfloat16fKPS0_EviiT3_lPKT2_lT1_lS8_lS9_lS5_lPT4_lS9_li
    .private_segment_fixed_size: 0
    .sgpr_count:     48
    .sgpr_spill_count: 0
    .symbol:         _ZL20rocblas_gemvn_kernelILi64ELi16EiPK16rocblas_bfloat16fKPS0_EviiT3_lPKT2_lT1_lS8_lS9_lS5_lPT4_lS9_li.kd
    .uniform_work_group_size: 1
    .uses_dynamic_stack: false
    .vgpr_count:     61
    .vgpr_spill_count: 0
    .wavefront_size: 32
  - .args:
      - .offset:         0
        .size:           4
        .value_kind:     by_value
      - .offset:         4
        .size:           4
        .value_kind:     by_value
      - .offset:         8
        .size:           4
        .value_kind:     by_value
      - .offset:         16
        .size:           8
        .value_kind:     by_value
      - .address_space:  global
        .offset:         24
        .size:           8
        .value_kind:     global_buffer
      - .offset:         32
        .size:           8
        .value_kind:     by_value
      - .offset:         40
        .size:           8
        .value_kind:     by_value
      - .offset:         48
        .size:           8
        .value_kind:     by_value
      - .address_space:  global
        .offset:         56
        .size:           8
        .value_kind:     global_buffer
      - .offset:         64
        .size:           8
        .value_kind:     by_value
      - .offset:         72
        .size:           8
        .value_kind:     by_value
      - .offset:         80
        .size:           8
        .value_kind:     by_value
      - .offset:         88
        .size:           4
        .value_kind:     by_value
      - .offset:         96
        .size:           8
        .value_kind:     by_value
      - .address_space:  global
        .offset:         104
        .size:           8
        .value_kind:     global_buffer
      - .offset:         112
        .size:           8
        .value_kind:     by_value
      - .offset:         120
        .size:           8
        .value_kind:     by_value
      - .offset:         128
        .size:           8
        .value_kind:     by_value
      - .offset:         136
        .size:           4
        .value_kind:     by_value
      - .offset:         144
        .size:           4
        .value_kind:     hidden_block_count_x
      - .offset:         148
        .size:           4
        .value_kind:     hidden_block_count_y
      - .offset:         152
        .size:           4
        .value_kind:     hidden_block_count_z
      - .offset:         156
        .size:           2
        .value_kind:     hidden_group_size_x
      - .offset:         158
        .size:           2
        .value_kind:     hidden_group_size_y
      - .offset:         160
        .size:           2
        .value_kind:     hidden_group_size_z
      - .offset:         162
        .size:           2
        .value_kind:     hidden_remainder_x
      - .offset:         164
        .size:           2
        .value_kind:     hidden_remainder_y
      - .offset:         166
        .size:           2
        .value_kind:     hidden_remainder_z
      - .offset:         184
        .size:           8
        .value_kind:     hidden_global_offset_x
      - .offset:         192
        .size:           8
        .value_kind:     hidden_global_offset_y
      - .offset:         200
        .size:           8
        .value_kind:     hidden_global_offset_z
      - .offset:         208
        .size:           2
        .value_kind:     hidden_grid_dims
    .group_segment_fixed_size: 16384
    .kernarg_segment_align: 8
    .kernarg_segment_size: 400
    .language:       OpenCL C
    .language_version:
      - 2
      - 0
    .max_flat_workgroup_size: 1024
    .name:           _ZL20rocblas_gemvn_kernelILi64ELi16ElPK16rocblas_bfloat16fKPS0_EviiT3_lPKT2_lT1_lS8_lS9_lS5_lPT4_lS9_li
    .private_segment_fixed_size: 0
    .sgpr_count:     50
    .sgpr_spill_count: 0
    .symbol:         _ZL20rocblas_gemvn_kernelILi64ELi16ElPK16rocblas_bfloat16fKPS0_EviiT3_lPKT2_lT1_lS8_lS9_lS5_lPT4_lS9_li.kd
    .uniform_work_group_size: 1
    .uses_dynamic_stack: false
    .vgpr_count:     72
    .vgpr_spill_count: 0
    .wavefront_size: 32
  - .args:
      - .offset:         0
        .size:           4
        .value_kind:     by_value
      - .offset:         4
        .size:           4
        .value_kind:     by_value
      - .address_space:  global
        .offset:         8
        .size:           8
        .value_kind:     global_buffer
      - .offset:         16
        .size:           8
        .value_kind:     by_value
      - .address_space:  global
        .offset:         24
        .size:           8
        .value_kind:     global_buffer
      - .offset:         32
        .size:           8
        .value_kind:     by_value
      - .offset:         40
        .size:           4
        .value_kind:     by_value
      - .offset:         48
        .size:           8
        .value_kind:     by_value
      - .address_space:  global
        .offset:         56
        .size:           8
        .value_kind:     global_buffer
      - .offset:         64
        .size:           8
        .value_kind:     by_value
      - .offset:         72
        .size:           4
        .value_kind:     by_value
      - .offset:         80
        .size:           8
        .value_kind:     by_value
      - .address_space:  global
        .offset:         88
        .size:           8
        .value_kind:     global_buffer
      - .offset:         96
        .size:           8
        .value_kind:     by_value
      - .address_space:  global
        .offset:         104
        .size:           8
        .value_kind:     global_buffer
      - .offset:         112
        .size:           8
        .value_kind:     by_value
      - .offset:         120
        .size:           4
        .value_kind:     by_value
      - .offset:         128
        .size:           8
        .value_kind:     by_value
    .group_segment_fixed_size: 256
    .kernarg_segment_align: 8
    .kernarg_segment_size: 136
    .language:       OpenCL C
    .language_version:
      - 2
      - 0
    .max_flat_workgroup_size: 256
    .name:           _ZL22rocblas_gemvtsm_kernelILb0ELi256EPK16rocblas_bfloat16PKfKPS0_EviiT2_lPKT1_lilSA_lilS7_lPT3_lil
    .private_segment_fixed_size: 0
    .sgpr_count:     24
    .sgpr_spill_count: 0
    .symbol:         _ZL22rocblas_gemvtsm_kernelILb0ELi256EPK16rocblas_bfloat16PKfKPS0_EviiT2_lPKT1_lilSA_lilS7_lPT3_lil.kd
    .uniform_work_group_size: 1
    .uses_dynamic_stack: false
    .vgpr_count:     17
    .vgpr_spill_count: 0
    .wavefront_size: 32
  - .args:
      - .offset:         0
        .size:           4
        .value_kind:     by_value
      - .offset:         4
        .size:           4
        .value_kind:     by_value
      - .offset:         8
        .size:           4
        .value_kind:     by_value
      - .offset:         16
        .size:           8
        .value_kind:     by_value
      - .address_space:  global
        .offset:         24
        .size:           8
        .value_kind:     global_buffer
      - .offset:         32
        .size:           8
        .value_kind:     by_value
      - .offset:         40
        .size:           4
        .value_kind:     by_value
      - .offset:         48
        .size:           8
        .value_kind:     by_value
      - .address_space:  global
        .offset:         56
        .size:           8
        .value_kind:     global_buffer
      - .offset:         64
        .size:           8
        .value_kind:     by_value
      - .offset:         72
        .size:           4
        .value_kind:     by_value
      - .offset:         80
        .size:           8
        .value_kind:     by_value
      - .offset:         88
        .size:           4
        .value_kind:     by_value
      - .offset:         96
        .size:           8
        .value_kind:     by_value
      - .address_space:  global
        .offset:         104
        .size:           8
        .value_kind:     global_buffer
      - .offset:         112
        .size:           8
        .value_kind:     by_value
      - .offset:         120
        .size:           4
        .value_kind:     by_value
      - .offset:         128
        .size:           8
        .value_kind:     by_value
    .group_segment_fixed_size: 256
    .kernarg_segment_align: 8
    .kernarg_segment_size: 136
    .language:       OpenCL C
    .language_version:
      - 2
      - 0
    .max_flat_workgroup_size: 256
    .name:           _ZL22rocblas_gemvtsm_kernelILb0ELi256EPK16rocblas_bfloat16fKPS0_EviiT2_lPKT1_lilS8_lilS5_lPT3_lil
    .private_segment_fixed_size: 0
    .sgpr_count:     26
    .sgpr_spill_count: 0
    .symbol:         _ZL22rocblas_gemvtsm_kernelILb0ELi256EPK16rocblas_bfloat16fKPS0_EviiT2_lPKT1_lilS8_lilS5_lPT3_lil.kd
    .uniform_work_group_size: 1
    .uses_dynamic_stack: false
    .vgpr_count:     17
    .vgpr_spill_count: 0
    .wavefront_size: 32
  - .args:
      - .offset:         0
        .size:           4
        .value_kind:     by_value
      - .offset:         4
        .size:           4
        .value_kind:     by_value
      - .address_space:  global
        .offset:         8
        .size:           8
        .value_kind:     global_buffer
      - .offset:         16
        .size:           8
        .value_kind:     by_value
      - .address_space:  global
        .offset:         24
        .size:           8
        .value_kind:     global_buffer
      - .offset:         32
        .size:           8
        .value_kind:     by_value
      - .offset:         40
        .size:           4
        .value_kind:     by_value
      - .offset:         48
        .size:           8
        .value_kind:     by_value
      - .address_space:  global
        .offset:         56
        .size:           8
        .value_kind:     global_buffer
      - .offset:         64
        .size:           8
        .value_kind:     by_value
      - .offset:         72
        .size:           4
        .value_kind:     by_value
      - .offset:         80
        .size:           8
        .value_kind:     by_value
      - .address_space:  global
        .offset:         88
        .size:           8
        .value_kind:     global_buffer
      - .offset:         96
        .size:           4
        .value_kind:     by_value
      - .offset:         104
        .size:           4
        .value_kind:     hidden_block_count_x
      - .offset:         108
        .size:           4
        .value_kind:     hidden_block_count_y
      - .offset:         112
        .size:           4
        .value_kind:     hidden_block_count_z
      - .offset:         116
        .size:           2
        .value_kind:     hidden_group_size_x
      - .offset:         118
        .size:           2
        .value_kind:     hidden_group_size_y
      - .offset:         120
        .size:           2
        .value_kind:     hidden_group_size_z
      - .offset:         122
        .size:           2
        .value_kind:     hidden_remainder_x
      - .offset:         124
        .size:           2
        .value_kind:     hidden_remainder_y
      - .offset:         126
        .size:           2
        .value_kind:     hidden_remainder_z
      - .offset:         144
        .size:           8
        .value_kind:     hidden_global_offset_x
      - .offset:         152
        .size:           8
        .value_kind:     hidden_global_offset_y
      - .offset:         160
        .size:           8
        .value_kind:     hidden_global_offset_z
      - .offset:         168
        .size:           2
        .value_kind:     hidden_grid_dims
    .group_segment_fixed_size: 128
    .kernarg_segment_align: 8
    .kernarg_segment_size: 360
    .language:       OpenCL C
    .language_version:
      - 2
      - 0
    .max_flat_workgroup_size: 256
    .name:           _ZL23rocblas_gemvt_sn_kernelILb0ELi256ELi4EiPK16rocblas_bfloat16PKffEviiT4_lPKT3_lilS8_lilPT5_i
    .private_segment_fixed_size: 0
    .sgpr_count:     80
    .sgpr_spill_count: 0
    .symbol:         _ZL23rocblas_gemvt_sn_kernelILb0ELi256ELi4EiPK16rocblas_bfloat16PKffEviiT4_lPKT3_lilS8_lilPT5_i.kd
    .uniform_work_group_size: 1
    .uses_dynamic_stack: false
    .vgpr_count:     68
    .vgpr_spill_count: 0
    .wavefront_size: 32
  - .args:
      - .offset:         0
        .size:           4
        .value_kind:     by_value
      - .offset:         4
        .size:           4
        .value_kind:     by_value
      - .address_space:  global
        .offset:         8
        .size:           8
        .value_kind:     global_buffer
      - .offset:         16
        .size:           8
        .value_kind:     by_value
      - .address_space:  global
        .offset:         24
        .size:           8
        .value_kind:     global_buffer
      - .offset:         32
        .size:           8
        .value_kind:     by_value
      - .offset:         40
        .size:           4
        .value_kind:     by_value
      - .offset:         48
        .size:           8
        .value_kind:     by_value
      - .address_space:  global
        .offset:         56
        .size:           8
        .value_kind:     global_buffer
      - .offset:         64
        .size:           8
        .value_kind:     by_value
      - .offset:         72
        .size:           4
        .value_kind:     by_value
      - .offset:         80
        .size:           8
        .value_kind:     by_value
      - .address_space:  global
        .offset:         88
        .size:           8
        .value_kind:     global_buffer
      - .offset:         96
        .size:           4
        .value_kind:     by_value
      - .offset:         104
        .size:           4
        .value_kind:     hidden_block_count_x
      - .offset:         108
        .size:           4
        .value_kind:     hidden_block_count_y
      - .offset:         112
        .size:           4
        .value_kind:     hidden_block_count_z
      - .offset:         116
        .size:           2
        .value_kind:     hidden_group_size_x
      - .offset:         118
        .size:           2
        .value_kind:     hidden_group_size_y
      - .offset:         120
        .size:           2
        .value_kind:     hidden_group_size_z
      - .offset:         122
        .size:           2
        .value_kind:     hidden_remainder_x
      - .offset:         124
        .size:           2
        .value_kind:     hidden_remainder_y
      - .offset:         126
        .size:           2
        .value_kind:     hidden_remainder_z
      - .offset:         144
        .size:           8
        .value_kind:     hidden_global_offset_x
      - .offset:         152
        .size:           8
        .value_kind:     hidden_global_offset_y
      - .offset:         160
        .size:           8
        .value_kind:     hidden_global_offset_z
      - .offset:         168
        .size:           2
        .value_kind:     hidden_grid_dims
    .group_segment_fixed_size: 128
    .kernarg_segment_align: 8
    .kernarg_segment_size: 360
    .language:       OpenCL C
    .language_version:
      - 2
      - 0
    .max_flat_workgroup_size: 256
    .name:           _ZL23rocblas_gemvt_sn_kernelILb0ELi256ELi4ElPK16rocblas_bfloat16PKffEviiT4_lPKT3_lilS8_lilPT5_i
    .private_segment_fixed_size: 0
    .sgpr_count:     72
    .sgpr_spill_count: 0
    .symbol:         _ZL23rocblas_gemvt_sn_kernelILb0ELi256ELi4ElPK16rocblas_bfloat16PKffEviiT4_lPKT3_lilS8_lilPT5_i.kd
    .uniform_work_group_size: 1
    .uses_dynamic_stack: false
    .vgpr_count:     74
    .vgpr_spill_count: 0
    .wavefront_size: 32
  - .args:
      - .offset:         0
        .size:           4
        .value_kind:     by_value
      - .address_space:  global
        .offset:         8
        .size:           8
        .value_kind:     global_buffer
      - .offset:         16
        .size:           8
        .value_kind:     by_value
      - .address_space:  global
        .offset:         24
        .size:           8
        .value_kind:     global_buffer
      - .offset:         32
        .size:           8
        .value_kind:     by_value
      - .offset:         40
        .size:           4
        .value_kind:     by_value
      - .offset:         48
        .size:           8
        .value_kind:     by_value
      - .actual_access:  read_only
        .address_space:  global
        .offset:         56
        .size:           8
        .value_kind:     global_buffer
      - .offset:         64
        .size:           4
        .value_kind:     by_value
      - .offset:         72
        .size:           4
        .value_kind:     hidden_block_count_x
      - .offset:         76
        .size:           4
        .value_kind:     hidden_block_count_y
      - .offset:         80
        .size:           4
        .value_kind:     hidden_block_count_z
      - .offset:         84
        .size:           2
        .value_kind:     hidden_group_size_x
      - .offset:         86
        .size:           2
        .value_kind:     hidden_group_size_y
      - .offset:         88
        .size:           2
        .value_kind:     hidden_group_size_z
      - .offset:         90
        .size:           2
        .value_kind:     hidden_remainder_x
      - .offset:         92
        .size:           2
        .value_kind:     hidden_remainder_y
      - .offset:         94
        .size:           2
        .value_kind:     hidden_remainder_z
      - .offset:         112
        .size:           8
        .value_kind:     hidden_global_offset_x
      - .offset:         120
        .size:           8
        .value_kind:     hidden_global_offset_y
      - .offset:         128
        .size:           8
        .value_kind:     hidden_global_offset_z
      - .offset:         136
        .size:           2
        .value_kind:     hidden_grid_dims
    .group_segment_fixed_size: 128
    .kernarg_segment_align: 8
    .kernarg_segment_size: 328
    .language:       OpenCL C
    .language_version:
      - 2
      - 0
    .max_flat_workgroup_size: 256
    .name:           _ZL23rocblas_gemvt_sn_reduceILi256ELi8EfPKfKP16rocblas_bfloat16EviT2_lPT3_lilPT1_i
    .private_segment_fixed_size: 0
    .sgpr_count:     40
    .sgpr_spill_count: 0
    .symbol:         _ZL23rocblas_gemvt_sn_reduceILi256ELi8EfPKfKP16rocblas_bfloat16EviT2_lPT3_lilPT1_i.kd
    .uniform_work_group_size: 1
    .uses_dynamic_stack: false
    .vgpr_count:     28
    .vgpr_spill_count: 0
    .wavefront_size: 32
  - .args:
      - .offset:         0
        .size:           4
        .value_kind:     by_value
      - .offset:         4
        .size:           4
        .value_kind:     by_value
      - .offset:         8
        .size:           4
        .value_kind:     by_value
      - .offset:         16
        .size:           8
        .value_kind:     by_value
      - .address_space:  global
        .offset:         24
        .size:           8
        .value_kind:     global_buffer
      - .offset:         32
        .size:           8
        .value_kind:     by_value
      - .offset:         40
        .size:           4
        .value_kind:     by_value
      - .offset:         48
        .size:           8
        .value_kind:     by_value
      - .address_space:  global
        .offset:         56
        .size:           8
        .value_kind:     global_buffer
      - .offset:         64
        .size:           8
        .value_kind:     by_value
      - .offset:         72
        .size:           4
        .value_kind:     by_value
      - .offset:         80
        .size:           8
        .value_kind:     by_value
      - .address_space:  global
        .offset:         88
        .size:           8
        .value_kind:     global_buffer
      - .offset:         96
        .size:           4
        .value_kind:     by_value
      - .offset:         104
        .size:           4
        .value_kind:     hidden_block_count_x
      - .offset:         108
        .size:           4
        .value_kind:     hidden_block_count_y
      - .offset:         112
        .size:           4
        .value_kind:     hidden_block_count_z
      - .offset:         116
        .size:           2
        .value_kind:     hidden_group_size_x
      - .offset:         118
        .size:           2
        .value_kind:     hidden_group_size_y
      - .offset:         120
        .size:           2
        .value_kind:     hidden_group_size_z
      - .offset:         122
        .size:           2
        .value_kind:     hidden_remainder_x
      - .offset:         124
        .size:           2
        .value_kind:     hidden_remainder_y
      - .offset:         126
        .size:           2
        .value_kind:     hidden_remainder_z
      - .offset:         144
        .size:           8
        .value_kind:     hidden_global_offset_x
      - .offset:         152
        .size:           8
        .value_kind:     hidden_global_offset_y
      - .offset:         160
        .size:           8
        .value_kind:     hidden_global_offset_z
      - .offset:         168
        .size:           2
        .value_kind:     hidden_grid_dims
    .group_segment_fixed_size: 128
    .kernarg_segment_align: 8
    .kernarg_segment_size: 360
    .language:       OpenCL C
    .language_version:
      - 2
      - 0
    .max_flat_workgroup_size: 256
    .name:           _ZL23rocblas_gemvt_sn_kernelILb0ELi256ELi4EiPK16rocblas_bfloat16ffEviiT4_lPKT3_lilS6_lilPT5_i
    .private_segment_fixed_size: 0
    .sgpr_count:     78
    .sgpr_spill_count: 0
    .symbol:         _ZL23rocblas_gemvt_sn_kernelILb0ELi256ELi4EiPK16rocblas_bfloat16ffEviiT4_lPKT3_lilS6_lilPT5_i.kd
    .uniform_work_group_size: 1
    .uses_dynamic_stack: false
    .vgpr_count:     65
    .vgpr_spill_count: 0
    .wavefront_size: 32
  - .args:
      - .offset:         0
        .size:           4
        .value_kind:     by_value
      - .offset:         4
        .size:           4
        .value_kind:     by_value
      - .offset:         8
        .size:           4
        .value_kind:     by_value
      - .offset:         16
        .size:           8
        .value_kind:     by_value
      - .address_space:  global
        .offset:         24
        .size:           8
        .value_kind:     global_buffer
      - .offset:         32
        .size:           8
        .value_kind:     by_value
      - .offset:         40
        .size:           4
        .value_kind:     by_value
      - .offset:         48
        .size:           8
        .value_kind:     by_value
      - .address_space:  global
        .offset:         56
        .size:           8
        .value_kind:     global_buffer
      - .offset:         64
        .size:           8
        .value_kind:     by_value
      - .offset:         72
        .size:           4
        .value_kind:     by_value
      - .offset:         80
        .size:           8
        .value_kind:     by_value
      - .address_space:  global
        .offset:         88
        .size:           8
        .value_kind:     global_buffer
      - .offset:         96
        .size:           4
        .value_kind:     by_value
      - .offset:         104
        .size:           4
        .value_kind:     hidden_block_count_x
      - .offset:         108
        .size:           4
        .value_kind:     hidden_block_count_y
      - .offset:         112
        .size:           4
        .value_kind:     hidden_block_count_z
      - .offset:         116
        .size:           2
        .value_kind:     hidden_group_size_x
      - .offset:         118
        .size:           2
        .value_kind:     hidden_group_size_y
      - .offset:         120
        .size:           2
        .value_kind:     hidden_group_size_z
      - .offset:         122
        .size:           2
        .value_kind:     hidden_remainder_x
      - .offset:         124
        .size:           2
        .value_kind:     hidden_remainder_y
      - .offset:         126
        .size:           2
        .value_kind:     hidden_remainder_z
      - .offset:         144
        .size:           8
        .value_kind:     hidden_global_offset_x
      - .offset:         152
        .size:           8
        .value_kind:     hidden_global_offset_y
      - .offset:         160
        .size:           8
        .value_kind:     hidden_global_offset_z
      - .offset:         168
        .size:           2
        .value_kind:     hidden_grid_dims
    .group_segment_fixed_size: 128
    .kernarg_segment_align: 8
    .kernarg_segment_size: 360
    .language:       OpenCL C
    .language_version:
      - 2
      - 0
    .max_flat_workgroup_size: 256
    .name:           _ZL23rocblas_gemvt_sn_kernelILb0ELi256ELi4ElPK16rocblas_bfloat16ffEviiT4_lPKT3_lilS6_lilPT5_i
    .private_segment_fixed_size: 0
    .sgpr_count:     68
    .sgpr_spill_count: 0
    .symbol:         _ZL23rocblas_gemvt_sn_kernelILb0ELi256ELi4ElPK16rocblas_bfloat16ffEviiT4_lPKT3_lilS6_lilPT5_i.kd
    .uniform_work_group_size: 1
    .uses_dynamic_stack: false
    .vgpr_count:     73
    .vgpr_spill_count: 0
    .wavefront_size: 32
  - .args:
      - .offset:         0
        .size:           4
        .value_kind:     by_value
      - .offset:         4
        .size:           4
        .value_kind:     by_value
      - .offset:         8
        .size:           8
        .value_kind:     by_value
      - .address_space:  global
        .offset:         16
        .size:           8
        .value_kind:     global_buffer
      - .offset:         24
        .size:           8
        .value_kind:     by_value
      - .offset:         32
        .size:           4
        .value_kind:     by_value
      - .offset:         40
        .size:           8
        .value_kind:     by_value
      - .actual_access:  read_only
        .address_space:  global
        .offset:         48
        .size:           8
        .value_kind:     global_buffer
      - .offset:         56
        .size:           4
        .value_kind:     by_value
      - .offset:         64
        .size:           4
        .value_kind:     hidden_block_count_x
      - .offset:         68
        .size:           4
        .value_kind:     hidden_block_count_y
      - .offset:         72
        .size:           4
        .value_kind:     hidden_block_count_z
      - .offset:         76
        .size:           2
        .value_kind:     hidden_group_size_x
      - .offset:         78
        .size:           2
        .value_kind:     hidden_group_size_y
      - .offset:         80
        .size:           2
        .value_kind:     hidden_group_size_z
      - .offset:         82
        .size:           2
        .value_kind:     hidden_remainder_x
      - .offset:         84
        .size:           2
        .value_kind:     hidden_remainder_y
      - .offset:         86
        .size:           2
        .value_kind:     hidden_remainder_z
      - .offset:         104
        .size:           8
        .value_kind:     hidden_global_offset_x
      - .offset:         112
        .size:           8
        .value_kind:     hidden_global_offset_y
      - .offset:         120
        .size:           8
        .value_kind:     hidden_global_offset_z
      - .offset:         128
        .size:           2
        .value_kind:     hidden_grid_dims
    .group_segment_fixed_size: 128
    .kernarg_segment_align: 8
    .kernarg_segment_size: 320
    .language:       OpenCL C
    .language_version:
      - 2
      - 0
    .max_flat_workgroup_size: 256
    .name:           _ZL23rocblas_gemvt_sn_reduceILi256ELi8EffKP16rocblas_bfloat16EviT2_lPT3_lilPT1_i
    .private_segment_fixed_size: 0
    .sgpr_count:     38
    .sgpr_spill_count: 0
    .symbol:         _ZL23rocblas_gemvt_sn_reduceILi256ELi8EffKP16rocblas_bfloat16EviT2_lPT3_lilPT1_i.kd
    .uniform_work_group_size: 1
    .uses_dynamic_stack: false
    .vgpr_count:     26
    .vgpr_spill_count: 0
    .wavefront_size: 32
  - .args:
      - .offset:         0
        .size:           4
        .value_kind:     by_value
      - .offset:         4
        .size:           4
        .value_kind:     by_value
      - .address_space:  global
        .offset:         8
        .size:           8
        .value_kind:     global_buffer
      - .offset:         16
        .size:           8
        .value_kind:     by_value
      - .address_space:  global
        .offset:         24
        .size:           8
        .value_kind:     global_buffer
      - .offset:         32
        .size:           8
        .value_kind:     by_value
      - .offset:         40
        .size:           4
        .value_kind:     by_value
      - .offset:         48
        .size:           8
        .value_kind:     by_value
      - .address_space:  global
        .offset:         56
        .size:           8
        .value_kind:     global_buffer
      - .offset:         64
        .size:           8
        .value_kind:     by_value
      - .offset:         72
        .size:           4
        .value_kind:     by_value
      - .offset:         80
        .size:           8
        .value_kind:     by_value
      - .address_space:  global
        .offset:         88
        .size:           8
        .value_kind:     global_buffer
      - .offset:         96
        .size:           8
        .value_kind:     by_value
      - .address_space:  global
        .offset:         104
        .size:           8
        .value_kind:     global_buffer
      - .offset:         112
        .size:           8
        .value_kind:     by_value
      - .offset:         120
        .size:           4
        .value_kind:     by_value
      - .offset:         128
        .size:           8
        .value_kind:     by_value
      - .offset:         136
        .size:           4
        .value_kind:     by_value
    .group_segment_fixed_size: 128
    .kernarg_segment_align: 8
    .kernarg_segment_size: 140
    .language:       OpenCL C
    .language_version:
      - 2
      - 0
    .max_flat_workgroup_size: 256
    .name:           _ZL32rocblas_gemvt_warp_reduce_kernelILb0ELi256EiPK16rocblas_bfloat16PKfKPS0_EviiT3_lPKT2_lT1_lSA_lSB_lS7_lPT4_lSB_li
    .private_segment_fixed_size: 0
    .sgpr_count:     46
    .sgpr_spill_count: 0
    .symbol:         _ZL32rocblas_gemvt_warp_reduce_kernelILb0ELi256EiPK16rocblas_bfloat16PKfKPS0_EviiT3_lPKT2_lT1_lSA_lSB_lS7_lPT4_lSB_li.kd
    .uniform_work_group_size: 1
    .uses_dynamic_stack: false
    .vgpr_count:     25
    .vgpr_spill_count: 0
    .wavefront_size: 32
  - .args:
      - .offset:         0
        .size:           4
        .value_kind:     by_value
      - .offset:         4
        .size:           4
        .value_kind:     by_value
      - .address_space:  global
        .offset:         8
        .size:           8
        .value_kind:     global_buffer
      - .offset:         16
        .size:           8
        .value_kind:     by_value
      - .address_space:  global
        .offset:         24
        .size:           8
        .value_kind:     global_buffer
      - .offset:         32
        .size:           8
        .value_kind:     by_value
      - .offset:         40
        .size:           8
        .value_kind:     by_value
      - .offset:         48
        .size:           8
        .value_kind:     by_value
      - .address_space:  global
        .offset:         56
        .size:           8
        .value_kind:     global_buffer
      - .offset:         64
        .size:           8
        .value_kind:     by_value
      - .offset:         72
        .size:           8
        .value_kind:     by_value
      - .offset:         80
        .size:           8
        .value_kind:     by_value
      - .address_space:  global
        .offset:         88
        .size:           8
        .value_kind:     global_buffer
      - .offset:         96
        .size:           8
        .value_kind:     by_value
      - .address_space:  global
        .offset:         104
        .size:           8
        .value_kind:     global_buffer
      - .offset:         112
        .size:           8
        .value_kind:     by_value
      - .offset:         120
        .size:           8
        .value_kind:     by_value
      - .offset:         128
        .size:           8
        .value_kind:     by_value
      - .offset:         136
        .size:           4
        .value_kind:     by_value
    .group_segment_fixed_size: 128
    .kernarg_segment_align: 8
    .kernarg_segment_size: 140
    .language:       OpenCL C
    .language_version:
      - 2
      - 0
    .max_flat_workgroup_size: 256
    .name:           _ZL32rocblas_gemvt_warp_reduce_kernelILb0ELi256ElPK16rocblas_bfloat16PKfKPS0_EviiT3_lPKT2_lT1_lSA_lSB_lS7_lPT4_lSB_li
    .private_segment_fixed_size: 0
    .sgpr_count:     46
    .sgpr_spill_count: 0
    .symbol:         _ZL32rocblas_gemvt_warp_reduce_kernelILb0ELi256ElPK16rocblas_bfloat16PKfKPS0_EviiT3_lPKT2_lT1_lSA_lSB_lS7_lPT4_lSB_li.kd
    .uniform_work_group_size: 1
    .uses_dynamic_stack: false
    .vgpr_count:     27
    .vgpr_spill_count: 0
    .wavefront_size: 32
  - .args:
      - .offset:         0
        .size:           4
        .value_kind:     by_value
      - .offset:         4
        .size:           4
        .value_kind:     by_value
      - .offset:         8
        .size:           4
        .value_kind:     by_value
      - .offset:         16
        .size:           8
        .value_kind:     by_value
      - .address_space:  global
        .offset:         24
        .size:           8
        .value_kind:     global_buffer
      - .offset:         32
        .size:           8
        .value_kind:     by_value
      - .offset:         40
        .size:           4
        .value_kind:     by_value
      - .offset:         48
        .size:           8
        .value_kind:     by_value
      - .address_space:  global
        .offset:         56
        .size:           8
        .value_kind:     global_buffer
      - .offset:         64
        .size:           8
        .value_kind:     by_value
      - .offset:         72
        .size:           4
        .value_kind:     by_value
      - .offset:         80
        .size:           8
        .value_kind:     by_value
      - .offset:         88
        .size:           4
        .value_kind:     by_value
      - .offset:         96
        .size:           8
        .value_kind:     by_value
      - .address_space:  global
        .offset:         104
        .size:           8
        .value_kind:     global_buffer
      - .offset:         112
        .size:           8
        .value_kind:     by_value
      - .offset:         120
        .size:           4
        .value_kind:     by_value
      - .offset:         128
        .size:           8
        .value_kind:     by_value
      - .offset:         136
        .size:           4
        .value_kind:     by_value
    .group_segment_fixed_size: 128
    .kernarg_segment_align: 8
    .kernarg_segment_size: 140
    .language:       OpenCL C
    .language_version:
      - 2
      - 0
    .max_flat_workgroup_size: 256
    .name:           _ZL32rocblas_gemvt_warp_reduce_kernelILb0ELi256EiPK16rocblas_bfloat16fKPS0_EviiT3_lPKT2_lT1_lS8_lS9_lS5_lPT4_lS9_li
    .private_segment_fixed_size: 0
    .sgpr_count:     42
    .sgpr_spill_count: 0
    .symbol:         _ZL32rocblas_gemvt_warp_reduce_kernelILb0ELi256EiPK16rocblas_bfloat16fKPS0_EviiT3_lPKT2_lT1_lS8_lS9_lS5_lPT4_lS9_li.kd
    .uniform_work_group_size: 1
    .uses_dynamic_stack: false
    .vgpr_count:     25
    .vgpr_spill_count: 0
    .wavefront_size: 32
  - .args:
      - .offset:         0
        .size:           4
        .value_kind:     by_value
      - .offset:         4
        .size:           4
        .value_kind:     by_value
      - .offset:         8
        .size:           4
        .value_kind:     by_value
      - .offset:         16
        .size:           8
        .value_kind:     by_value
      - .address_space:  global
        .offset:         24
        .size:           8
        .value_kind:     global_buffer
      - .offset:         32
        .size:           8
        .value_kind:     by_value
      - .offset:         40
        .size:           8
        .value_kind:     by_value
      - .offset:         48
        .size:           8
        .value_kind:     by_value
      - .address_space:  global
        .offset:         56
        .size:           8
        .value_kind:     global_buffer
      - .offset:         64
        .size:           8
        .value_kind:     by_value
      - .offset:         72
        .size:           8
        .value_kind:     by_value
      - .offset:         80
        .size:           8
        .value_kind:     by_value
      - .offset:         88
        .size:           4
        .value_kind:     by_value
      - .offset:         96
        .size:           8
        .value_kind:     by_value
      - .address_space:  global
        .offset:         104
        .size:           8
        .value_kind:     global_buffer
      - .offset:         112
        .size:           8
        .value_kind:     by_value
      - .offset:         120
        .size:           8
        .value_kind:     by_value
      - .offset:         128
        .size:           8
        .value_kind:     by_value
      - .offset:         136
        .size:           4
        .value_kind:     by_value
    .group_segment_fixed_size: 128
    .kernarg_segment_align: 8
    .kernarg_segment_size: 140
    .language:       OpenCL C
    .language_version:
      - 2
      - 0
    .max_flat_workgroup_size: 256
    .name:           _ZL32rocblas_gemvt_warp_reduce_kernelILb0ELi256ElPK16rocblas_bfloat16fKPS0_EviiT3_lPKT2_lT1_lS8_lS9_lS5_lPT4_lS9_li
    .private_segment_fixed_size: 0
    .sgpr_count:     42
    .sgpr_spill_count: 0
    .symbol:         _ZL32rocblas_gemvt_warp_reduce_kernelILb0ELi256ElPK16rocblas_bfloat16fKPS0_EviiT3_lPKT2_lT1_lS8_lS9_lS5_lPT4_lS9_li.kd
    .uniform_work_group_size: 1
    .uses_dynamic_stack: false
    .vgpr_count:     27
    .vgpr_spill_count: 0
    .wavefront_size: 32
  - .args:
      - .offset:         0
        .size:           4
        .value_kind:     by_value
      - .offset:         4
        .size:           4
        .value_kind:     by_value
      - .address_space:  global
        .offset:         8
        .size:           8
        .value_kind:     global_buffer
      - .offset:         16
        .size:           8
        .value_kind:     by_value
      - .address_space:  global
        .offset:         24
        .size:           8
        .value_kind:     global_buffer
      - .offset:         32
        .size:           8
        .value_kind:     by_value
      - .offset:         40
        .size:           4
        .value_kind:     by_value
      - .offset:         48
        .size:           8
        .value_kind:     by_value
      - .address_space:  global
        .offset:         56
        .size:           8
        .value_kind:     global_buffer
      - .offset:         64
        .size:           8
        .value_kind:     by_value
      - .offset:         72
        .size:           4
        .value_kind:     by_value
      - .offset:         80
        .size:           8
        .value_kind:     by_value
      - .address_space:  global
        .offset:         88
        .size:           8
        .value_kind:     global_buffer
      - .offset:         96
        .size:           8
        .value_kind:     by_value
      - .address_space:  global
        .offset:         104
        .size:           8
        .value_kind:     global_buffer
      - .offset:         112
        .size:           8
        .value_kind:     by_value
      - .offset:         120
        .size:           4
        .value_kind:     by_value
      - .offset:         128
        .size:           8
        .value_kind:     by_value
      - .offset:         136
        .size:           4
        .value_kind:     by_value
    .group_segment_fixed_size: 1024
    .kernarg_segment_align: 8
    .kernarg_segment_size: 140
    .language:       OpenCL C
    .language_version:
      - 2
      - 0
    .max_flat_workgroup_size: 256
    .name:           _ZL20rocblas_gemvt_kernelILb0ELi256EPK16rocblas_bfloat16PKfKPS0_EviiT2_lPKT1_lilSA_lilS7_lPT3_lili
    .private_segment_fixed_size: 0
    .sgpr_count:     50
    .sgpr_spill_count: 0
    .symbol:         _ZL20rocblas_gemvt_kernelILb0ELi256EPK16rocblas_bfloat16PKfKPS0_EviiT2_lPKT1_lilSA_lilS7_lPT3_lili.kd
    .uniform_work_group_size: 1
    .uses_dynamic_stack: false
    .vgpr_count:     21
    .vgpr_spill_count: 0
    .wavefront_size: 32
  - .args:
      - .offset:         0
        .size:           4
        .value_kind:     by_value
      - .offset:         4
        .size:           4
        .value_kind:     by_value
      - .offset:         8
        .size:           4
        .value_kind:     by_value
      - .offset:         16
        .size:           8
        .value_kind:     by_value
      - .address_space:  global
        .offset:         24
        .size:           8
        .value_kind:     global_buffer
      - .offset:         32
        .size:           8
        .value_kind:     by_value
      - .offset:         40
        .size:           4
        .value_kind:     by_value
      - .offset:         48
        .size:           8
        .value_kind:     by_value
      - .address_space:  global
        .offset:         56
        .size:           8
        .value_kind:     global_buffer
      - .offset:         64
        .size:           8
        .value_kind:     by_value
      - .offset:         72
        .size:           4
        .value_kind:     by_value
      - .offset:         80
        .size:           8
        .value_kind:     by_value
      - .offset:         88
        .size:           4
        .value_kind:     by_value
      - .offset:         96
        .size:           8
        .value_kind:     by_value
      - .address_space:  global
        .offset:         104
        .size:           8
        .value_kind:     global_buffer
      - .offset:         112
        .size:           8
        .value_kind:     by_value
      - .offset:         120
        .size:           4
        .value_kind:     by_value
      - .offset:         128
        .size:           8
        .value_kind:     by_value
      - .offset:         136
        .size:           4
        .value_kind:     by_value
    .group_segment_fixed_size: 1024
    .kernarg_segment_align: 8
    .kernarg_segment_size: 140
    .language:       OpenCL C
    .language_version:
      - 2
      - 0
    .max_flat_workgroup_size: 256
    .name:           _ZL20rocblas_gemvt_kernelILb0ELi256EPK16rocblas_bfloat16fKPS0_EviiT2_lPKT1_lilS8_lilS5_lPT3_lili
    .private_segment_fixed_size: 0
    .sgpr_count:     47
    .sgpr_spill_count: 0
    .symbol:         _ZL20rocblas_gemvt_kernelILb0ELi256EPK16rocblas_bfloat16fKPS0_EviiT2_lPKT1_lilS8_lilS5_lPT3_lili.kd
    .uniform_work_group_size: 1
    .uses_dynamic_stack: false
    .vgpr_count:     22
    .vgpr_spill_count: 0
    .wavefront_size: 32
  - .args:
      - .offset:         0
        .size:           4
        .value_kind:     by_value
      - .offset:         4
        .size:           4
        .value_kind:     by_value
      - .address_space:  global
        .offset:         8
        .size:           8
        .value_kind:     global_buffer
      - .offset:         16
        .size:           8
        .value_kind:     by_value
      - .address_space:  global
        .offset:         24
        .size:           8
        .value_kind:     global_buffer
      - .offset:         32
        .size:           8
        .value_kind:     by_value
      - .offset:         40
        .size:           4
        .value_kind:     by_value
      - .offset:         48
        .size:           8
        .value_kind:     by_value
      - .address_space:  global
        .offset:         56
        .size:           8
        .value_kind:     global_buffer
      - .offset:         64
        .size:           8
        .value_kind:     by_value
      - .offset:         72
        .size:           4
        .value_kind:     by_value
      - .offset:         80
        .size:           8
        .value_kind:     by_value
      - .address_space:  global
        .offset:         88
        .size:           8
        .value_kind:     global_buffer
      - .offset:         96
        .size:           8
        .value_kind:     by_value
      - .address_space:  global
        .offset:         104
        .size:           8
        .value_kind:     global_buffer
      - .offset:         112
        .size:           8
        .value_kind:     by_value
      - .offset:         120
        .size:           4
        .value_kind:     by_value
      - .offset:         128
        .size:           8
        .value_kind:     by_value
      - .offset:         136
        .size:           4
        .value_kind:     by_value
    .group_segment_fixed_size: 128
    .kernarg_segment_align: 8
    .kernarg_segment_size: 140
    .language:       OpenCL C
    .language_version:
      - 2
      - 0
    .max_flat_workgroup_size: 1024
    .name:           _ZL32rocblas_gemvt_warp_reduce_kernelILb0ELi1024EiPK16rocblas_bfloat16PKfKPS0_EviiT3_lPKT2_lT1_lSA_lSB_lS7_lPT4_lSB_li
    .private_segment_fixed_size: 0
    .sgpr_count:     44
    .sgpr_spill_count: 0
    .symbol:         _ZL32rocblas_gemvt_warp_reduce_kernelILb0ELi1024EiPK16rocblas_bfloat16PKfKPS0_EviiT3_lPKT2_lT1_lSA_lSB_lS7_lPT4_lSB_li.kd
    .uniform_work_group_size: 1
    .uses_dynamic_stack: false
    .vgpr_count:     25
    .vgpr_spill_count: 0
    .wavefront_size: 32
  - .args:
      - .offset:         0
        .size:           4
        .value_kind:     by_value
      - .offset:         4
        .size:           4
        .value_kind:     by_value
      - .address_space:  global
        .offset:         8
        .size:           8
        .value_kind:     global_buffer
      - .offset:         16
        .size:           8
        .value_kind:     by_value
      - .address_space:  global
        .offset:         24
        .size:           8
        .value_kind:     global_buffer
      - .offset:         32
        .size:           8
        .value_kind:     by_value
      - .offset:         40
        .size:           8
        .value_kind:     by_value
      - .offset:         48
        .size:           8
        .value_kind:     by_value
      - .address_space:  global
        .offset:         56
        .size:           8
        .value_kind:     global_buffer
      - .offset:         64
        .size:           8
        .value_kind:     by_value
      - .offset:         72
        .size:           8
        .value_kind:     by_value
      - .offset:         80
        .size:           8
        .value_kind:     by_value
      - .address_space:  global
        .offset:         88
        .size:           8
        .value_kind:     global_buffer
      - .offset:         96
        .size:           8
        .value_kind:     by_value
      - .address_space:  global
        .offset:         104
        .size:           8
        .value_kind:     global_buffer
      - .offset:         112
        .size:           8
        .value_kind:     by_value
      - .offset:         120
        .size:           8
        .value_kind:     by_value
      - .offset:         128
        .size:           8
        .value_kind:     by_value
      - .offset:         136
        .size:           4
        .value_kind:     by_value
    .group_segment_fixed_size: 128
    .kernarg_segment_align: 8
    .kernarg_segment_size: 140
    .language:       OpenCL C
    .language_version:
      - 2
      - 0
    .max_flat_workgroup_size: 1024
    .name:           _ZL32rocblas_gemvt_warp_reduce_kernelILb0ELi1024ElPK16rocblas_bfloat16PKfKPS0_EviiT3_lPKT2_lT1_lSA_lSB_lS7_lPT4_lSB_li
    .private_segment_fixed_size: 0
    .sgpr_count:     46
    .sgpr_spill_count: 0
    .symbol:         _ZL32rocblas_gemvt_warp_reduce_kernelILb0ELi1024ElPK16rocblas_bfloat16PKfKPS0_EviiT3_lPKT2_lT1_lSA_lSB_lS7_lPT4_lSB_li.kd
    .uniform_work_group_size: 1
    .uses_dynamic_stack: false
    .vgpr_count:     27
    .vgpr_spill_count: 0
    .wavefront_size: 32
  - .args:
      - .offset:         0
        .size:           4
        .value_kind:     by_value
      - .offset:         4
        .size:           4
        .value_kind:     by_value
      - .offset:         8
        .size:           4
        .value_kind:     by_value
      - .offset:         16
        .size:           8
        .value_kind:     by_value
      - .address_space:  global
        .offset:         24
        .size:           8
        .value_kind:     global_buffer
      - .offset:         32
        .size:           8
        .value_kind:     by_value
      - .offset:         40
        .size:           4
        .value_kind:     by_value
      - .offset:         48
        .size:           8
        .value_kind:     by_value
      - .address_space:  global
        .offset:         56
        .size:           8
        .value_kind:     global_buffer
      - .offset:         64
        .size:           8
        .value_kind:     by_value
      - .offset:         72
        .size:           4
        .value_kind:     by_value
      - .offset:         80
        .size:           8
        .value_kind:     by_value
      - .offset:         88
        .size:           4
        .value_kind:     by_value
      - .offset:         96
        .size:           8
        .value_kind:     by_value
      - .address_space:  global
        .offset:         104
        .size:           8
        .value_kind:     global_buffer
      - .offset:         112
        .size:           8
        .value_kind:     by_value
      - .offset:         120
        .size:           4
        .value_kind:     by_value
      - .offset:         128
        .size:           8
        .value_kind:     by_value
      - .offset:         136
        .size:           4
        .value_kind:     by_value
    .group_segment_fixed_size: 128
    .kernarg_segment_align: 8
    .kernarg_segment_size: 140
    .language:       OpenCL C
    .language_version:
      - 2
      - 0
    .max_flat_workgroup_size: 1024
    .name:           _ZL32rocblas_gemvt_warp_reduce_kernelILb0ELi1024EiPK16rocblas_bfloat16fKPS0_EviiT3_lPKT2_lT1_lS8_lS9_lS5_lPT4_lS9_li
    .private_segment_fixed_size: 0
    .sgpr_count:     42
    .sgpr_spill_count: 0
    .symbol:         _ZL32rocblas_gemvt_warp_reduce_kernelILb0ELi1024EiPK16rocblas_bfloat16fKPS0_EviiT3_lPKT2_lT1_lS8_lS9_lS5_lPT4_lS9_li.kd
    .uniform_work_group_size: 1
    .uses_dynamic_stack: false
    .vgpr_count:     25
    .vgpr_spill_count: 0
    .wavefront_size: 32
  - .args:
      - .offset:         0
        .size:           4
        .value_kind:     by_value
      - .offset:         4
        .size:           4
        .value_kind:     by_value
      - .offset:         8
        .size:           4
        .value_kind:     by_value
      - .offset:         16
        .size:           8
        .value_kind:     by_value
      - .address_space:  global
        .offset:         24
        .size:           8
        .value_kind:     global_buffer
      - .offset:         32
        .size:           8
        .value_kind:     by_value
      - .offset:         40
        .size:           8
        .value_kind:     by_value
      - .offset:         48
        .size:           8
        .value_kind:     by_value
      - .address_space:  global
        .offset:         56
        .size:           8
        .value_kind:     global_buffer
      - .offset:         64
        .size:           8
        .value_kind:     by_value
      - .offset:         72
        .size:           8
        .value_kind:     by_value
      - .offset:         80
        .size:           8
        .value_kind:     by_value
      - .offset:         88
        .size:           4
        .value_kind:     by_value
      - .offset:         96
        .size:           8
        .value_kind:     by_value
      - .address_space:  global
        .offset:         104
        .size:           8
        .value_kind:     global_buffer
      - .offset:         112
        .size:           8
        .value_kind:     by_value
      - .offset:         120
        .size:           8
        .value_kind:     by_value
      - .offset:         128
        .size:           8
        .value_kind:     by_value
      - .offset:         136
        .size:           4
        .value_kind:     by_value
    .group_segment_fixed_size: 128
    .kernarg_segment_align: 8
    .kernarg_segment_size: 140
    .language:       OpenCL C
    .language_version:
      - 2
      - 0
    .max_flat_workgroup_size: 1024
    .name:           _ZL32rocblas_gemvt_warp_reduce_kernelILb0ELi1024ElPK16rocblas_bfloat16fKPS0_EviiT3_lPKT2_lT1_lS8_lS9_lS5_lPT4_lS9_li
    .private_segment_fixed_size: 0
    .sgpr_count:     41
    .sgpr_spill_count: 0
    .symbol:         _ZL32rocblas_gemvt_warp_reduce_kernelILb0ELi1024ElPK16rocblas_bfloat16fKPS0_EviiT3_lPKT2_lT1_lS8_lS9_lS5_lPT4_lS9_li.kd
    .uniform_work_group_size: 1
    .uses_dynamic_stack: false
    .vgpr_count:     27
    .vgpr_spill_count: 0
    .wavefront_size: 32
  - .args:
      - .offset:         0
        .size:           4
        .value_kind:     by_value
      - .offset:         4
        .size:           4
        .value_kind:     by_value
      - .address_space:  global
        .offset:         8
        .size:           8
        .value_kind:     global_buffer
      - .offset:         16
        .size:           8
        .value_kind:     by_value
      - .address_space:  global
        .offset:         24
        .size:           8
        .value_kind:     global_buffer
      - .offset:         32
        .size:           8
        .value_kind:     by_value
      - .offset:         40
        .size:           4
        .value_kind:     by_value
      - .offset:         48
        .size:           8
        .value_kind:     by_value
      - .address_space:  global
        .offset:         56
        .size:           8
        .value_kind:     global_buffer
      - .offset:         64
        .size:           8
        .value_kind:     by_value
      - .offset:         72
        .size:           4
        .value_kind:     by_value
      - .offset:         80
        .size:           8
        .value_kind:     by_value
      - .address_space:  global
        .offset:         88
        .size:           8
        .value_kind:     global_buffer
      - .offset:         96
        .size:           8
        .value_kind:     by_value
      - .address_space:  global
        .offset:         104
        .size:           8
        .value_kind:     global_buffer
      - .offset:         112
        .size:           8
        .value_kind:     by_value
      - .offset:         120
        .size:           4
        .value_kind:     by_value
      - .offset:         128
        .size:           8
        .value_kind:     by_value
    .group_segment_fixed_size: 256
    .kernarg_segment_align: 8
    .kernarg_segment_size: 136
    .language:       OpenCL C
    .language_version:
      - 2
      - 0
    .max_flat_workgroup_size: 256
    .name:           _ZL22rocblas_gemvtsm_kernelILb1ELi256EPK16rocblas_bfloat16PKfKPS0_EviiT2_lPKT1_lilSA_lilS7_lPT3_lil
    .private_segment_fixed_size: 0
    .sgpr_count:     24
    .sgpr_spill_count: 0
    .symbol:         _ZL22rocblas_gemvtsm_kernelILb1ELi256EPK16rocblas_bfloat16PKfKPS0_EviiT2_lPKT1_lilSA_lilS7_lPT3_lil.kd
    .uniform_work_group_size: 1
    .uses_dynamic_stack: false
    .vgpr_count:     17
    .vgpr_spill_count: 0
    .wavefront_size: 32
  - .args:
      - .offset:         0
        .size:           4
        .value_kind:     by_value
      - .offset:         4
        .size:           4
        .value_kind:     by_value
      - .offset:         8
        .size:           4
        .value_kind:     by_value
      - .offset:         16
        .size:           8
        .value_kind:     by_value
      - .address_space:  global
        .offset:         24
        .size:           8
        .value_kind:     global_buffer
      - .offset:         32
        .size:           8
        .value_kind:     by_value
      - .offset:         40
        .size:           4
        .value_kind:     by_value
      - .offset:         48
        .size:           8
        .value_kind:     by_value
      - .address_space:  global
        .offset:         56
        .size:           8
        .value_kind:     global_buffer
      - .offset:         64
        .size:           8
        .value_kind:     by_value
      - .offset:         72
        .size:           4
        .value_kind:     by_value
      - .offset:         80
        .size:           8
        .value_kind:     by_value
      - .offset:         88
        .size:           4
        .value_kind:     by_value
      - .offset:         96
        .size:           8
        .value_kind:     by_value
      - .address_space:  global
        .offset:         104
        .size:           8
        .value_kind:     global_buffer
      - .offset:         112
        .size:           8
        .value_kind:     by_value
      - .offset:         120
        .size:           4
        .value_kind:     by_value
      - .offset:         128
        .size:           8
        .value_kind:     by_value
    .group_segment_fixed_size: 256
    .kernarg_segment_align: 8
    .kernarg_segment_size: 136
    .language:       OpenCL C
    .language_version:
      - 2
      - 0
    .max_flat_workgroup_size: 256
    .name:           _ZL22rocblas_gemvtsm_kernelILb1ELi256EPK16rocblas_bfloat16fKPS0_EviiT2_lPKT1_lilS8_lilS5_lPT3_lil
    .private_segment_fixed_size: 0
    .sgpr_count:     26
    .sgpr_spill_count: 0
    .symbol:         _ZL22rocblas_gemvtsm_kernelILb1ELi256EPK16rocblas_bfloat16fKPS0_EviiT2_lPKT1_lilS8_lilS5_lPT3_lil.kd
    .uniform_work_group_size: 1
    .uses_dynamic_stack: false
    .vgpr_count:     17
    .vgpr_spill_count: 0
    .wavefront_size: 32
  - .args:
      - .offset:         0
        .size:           4
        .value_kind:     by_value
      - .offset:         4
        .size:           4
        .value_kind:     by_value
      - .address_space:  global
        .offset:         8
        .size:           8
        .value_kind:     global_buffer
      - .offset:         16
        .size:           8
        .value_kind:     by_value
      - .address_space:  global
        .offset:         24
        .size:           8
        .value_kind:     global_buffer
      - .offset:         32
        .size:           8
        .value_kind:     by_value
      - .offset:         40
        .size:           4
        .value_kind:     by_value
      - .offset:         48
        .size:           8
        .value_kind:     by_value
      - .address_space:  global
        .offset:         56
        .size:           8
        .value_kind:     global_buffer
      - .offset:         64
        .size:           8
        .value_kind:     by_value
      - .offset:         72
        .size:           4
        .value_kind:     by_value
      - .offset:         80
        .size:           8
        .value_kind:     by_value
      - .address_space:  global
        .offset:         88
        .size:           8
        .value_kind:     global_buffer
      - .offset:         96
        .size:           4
        .value_kind:     by_value
      - .offset:         104
        .size:           4
        .value_kind:     hidden_block_count_x
      - .offset:         108
        .size:           4
        .value_kind:     hidden_block_count_y
      - .offset:         112
        .size:           4
        .value_kind:     hidden_block_count_z
      - .offset:         116
        .size:           2
        .value_kind:     hidden_group_size_x
      - .offset:         118
        .size:           2
        .value_kind:     hidden_group_size_y
      - .offset:         120
        .size:           2
        .value_kind:     hidden_group_size_z
      - .offset:         122
        .size:           2
        .value_kind:     hidden_remainder_x
      - .offset:         124
        .size:           2
        .value_kind:     hidden_remainder_y
      - .offset:         126
        .size:           2
        .value_kind:     hidden_remainder_z
      - .offset:         144
        .size:           8
        .value_kind:     hidden_global_offset_x
      - .offset:         152
        .size:           8
        .value_kind:     hidden_global_offset_y
      - .offset:         160
        .size:           8
        .value_kind:     hidden_global_offset_z
      - .offset:         168
        .size:           2
        .value_kind:     hidden_grid_dims
    .group_segment_fixed_size: 128
    .kernarg_segment_align: 8
    .kernarg_segment_size: 360
    .language:       OpenCL C
    .language_version:
      - 2
      - 0
    .max_flat_workgroup_size: 256
    .name:           _ZL23rocblas_gemvt_sn_kernelILb1ELi256ELi4EiPK16rocblas_bfloat16PKffEviiT4_lPKT3_lilS8_lilPT5_i
    .private_segment_fixed_size: 0
    .sgpr_count:     80
    .sgpr_spill_count: 0
    .symbol:         _ZL23rocblas_gemvt_sn_kernelILb1ELi256ELi4EiPK16rocblas_bfloat16PKffEviiT4_lPKT3_lilS8_lilPT5_i.kd
    .uniform_work_group_size: 1
    .uses_dynamic_stack: false
    .vgpr_count:     68
    .vgpr_spill_count: 0
    .wavefront_size: 32
  - .args:
      - .offset:         0
        .size:           4
        .value_kind:     by_value
      - .offset:         4
        .size:           4
        .value_kind:     by_value
      - .address_space:  global
        .offset:         8
        .size:           8
        .value_kind:     global_buffer
      - .offset:         16
        .size:           8
        .value_kind:     by_value
      - .address_space:  global
        .offset:         24
        .size:           8
        .value_kind:     global_buffer
      - .offset:         32
        .size:           8
        .value_kind:     by_value
      - .offset:         40
        .size:           4
        .value_kind:     by_value
      - .offset:         48
        .size:           8
        .value_kind:     by_value
      - .address_space:  global
        .offset:         56
        .size:           8
        .value_kind:     global_buffer
      - .offset:         64
        .size:           8
        .value_kind:     by_value
      - .offset:         72
        .size:           4
        .value_kind:     by_value
      - .offset:         80
        .size:           8
        .value_kind:     by_value
      - .address_space:  global
        .offset:         88
        .size:           8
        .value_kind:     global_buffer
      - .offset:         96
        .size:           4
        .value_kind:     by_value
      - .offset:         104
        .size:           4
        .value_kind:     hidden_block_count_x
      - .offset:         108
        .size:           4
        .value_kind:     hidden_block_count_y
      - .offset:         112
        .size:           4
        .value_kind:     hidden_block_count_z
      - .offset:         116
        .size:           2
        .value_kind:     hidden_group_size_x
      - .offset:         118
        .size:           2
        .value_kind:     hidden_group_size_y
      - .offset:         120
        .size:           2
        .value_kind:     hidden_group_size_z
      - .offset:         122
        .size:           2
        .value_kind:     hidden_remainder_x
      - .offset:         124
        .size:           2
        .value_kind:     hidden_remainder_y
      - .offset:         126
        .size:           2
        .value_kind:     hidden_remainder_z
      - .offset:         144
        .size:           8
        .value_kind:     hidden_global_offset_x
      - .offset:         152
        .size:           8
        .value_kind:     hidden_global_offset_y
      - .offset:         160
        .size:           8
        .value_kind:     hidden_global_offset_z
      - .offset:         168
        .size:           2
        .value_kind:     hidden_grid_dims
    .group_segment_fixed_size: 128
    .kernarg_segment_align: 8
    .kernarg_segment_size: 360
    .language:       OpenCL C
    .language_version:
      - 2
      - 0
    .max_flat_workgroup_size: 256
    .name:           _ZL23rocblas_gemvt_sn_kernelILb1ELi256ELi4ElPK16rocblas_bfloat16PKffEviiT4_lPKT3_lilS8_lilPT5_i
    .private_segment_fixed_size: 0
    .sgpr_count:     72
    .sgpr_spill_count: 0
    .symbol:         _ZL23rocblas_gemvt_sn_kernelILb1ELi256ELi4ElPK16rocblas_bfloat16PKffEviiT4_lPKT3_lilS8_lilPT5_i.kd
    .uniform_work_group_size: 1
    .uses_dynamic_stack: false
    .vgpr_count:     74
    .vgpr_spill_count: 0
    .wavefront_size: 32
  - .args:
      - .offset:         0
        .size:           4
        .value_kind:     by_value
      - .offset:         4
        .size:           4
        .value_kind:     by_value
      - .offset:         8
        .size:           4
        .value_kind:     by_value
      - .offset:         16
        .size:           8
        .value_kind:     by_value
      - .address_space:  global
        .offset:         24
        .size:           8
        .value_kind:     global_buffer
      - .offset:         32
        .size:           8
        .value_kind:     by_value
      - .offset:         40
        .size:           4
        .value_kind:     by_value
      - .offset:         48
        .size:           8
        .value_kind:     by_value
      - .address_space:  global
        .offset:         56
        .size:           8
        .value_kind:     global_buffer
      - .offset:         64
        .size:           8
        .value_kind:     by_value
      - .offset:         72
        .size:           4
        .value_kind:     by_value
      - .offset:         80
        .size:           8
        .value_kind:     by_value
      - .address_space:  global
        .offset:         88
        .size:           8
        .value_kind:     global_buffer
      - .offset:         96
        .size:           4
        .value_kind:     by_value
      - .offset:         104
        .size:           4
        .value_kind:     hidden_block_count_x
      - .offset:         108
        .size:           4
        .value_kind:     hidden_block_count_y
      - .offset:         112
        .size:           4
        .value_kind:     hidden_block_count_z
      - .offset:         116
        .size:           2
        .value_kind:     hidden_group_size_x
      - .offset:         118
        .size:           2
        .value_kind:     hidden_group_size_y
      - .offset:         120
        .size:           2
        .value_kind:     hidden_group_size_z
      - .offset:         122
        .size:           2
        .value_kind:     hidden_remainder_x
      - .offset:         124
        .size:           2
        .value_kind:     hidden_remainder_y
      - .offset:         126
        .size:           2
        .value_kind:     hidden_remainder_z
      - .offset:         144
        .size:           8
        .value_kind:     hidden_global_offset_x
      - .offset:         152
        .size:           8
        .value_kind:     hidden_global_offset_y
      - .offset:         160
        .size:           8
        .value_kind:     hidden_global_offset_z
      - .offset:         168
        .size:           2
        .value_kind:     hidden_grid_dims
    .group_segment_fixed_size: 128
    .kernarg_segment_align: 8
    .kernarg_segment_size: 360
    .language:       OpenCL C
    .language_version:
      - 2
      - 0
    .max_flat_workgroup_size: 256
    .name:           _ZL23rocblas_gemvt_sn_kernelILb1ELi256ELi4EiPK16rocblas_bfloat16ffEviiT4_lPKT3_lilS6_lilPT5_i
    .private_segment_fixed_size: 0
    .sgpr_count:     78
    .sgpr_spill_count: 0
    .symbol:         _ZL23rocblas_gemvt_sn_kernelILb1ELi256ELi4EiPK16rocblas_bfloat16ffEviiT4_lPKT3_lilS6_lilPT5_i.kd
    .uniform_work_group_size: 1
    .uses_dynamic_stack: false
    .vgpr_count:     65
    .vgpr_spill_count: 0
    .wavefront_size: 32
  - .args:
      - .offset:         0
        .size:           4
        .value_kind:     by_value
      - .offset:         4
        .size:           4
        .value_kind:     by_value
      - .offset:         8
        .size:           4
        .value_kind:     by_value
      - .offset:         16
        .size:           8
        .value_kind:     by_value
      - .address_space:  global
        .offset:         24
        .size:           8
        .value_kind:     global_buffer
      - .offset:         32
        .size:           8
        .value_kind:     by_value
      - .offset:         40
        .size:           4
        .value_kind:     by_value
      - .offset:         48
        .size:           8
        .value_kind:     by_value
      - .address_space:  global
        .offset:         56
        .size:           8
        .value_kind:     global_buffer
      - .offset:         64
        .size:           8
        .value_kind:     by_value
      - .offset:         72
        .size:           4
        .value_kind:     by_value
      - .offset:         80
        .size:           8
        .value_kind:     by_value
      - .address_space:  global
        .offset:         88
        .size:           8
        .value_kind:     global_buffer
      - .offset:         96
        .size:           4
        .value_kind:     by_value
      - .offset:         104
        .size:           4
        .value_kind:     hidden_block_count_x
      - .offset:         108
        .size:           4
        .value_kind:     hidden_block_count_y
      - .offset:         112
        .size:           4
        .value_kind:     hidden_block_count_z
      - .offset:         116
        .size:           2
        .value_kind:     hidden_group_size_x
      - .offset:         118
        .size:           2
        .value_kind:     hidden_group_size_y
      - .offset:         120
        .size:           2
        .value_kind:     hidden_group_size_z
      - .offset:         122
        .size:           2
        .value_kind:     hidden_remainder_x
      - .offset:         124
        .size:           2
        .value_kind:     hidden_remainder_y
      - .offset:         126
        .size:           2
        .value_kind:     hidden_remainder_z
      - .offset:         144
        .size:           8
        .value_kind:     hidden_global_offset_x
      - .offset:         152
        .size:           8
        .value_kind:     hidden_global_offset_y
      - .offset:         160
        .size:           8
        .value_kind:     hidden_global_offset_z
      - .offset:         168
        .size:           2
        .value_kind:     hidden_grid_dims
    .group_segment_fixed_size: 128
    .kernarg_segment_align: 8
    .kernarg_segment_size: 360
    .language:       OpenCL C
    .language_version:
      - 2
      - 0
    .max_flat_workgroup_size: 256
    .name:           _ZL23rocblas_gemvt_sn_kernelILb1ELi256ELi4ElPK16rocblas_bfloat16ffEviiT4_lPKT3_lilS6_lilPT5_i
    .private_segment_fixed_size: 0
    .sgpr_count:     68
    .sgpr_spill_count: 0
    .symbol:         _ZL23rocblas_gemvt_sn_kernelILb1ELi256ELi4ElPK16rocblas_bfloat16ffEviiT4_lPKT3_lilS6_lilPT5_i.kd
    .uniform_work_group_size: 1
    .uses_dynamic_stack: false
    .vgpr_count:     73
    .vgpr_spill_count: 0
    .wavefront_size: 32
  - .args:
      - .offset:         0
        .size:           4
        .value_kind:     by_value
      - .offset:         4
        .size:           4
        .value_kind:     by_value
      - .address_space:  global
        .offset:         8
        .size:           8
        .value_kind:     global_buffer
      - .offset:         16
        .size:           8
        .value_kind:     by_value
      - .address_space:  global
        .offset:         24
        .size:           8
        .value_kind:     global_buffer
      - .offset:         32
        .size:           8
        .value_kind:     by_value
      - .offset:         40
        .size:           4
        .value_kind:     by_value
      - .offset:         48
        .size:           8
        .value_kind:     by_value
      - .address_space:  global
        .offset:         56
        .size:           8
        .value_kind:     global_buffer
      - .offset:         64
        .size:           8
        .value_kind:     by_value
      - .offset:         72
        .size:           4
        .value_kind:     by_value
      - .offset:         80
        .size:           8
        .value_kind:     by_value
      - .address_space:  global
        .offset:         88
        .size:           8
        .value_kind:     global_buffer
      - .offset:         96
        .size:           8
        .value_kind:     by_value
      - .address_space:  global
        .offset:         104
        .size:           8
        .value_kind:     global_buffer
      - .offset:         112
        .size:           8
        .value_kind:     by_value
      - .offset:         120
        .size:           4
        .value_kind:     by_value
      - .offset:         128
        .size:           8
        .value_kind:     by_value
      - .offset:         136
        .size:           4
        .value_kind:     by_value
    .group_segment_fixed_size: 1024
    .kernarg_segment_align: 8
    .kernarg_segment_size: 140
    .language:       OpenCL C
    .language_version:
      - 2
      - 0
    .max_flat_workgroup_size: 256
    .name:           _ZL20rocblas_gemvt_kernelILb1ELi256EPK16rocblas_bfloat16PKfKPS0_EviiT2_lPKT1_lilSA_lilS7_lPT3_lili
    .private_segment_fixed_size: 0
    .sgpr_count:     50
    .sgpr_spill_count: 0
    .symbol:         _ZL20rocblas_gemvt_kernelILb1ELi256EPK16rocblas_bfloat16PKfKPS0_EviiT2_lPKT1_lilSA_lilS7_lPT3_lili.kd
    .uniform_work_group_size: 1
    .uses_dynamic_stack: false
    .vgpr_count:     21
    .vgpr_spill_count: 0
    .wavefront_size: 32
  - .args:
      - .offset:         0
        .size:           4
        .value_kind:     by_value
      - .offset:         4
        .size:           4
        .value_kind:     by_value
      - .offset:         8
        .size:           4
        .value_kind:     by_value
      - .offset:         16
        .size:           8
        .value_kind:     by_value
      - .address_space:  global
        .offset:         24
        .size:           8
        .value_kind:     global_buffer
      - .offset:         32
        .size:           8
        .value_kind:     by_value
      - .offset:         40
        .size:           4
        .value_kind:     by_value
      - .offset:         48
        .size:           8
        .value_kind:     by_value
      - .address_space:  global
        .offset:         56
        .size:           8
        .value_kind:     global_buffer
      - .offset:         64
        .size:           8
        .value_kind:     by_value
      - .offset:         72
        .size:           4
        .value_kind:     by_value
      - .offset:         80
        .size:           8
        .value_kind:     by_value
      - .offset:         88
        .size:           4
        .value_kind:     by_value
      - .offset:         96
        .size:           8
        .value_kind:     by_value
      - .address_space:  global
        .offset:         104
        .size:           8
        .value_kind:     global_buffer
      - .offset:         112
        .size:           8
        .value_kind:     by_value
      - .offset:         120
        .size:           4
        .value_kind:     by_value
      - .offset:         128
        .size:           8
        .value_kind:     by_value
      - .offset:         136
        .size:           4
        .value_kind:     by_value
    .group_segment_fixed_size: 1024
    .kernarg_segment_align: 8
    .kernarg_segment_size: 140
    .language:       OpenCL C
    .language_version:
      - 2
      - 0
    .max_flat_workgroup_size: 256
    .name:           _ZL20rocblas_gemvt_kernelILb1ELi256EPK16rocblas_bfloat16fKPS0_EviiT2_lPKT1_lilS8_lilS5_lPT3_lili
    .private_segment_fixed_size: 0
    .sgpr_count:     47
    .sgpr_spill_count: 0
    .symbol:         _ZL20rocblas_gemvt_kernelILb1ELi256EPK16rocblas_bfloat16fKPS0_EviiT2_lPKT1_lilS8_lilS5_lPT3_lili.kd
    .uniform_work_group_size: 1
    .uses_dynamic_stack: false
    .vgpr_count:     22
    .vgpr_spill_count: 0
    .wavefront_size: 32
  - .args:
      - .offset:         0
        .size:           4
        .value_kind:     by_value
      - .offset:         4
        .size:           4
        .value_kind:     by_value
      - .address_space:  global
        .offset:         8
        .size:           8
        .value_kind:     global_buffer
      - .offset:         16
        .size:           8
        .value_kind:     by_value
      - .address_space:  global
        .offset:         24
        .size:           8
        .value_kind:     global_buffer
      - .offset:         32
        .size:           8
        .value_kind:     by_value
      - .offset:         40
        .size:           4
        .value_kind:     by_value
      - .offset:         48
        .size:           8
        .value_kind:     by_value
      - .address_space:  global
        .offset:         56
        .size:           8
        .value_kind:     global_buffer
      - .offset:         64
        .size:           8
        .value_kind:     by_value
      - .offset:         72
        .size:           4
        .value_kind:     by_value
      - .offset:         80
        .size:           8
        .value_kind:     by_value
      - .address_space:  global
        .offset:         88
        .size:           8
        .value_kind:     global_buffer
      - .offset:         96
        .size:           8
        .value_kind:     by_value
      - .address_space:  global
        .offset:         104
        .size:           8
        .value_kind:     global_buffer
      - .offset:         112
        .size:           8
        .value_kind:     by_value
      - .offset:         120
        .size:           4
        .value_kind:     by_value
      - .offset:         128
        .size:           8
        .value_kind:     by_value
      - .offset:         136
        .size:           4
        .value_kind:     by_value
    .group_segment_fixed_size: 128
    .kernarg_segment_align: 8
    .kernarg_segment_size: 140
    .language:       OpenCL C
    .language_version:
      - 2
      - 0
    .max_flat_workgroup_size: 1024
    .name:           _ZL32rocblas_gemvt_warp_reduce_kernelILb1ELi1024EiPK16rocblas_bfloat16PKfKPS0_EviiT3_lPKT2_lT1_lSA_lSB_lS7_lPT4_lSB_li
    .private_segment_fixed_size: 0
    .sgpr_count:     44
    .sgpr_spill_count: 0
    .symbol:         _ZL32rocblas_gemvt_warp_reduce_kernelILb1ELi1024EiPK16rocblas_bfloat16PKfKPS0_EviiT3_lPKT2_lT1_lSA_lSB_lS7_lPT4_lSB_li.kd
    .uniform_work_group_size: 1
    .uses_dynamic_stack: false
    .vgpr_count:     25
    .vgpr_spill_count: 0
    .wavefront_size: 32
  - .args:
      - .offset:         0
        .size:           4
        .value_kind:     by_value
      - .offset:         4
        .size:           4
        .value_kind:     by_value
      - .address_space:  global
        .offset:         8
        .size:           8
        .value_kind:     global_buffer
      - .offset:         16
        .size:           8
        .value_kind:     by_value
      - .address_space:  global
        .offset:         24
        .size:           8
        .value_kind:     global_buffer
      - .offset:         32
        .size:           8
        .value_kind:     by_value
      - .offset:         40
        .size:           8
        .value_kind:     by_value
      - .offset:         48
        .size:           8
        .value_kind:     by_value
      - .address_space:  global
        .offset:         56
        .size:           8
        .value_kind:     global_buffer
      - .offset:         64
        .size:           8
        .value_kind:     by_value
      - .offset:         72
        .size:           8
        .value_kind:     by_value
      - .offset:         80
        .size:           8
        .value_kind:     by_value
      - .address_space:  global
        .offset:         88
        .size:           8
        .value_kind:     global_buffer
      - .offset:         96
        .size:           8
        .value_kind:     by_value
      - .address_space:  global
        .offset:         104
        .size:           8
        .value_kind:     global_buffer
      - .offset:         112
        .size:           8
        .value_kind:     by_value
      - .offset:         120
        .size:           8
        .value_kind:     by_value
      - .offset:         128
        .size:           8
        .value_kind:     by_value
      - .offset:         136
        .size:           4
        .value_kind:     by_value
    .group_segment_fixed_size: 128
    .kernarg_segment_align: 8
    .kernarg_segment_size: 140
    .language:       OpenCL C
    .language_version:
      - 2
      - 0
    .max_flat_workgroup_size: 1024
    .name:           _ZL32rocblas_gemvt_warp_reduce_kernelILb1ELi1024ElPK16rocblas_bfloat16PKfKPS0_EviiT3_lPKT2_lT1_lSA_lSB_lS7_lPT4_lSB_li
    .private_segment_fixed_size: 0
    .sgpr_count:     46
    .sgpr_spill_count: 0
    .symbol:         _ZL32rocblas_gemvt_warp_reduce_kernelILb1ELi1024ElPK16rocblas_bfloat16PKfKPS0_EviiT3_lPKT2_lT1_lSA_lSB_lS7_lPT4_lSB_li.kd
    .uniform_work_group_size: 1
    .uses_dynamic_stack: false
    .vgpr_count:     27
    .vgpr_spill_count: 0
    .wavefront_size: 32
  - .args:
      - .offset:         0
        .size:           4
        .value_kind:     by_value
      - .offset:         4
        .size:           4
        .value_kind:     by_value
      - .offset:         8
        .size:           4
        .value_kind:     by_value
      - .offset:         16
        .size:           8
        .value_kind:     by_value
      - .address_space:  global
        .offset:         24
        .size:           8
        .value_kind:     global_buffer
      - .offset:         32
        .size:           8
        .value_kind:     by_value
      - .offset:         40
        .size:           4
        .value_kind:     by_value
      - .offset:         48
        .size:           8
        .value_kind:     by_value
      - .address_space:  global
        .offset:         56
        .size:           8
        .value_kind:     global_buffer
      - .offset:         64
        .size:           8
        .value_kind:     by_value
      - .offset:         72
        .size:           4
        .value_kind:     by_value
      - .offset:         80
        .size:           8
        .value_kind:     by_value
      - .offset:         88
        .size:           4
        .value_kind:     by_value
      - .offset:         96
        .size:           8
        .value_kind:     by_value
      - .address_space:  global
        .offset:         104
        .size:           8
        .value_kind:     global_buffer
      - .offset:         112
        .size:           8
        .value_kind:     by_value
      - .offset:         120
        .size:           4
        .value_kind:     by_value
      - .offset:         128
        .size:           8
        .value_kind:     by_value
      - .offset:         136
        .size:           4
        .value_kind:     by_value
    .group_segment_fixed_size: 128
    .kernarg_segment_align: 8
    .kernarg_segment_size: 140
    .language:       OpenCL C
    .language_version:
      - 2
      - 0
    .max_flat_workgroup_size: 1024
    .name:           _ZL32rocblas_gemvt_warp_reduce_kernelILb1ELi1024EiPK16rocblas_bfloat16fKPS0_EviiT3_lPKT2_lT1_lS8_lS9_lS5_lPT4_lS9_li
    .private_segment_fixed_size: 0
    .sgpr_count:     42
    .sgpr_spill_count: 0
    .symbol:         _ZL32rocblas_gemvt_warp_reduce_kernelILb1ELi1024EiPK16rocblas_bfloat16fKPS0_EviiT3_lPKT2_lT1_lS8_lS9_lS5_lPT4_lS9_li.kd
    .uniform_work_group_size: 1
    .uses_dynamic_stack: false
    .vgpr_count:     25
    .vgpr_spill_count: 0
    .wavefront_size: 32
  - .args:
      - .offset:         0
        .size:           4
        .value_kind:     by_value
      - .offset:         4
        .size:           4
        .value_kind:     by_value
      - .offset:         8
        .size:           4
        .value_kind:     by_value
      - .offset:         16
        .size:           8
        .value_kind:     by_value
      - .address_space:  global
        .offset:         24
        .size:           8
        .value_kind:     global_buffer
      - .offset:         32
        .size:           8
        .value_kind:     by_value
      - .offset:         40
        .size:           8
        .value_kind:     by_value
      - .offset:         48
        .size:           8
        .value_kind:     by_value
      - .address_space:  global
        .offset:         56
        .size:           8
        .value_kind:     global_buffer
      - .offset:         64
        .size:           8
        .value_kind:     by_value
      - .offset:         72
        .size:           8
        .value_kind:     by_value
      - .offset:         80
        .size:           8
        .value_kind:     by_value
      - .offset:         88
        .size:           4
        .value_kind:     by_value
      - .offset:         96
        .size:           8
        .value_kind:     by_value
      - .address_space:  global
        .offset:         104
        .size:           8
        .value_kind:     global_buffer
      - .offset:         112
        .size:           8
        .value_kind:     by_value
      - .offset:         120
        .size:           8
        .value_kind:     by_value
      - .offset:         128
        .size:           8
        .value_kind:     by_value
      - .offset:         136
        .size:           4
        .value_kind:     by_value
    .group_segment_fixed_size: 128
    .kernarg_segment_align: 8
    .kernarg_segment_size: 140
    .language:       OpenCL C
    .language_version:
      - 2
      - 0
    .max_flat_workgroup_size: 1024
    .name:           _ZL32rocblas_gemvt_warp_reduce_kernelILb1ELi1024ElPK16rocblas_bfloat16fKPS0_EviiT3_lPKT2_lT1_lS8_lS9_lS5_lPT4_lS9_li
    .private_segment_fixed_size: 0
    .sgpr_count:     41
    .sgpr_spill_count: 0
    .symbol:         _ZL32rocblas_gemvt_warp_reduce_kernelILb1ELi1024ElPK16rocblas_bfloat16fKPS0_EviiT3_lPKT2_lT1_lS8_lS9_lS5_lPT4_lS9_li.kd
    .uniform_work_group_size: 1
    .uses_dynamic_stack: false
    .vgpr_count:     27
    .vgpr_spill_count: 0
    .wavefront_size: 32
  - .args:
      - .offset:         0
        .size:           4
        .value_kind:     by_value
      - .offset:         4
        .size:           4
        .value_kind:     by_value
      - .address_space:  global
        .offset:         8
        .size:           8
        .value_kind:     global_buffer
      - .offset:         16
        .size:           8
        .value_kind:     by_value
      - .address_space:  global
        .offset:         24
        .size:           8
        .value_kind:     global_buffer
      - .offset:         32
        .size:           8
        .value_kind:     by_value
      - .offset:         40
        .size:           4
        .value_kind:     by_value
      - .offset:         48
        .size:           8
        .value_kind:     by_value
      - .address_space:  global
        .offset:         56
        .size:           8
        .value_kind:     global_buffer
      - .offset:         64
        .size:           8
        .value_kind:     by_value
      - .offset:         72
        .size:           4
        .value_kind:     by_value
      - .offset:         80
        .size:           8
        .value_kind:     by_value
      - .address_space:  global
        .offset:         88
        .size:           8
        .value_kind:     global_buffer
      - .offset:         96
        .size:           8
        .value_kind:     by_value
      - .address_space:  global
        .offset:         104
        .size:           8
        .value_kind:     global_buffer
      - .offset:         112
        .size:           8
        .value_kind:     by_value
      - .offset:         120
        .size:           4
        .value_kind:     by_value
      - .offset:         128
        .size:           8
        .value_kind:     by_value
      - .offset:         136
        .size:           4
        .value_kind:     by_value
    .group_segment_fixed_size: 0
    .kernarg_segment_align: 8
    .kernarg_segment_size: 140
    .language:       OpenCL C
    .language_version:
      - 2
      - 0
    .max_flat_workgroup_size: 768
    .name:           _ZL34rocblas_gemvn_sm_mn_batched_kernelILi32ELi24E16rocblas_bfloat16PKffEviiT2_lPKT1_lilS6_lilS3_lPT3_lili
    .private_segment_fixed_size: 0
    .sgpr_count:     0
    .sgpr_spill_count: 0
    .symbol:         _ZL34rocblas_gemvn_sm_mn_batched_kernelILi32ELi24E16rocblas_bfloat16PKffEviiT2_lPKT1_lilS6_lilS3_lPT3_lili.kd
    .uniform_work_group_size: 1
    .uses_dynamic_stack: false
    .vgpr_count:     0
    .vgpr_spill_count: 0
    .wavefront_size: 32
  - .args:
      - .offset:         0
        .size:           4
        .value_kind:     by_value
      - .offset:         4
        .size:           4
        .value_kind:     by_value
      - .offset:         8
        .size:           4
        .value_kind:     by_value
      - .offset:         16
        .size:           8
        .value_kind:     by_value
      - .address_space:  global
        .offset:         24
        .size:           8
        .value_kind:     global_buffer
      - .offset:         32
        .size:           8
        .value_kind:     by_value
      - .offset:         40
        .size:           4
        .value_kind:     by_value
      - .offset:         48
        .size:           8
        .value_kind:     by_value
      - .address_space:  global
        .offset:         56
        .size:           8
        .value_kind:     global_buffer
      - .offset:         64
        .size:           8
        .value_kind:     by_value
      - .offset:         72
        .size:           4
        .value_kind:     by_value
      - .offset:         80
        .size:           8
        .value_kind:     by_value
      - .offset:         88
        .size:           4
        .value_kind:     by_value
      - .offset:         96
        .size:           8
        .value_kind:     by_value
      - .address_space:  global
        .offset:         104
        .size:           8
        .value_kind:     global_buffer
      - .offset:         112
        .size:           8
        .value_kind:     by_value
      - .offset:         120
        .size:           4
        .value_kind:     by_value
      - .offset:         128
        .size:           8
        .value_kind:     by_value
      - .offset:         136
        .size:           4
        .value_kind:     by_value
    .group_segment_fixed_size: 0
    .kernarg_segment_align: 8
    .kernarg_segment_size: 140
    .language:       OpenCL C
    .language_version:
      - 2
      - 0
    .max_flat_workgroup_size: 768
    .name:           _ZL34rocblas_gemvn_sm_mn_batched_kernelILi32ELi24E16rocblas_bfloat16ffEviiT2_lPKT1_lilS4_lilS1_lPT3_lili
    .private_segment_fixed_size: 0
    .sgpr_count:     0
    .sgpr_spill_count: 0
    .symbol:         _ZL34rocblas_gemvn_sm_mn_batched_kernelILi32ELi24E16rocblas_bfloat16ffEviiT2_lPKT1_lilS4_lilS1_lPT3_lili.kd
    .uniform_work_group_size: 1
    .uses_dynamic_stack: false
    .vgpr_count:     0
    .vgpr_spill_count: 0
    .wavefront_size: 32
  - .args:
      - .offset:         0
        .size:           4
        .value_kind:     by_value
      - .offset:         4
        .size:           4
        .value_kind:     by_value
      - .address_space:  global
        .offset:         8
        .size:           8
        .value_kind:     global_buffer
      - .offset:         16
        .size:           8
        .value_kind:     by_value
      - .address_space:  global
        .offset:         24
        .size:           8
        .value_kind:     global_buffer
      - .offset:         32
        .size:           8
        .value_kind:     by_value
      - .offset:         40
        .size:           4
        .value_kind:     by_value
      - .offset:         48
        .size:           8
        .value_kind:     by_value
      - .address_space:  global
        .offset:         56
        .size:           8
        .value_kind:     global_buffer
      - .offset:         64
        .size:           8
        .value_kind:     by_value
      - .offset:         72
        .size:           4
        .value_kind:     by_value
      - .offset:         80
        .size:           8
        .value_kind:     by_value
      - .address_space:  global
        .offset:         88
        .size:           8
        .value_kind:     global_buffer
      - .offset:         96
        .size:           8
        .value_kind:     by_value
      - .address_space:  global
        .offset:         104
        .size:           8
        .value_kind:     global_buffer
      - .offset:         112
        .size:           8
        .value_kind:     by_value
      - .offset:         120
        .size:           4
        .value_kind:     by_value
      - .offset:         128
        .size:           8
        .value_kind:     by_value
      - .offset:         136
        .size:           4
        .value_kind:     by_value
      - .offset:         144
        .size:           4
        .value_kind:     hidden_block_count_x
      - .offset:         148
        .size:           4
        .value_kind:     hidden_block_count_y
      - .offset:         152
        .size:           4
        .value_kind:     hidden_block_count_z
      - .offset:         156
        .size:           2
        .value_kind:     hidden_group_size_x
      - .offset:         158
        .size:           2
        .value_kind:     hidden_group_size_y
      - .offset:         160
        .size:           2
        .value_kind:     hidden_group_size_z
      - .offset:         162
        .size:           2
        .value_kind:     hidden_remainder_x
      - .offset:         164
        .size:           2
        .value_kind:     hidden_remainder_y
      - .offset:         166
        .size:           2
        .value_kind:     hidden_remainder_z
      - .offset:         184
        .size:           8
        .value_kind:     hidden_global_offset_x
      - .offset:         192
        .size:           8
        .value_kind:     hidden_global_offset_y
      - .offset:         200
        .size:           8
        .value_kind:     hidden_global_offset_z
      - .offset:         208
        .size:           2
        .value_kind:     hidden_grid_dims
    .group_segment_fixed_size: 4096
    .kernarg_segment_align: 8
    .kernarg_segment_size: 400
    .language:       OpenCL C
    .language_version:
      - 2
      - 0
    .max_flat_workgroup_size: 256
    .name:           _ZL20rocblas_gemvn_kernelILi64ELi4Ei16rocblas_bfloat16PKffEviiT3_lPKT2_lT1_lS6_lS7_lS3_lPT4_lS7_li
    .private_segment_fixed_size: 0
    .sgpr_count:     57
    .sgpr_spill_count: 0
    .symbol:         _ZL20rocblas_gemvn_kernelILi64ELi4Ei16rocblas_bfloat16PKffEviiT3_lPKT2_lT1_lS6_lS7_lS3_lPT4_lS7_li.kd
    .uniform_work_group_size: 1
    .uses_dynamic_stack: false
    .vgpr_count:     51
    .vgpr_spill_count: 0
    .wavefront_size: 32
  - .args:
      - .offset:         0
        .size:           4
        .value_kind:     by_value
      - .offset:         4
        .size:           4
        .value_kind:     by_value
      - .address_space:  global
        .offset:         8
        .size:           8
        .value_kind:     global_buffer
      - .offset:         16
        .size:           8
        .value_kind:     by_value
      - .address_space:  global
        .offset:         24
        .size:           8
        .value_kind:     global_buffer
      - .offset:         32
        .size:           8
        .value_kind:     by_value
      - .offset:         40
        .size:           8
        .value_kind:     by_value
      - .offset:         48
        .size:           8
        .value_kind:     by_value
      - .address_space:  global
        .offset:         56
        .size:           8
        .value_kind:     global_buffer
      - .offset:         64
        .size:           8
        .value_kind:     by_value
      - .offset:         72
        .size:           8
        .value_kind:     by_value
      - .offset:         80
        .size:           8
        .value_kind:     by_value
      - .address_space:  global
        .offset:         88
        .size:           8
        .value_kind:     global_buffer
      - .offset:         96
        .size:           8
        .value_kind:     by_value
      - .address_space:  global
        .offset:         104
        .size:           8
        .value_kind:     global_buffer
      - .offset:         112
        .size:           8
        .value_kind:     by_value
      - .offset:         120
        .size:           8
        .value_kind:     by_value
      - .offset:         128
        .size:           8
        .value_kind:     by_value
      - .offset:         136
        .size:           4
        .value_kind:     by_value
      - .offset:         144
        .size:           4
        .value_kind:     hidden_block_count_x
      - .offset:         148
        .size:           4
        .value_kind:     hidden_block_count_y
      - .offset:         152
        .size:           4
        .value_kind:     hidden_block_count_z
      - .offset:         156
        .size:           2
        .value_kind:     hidden_group_size_x
      - .offset:         158
        .size:           2
        .value_kind:     hidden_group_size_y
      - .offset:         160
        .size:           2
        .value_kind:     hidden_group_size_z
      - .offset:         162
        .size:           2
        .value_kind:     hidden_remainder_x
      - .offset:         164
        .size:           2
        .value_kind:     hidden_remainder_y
      - .offset:         166
        .size:           2
        .value_kind:     hidden_remainder_z
      - .offset:         184
        .size:           8
        .value_kind:     hidden_global_offset_x
      - .offset:         192
        .size:           8
        .value_kind:     hidden_global_offset_y
      - .offset:         200
        .size:           8
        .value_kind:     hidden_global_offset_z
      - .offset:         208
        .size:           2
        .value_kind:     hidden_grid_dims
    .group_segment_fixed_size: 4096
    .kernarg_segment_align: 8
    .kernarg_segment_size: 400
    .language:       OpenCL C
    .language_version:
      - 2
      - 0
    .max_flat_workgroup_size: 256
    .name:           _ZL20rocblas_gemvn_kernelILi64ELi4El16rocblas_bfloat16PKffEviiT3_lPKT2_lT1_lS6_lS7_lS3_lPT4_lS7_li
    .private_segment_fixed_size: 0
    .sgpr_count:     62
    .sgpr_spill_count: 0
    .symbol:         _ZL20rocblas_gemvn_kernelILi64ELi4El16rocblas_bfloat16PKffEviiT3_lPKT2_lT1_lS6_lS7_lS3_lPT4_lS7_li.kd
    .uniform_work_group_size: 1
    .uses_dynamic_stack: false
    .vgpr_count:     72
    .vgpr_spill_count: 0
    .wavefront_size: 32
  - .args:
      - .offset:         0
        .size:           4
        .value_kind:     by_value
      - .offset:         4
        .size:           4
        .value_kind:     by_value
      - .offset:         8
        .size:           4
        .value_kind:     by_value
      - .offset:         16
        .size:           8
        .value_kind:     by_value
      - .address_space:  global
        .offset:         24
        .size:           8
        .value_kind:     global_buffer
      - .offset:         32
        .size:           8
        .value_kind:     by_value
      - .offset:         40
        .size:           4
        .value_kind:     by_value
      - .offset:         48
        .size:           8
        .value_kind:     by_value
      - .address_space:  global
        .offset:         56
        .size:           8
        .value_kind:     global_buffer
      - .offset:         64
        .size:           8
        .value_kind:     by_value
      - .offset:         72
        .size:           4
        .value_kind:     by_value
      - .offset:         80
        .size:           8
        .value_kind:     by_value
      - .offset:         88
        .size:           4
        .value_kind:     by_value
      - .offset:         96
        .size:           8
        .value_kind:     by_value
      - .address_space:  global
        .offset:         104
        .size:           8
        .value_kind:     global_buffer
      - .offset:         112
        .size:           8
        .value_kind:     by_value
      - .offset:         120
        .size:           4
        .value_kind:     by_value
      - .offset:         128
        .size:           8
        .value_kind:     by_value
      - .offset:         136
        .size:           4
        .value_kind:     by_value
      - .offset:         144
        .size:           4
        .value_kind:     hidden_block_count_x
      - .offset:         148
        .size:           4
        .value_kind:     hidden_block_count_y
      - .offset:         152
        .size:           4
        .value_kind:     hidden_block_count_z
      - .offset:         156
        .size:           2
        .value_kind:     hidden_group_size_x
      - .offset:         158
        .size:           2
        .value_kind:     hidden_group_size_y
      - .offset:         160
        .size:           2
        .value_kind:     hidden_group_size_z
      - .offset:         162
        .size:           2
        .value_kind:     hidden_remainder_x
      - .offset:         164
        .size:           2
        .value_kind:     hidden_remainder_y
      - .offset:         166
        .size:           2
        .value_kind:     hidden_remainder_z
      - .offset:         184
        .size:           8
        .value_kind:     hidden_global_offset_x
      - .offset:         192
        .size:           8
        .value_kind:     hidden_global_offset_y
      - .offset:         200
        .size:           8
        .value_kind:     hidden_global_offset_z
      - .offset:         208
        .size:           2
        .value_kind:     hidden_grid_dims
    .group_segment_fixed_size: 4096
    .kernarg_segment_align: 8
    .kernarg_segment_size: 400
    .language:       OpenCL C
    .language_version:
      - 2
      - 0
    .max_flat_workgroup_size: 256
    .name:           _ZL20rocblas_gemvn_kernelILi64ELi4Ei16rocblas_bfloat16ffEviiT3_lPKT2_lT1_lS4_lS5_lS1_lPT4_lS5_li
    .private_segment_fixed_size: 0
    .sgpr_count:     53
    .sgpr_spill_count: 0
    .symbol:         _ZL20rocblas_gemvn_kernelILi64ELi4Ei16rocblas_bfloat16ffEviiT3_lPKT2_lT1_lS4_lS5_lS1_lPT4_lS5_li.kd
    .uniform_work_group_size: 1
    .uses_dynamic_stack: false
    .vgpr_count:     53
    .vgpr_spill_count: 0
    .wavefront_size: 32
  - .args:
      - .offset:         0
        .size:           4
        .value_kind:     by_value
      - .offset:         4
        .size:           4
        .value_kind:     by_value
      - .offset:         8
        .size:           4
        .value_kind:     by_value
      - .offset:         16
        .size:           8
        .value_kind:     by_value
      - .address_space:  global
        .offset:         24
        .size:           8
        .value_kind:     global_buffer
      - .offset:         32
        .size:           8
        .value_kind:     by_value
      - .offset:         40
        .size:           8
        .value_kind:     by_value
      - .offset:         48
        .size:           8
        .value_kind:     by_value
      - .address_space:  global
        .offset:         56
        .size:           8
        .value_kind:     global_buffer
      - .offset:         64
        .size:           8
        .value_kind:     by_value
      - .offset:         72
        .size:           8
        .value_kind:     by_value
      - .offset:         80
        .size:           8
        .value_kind:     by_value
      - .offset:         88
        .size:           4
        .value_kind:     by_value
      - .offset:         96
        .size:           8
        .value_kind:     by_value
      - .address_space:  global
        .offset:         104
        .size:           8
        .value_kind:     global_buffer
      - .offset:         112
        .size:           8
        .value_kind:     by_value
      - .offset:         120
        .size:           8
        .value_kind:     by_value
      - .offset:         128
        .size:           8
        .value_kind:     by_value
      - .offset:         136
        .size:           4
        .value_kind:     by_value
      - .offset:         144
        .size:           4
        .value_kind:     hidden_block_count_x
      - .offset:         148
        .size:           4
        .value_kind:     hidden_block_count_y
      - .offset:         152
        .size:           4
        .value_kind:     hidden_block_count_z
      - .offset:         156
        .size:           2
        .value_kind:     hidden_group_size_x
      - .offset:         158
        .size:           2
        .value_kind:     hidden_group_size_y
      - .offset:         160
        .size:           2
        .value_kind:     hidden_group_size_z
      - .offset:         162
        .size:           2
        .value_kind:     hidden_remainder_x
      - .offset:         164
        .size:           2
        .value_kind:     hidden_remainder_y
      - .offset:         166
        .size:           2
        .value_kind:     hidden_remainder_z
      - .offset:         184
        .size:           8
        .value_kind:     hidden_global_offset_x
      - .offset:         192
        .size:           8
        .value_kind:     hidden_global_offset_y
      - .offset:         200
        .size:           8
        .value_kind:     hidden_global_offset_z
      - .offset:         208
        .size:           2
        .value_kind:     hidden_grid_dims
    .group_segment_fixed_size: 4096
    .kernarg_segment_align: 8
    .kernarg_segment_size: 400
    .language:       OpenCL C
    .language_version:
      - 2
      - 0
    .max_flat_workgroup_size: 256
    .name:           _ZL20rocblas_gemvn_kernelILi64ELi4El16rocblas_bfloat16ffEviiT3_lPKT2_lT1_lS4_lS5_lS1_lPT4_lS5_li
    .private_segment_fixed_size: 0
    .sgpr_count:     58
    .sgpr_spill_count: 0
    .symbol:         _ZL20rocblas_gemvn_kernelILi64ELi4El16rocblas_bfloat16ffEviiT3_lPKT2_lT1_lS4_lS5_lS1_lPT4_lS5_li.kd
    .uniform_work_group_size: 1
    .uses_dynamic_stack: false
    .vgpr_count:     71
    .vgpr_spill_count: 0
    .wavefront_size: 32
  - .args:
      - .offset:         0
        .size:           4
        .value_kind:     by_value
      - .offset:         4
        .size:           4
        .value_kind:     by_value
      - .address_space:  global
        .offset:         8
        .size:           8
        .value_kind:     global_buffer
      - .offset:         16
        .size:           8
        .value_kind:     by_value
      - .address_space:  global
        .offset:         24
        .size:           8
        .value_kind:     global_buffer
      - .offset:         32
        .size:           8
        .value_kind:     by_value
      - .offset:         40
        .size:           4
        .value_kind:     by_value
      - .offset:         48
        .size:           8
        .value_kind:     by_value
      - .address_space:  global
        .offset:         56
        .size:           8
        .value_kind:     global_buffer
      - .offset:         64
        .size:           8
        .value_kind:     by_value
      - .offset:         72
        .size:           4
        .value_kind:     by_value
      - .offset:         80
        .size:           8
        .value_kind:     by_value
      - .address_space:  global
        .offset:         88
        .size:           8
        .value_kind:     global_buffer
      - .offset:         96
        .size:           8
        .value_kind:     by_value
      - .address_space:  global
        .offset:         104
        .size:           8
        .value_kind:     global_buffer
      - .offset:         112
        .size:           8
        .value_kind:     by_value
      - .offset:         120
        .size:           4
        .value_kind:     by_value
      - .offset:         128
        .size:           8
        .value_kind:     by_value
      - .offset:         136
        .size:           4
        .value_kind:     by_value
      - .offset:         144
        .size:           4
        .value_kind:     hidden_block_count_x
      - .offset:         148
        .size:           4
        .value_kind:     hidden_block_count_y
      - .offset:         152
        .size:           4
        .value_kind:     hidden_block_count_z
      - .offset:         156
        .size:           2
        .value_kind:     hidden_group_size_x
      - .offset:         158
        .size:           2
        .value_kind:     hidden_group_size_y
      - .offset:         160
        .size:           2
        .value_kind:     hidden_group_size_z
      - .offset:         162
        .size:           2
        .value_kind:     hidden_remainder_x
      - .offset:         164
        .size:           2
        .value_kind:     hidden_remainder_y
      - .offset:         166
        .size:           2
        .value_kind:     hidden_remainder_z
      - .offset:         184
        .size:           8
        .value_kind:     hidden_global_offset_x
      - .offset:         192
        .size:           8
        .value_kind:     hidden_global_offset_y
      - .offset:         200
        .size:           8
        .value_kind:     hidden_global_offset_z
      - .offset:         208
        .size:           2
        .value_kind:     hidden_grid_dims
    .group_segment_fixed_size: 8192
    .kernarg_segment_align: 8
    .kernarg_segment_size: 400
    .language:       OpenCL C
    .language_version:
      - 2
      - 0
    .max_flat_workgroup_size: 512
    .name:           _ZL20rocblas_gemvn_kernelILi32ELi16Ei16rocblas_bfloat16PKffEviiT3_lPKT2_lT1_lS6_lS7_lS3_lPT4_lS7_li
    .private_segment_fixed_size: 0
    .sgpr_count:     57
    .sgpr_spill_count: 0
    .symbol:         _ZL20rocblas_gemvn_kernelILi32ELi16Ei16rocblas_bfloat16PKffEviiT3_lPKT2_lT1_lS6_lS7_lS3_lPT4_lS7_li.kd
    .uniform_work_group_size: 1
    .uses_dynamic_stack: false
    .vgpr_count:     51
    .vgpr_spill_count: 0
    .wavefront_size: 32
  - .args:
      - .offset:         0
        .size:           4
        .value_kind:     by_value
      - .offset:         4
        .size:           4
        .value_kind:     by_value
      - .address_space:  global
        .offset:         8
        .size:           8
        .value_kind:     global_buffer
      - .offset:         16
        .size:           8
        .value_kind:     by_value
      - .address_space:  global
        .offset:         24
        .size:           8
        .value_kind:     global_buffer
      - .offset:         32
        .size:           8
        .value_kind:     by_value
      - .offset:         40
        .size:           8
        .value_kind:     by_value
      - .offset:         48
        .size:           8
        .value_kind:     by_value
      - .address_space:  global
        .offset:         56
        .size:           8
        .value_kind:     global_buffer
      - .offset:         64
        .size:           8
        .value_kind:     by_value
      - .offset:         72
        .size:           8
        .value_kind:     by_value
      - .offset:         80
        .size:           8
        .value_kind:     by_value
      - .address_space:  global
        .offset:         88
        .size:           8
        .value_kind:     global_buffer
      - .offset:         96
        .size:           8
        .value_kind:     by_value
      - .address_space:  global
        .offset:         104
        .size:           8
        .value_kind:     global_buffer
      - .offset:         112
        .size:           8
        .value_kind:     by_value
      - .offset:         120
        .size:           8
        .value_kind:     by_value
      - .offset:         128
        .size:           8
        .value_kind:     by_value
      - .offset:         136
        .size:           4
        .value_kind:     by_value
      - .offset:         144
        .size:           4
        .value_kind:     hidden_block_count_x
      - .offset:         148
        .size:           4
        .value_kind:     hidden_block_count_y
      - .offset:         152
        .size:           4
        .value_kind:     hidden_block_count_z
      - .offset:         156
        .size:           2
        .value_kind:     hidden_group_size_x
      - .offset:         158
        .size:           2
        .value_kind:     hidden_group_size_y
      - .offset:         160
        .size:           2
        .value_kind:     hidden_group_size_z
      - .offset:         162
        .size:           2
        .value_kind:     hidden_remainder_x
      - .offset:         164
        .size:           2
        .value_kind:     hidden_remainder_y
      - .offset:         166
        .size:           2
        .value_kind:     hidden_remainder_z
      - .offset:         184
        .size:           8
        .value_kind:     hidden_global_offset_x
      - .offset:         192
        .size:           8
        .value_kind:     hidden_global_offset_y
      - .offset:         200
        .size:           8
        .value_kind:     hidden_global_offset_z
      - .offset:         208
        .size:           2
        .value_kind:     hidden_grid_dims
    .group_segment_fixed_size: 8192
    .kernarg_segment_align: 8
    .kernarg_segment_size: 400
    .language:       OpenCL C
    .language_version:
      - 2
      - 0
    .max_flat_workgroup_size: 512
    .name:           _ZL20rocblas_gemvn_kernelILi32ELi16El16rocblas_bfloat16PKffEviiT3_lPKT2_lT1_lS6_lS7_lS3_lPT4_lS7_li
    .private_segment_fixed_size: 0
    .sgpr_count:     62
    .sgpr_spill_count: 0
    .symbol:         _ZL20rocblas_gemvn_kernelILi32ELi16El16rocblas_bfloat16PKffEviiT3_lPKT2_lT1_lS6_lS7_lS3_lPT4_lS7_li.kd
    .uniform_work_group_size: 1
    .uses_dynamic_stack: false
    .vgpr_count:     72
    .vgpr_spill_count: 0
    .wavefront_size: 32
  - .args:
      - .offset:         0
        .size:           4
        .value_kind:     by_value
      - .offset:         4
        .size:           4
        .value_kind:     by_value
      - .offset:         8
        .size:           4
        .value_kind:     by_value
      - .offset:         16
        .size:           8
        .value_kind:     by_value
      - .address_space:  global
        .offset:         24
        .size:           8
        .value_kind:     global_buffer
      - .offset:         32
        .size:           8
        .value_kind:     by_value
      - .offset:         40
        .size:           4
        .value_kind:     by_value
      - .offset:         48
        .size:           8
        .value_kind:     by_value
      - .address_space:  global
        .offset:         56
        .size:           8
        .value_kind:     global_buffer
      - .offset:         64
        .size:           8
        .value_kind:     by_value
      - .offset:         72
        .size:           4
        .value_kind:     by_value
      - .offset:         80
        .size:           8
        .value_kind:     by_value
      - .offset:         88
        .size:           4
        .value_kind:     by_value
      - .offset:         96
        .size:           8
        .value_kind:     by_value
      - .address_space:  global
        .offset:         104
        .size:           8
        .value_kind:     global_buffer
      - .offset:         112
        .size:           8
        .value_kind:     by_value
      - .offset:         120
        .size:           4
        .value_kind:     by_value
      - .offset:         128
        .size:           8
        .value_kind:     by_value
      - .offset:         136
        .size:           4
        .value_kind:     by_value
      - .offset:         144
        .size:           4
        .value_kind:     hidden_block_count_x
      - .offset:         148
        .size:           4
        .value_kind:     hidden_block_count_y
      - .offset:         152
        .size:           4
        .value_kind:     hidden_block_count_z
      - .offset:         156
        .size:           2
        .value_kind:     hidden_group_size_x
      - .offset:         158
        .size:           2
        .value_kind:     hidden_group_size_y
      - .offset:         160
        .size:           2
        .value_kind:     hidden_group_size_z
      - .offset:         162
        .size:           2
        .value_kind:     hidden_remainder_x
      - .offset:         164
        .size:           2
        .value_kind:     hidden_remainder_y
      - .offset:         166
        .size:           2
        .value_kind:     hidden_remainder_z
      - .offset:         184
        .size:           8
        .value_kind:     hidden_global_offset_x
      - .offset:         192
        .size:           8
        .value_kind:     hidden_global_offset_y
      - .offset:         200
        .size:           8
        .value_kind:     hidden_global_offset_z
      - .offset:         208
        .size:           2
        .value_kind:     hidden_grid_dims
    .group_segment_fixed_size: 8192
    .kernarg_segment_align: 8
    .kernarg_segment_size: 400
    .language:       OpenCL C
    .language_version:
      - 2
      - 0
    .max_flat_workgroup_size: 512
    .name:           _ZL20rocblas_gemvn_kernelILi32ELi16Ei16rocblas_bfloat16ffEviiT3_lPKT2_lT1_lS4_lS5_lS1_lPT4_lS5_li
    .private_segment_fixed_size: 0
    .sgpr_count:     53
    .sgpr_spill_count: 0
    .symbol:         _ZL20rocblas_gemvn_kernelILi32ELi16Ei16rocblas_bfloat16ffEviiT3_lPKT2_lT1_lS4_lS5_lS1_lPT4_lS5_li.kd
    .uniform_work_group_size: 1
    .uses_dynamic_stack: false
    .vgpr_count:     53
    .vgpr_spill_count: 0
    .wavefront_size: 32
  - .args:
      - .offset:         0
        .size:           4
        .value_kind:     by_value
      - .offset:         4
        .size:           4
        .value_kind:     by_value
      - .offset:         8
        .size:           4
        .value_kind:     by_value
      - .offset:         16
        .size:           8
        .value_kind:     by_value
      - .address_space:  global
        .offset:         24
        .size:           8
        .value_kind:     global_buffer
      - .offset:         32
        .size:           8
        .value_kind:     by_value
      - .offset:         40
        .size:           8
        .value_kind:     by_value
      - .offset:         48
        .size:           8
        .value_kind:     by_value
      - .address_space:  global
        .offset:         56
        .size:           8
        .value_kind:     global_buffer
      - .offset:         64
        .size:           8
        .value_kind:     by_value
      - .offset:         72
        .size:           8
        .value_kind:     by_value
      - .offset:         80
        .size:           8
        .value_kind:     by_value
      - .offset:         88
        .size:           4
        .value_kind:     by_value
      - .offset:         96
        .size:           8
        .value_kind:     by_value
      - .address_space:  global
        .offset:         104
        .size:           8
        .value_kind:     global_buffer
      - .offset:         112
        .size:           8
        .value_kind:     by_value
      - .offset:         120
        .size:           8
        .value_kind:     by_value
      - .offset:         128
        .size:           8
        .value_kind:     by_value
      - .offset:         136
        .size:           4
        .value_kind:     by_value
      - .offset:         144
        .size:           4
        .value_kind:     hidden_block_count_x
      - .offset:         148
        .size:           4
        .value_kind:     hidden_block_count_y
      - .offset:         152
        .size:           4
        .value_kind:     hidden_block_count_z
      - .offset:         156
        .size:           2
        .value_kind:     hidden_group_size_x
      - .offset:         158
        .size:           2
        .value_kind:     hidden_group_size_y
      - .offset:         160
        .size:           2
        .value_kind:     hidden_group_size_z
      - .offset:         162
        .size:           2
        .value_kind:     hidden_remainder_x
      - .offset:         164
        .size:           2
        .value_kind:     hidden_remainder_y
      - .offset:         166
        .size:           2
        .value_kind:     hidden_remainder_z
      - .offset:         184
        .size:           8
        .value_kind:     hidden_global_offset_x
      - .offset:         192
        .size:           8
        .value_kind:     hidden_global_offset_y
      - .offset:         200
        .size:           8
        .value_kind:     hidden_global_offset_z
      - .offset:         208
        .size:           2
        .value_kind:     hidden_grid_dims
    .group_segment_fixed_size: 8192
    .kernarg_segment_align: 8
    .kernarg_segment_size: 400
    .language:       OpenCL C
    .language_version:
      - 2
      - 0
    .max_flat_workgroup_size: 512
    .name:           _ZL20rocblas_gemvn_kernelILi32ELi16El16rocblas_bfloat16ffEviiT3_lPKT2_lT1_lS4_lS5_lS1_lPT4_lS5_li
    .private_segment_fixed_size: 0
    .sgpr_count:     58
    .sgpr_spill_count: 0
    .symbol:         _ZL20rocblas_gemvn_kernelILi32ELi16El16rocblas_bfloat16ffEviiT3_lPKT2_lT1_lS4_lS5_lS1_lPT4_lS5_li.kd
    .uniform_work_group_size: 1
    .uses_dynamic_stack: false
    .vgpr_count:     71
    .vgpr_spill_count: 0
    .wavefront_size: 32
  - .args:
      - .offset:         0
        .size:           4
        .value_kind:     by_value
      - .offset:         4
        .size:           4
        .value_kind:     by_value
      - .address_space:  global
        .offset:         8
        .size:           8
        .value_kind:     global_buffer
      - .offset:         16
        .size:           8
        .value_kind:     by_value
      - .address_space:  global
        .offset:         24
        .size:           8
        .value_kind:     global_buffer
      - .offset:         32
        .size:           8
        .value_kind:     by_value
      - .offset:         40
        .size:           4
        .value_kind:     by_value
      - .offset:         48
        .size:           8
        .value_kind:     by_value
      - .address_space:  global
        .offset:         56
        .size:           8
        .value_kind:     global_buffer
      - .offset:         64
        .size:           8
        .value_kind:     by_value
      - .offset:         72
        .size:           4
        .value_kind:     by_value
      - .offset:         80
        .size:           8
        .value_kind:     by_value
      - .address_space:  global
        .offset:         88
        .size:           8
        .value_kind:     global_buffer
      - .offset:         96
        .size:           8
        .value_kind:     by_value
      - .address_space:  global
        .offset:         104
        .size:           8
        .value_kind:     global_buffer
      - .offset:         112
        .size:           8
        .value_kind:     by_value
      - .offset:         120
        .size:           4
        .value_kind:     by_value
      - .offset:         128
        .size:           8
        .value_kind:     by_value
      - .offset:         136
        .size:           4
        .value_kind:     by_value
      - .offset:         144
        .size:           4
        .value_kind:     hidden_block_count_x
      - .offset:         148
        .size:           4
        .value_kind:     hidden_block_count_y
      - .offset:         152
        .size:           4
        .value_kind:     hidden_block_count_z
      - .offset:         156
        .size:           2
        .value_kind:     hidden_group_size_x
      - .offset:         158
        .size:           2
        .value_kind:     hidden_group_size_y
      - .offset:         160
        .size:           2
        .value_kind:     hidden_group_size_z
      - .offset:         162
        .size:           2
        .value_kind:     hidden_remainder_x
      - .offset:         164
        .size:           2
        .value_kind:     hidden_remainder_y
      - .offset:         166
        .size:           2
        .value_kind:     hidden_remainder_z
      - .offset:         184
        .size:           8
        .value_kind:     hidden_global_offset_x
      - .offset:         192
        .size:           8
        .value_kind:     hidden_global_offset_y
      - .offset:         200
        .size:           8
        .value_kind:     hidden_global_offset_z
      - .offset:         208
        .size:           2
        .value_kind:     hidden_grid_dims
    .group_segment_fixed_size: 16384
    .kernarg_segment_align: 8
    .kernarg_segment_size: 400
    .language:       OpenCL C
    .language_version:
      - 2
      - 0
    .max_flat_workgroup_size: 1024
    .name:           _ZL20rocblas_gemvn_kernelILi64ELi16Ei16rocblas_bfloat16PKffEviiT3_lPKT2_lT1_lS6_lS7_lS3_lPT4_lS7_li
    .private_segment_fixed_size: 0
    .sgpr_count:     57
    .sgpr_spill_count: 0
    .symbol:         _ZL20rocblas_gemvn_kernelILi64ELi16Ei16rocblas_bfloat16PKffEviiT3_lPKT2_lT1_lS6_lS7_lS3_lPT4_lS7_li.kd
    .uniform_work_group_size: 1
    .uses_dynamic_stack: false
    .vgpr_count:     51
    .vgpr_spill_count: 0
    .wavefront_size: 32
  - .args:
      - .offset:         0
        .size:           4
        .value_kind:     by_value
      - .offset:         4
        .size:           4
        .value_kind:     by_value
      - .address_space:  global
        .offset:         8
        .size:           8
        .value_kind:     global_buffer
      - .offset:         16
        .size:           8
        .value_kind:     by_value
      - .address_space:  global
        .offset:         24
        .size:           8
        .value_kind:     global_buffer
      - .offset:         32
        .size:           8
        .value_kind:     by_value
      - .offset:         40
        .size:           8
        .value_kind:     by_value
      - .offset:         48
        .size:           8
        .value_kind:     by_value
      - .address_space:  global
        .offset:         56
        .size:           8
        .value_kind:     global_buffer
      - .offset:         64
        .size:           8
        .value_kind:     by_value
      - .offset:         72
        .size:           8
        .value_kind:     by_value
      - .offset:         80
        .size:           8
        .value_kind:     by_value
      - .address_space:  global
        .offset:         88
        .size:           8
        .value_kind:     global_buffer
      - .offset:         96
        .size:           8
        .value_kind:     by_value
      - .address_space:  global
        .offset:         104
        .size:           8
        .value_kind:     global_buffer
      - .offset:         112
        .size:           8
        .value_kind:     by_value
      - .offset:         120
        .size:           8
        .value_kind:     by_value
      - .offset:         128
        .size:           8
        .value_kind:     by_value
      - .offset:         136
        .size:           4
        .value_kind:     by_value
      - .offset:         144
        .size:           4
        .value_kind:     hidden_block_count_x
      - .offset:         148
        .size:           4
        .value_kind:     hidden_block_count_y
      - .offset:         152
        .size:           4
        .value_kind:     hidden_block_count_z
      - .offset:         156
        .size:           2
        .value_kind:     hidden_group_size_x
      - .offset:         158
        .size:           2
        .value_kind:     hidden_group_size_y
      - .offset:         160
        .size:           2
        .value_kind:     hidden_group_size_z
      - .offset:         162
        .size:           2
        .value_kind:     hidden_remainder_x
      - .offset:         164
        .size:           2
        .value_kind:     hidden_remainder_y
      - .offset:         166
        .size:           2
        .value_kind:     hidden_remainder_z
      - .offset:         184
        .size:           8
        .value_kind:     hidden_global_offset_x
      - .offset:         192
        .size:           8
        .value_kind:     hidden_global_offset_y
      - .offset:         200
        .size:           8
        .value_kind:     hidden_global_offset_z
      - .offset:         208
        .size:           2
        .value_kind:     hidden_grid_dims
    .group_segment_fixed_size: 16384
    .kernarg_segment_align: 8
    .kernarg_segment_size: 400
    .language:       OpenCL C
    .language_version:
      - 2
      - 0
    .max_flat_workgroup_size: 1024
    .name:           _ZL20rocblas_gemvn_kernelILi64ELi16El16rocblas_bfloat16PKffEviiT3_lPKT2_lT1_lS6_lS7_lS3_lPT4_lS7_li
    .private_segment_fixed_size: 0
    .sgpr_count:     62
    .sgpr_spill_count: 0
    .symbol:         _ZL20rocblas_gemvn_kernelILi64ELi16El16rocblas_bfloat16PKffEviiT3_lPKT2_lT1_lS6_lS7_lS3_lPT4_lS7_li.kd
    .uniform_work_group_size: 1
    .uses_dynamic_stack: false
    .vgpr_count:     72
    .vgpr_spill_count: 0
    .wavefront_size: 32
  - .args:
      - .offset:         0
        .size:           4
        .value_kind:     by_value
      - .offset:         4
        .size:           4
        .value_kind:     by_value
      - .offset:         8
        .size:           4
        .value_kind:     by_value
      - .offset:         16
        .size:           8
        .value_kind:     by_value
      - .address_space:  global
        .offset:         24
        .size:           8
        .value_kind:     global_buffer
      - .offset:         32
        .size:           8
        .value_kind:     by_value
      - .offset:         40
        .size:           4
        .value_kind:     by_value
      - .offset:         48
        .size:           8
        .value_kind:     by_value
      - .address_space:  global
        .offset:         56
        .size:           8
        .value_kind:     global_buffer
      - .offset:         64
        .size:           8
        .value_kind:     by_value
      - .offset:         72
        .size:           4
        .value_kind:     by_value
      - .offset:         80
        .size:           8
        .value_kind:     by_value
      - .offset:         88
        .size:           4
        .value_kind:     by_value
      - .offset:         96
        .size:           8
        .value_kind:     by_value
      - .address_space:  global
        .offset:         104
        .size:           8
        .value_kind:     global_buffer
      - .offset:         112
        .size:           8
        .value_kind:     by_value
      - .offset:         120
        .size:           4
        .value_kind:     by_value
      - .offset:         128
        .size:           8
        .value_kind:     by_value
      - .offset:         136
        .size:           4
        .value_kind:     by_value
      - .offset:         144
        .size:           4
        .value_kind:     hidden_block_count_x
      - .offset:         148
        .size:           4
        .value_kind:     hidden_block_count_y
      - .offset:         152
        .size:           4
        .value_kind:     hidden_block_count_z
      - .offset:         156
        .size:           2
        .value_kind:     hidden_group_size_x
      - .offset:         158
        .size:           2
        .value_kind:     hidden_group_size_y
      - .offset:         160
        .size:           2
        .value_kind:     hidden_group_size_z
      - .offset:         162
        .size:           2
        .value_kind:     hidden_remainder_x
      - .offset:         164
        .size:           2
        .value_kind:     hidden_remainder_y
      - .offset:         166
        .size:           2
        .value_kind:     hidden_remainder_z
      - .offset:         184
        .size:           8
        .value_kind:     hidden_global_offset_x
      - .offset:         192
        .size:           8
        .value_kind:     hidden_global_offset_y
      - .offset:         200
        .size:           8
        .value_kind:     hidden_global_offset_z
      - .offset:         208
        .size:           2
        .value_kind:     hidden_grid_dims
    .group_segment_fixed_size: 16384
    .kernarg_segment_align: 8
    .kernarg_segment_size: 400
    .language:       OpenCL C
    .language_version:
      - 2
      - 0
    .max_flat_workgroup_size: 1024
    .name:           _ZL20rocblas_gemvn_kernelILi64ELi16Ei16rocblas_bfloat16ffEviiT3_lPKT2_lT1_lS4_lS5_lS1_lPT4_lS5_li
    .private_segment_fixed_size: 0
    .sgpr_count:     53
    .sgpr_spill_count: 0
    .symbol:         _ZL20rocblas_gemvn_kernelILi64ELi16Ei16rocblas_bfloat16ffEviiT3_lPKT2_lT1_lS4_lS5_lS1_lPT4_lS5_li.kd
    .uniform_work_group_size: 1
    .uses_dynamic_stack: false
    .vgpr_count:     53
    .vgpr_spill_count: 0
    .wavefront_size: 32
  - .args:
      - .offset:         0
        .size:           4
        .value_kind:     by_value
      - .offset:         4
        .size:           4
        .value_kind:     by_value
      - .offset:         8
        .size:           4
        .value_kind:     by_value
      - .offset:         16
        .size:           8
        .value_kind:     by_value
      - .address_space:  global
        .offset:         24
        .size:           8
        .value_kind:     global_buffer
      - .offset:         32
        .size:           8
        .value_kind:     by_value
      - .offset:         40
        .size:           8
        .value_kind:     by_value
      - .offset:         48
        .size:           8
        .value_kind:     by_value
      - .address_space:  global
        .offset:         56
        .size:           8
        .value_kind:     global_buffer
      - .offset:         64
        .size:           8
        .value_kind:     by_value
      - .offset:         72
        .size:           8
        .value_kind:     by_value
      - .offset:         80
        .size:           8
        .value_kind:     by_value
      - .offset:         88
        .size:           4
        .value_kind:     by_value
      - .offset:         96
        .size:           8
        .value_kind:     by_value
      - .address_space:  global
        .offset:         104
        .size:           8
        .value_kind:     global_buffer
      - .offset:         112
        .size:           8
        .value_kind:     by_value
      - .offset:         120
        .size:           8
        .value_kind:     by_value
      - .offset:         128
        .size:           8
        .value_kind:     by_value
      - .offset:         136
        .size:           4
        .value_kind:     by_value
      - .offset:         144
        .size:           4
        .value_kind:     hidden_block_count_x
      - .offset:         148
        .size:           4
        .value_kind:     hidden_block_count_y
      - .offset:         152
        .size:           4
        .value_kind:     hidden_block_count_z
      - .offset:         156
        .size:           2
        .value_kind:     hidden_group_size_x
      - .offset:         158
        .size:           2
        .value_kind:     hidden_group_size_y
      - .offset:         160
        .size:           2
        .value_kind:     hidden_group_size_z
      - .offset:         162
        .size:           2
        .value_kind:     hidden_remainder_x
      - .offset:         164
        .size:           2
        .value_kind:     hidden_remainder_y
      - .offset:         166
        .size:           2
        .value_kind:     hidden_remainder_z
      - .offset:         184
        .size:           8
        .value_kind:     hidden_global_offset_x
      - .offset:         192
        .size:           8
        .value_kind:     hidden_global_offset_y
      - .offset:         200
        .size:           8
        .value_kind:     hidden_global_offset_z
      - .offset:         208
        .size:           2
        .value_kind:     hidden_grid_dims
    .group_segment_fixed_size: 16384
    .kernarg_segment_align: 8
    .kernarg_segment_size: 400
    .language:       OpenCL C
    .language_version:
      - 2
      - 0
    .max_flat_workgroup_size: 1024
    .name:           _ZL20rocblas_gemvn_kernelILi64ELi16El16rocblas_bfloat16ffEviiT3_lPKT2_lT1_lS4_lS5_lS1_lPT4_lS5_li
    .private_segment_fixed_size: 0
    .sgpr_count:     58
    .sgpr_spill_count: 0
    .symbol:         _ZL20rocblas_gemvn_kernelILi64ELi16El16rocblas_bfloat16ffEviiT3_lPKT2_lT1_lS4_lS5_lS1_lPT4_lS5_li.kd
    .uniform_work_group_size: 1
    .uses_dynamic_stack: false
    .vgpr_count:     71
    .vgpr_spill_count: 0
    .wavefront_size: 32
  - .args:
      - .offset:         0
        .size:           4
        .value_kind:     by_value
      - .offset:         4
        .size:           4
        .value_kind:     by_value
      - .address_space:  global
        .offset:         8
        .size:           8
        .value_kind:     global_buffer
      - .offset:         16
        .size:           8
        .value_kind:     by_value
      - .address_space:  global
        .offset:         24
        .size:           8
        .value_kind:     global_buffer
      - .offset:         32
        .size:           8
        .value_kind:     by_value
      - .offset:         40
        .size:           4
        .value_kind:     by_value
      - .offset:         48
        .size:           8
        .value_kind:     by_value
      - .address_space:  global
        .offset:         56
        .size:           8
        .value_kind:     global_buffer
      - .offset:         64
        .size:           8
        .value_kind:     by_value
      - .offset:         72
        .size:           4
        .value_kind:     by_value
      - .offset:         80
        .size:           8
        .value_kind:     by_value
      - .address_space:  global
        .offset:         88
        .size:           8
        .value_kind:     global_buffer
      - .offset:         96
        .size:           8
        .value_kind:     by_value
      - .address_space:  global
        .offset:         104
        .size:           8
        .value_kind:     global_buffer
      - .offset:         112
        .size:           8
        .value_kind:     by_value
      - .offset:         120
        .size:           4
        .value_kind:     by_value
      - .offset:         128
        .size:           8
        .value_kind:     by_value
    .group_segment_fixed_size: 256
    .kernarg_segment_align: 8
    .kernarg_segment_size: 136
    .language:       OpenCL C
    .language_version:
      - 2
      - 0
    .max_flat_workgroup_size: 256
    .name:           _ZL22rocblas_gemvtsm_kernelILb0ELi256E16rocblas_bfloat16PKffEviiT2_lPKT1_lilS6_lilS3_lPT3_lil
    .private_segment_fixed_size: 0
    .sgpr_count:     32
    .sgpr_spill_count: 0
    .symbol:         _ZL22rocblas_gemvtsm_kernelILb0ELi256E16rocblas_bfloat16PKffEviiT2_lPKT1_lilS6_lilS3_lPT3_lil.kd
    .uniform_work_group_size: 1
    .uses_dynamic_stack: false
    .vgpr_count:     17
    .vgpr_spill_count: 0
    .wavefront_size: 32
  - .args:
      - .offset:         0
        .size:           4
        .value_kind:     by_value
      - .offset:         4
        .size:           4
        .value_kind:     by_value
      - .offset:         8
        .size:           4
        .value_kind:     by_value
      - .offset:         16
        .size:           8
        .value_kind:     by_value
      - .address_space:  global
        .offset:         24
        .size:           8
        .value_kind:     global_buffer
      - .offset:         32
        .size:           8
        .value_kind:     by_value
      - .offset:         40
        .size:           4
        .value_kind:     by_value
      - .offset:         48
        .size:           8
        .value_kind:     by_value
      - .address_space:  global
        .offset:         56
        .size:           8
        .value_kind:     global_buffer
      - .offset:         64
        .size:           8
        .value_kind:     by_value
      - .offset:         72
        .size:           4
        .value_kind:     by_value
      - .offset:         80
        .size:           8
        .value_kind:     by_value
      - .offset:         88
        .size:           4
        .value_kind:     by_value
      - .offset:         96
        .size:           8
        .value_kind:     by_value
      - .address_space:  global
        .offset:         104
        .size:           8
        .value_kind:     global_buffer
      - .offset:         112
        .size:           8
        .value_kind:     by_value
      - .offset:         120
        .size:           4
        .value_kind:     by_value
      - .offset:         128
        .size:           8
        .value_kind:     by_value
    .group_segment_fixed_size: 256
    .kernarg_segment_align: 8
    .kernarg_segment_size: 136
    .language:       OpenCL C
    .language_version:
      - 2
      - 0
    .max_flat_workgroup_size: 256
    .name:           _ZL22rocblas_gemvtsm_kernelILb0ELi256E16rocblas_bfloat16ffEviiT2_lPKT1_lilS4_lilS1_lPT3_lil
    .private_segment_fixed_size: 0
    .sgpr_count:     28
    .sgpr_spill_count: 0
    .symbol:         _ZL22rocblas_gemvtsm_kernelILb0ELi256E16rocblas_bfloat16ffEviiT2_lPKT1_lilS4_lilS1_lPT3_lil.kd
    .uniform_work_group_size: 1
    .uses_dynamic_stack: false
    .vgpr_count:     17
    .vgpr_spill_count: 0
    .wavefront_size: 32
  - .args:
      - .offset:         0
        .size:           4
        .value_kind:     by_value
      - .offset:         4
        .size:           4
        .value_kind:     by_value
      - .address_space:  global
        .offset:         8
        .size:           8
        .value_kind:     global_buffer
      - .offset:         16
        .size:           8
        .value_kind:     by_value
      - .address_space:  global
        .offset:         24
        .size:           8
        .value_kind:     global_buffer
      - .offset:         32
        .size:           8
        .value_kind:     by_value
      - .offset:         40
        .size:           4
        .value_kind:     by_value
      - .offset:         48
        .size:           8
        .value_kind:     by_value
      - .address_space:  global
        .offset:         56
        .size:           8
        .value_kind:     global_buffer
      - .offset:         64
        .size:           8
        .value_kind:     by_value
      - .offset:         72
        .size:           4
        .value_kind:     by_value
      - .offset:         80
        .size:           8
        .value_kind:     by_value
      - .address_space:  global
        .offset:         88
        .size:           8
        .value_kind:     global_buffer
      - .offset:         96
        .size:           8
        .value_kind:     by_value
      - .address_space:  global
        .offset:         104
        .size:           8
        .value_kind:     global_buffer
      - .offset:         112
        .size:           8
        .value_kind:     by_value
      - .offset:         120
        .size:           4
        .value_kind:     by_value
      - .offset:         128
        .size:           8
        .value_kind:     by_value
      - .offset:         136
        .size:           4
        .value_kind:     by_value
    .group_segment_fixed_size: 128
    .kernarg_segment_align: 8
    .kernarg_segment_size: 140
    .language:       OpenCL C
    .language_version:
      - 2
      - 0
    .max_flat_workgroup_size: 256
    .name:           _ZL32rocblas_gemvt_warp_reduce_kernelILb0ELi256Ei16rocblas_bfloat16PKffEviiT3_lPKT2_lT1_lS6_lS7_lS3_lPT4_lS7_li
    .private_segment_fixed_size: 0
    .sgpr_count:     46
    .sgpr_spill_count: 0
    .symbol:         _ZL32rocblas_gemvt_warp_reduce_kernelILb0ELi256Ei16rocblas_bfloat16PKffEviiT3_lPKT2_lT1_lS6_lS7_lS3_lPT4_lS7_li.kd
    .uniform_work_group_size: 1
    .uses_dynamic_stack: false
    .vgpr_count:     22
    .vgpr_spill_count: 0
    .wavefront_size: 32
  - .args:
      - .offset:         0
        .size:           4
        .value_kind:     by_value
      - .offset:         4
        .size:           4
        .value_kind:     by_value
      - .address_space:  global
        .offset:         8
        .size:           8
        .value_kind:     global_buffer
      - .offset:         16
        .size:           8
        .value_kind:     by_value
      - .address_space:  global
        .offset:         24
        .size:           8
        .value_kind:     global_buffer
      - .offset:         32
        .size:           8
        .value_kind:     by_value
      - .offset:         40
        .size:           8
        .value_kind:     by_value
      - .offset:         48
        .size:           8
        .value_kind:     by_value
      - .address_space:  global
        .offset:         56
        .size:           8
        .value_kind:     global_buffer
      - .offset:         64
        .size:           8
        .value_kind:     by_value
      - .offset:         72
        .size:           8
        .value_kind:     by_value
      - .offset:         80
        .size:           8
        .value_kind:     by_value
      - .address_space:  global
        .offset:         88
        .size:           8
        .value_kind:     global_buffer
      - .offset:         96
        .size:           8
        .value_kind:     by_value
      - .address_space:  global
        .offset:         104
        .size:           8
        .value_kind:     global_buffer
      - .offset:         112
        .size:           8
        .value_kind:     by_value
      - .offset:         120
        .size:           8
        .value_kind:     by_value
      - .offset:         128
        .size:           8
        .value_kind:     by_value
      - .offset:         136
        .size:           4
        .value_kind:     by_value
    .group_segment_fixed_size: 128
    .kernarg_segment_align: 8
    .kernarg_segment_size: 140
    .language:       OpenCL C
    .language_version:
      - 2
      - 0
    .max_flat_workgroup_size: 256
    .name:           _ZL32rocblas_gemvt_warp_reduce_kernelILb0ELi256El16rocblas_bfloat16PKffEviiT3_lPKT2_lT1_lS6_lS7_lS3_lPT4_lS7_li
    .private_segment_fixed_size: 0
    .sgpr_count:     54
    .sgpr_spill_count: 0
    .symbol:         _ZL32rocblas_gemvt_warp_reduce_kernelILb0ELi256El16rocblas_bfloat16PKffEviiT3_lPKT2_lT1_lS6_lS7_lS3_lPT4_lS7_li.kd
    .uniform_work_group_size: 1
    .uses_dynamic_stack: false
    .vgpr_count:     24
    .vgpr_spill_count: 0
    .wavefront_size: 32
  - .args:
      - .offset:         0
        .size:           4
        .value_kind:     by_value
      - .offset:         4
        .size:           4
        .value_kind:     by_value
      - .offset:         8
        .size:           4
        .value_kind:     by_value
      - .offset:         16
        .size:           8
        .value_kind:     by_value
      - .address_space:  global
        .offset:         24
        .size:           8
        .value_kind:     global_buffer
      - .offset:         32
        .size:           8
        .value_kind:     by_value
      - .offset:         40
        .size:           4
        .value_kind:     by_value
      - .offset:         48
        .size:           8
        .value_kind:     by_value
      - .address_space:  global
        .offset:         56
        .size:           8
        .value_kind:     global_buffer
      - .offset:         64
        .size:           8
        .value_kind:     by_value
      - .offset:         72
        .size:           4
        .value_kind:     by_value
      - .offset:         80
        .size:           8
        .value_kind:     by_value
      - .offset:         88
        .size:           4
        .value_kind:     by_value
      - .offset:         96
        .size:           8
        .value_kind:     by_value
      - .address_space:  global
        .offset:         104
        .size:           8
        .value_kind:     global_buffer
      - .offset:         112
        .size:           8
        .value_kind:     by_value
      - .offset:         120
        .size:           4
        .value_kind:     by_value
      - .offset:         128
        .size:           8
        .value_kind:     by_value
      - .offset:         136
        .size:           4
        .value_kind:     by_value
    .group_segment_fixed_size: 128
    .kernarg_segment_align: 8
    .kernarg_segment_size: 140
    .language:       OpenCL C
    .language_version:
      - 2
      - 0
    .max_flat_workgroup_size: 256
    .name:           _ZL32rocblas_gemvt_warp_reduce_kernelILb0ELi256Ei16rocblas_bfloat16ffEviiT3_lPKT2_lT1_lS4_lS5_lS1_lPT4_lS5_li
    .private_segment_fixed_size: 0
    .sgpr_count:     42
    .sgpr_spill_count: 0
    .symbol:         _ZL32rocblas_gemvt_warp_reduce_kernelILb0ELi256Ei16rocblas_bfloat16ffEviiT3_lPKT2_lT1_lS4_lS5_lS1_lPT4_lS5_li.kd
    .uniform_work_group_size: 1
    .uses_dynamic_stack: false
    .vgpr_count:     21
    .vgpr_spill_count: 0
    .wavefront_size: 32
  - .args:
      - .offset:         0
        .size:           4
        .value_kind:     by_value
      - .offset:         4
        .size:           4
        .value_kind:     by_value
      - .offset:         8
        .size:           4
        .value_kind:     by_value
      - .offset:         16
        .size:           8
        .value_kind:     by_value
      - .address_space:  global
        .offset:         24
        .size:           8
        .value_kind:     global_buffer
      - .offset:         32
        .size:           8
        .value_kind:     by_value
      - .offset:         40
        .size:           8
        .value_kind:     by_value
      - .offset:         48
        .size:           8
        .value_kind:     by_value
      - .address_space:  global
        .offset:         56
        .size:           8
        .value_kind:     global_buffer
      - .offset:         64
        .size:           8
        .value_kind:     by_value
      - .offset:         72
        .size:           8
        .value_kind:     by_value
      - .offset:         80
        .size:           8
        .value_kind:     by_value
      - .offset:         88
        .size:           4
        .value_kind:     by_value
      - .offset:         96
        .size:           8
        .value_kind:     by_value
      - .address_space:  global
        .offset:         104
        .size:           8
        .value_kind:     global_buffer
      - .offset:         112
        .size:           8
        .value_kind:     by_value
      - .offset:         120
        .size:           8
        .value_kind:     by_value
      - .offset:         128
        .size:           8
        .value_kind:     by_value
      - .offset:         136
        .size:           4
        .value_kind:     by_value
    .group_segment_fixed_size: 128
    .kernarg_segment_align: 8
    .kernarg_segment_size: 140
    .language:       OpenCL C
    .language_version:
      - 2
      - 0
    .max_flat_workgroup_size: 256
    .name:           _ZL32rocblas_gemvt_warp_reduce_kernelILb0ELi256El16rocblas_bfloat16ffEviiT3_lPKT2_lT1_lS4_lS5_lS1_lPT4_lS5_li
    .private_segment_fixed_size: 0
    .sgpr_count:     46
    .sgpr_spill_count: 0
    .symbol:         _ZL32rocblas_gemvt_warp_reduce_kernelILb0ELi256El16rocblas_bfloat16ffEviiT3_lPKT2_lT1_lS4_lS5_lS1_lPT4_lS5_li.kd
    .uniform_work_group_size: 1
    .uses_dynamic_stack: false
    .vgpr_count:     23
    .vgpr_spill_count: 0
    .wavefront_size: 32
  - .args:
      - .offset:         0
        .size:           4
        .value_kind:     by_value
      - .offset:         4
        .size:           4
        .value_kind:     by_value
      - .address_space:  global
        .offset:         8
        .size:           8
        .value_kind:     global_buffer
      - .offset:         16
        .size:           8
        .value_kind:     by_value
      - .address_space:  global
        .offset:         24
        .size:           8
        .value_kind:     global_buffer
      - .offset:         32
        .size:           8
        .value_kind:     by_value
      - .offset:         40
        .size:           4
        .value_kind:     by_value
      - .offset:         48
        .size:           8
        .value_kind:     by_value
      - .address_space:  global
        .offset:         56
        .size:           8
        .value_kind:     global_buffer
      - .offset:         64
        .size:           8
        .value_kind:     by_value
      - .offset:         72
        .size:           4
        .value_kind:     by_value
      - .offset:         80
        .size:           8
        .value_kind:     by_value
      - .address_space:  global
        .offset:         88
        .size:           8
        .value_kind:     global_buffer
      - .offset:         96
        .size:           8
        .value_kind:     by_value
      - .address_space:  global
        .offset:         104
        .size:           8
        .value_kind:     global_buffer
      - .offset:         112
        .size:           8
        .value_kind:     by_value
      - .offset:         120
        .size:           4
        .value_kind:     by_value
      - .offset:         128
        .size:           8
        .value_kind:     by_value
      - .offset:         136
        .size:           4
        .value_kind:     by_value
    .group_segment_fixed_size: 1024
    .kernarg_segment_align: 8
    .kernarg_segment_size: 140
    .language:       OpenCL C
    .language_version:
      - 2
      - 0
    .max_flat_workgroup_size: 256
    .name:           _ZL20rocblas_gemvt_kernelILb0ELi256E16rocblas_bfloat16PKffEviiT2_lPKT1_lilS6_lilS3_lPT3_lili
    .private_segment_fixed_size: 0
    .sgpr_count:     52
    .sgpr_spill_count: 0
    .symbol:         _ZL20rocblas_gemvt_kernelILb0ELi256E16rocblas_bfloat16PKffEviiT2_lPKT1_lilS6_lilS3_lPT3_lili.kd
    .uniform_work_group_size: 1
    .uses_dynamic_stack: false
    .vgpr_count:     20
    .vgpr_spill_count: 0
    .wavefront_size: 32
  - .args:
      - .offset:         0
        .size:           4
        .value_kind:     by_value
      - .offset:         4
        .size:           4
        .value_kind:     by_value
      - .offset:         8
        .size:           4
        .value_kind:     by_value
      - .offset:         16
        .size:           8
        .value_kind:     by_value
      - .address_space:  global
        .offset:         24
        .size:           8
        .value_kind:     global_buffer
      - .offset:         32
        .size:           8
        .value_kind:     by_value
      - .offset:         40
        .size:           4
        .value_kind:     by_value
      - .offset:         48
        .size:           8
        .value_kind:     by_value
      - .address_space:  global
        .offset:         56
        .size:           8
        .value_kind:     global_buffer
      - .offset:         64
        .size:           8
        .value_kind:     by_value
      - .offset:         72
        .size:           4
        .value_kind:     by_value
      - .offset:         80
        .size:           8
        .value_kind:     by_value
      - .offset:         88
        .size:           4
        .value_kind:     by_value
      - .offset:         96
        .size:           8
        .value_kind:     by_value
      - .address_space:  global
        .offset:         104
        .size:           8
        .value_kind:     global_buffer
      - .offset:         112
        .size:           8
        .value_kind:     by_value
      - .offset:         120
        .size:           4
        .value_kind:     by_value
      - .offset:         128
        .size:           8
        .value_kind:     by_value
      - .offset:         136
        .size:           4
        .value_kind:     by_value
    .group_segment_fixed_size: 1024
    .kernarg_segment_align: 8
    .kernarg_segment_size: 140
    .language:       OpenCL C
    .language_version:
      - 2
      - 0
    .max_flat_workgroup_size: 256
    .name:           _ZL20rocblas_gemvt_kernelILb0ELi256E16rocblas_bfloat16ffEviiT2_lPKT1_lilS4_lilS1_lPT3_lili
    .private_segment_fixed_size: 0
    .sgpr_count:     50
    .sgpr_spill_count: 0
    .symbol:         _ZL20rocblas_gemvt_kernelILb0ELi256E16rocblas_bfloat16ffEviiT2_lPKT1_lilS4_lilS1_lPT3_lili.kd
    .uniform_work_group_size: 1
    .uses_dynamic_stack: false
    .vgpr_count:     18
    .vgpr_spill_count: 0
    .wavefront_size: 32
  - .args:
      - .offset:         0
        .size:           4
        .value_kind:     by_value
      - .offset:         4
        .size:           4
        .value_kind:     by_value
      - .address_space:  global
        .offset:         8
        .size:           8
        .value_kind:     global_buffer
      - .offset:         16
        .size:           8
        .value_kind:     by_value
      - .address_space:  global
        .offset:         24
        .size:           8
        .value_kind:     global_buffer
      - .offset:         32
        .size:           8
        .value_kind:     by_value
      - .offset:         40
        .size:           4
        .value_kind:     by_value
      - .offset:         48
        .size:           8
        .value_kind:     by_value
      - .address_space:  global
        .offset:         56
        .size:           8
        .value_kind:     global_buffer
      - .offset:         64
        .size:           8
        .value_kind:     by_value
      - .offset:         72
        .size:           4
        .value_kind:     by_value
      - .offset:         80
        .size:           8
        .value_kind:     by_value
      - .address_space:  global
        .offset:         88
        .size:           8
        .value_kind:     global_buffer
      - .offset:         96
        .size:           8
        .value_kind:     by_value
      - .address_space:  global
        .offset:         104
        .size:           8
        .value_kind:     global_buffer
      - .offset:         112
        .size:           8
        .value_kind:     by_value
      - .offset:         120
        .size:           4
        .value_kind:     by_value
      - .offset:         128
        .size:           8
        .value_kind:     by_value
      - .offset:         136
        .size:           4
        .value_kind:     by_value
    .group_segment_fixed_size: 128
    .kernarg_segment_align: 8
    .kernarg_segment_size: 140
    .language:       OpenCL C
    .language_version:
      - 2
      - 0
    .max_flat_workgroup_size: 1024
    .name:           _ZL32rocblas_gemvt_warp_reduce_kernelILb0ELi1024Ei16rocblas_bfloat16PKffEviiT3_lPKT2_lT1_lS6_lS7_lS3_lPT4_lS7_li
    .private_segment_fixed_size: 0
    .sgpr_count:     46
    .sgpr_spill_count: 0
    .symbol:         _ZL32rocblas_gemvt_warp_reduce_kernelILb0ELi1024Ei16rocblas_bfloat16PKffEviiT3_lPKT2_lT1_lS6_lS7_lS3_lPT4_lS7_li.kd
    .uniform_work_group_size: 1
    .uses_dynamic_stack: false
    .vgpr_count:     22
    .vgpr_spill_count: 0
    .wavefront_size: 32
  - .args:
      - .offset:         0
        .size:           4
        .value_kind:     by_value
      - .offset:         4
        .size:           4
        .value_kind:     by_value
      - .address_space:  global
        .offset:         8
        .size:           8
        .value_kind:     global_buffer
      - .offset:         16
        .size:           8
        .value_kind:     by_value
      - .address_space:  global
        .offset:         24
        .size:           8
        .value_kind:     global_buffer
      - .offset:         32
        .size:           8
        .value_kind:     by_value
      - .offset:         40
        .size:           8
        .value_kind:     by_value
      - .offset:         48
        .size:           8
        .value_kind:     by_value
      - .address_space:  global
        .offset:         56
        .size:           8
        .value_kind:     global_buffer
      - .offset:         64
        .size:           8
        .value_kind:     by_value
      - .offset:         72
        .size:           8
        .value_kind:     by_value
      - .offset:         80
        .size:           8
        .value_kind:     by_value
      - .address_space:  global
        .offset:         88
        .size:           8
        .value_kind:     global_buffer
      - .offset:         96
        .size:           8
        .value_kind:     by_value
      - .address_space:  global
        .offset:         104
        .size:           8
        .value_kind:     global_buffer
      - .offset:         112
        .size:           8
        .value_kind:     by_value
      - .offset:         120
        .size:           8
        .value_kind:     by_value
      - .offset:         128
        .size:           8
        .value_kind:     by_value
      - .offset:         136
        .size:           4
        .value_kind:     by_value
    .group_segment_fixed_size: 128
    .kernarg_segment_align: 8
    .kernarg_segment_size: 140
    .language:       OpenCL C
    .language_version:
      - 2
      - 0
    .max_flat_workgroup_size: 1024
    .name:           _ZL32rocblas_gemvt_warp_reduce_kernelILb0ELi1024El16rocblas_bfloat16PKffEviiT3_lPKT2_lT1_lS6_lS7_lS3_lPT4_lS7_li
    .private_segment_fixed_size: 0
    .sgpr_count:     54
    .sgpr_spill_count: 0
    .symbol:         _ZL32rocblas_gemvt_warp_reduce_kernelILb0ELi1024El16rocblas_bfloat16PKffEviiT3_lPKT2_lT1_lS6_lS7_lS3_lPT4_lS7_li.kd
    .uniform_work_group_size: 1
    .uses_dynamic_stack: false
    .vgpr_count:     24
    .vgpr_spill_count: 0
    .wavefront_size: 32
  - .args:
      - .offset:         0
        .size:           4
        .value_kind:     by_value
      - .offset:         4
        .size:           4
        .value_kind:     by_value
      - .offset:         8
        .size:           4
        .value_kind:     by_value
      - .offset:         16
        .size:           8
        .value_kind:     by_value
      - .address_space:  global
        .offset:         24
        .size:           8
        .value_kind:     global_buffer
      - .offset:         32
        .size:           8
        .value_kind:     by_value
      - .offset:         40
        .size:           4
        .value_kind:     by_value
      - .offset:         48
        .size:           8
        .value_kind:     by_value
      - .address_space:  global
        .offset:         56
        .size:           8
        .value_kind:     global_buffer
      - .offset:         64
        .size:           8
        .value_kind:     by_value
      - .offset:         72
        .size:           4
        .value_kind:     by_value
      - .offset:         80
        .size:           8
        .value_kind:     by_value
      - .offset:         88
        .size:           4
        .value_kind:     by_value
      - .offset:         96
        .size:           8
        .value_kind:     by_value
      - .address_space:  global
        .offset:         104
        .size:           8
        .value_kind:     global_buffer
      - .offset:         112
        .size:           8
        .value_kind:     by_value
      - .offset:         120
        .size:           4
        .value_kind:     by_value
      - .offset:         128
        .size:           8
        .value_kind:     by_value
      - .offset:         136
        .size:           4
        .value_kind:     by_value
    .group_segment_fixed_size: 128
    .kernarg_segment_align: 8
    .kernarg_segment_size: 140
    .language:       OpenCL C
    .language_version:
      - 2
      - 0
    .max_flat_workgroup_size: 1024
    .name:           _ZL32rocblas_gemvt_warp_reduce_kernelILb0ELi1024Ei16rocblas_bfloat16ffEviiT3_lPKT2_lT1_lS4_lS5_lS1_lPT4_lS5_li
    .private_segment_fixed_size: 0
    .sgpr_count:     42
    .sgpr_spill_count: 0
    .symbol:         _ZL32rocblas_gemvt_warp_reduce_kernelILb0ELi1024Ei16rocblas_bfloat16ffEviiT3_lPKT2_lT1_lS4_lS5_lS1_lPT4_lS5_li.kd
    .uniform_work_group_size: 1
    .uses_dynamic_stack: false
    .vgpr_count:     21
    .vgpr_spill_count: 0
    .wavefront_size: 32
  - .args:
      - .offset:         0
        .size:           4
        .value_kind:     by_value
      - .offset:         4
        .size:           4
        .value_kind:     by_value
      - .offset:         8
        .size:           4
        .value_kind:     by_value
      - .offset:         16
        .size:           8
        .value_kind:     by_value
      - .address_space:  global
        .offset:         24
        .size:           8
        .value_kind:     global_buffer
      - .offset:         32
        .size:           8
        .value_kind:     by_value
      - .offset:         40
        .size:           8
        .value_kind:     by_value
      - .offset:         48
        .size:           8
        .value_kind:     by_value
      - .address_space:  global
        .offset:         56
        .size:           8
        .value_kind:     global_buffer
      - .offset:         64
        .size:           8
        .value_kind:     by_value
      - .offset:         72
        .size:           8
        .value_kind:     by_value
      - .offset:         80
        .size:           8
        .value_kind:     by_value
      - .offset:         88
        .size:           4
        .value_kind:     by_value
      - .offset:         96
        .size:           8
        .value_kind:     by_value
      - .address_space:  global
        .offset:         104
        .size:           8
        .value_kind:     global_buffer
      - .offset:         112
        .size:           8
        .value_kind:     by_value
      - .offset:         120
        .size:           8
        .value_kind:     by_value
      - .offset:         128
        .size:           8
        .value_kind:     by_value
      - .offset:         136
        .size:           4
        .value_kind:     by_value
    .group_segment_fixed_size: 128
    .kernarg_segment_align: 8
    .kernarg_segment_size: 140
    .language:       OpenCL C
    .language_version:
      - 2
      - 0
    .max_flat_workgroup_size: 1024
    .name:           _ZL32rocblas_gemvt_warp_reduce_kernelILb0ELi1024El16rocblas_bfloat16ffEviiT3_lPKT2_lT1_lS4_lS5_lS1_lPT4_lS5_li
    .private_segment_fixed_size: 0
    .sgpr_count:     44
    .sgpr_spill_count: 0
    .symbol:         _ZL32rocblas_gemvt_warp_reduce_kernelILb0ELi1024El16rocblas_bfloat16ffEviiT3_lPKT2_lT1_lS4_lS5_lS1_lPT4_lS5_li.kd
    .uniform_work_group_size: 1
    .uses_dynamic_stack: false
    .vgpr_count:     23
    .vgpr_spill_count: 0
    .wavefront_size: 32
  - .args:
      - .offset:         0
        .size:           4
        .value_kind:     by_value
      - .offset:         4
        .size:           4
        .value_kind:     by_value
      - .address_space:  global
        .offset:         8
        .size:           8
        .value_kind:     global_buffer
      - .offset:         16
        .size:           8
        .value_kind:     by_value
      - .address_space:  global
        .offset:         24
        .size:           8
        .value_kind:     global_buffer
      - .offset:         32
        .size:           8
        .value_kind:     by_value
      - .offset:         40
        .size:           4
        .value_kind:     by_value
      - .offset:         48
        .size:           8
        .value_kind:     by_value
      - .address_space:  global
        .offset:         56
        .size:           8
        .value_kind:     global_buffer
      - .offset:         64
        .size:           8
        .value_kind:     by_value
      - .offset:         72
        .size:           4
        .value_kind:     by_value
      - .offset:         80
        .size:           8
        .value_kind:     by_value
      - .address_space:  global
        .offset:         88
        .size:           8
        .value_kind:     global_buffer
      - .offset:         96
        .size:           8
        .value_kind:     by_value
      - .address_space:  global
        .offset:         104
        .size:           8
        .value_kind:     global_buffer
      - .offset:         112
        .size:           8
        .value_kind:     by_value
      - .offset:         120
        .size:           4
        .value_kind:     by_value
      - .offset:         128
        .size:           8
        .value_kind:     by_value
    .group_segment_fixed_size: 256
    .kernarg_segment_align: 8
    .kernarg_segment_size: 136
    .language:       OpenCL C
    .language_version:
      - 2
      - 0
    .max_flat_workgroup_size: 256
    .name:           _ZL22rocblas_gemvtsm_kernelILb1ELi256E16rocblas_bfloat16PKffEviiT2_lPKT1_lilS6_lilS3_lPT3_lil
    .private_segment_fixed_size: 0
    .sgpr_count:     32
    .sgpr_spill_count: 0
    .symbol:         _ZL22rocblas_gemvtsm_kernelILb1ELi256E16rocblas_bfloat16PKffEviiT2_lPKT1_lilS6_lilS3_lPT3_lil.kd
    .uniform_work_group_size: 1
    .uses_dynamic_stack: false
    .vgpr_count:     17
    .vgpr_spill_count: 0
    .wavefront_size: 32
  - .args:
      - .offset:         0
        .size:           4
        .value_kind:     by_value
      - .offset:         4
        .size:           4
        .value_kind:     by_value
      - .offset:         8
        .size:           4
        .value_kind:     by_value
      - .offset:         16
        .size:           8
        .value_kind:     by_value
      - .address_space:  global
        .offset:         24
        .size:           8
        .value_kind:     global_buffer
      - .offset:         32
        .size:           8
        .value_kind:     by_value
      - .offset:         40
        .size:           4
        .value_kind:     by_value
      - .offset:         48
        .size:           8
        .value_kind:     by_value
      - .address_space:  global
        .offset:         56
        .size:           8
        .value_kind:     global_buffer
      - .offset:         64
        .size:           8
        .value_kind:     by_value
      - .offset:         72
        .size:           4
        .value_kind:     by_value
      - .offset:         80
        .size:           8
        .value_kind:     by_value
      - .offset:         88
        .size:           4
        .value_kind:     by_value
      - .offset:         96
        .size:           8
        .value_kind:     by_value
      - .address_space:  global
        .offset:         104
        .size:           8
        .value_kind:     global_buffer
      - .offset:         112
        .size:           8
        .value_kind:     by_value
      - .offset:         120
        .size:           4
        .value_kind:     by_value
      - .offset:         128
        .size:           8
        .value_kind:     by_value
    .group_segment_fixed_size: 256
    .kernarg_segment_align: 8
    .kernarg_segment_size: 136
    .language:       OpenCL C
    .language_version:
      - 2
      - 0
    .max_flat_workgroup_size: 256
    .name:           _ZL22rocblas_gemvtsm_kernelILb1ELi256E16rocblas_bfloat16ffEviiT2_lPKT1_lilS4_lilS1_lPT3_lil
    .private_segment_fixed_size: 0
    .sgpr_count:     28
    .sgpr_spill_count: 0
    .symbol:         _ZL22rocblas_gemvtsm_kernelILb1ELi256E16rocblas_bfloat16ffEviiT2_lPKT1_lilS4_lilS1_lPT3_lil.kd
    .uniform_work_group_size: 1
    .uses_dynamic_stack: false
    .vgpr_count:     17
    .vgpr_spill_count: 0
    .wavefront_size: 32
  - .args:
      - .offset:         0
        .size:           4
        .value_kind:     by_value
      - .offset:         4
        .size:           4
        .value_kind:     by_value
      - .address_space:  global
        .offset:         8
        .size:           8
        .value_kind:     global_buffer
      - .offset:         16
        .size:           8
        .value_kind:     by_value
      - .address_space:  global
        .offset:         24
        .size:           8
        .value_kind:     global_buffer
      - .offset:         32
        .size:           8
        .value_kind:     by_value
      - .offset:         40
        .size:           4
        .value_kind:     by_value
      - .offset:         48
        .size:           8
        .value_kind:     by_value
      - .address_space:  global
        .offset:         56
        .size:           8
        .value_kind:     global_buffer
      - .offset:         64
        .size:           8
        .value_kind:     by_value
      - .offset:         72
        .size:           4
        .value_kind:     by_value
      - .offset:         80
        .size:           8
        .value_kind:     by_value
      - .address_space:  global
        .offset:         88
        .size:           8
        .value_kind:     global_buffer
      - .offset:         96
        .size:           8
        .value_kind:     by_value
      - .address_space:  global
        .offset:         104
        .size:           8
        .value_kind:     global_buffer
      - .offset:         112
        .size:           8
        .value_kind:     by_value
      - .offset:         120
        .size:           4
        .value_kind:     by_value
      - .offset:         128
        .size:           8
        .value_kind:     by_value
      - .offset:         136
        .size:           4
        .value_kind:     by_value
    .group_segment_fixed_size: 1024
    .kernarg_segment_align: 8
    .kernarg_segment_size: 140
    .language:       OpenCL C
    .language_version:
      - 2
      - 0
    .max_flat_workgroup_size: 256
    .name:           _ZL20rocblas_gemvt_kernelILb1ELi256E16rocblas_bfloat16PKffEviiT2_lPKT1_lilS6_lilS3_lPT3_lili
    .private_segment_fixed_size: 0
    .sgpr_count:     52
    .sgpr_spill_count: 0
    .symbol:         _ZL20rocblas_gemvt_kernelILb1ELi256E16rocblas_bfloat16PKffEviiT2_lPKT1_lilS6_lilS3_lPT3_lili.kd
    .uniform_work_group_size: 1
    .uses_dynamic_stack: false
    .vgpr_count:     20
    .vgpr_spill_count: 0
    .wavefront_size: 32
  - .args:
      - .offset:         0
        .size:           4
        .value_kind:     by_value
      - .offset:         4
        .size:           4
        .value_kind:     by_value
      - .offset:         8
        .size:           4
        .value_kind:     by_value
      - .offset:         16
        .size:           8
        .value_kind:     by_value
      - .address_space:  global
        .offset:         24
        .size:           8
        .value_kind:     global_buffer
      - .offset:         32
        .size:           8
        .value_kind:     by_value
      - .offset:         40
        .size:           4
        .value_kind:     by_value
      - .offset:         48
        .size:           8
        .value_kind:     by_value
      - .address_space:  global
        .offset:         56
        .size:           8
        .value_kind:     global_buffer
      - .offset:         64
        .size:           8
        .value_kind:     by_value
      - .offset:         72
        .size:           4
        .value_kind:     by_value
      - .offset:         80
        .size:           8
        .value_kind:     by_value
      - .offset:         88
        .size:           4
        .value_kind:     by_value
      - .offset:         96
        .size:           8
        .value_kind:     by_value
      - .address_space:  global
        .offset:         104
        .size:           8
        .value_kind:     global_buffer
      - .offset:         112
        .size:           8
        .value_kind:     by_value
      - .offset:         120
        .size:           4
        .value_kind:     by_value
      - .offset:         128
        .size:           8
        .value_kind:     by_value
      - .offset:         136
        .size:           4
        .value_kind:     by_value
    .group_segment_fixed_size: 1024
    .kernarg_segment_align: 8
    .kernarg_segment_size: 140
    .language:       OpenCL C
    .language_version:
      - 2
      - 0
    .max_flat_workgroup_size: 256
    .name:           _ZL20rocblas_gemvt_kernelILb1ELi256E16rocblas_bfloat16ffEviiT2_lPKT1_lilS4_lilS1_lPT3_lili
    .private_segment_fixed_size: 0
    .sgpr_count:     50
    .sgpr_spill_count: 0
    .symbol:         _ZL20rocblas_gemvt_kernelILb1ELi256E16rocblas_bfloat16ffEviiT2_lPKT1_lilS4_lilS1_lPT3_lili.kd
    .uniform_work_group_size: 1
    .uses_dynamic_stack: false
    .vgpr_count:     18
    .vgpr_spill_count: 0
    .wavefront_size: 32
  - .args:
      - .offset:         0
        .size:           4
        .value_kind:     by_value
      - .offset:         4
        .size:           4
        .value_kind:     by_value
      - .address_space:  global
        .offset:         8
        .size:           8
        .value_kind:     global_buffer
      - .offset:         16
        .size:           8
        .value_kind:     by_value
      - .address_space:  global
        .offset:         24
        .size:           8
        .value_kind:     global_buffer
      - .offset:         32
        .size:           8
        .value_kind:     by_value
      - .offset:         40
        .size:           4
        .value_kind:     by_value
      - .offset:         48
        .size:           8
        .value_kind:     by_value
      - .address_space:  global
        .offset:         56
        .size:           8
        .value_kind:     global_buffer
      - .offset:         64
        .size:           8
        .value_kind:     by_value
      - .offset:         72
        .size:           4
        .value_kind:     by_value
      - .offset:         80
        .size:           8
        .value_kind:     by_value
      - .address_space:  global
        .offset:         88
        .size:           8
        .value_kind:     global_buffer
      - .offset:         96
        .size:           8
        .value_kind:     by_value
      - .address_space:  global
        .offset:         104
        .size:           8
        .value_kind:     global_buffer
      - .offset:         112
        .size:           8
        .value_kind:     by_value
      - .offset:         120
        .size:           4
        .value_kind:     by_value
      - .offset:         128
        .size:           8
        .value_kind:     by_value
      - .offset:         136
        .size:           4
        .value_kind:     by_value
    .group_segment_fixed_size: 128
    .kernarg_segment_align: 8
    .kernarg_segment_size: 140
    .language:       OpenCL C
    .language_version:
      - 2
      - 0
    .max_flat_workgroup_size: 1024
    .name:           _ZL32rocblas_gemvt_warp_reduce_kernelILb1ELi1024Ei16rocblas_bfloat16PKffEviiT3_lPKT2_lT1_lS6_lS7_lS3_lPT4_lS7_li
    .private_segment_fixed_size: 0
    .sgpr_count:     46
    .sgpr_spill_count: 0
    .symbol:         _ZL32rocblas_gemvt_warp_reduce_kernelILb1ELi1024Ei16rocblas_bfloat16PKffEviiT3_lPKT2_lT1_lS6_lS7_lS3_lPT4_lS7_li.kd
    .uniform_work_group_size: 1
    .uses_dynamic_stack: false
    .vgpr_count:     22
    .vgpr_spill_count: 0
    .wavefront_size: 32
  - .args:
      - .offset:         0
        .size:           4
        .value_kind:     by_value
      - .offset:         4
        .size:           4
        .value_kind:     by_value
      - .address_space:  global
        .offset:         8
        .size:           8
        .value_kind:     global_buffer
      - .offset:         16
        .size:           8
        .value_kind:     by_value
      - .address_space:  global
        .offset:         24
        .size:           8
        .value_kind:     global_buffer
      - .offset:         32
        .size:           8
        .value_kind:     by_value
      - .offset:         40
        .size:           8
        .value_kind:     by_value
      - .offset:         48
        .size:           8
        .value_kind:     by_value
      - .address_space:  global
        .offset:         56
        .size:           8
        .value_kind:     global_buffer
      - .offset:         64
        .size:           8
        .value_kind:     by_value
      - .offset:         72
        .size:           8
        .value_kind:     by_value
      - .offset:         80
        .size:           8
        .value_kind:     by_value
      - .address_space:  global
        .offset:         88
        .size:           8
        .value_kind:     global_buffer
      - .offset:         96
        .size:           8
        .value_kind:     by_value
      - .address_space:  global
        .offset:         104
        .size:           8
        .value_kind:     global_buffer
      - .offset:         112
        .size:           8
        .value_kind:     by_value
      - .offset:         120
        .size:           8
        .value_kind:     by_value
      - .offset:         128
        .size:           8
        .value_kind:     by_value
      - .offset:         136
        .size:           4
        .value_kind:     by_value
    .group_segment_fixed_size: 128
    .kernarg_segment_align: 8
    .kernarg_segment_size: 140
    .language:       OpenCL C
    .language_version:
      - 2
      - 0
    .max_flat_workgroup_size: 1024
    .name:           _ZL32rocblas_gemvt_warp_reduce_kernelILb1ELi1024El16rocblas_bfloat16PKffEviiT3_lPKT2_lT1_lS6_lS7_lS3_lPT4_lS7_li
    .private_segment_fixed_size: 0
    .sgpr_count:     54
    .sgpr_spill_count: 0
    .symbol:         _ZL32rocblas_gemvt_warp_reduce_kernelILb1ELi1024El16rocblas_bfloat16PKffEviiT3_lPKT2_lT1_lS6_lS7_lS3_lPT4_lS7_li.kd
    .uniform_work_group_size: 1
    .uses_dynamic_stack: false
    .vgpr_count:     24
    .vgpr_spill_count: 0
    .wavefront_size: 32
  - .args:
      - .offset:         0
        .size:           4
        .value_kind:     by_value
      - .offset:         4
        .size:           4
        .value_kind:     by_value
      - .offset:         8
        .size:           4
        .value_kind:     by_value
      - .offset:         16
        .size:           8
        .value_kind:     by_value
      - .address_space:  global
        .offset:         24
        .size:           8
        .value_kind:     global_buffer
      - .offset:         32
        .size:           8
        .value_kind:     by_value
      - .offset:         40
        .size:           4
        .value_kind:     by_value
      - .offset:         48
        .size:           8
        .value_kind:     by_value
      - .address_space:  global
        .offset:         56
        .size:           8
        .value_kind:     global_buffer
      - .offset:         64
        .size:           8
        .value_kind:     by_value
      - .offset:         72
        .size:           4
        .value_kind:     by_value
      - .offset:         80
        .size:           8
        .value_kind:     by_value
      - .offset:         88
        .size:           4
        .value_kind:     by_value
      - .offset:         96
        .size:           8
        .value_kind:     by_value
      - .address_space:  global
        .offset:         104
        .size:           8
        .value_kind:     global_buffer
      - .offset:         112
        .size:           8
        .value_kind:     by_value
      - .offset:         120
        .size:           4
        .value_kind:     by_value
      - .offset:         128
        .size:           8
        .value_kind:     by_value
      - .offset:         136
        .size:           4
        .value_kind:     by_value
    .group_segment_fixed_size: 128
    .kernarg_segment_align: 8
    .kernarg_segment_size: 140
    .language:       OpenCL C
    .language_version:
      - 2
      - 0
    .max_flat_workgroup_size: 1024
    .name:           _ZL32rocblas_gemvt_warp_reduce_kernelILb1ELi1024Ei16rocblas_bfloat16ffEviiT3_lPKT2_lT1_lS4_lS5_lS1_lPT4_lS5_li
    .private_segment_fixed_size: 0
    .sgpr_count:     42
    .sgpr_spill_count: 0
    .symbol:         _ZL32rocblas_gemvt_warp_reduce_kernelILb1ELi1024Ei16rocblas_bfloat16ffEviiT3_lPKT2_lT1_lS4_lS5_lS1_lPT4_lS5_li.kd
    .uniform_work_group_size: 1
    .uses_dynamic_stack: false
    .vgpr_count:     21
    .vgpr_spill_count: 0
    .wavefront_size: 32
  - .args:
      - .offset:         0
        .size:           4
        .value_kind:     by_value
      - .offset:         4
        .size:           4
        .value_kind:     by_value
      - .offset:         8
        .size:           4
        .value_kind:     by_value
      - .offset:         16
        .size:           8
        .value_kind:     by_value
      - .address_space:  global
        .offset:         24
        .size:           8
        .value_kind:     global_buffer
      - .offset:         32
        .size:           8
        .value_kind:     by_value
      - .offset:         40
        .size:           8
        .value_kind:     by_value
      - .offset:         48
        .size:           8
        .value_kind:     by_value
      - .address_space:  global
        .offset:         56
        .size:           8
        .value_kind:     global_buffer
      - .offset:         64
        .size:           8
        .value_kind:     by_value
      - .offset:         72
        .size:           8
        .value_kind:     by_value
      - .offset:         80
        .size:           8
        .value_kind:     by_value
      - .offset:         88
        .size:           4
        .value_kind:     by_value
      - .offset:         96
        .size:           8
        .value_kind:     by_value
      - .address_space:  global
        .offset:         104
        .size:           8
        .value_kind:     global_buffer
      - .offset:         112
        .size:           8
        .value_kind:     by_value
      - .offset:         120
        .size:           8
        .value_kind:     by_value
      - .offset:         128
        .size:           8
        .value_kind:     by_value
      - .offset:         136
        .size:           4
        .value_kind:     by_value
    .group_segment_fixed_size: 128
    .kernarg_segment_align: 8
    .kernarg_segment_size: 140
    .language:       OpenCL C
    .language_version:
      - 2
      - 0
    .max_flat_workgroup_size: 1024
    .name:           _ZL32rocblas_gemvt_warp_reduce_kernelILb1ELi1024El16rocblas_bfloat16ffEviiT3_lPKT2_lT1_lS4_lS5_lS1_lPT4_lS5_li
    .private_segment_fixed_size: 0
    .sgpr_count:     44
    .sgpr_spill_count: 0
    .symbol:         _ZL32rocblas_gemvt_warp_reduce_kernelILb1ELi1024El16rocblas_bfloat16ffEviiT3_lPKT2_lT1_lS4_lS5_lS1_lPT4_lS5_li.kd
    .uniform_work_group_size: 1
    .uses_dynamic_stack: false
    .vgpr_count:     23
    .vgpr_spill_count: 0
    .wavefront_size: 32
  - .args:
      - .offset:         0
        .size:           4
        .value_kind:     by_value
      - .offset:         4
        .size:           4
        .value_kind:     by_value
      - .address_space:  global
        .offset:         8
        .size:           8
        .value_kind:     global_buffer
      - .offset:         16
        .size:           8
        .value_kind:     by_value
      - .address_space:  global
        .offset:         24
        .size:           8
        .value_kind:     global_buffer
      - .offset:         32
        .size:           8
        .value_kind:     by_value
      - .offset:         40
        .size:           4
        .value_kind:     by_value
      - .offset:         48
        .size:           8
        .value_kind:     by_value
      - .address_space:  global
        .offset:         56
        .size:           8
        .value_kind:     global_buffer
      - .offset:         64
        .size:           8
        .value_kind:     by_value
      - .offset:         72
        .size:           4
        .value_kind:     by_value
      - .offset:         80
        .size:           8
        .value_kind:     by_value
      - .address_space:  global
        .offset:         88
        .size:           8
        .value_kind:     global_buffer
      - .offset:         96
        .size:           8
        .value_kind:     by_value
      - .address_space:  global
        .offset:         104
        .size:           8
        .value_kind:     global_buffer
      - .offset:         112
        .size:           8
        .value_kind:     by_value
      - .offset:         120
        .size:           4
        .value_kind:     by_value
      - .offset:         128
        .size:           8
        .value_kind:     by_value
      - .offset:         136
        .size:           4
        .value_kind:     by_value
    .group_segment_fixed_size: 0
    .kernarg_segment_align: 8
    .kernarg_segment_size: 140
    .language:       OpenCL C
    .language_version:
      - 2
      - 0
    .max_flat_workgroup_size: 768
    .name:           _ZL34rocblas_gemvn_sm_mn_batched_kernelILi32ELi24EPK16rocblas_bfloat16PKfKPfEviiT2_lPKT1_lilSA_lilS7_lPT3_lili
    .private_segment_fixed_size: 0
    .sgpr_count:     0
    .sgpr_spill_count: 0
    .symbol:         _ZL34rocblas_gemvn_sm_mn_batched_kernelILi32ELi24EPK16rocblas_bfloat16PKfKPfEviiT2_lPKT1_lilSA_lilS7_lPT3_lili.kd
    .uniform_work_group_size: 1
    .uses_dynamic_stack: false
    .vgpr_count:     0
    .vgpr_spill_count: 0
    .wavefront_size: 32
  - .args:
      - .offset:         0
        .size:           4
        .value_kind:     by_value
      - .offset:         4
        .size:           4
        .value_kind:     by_value
      - .offset:         8
        .size:           4
        .value_kind:     by_value
      - .offset:         16
        .size:           8
        .value_kind:     by_value
      - .address_space:  global
        .offset:         24
        .size:           8
        .value_kind:     global_buffer
      - .offset:         32
        .size:           8
        .value_kind:     by_value
      - .offset:         40
        .size:           4
        .value_kind:     by_value
      - .offset:         48
        .size:           8
        .value_kind:     by_value
      - .address_space:  global
        .offset:         56
        .size:           8
        .value_kind:     global_buffer
      - .offset:         64
        .size:           8
        .value_kind:     by_value
      - .offset:         72
        .size:           4
        .value_kind:     by_value
      - .offset:         80
        .size:           8
        .value_kind:     by_value
      - .offset:         88
        .size:           4
        .value_kind:     by_value
      - .offset:         96
        .size:           8
        .value_kind:     by_value
      - .address_space:  global
        .offset:         104
        .size:           8
        .value_kind:     global_buffer
      - .offset:         112
        .size:           8
        .value_kind:     by_value
      - .offset:         120
        .size:           4
        .value_kind:     by_value
      - .offset:         128
        .size:           8
        .value_kind:     by_value
      - .offset:         136
        .size:           4
        .value_kind:     by_value
    .group_segment_fixed_size: 0
    .kernarg_segment_align: 8
    .kernarg_segment_size: 140
    .language:       OpenCL C
    .language_version:
      - 2
      - 0
    .max_flat_workgroup_size: 768
    .name:           _ZL34rocblas_gemvn_sm_mn_batched_kernelILi32ELi24EPK16rocblas_bfloat16fKPfEviiT2_lPKT1_lilS8_lilS5_lPT3_lili
    .private_segment_fixed_size: 0
    .sgpr_count:     0
    .sgpr_spill_count: 0
    .symbol:         _ZL34rocblas_gemvn_sm_mn_batched_kernelILi32ELi24EPK16rocblas_bfloat16fKPfEviiT2_lPKT1_lilS8_lilS5_lPT3_lili.kd
    .uniform_work_group_size: 1
    .uses_dynamic_stack: false
    .vgpr_count:     0
    .vgpr_spill_count: 0
    .wavefront_size: 32
  - .args:
      - .offset:         0
        .size:           4
        .value_kind:     by_value
      - .offset:         4
        .size:           4
        .value_kind:     by_value
      - .address_space:  global
        .offset:         8
        .size:           8
        .value_kind:     global_buffer
      - .offset:         16
        .size:           8
        .value_kind:     by_value
      - .address_space:  global
        .offset:         24
        .size:           8
        .value_kind:     global_buffer
      - .offset:         32
        .size:           8
        .value_kind:     by_value
      - .offset:         40
        .size:           4
        .value_kind:     by_value
      - .offset:         48
        .size:           8
        .value_kind:     by_value
      - .address_space:  global
        .offset:         56
        .size:           8
        .value_kind:     global_buffer
      - .offset:         64
        .size:           8
        .value_kind:     by_value
      - .offset:         72
        .size:           4
        .value_kind:     by_value
      - .offset:         80
        .size:           8
        .value_kind:     by_value
      - .address_space:  global
        .offset:         88
        .size:           8
        .value_kind:     global_buffer
      - .offset:         96
        .size:           8
        .value_kind:     by_value
      - .address_space:  global
        .offset:         104
        .size:           8
        .value_kind:     global_buffer
      - .offset:         112
        .size:           8
        .value_kind:     by_value
      - .offset:         120
        .size:           4
        .value_kind:     by_value
      - .offset:         128
        .size:           8
        .value_kind:     by_value
      - .offset:         136
        .size:           4
        .value_kind:     by_value
      - .offset:         144
        .size:           4
        .value_kind:     hidden_block_count_x
      - .offset:         148
        .size:           4
        .value_kind:     hidden_block_count_y
      - .offset:         152
        .size:           4
        .value_kind:     hidden_block_count_z
      - .offset:         156
        .size:           2
        .value_kind:     hidden_group_size_x
      - .offset:         158
        .size:           2
        .value_kind:     hidden_group_size_y
      - .offset:         160
        .size:           2
        .value_kind:     hidden_group_size_z
      - .offset:         162
        .size:           2
        .value_kind:     hidden_remainder_x
      - .offset:         164
        .size:           2
        .value_kind:     hidden_remainder_y
      - .offset:         166
        .size:           2
        .value_kind:     hidden_remainder_z
      - .offset:         184
        .size:           8
        .value_kind:     hidden_global_offset_x
      - .offset:         192
        .size:           8
        .value_kind:     hidden_global_offset_y
      - .offset:         200
        .size:           8
        .value_kind:     hidden_global_offset_z
      - .offset:         208
        .size:           2
        .value_kind:     hidden_grid_dims
    .group_segment_fixed_size: 4096
    .kernarg_segment_align: 8
    .kernarg_segment_size: 400
    .language:       OpenCL C
    .language_version:
      - 2
      - 0
    .max_flat_workgroup_size: 256
    .name:           _ZL20rocblas_gemvn_kernelILi64ELi4EiPK16rocblas_bfloat16PKfKPfEviiT3_lPKT2_lT1_lSA_lSB_lS7_lPT4_lSB_li
    .private_segment_fixed_size: 0
    .sgpr_count:     52
    .sgpr_spill_count: 0
    .symbol:         _ZL20rocblas_gemvn_kernelILi64ELi4EiPK16rocblas_bfloat16PKfKPfEviiT3_lPKT2_lT1_lSA_lSB_lS7_lPT4_lSB_li.kd
    .uniform_work_group_size: 1
    .uses_dynamic_stack: false
    .vgpr_count:     61
    .vgpr_spill_count: 0
    .wavefront_size: 32
  - .args:
      - .offset:         0
        .size:           4
        .value_kind:     by_value
      - .offset:         4
        .size:           4
        .value_kind:     by_value
      - .address_space:  global
        .offset:         8
        .size:           8
        .value_kind:     global_buffer
      - .offset:         16
        .size:           8
        .value_kind:     by_value
      - .address_space:  global
        .offset:         24
        .size:           8
        .value_kind:     global_buffer
      - .offset:         32
        .size:           8
        .value_kind:     by_value
      - .offset:         40
        .size:           8
        .value_kind:     by_value
      - .offset:         48
        .size:           8
        .value_kind:     by_value
      - .address_space:  global
        .offset:         56
        .size:           8
        .value_kind:     global_buffer
      - .offset:         64
        .size:           8
        .value_kind:     by_value
      - .offset:         72
        .size:           8
        .value_kind:     by_value
      - .offset:         80
        .size:           8
        .value_kind:     by_value
      - .address_space:  global
        .offset:         88
        .size:           8
        .value_kind:     global_buffer
      - .offset:         96
        .size:           8
        .value_kind:     by_value
      - .address_space:  global
        .offset:         104
        .size:           8
        .value_kind:     global_buffer
      - .offset:         112
        .size:           8
        .value_kind:     by_value
      - .offset:         120
        .size:           8
        .value_kind:     by_value
      - .offset:         128
        .size:           8
        .value_kind:     by_value
      - .offset:         136
        .size:           4
        .value_kind:     by_value
      - .offset:         144
        .size:           4
        .value_kind:     hidden_block_count_x
      - .offset:         148
        .size:           4
        .value_kind:     hidden_block_count_y
      - .offset:         152
        .size:           4
        .value_kind:     hidden_block_count_z
      - .offset:         156
        .size:           2
        .value_kind:     hidden_group_size_x
      - .offset:         158
        .size:           2
        .value_kind:     hidden_group_size_y
      - .offset:         160
        .size:           2
        .value_kind:     hidden_group_size_z
      - .offset:         162
        .size:           2
        .value_kind:     hidden_remainder_x
      - .offset:         164
        .size:           2
        .value_kind:     hidden_remainder_y
      - .offset:         166
        .size:           2
        .value_kind:     hidden_remainder_z
      - .offset:         184
        .size:           8
        .value_kind:     hidden_global_offset_x
      - .offset:         192
        .size:           8
        .value_kind:     hidden_global_offset_y
      - .offset:         200
        .size:           8
        .value_kind:     hidden_global_offset_z
      - .offset:         208
        .size:           2
        .value_kind:     hidden_grid_dims
    .group_segment_fixed_size: 4096
    .kernarg_segment_align: 8
    .kernarg_segment_size: 400
    .language:       OpenCL C
    .language_version:
      - 2
      - 0
    .max_flat_workgroup_size: 256
    .name:           _ZL20rocblas_gemvn_kernelILi64ELi4ElPK16rocblas_bfloat16PKfKPfEviiT3_lPKT2_lT1_lSA_lSB_lS7_lPT4_lSB_li
    .private_segment_fixed_size: 0
    .sgpr_count:     53
    .sgpr_spill_count: 0
    .symbol:         _ZL20rocblas_gemvn_kernelILi64ELi4ElPK16rocblas_bfloat16PKfKPfEviiT3_lPKT2_lT1_lSA_lSB_lS7_lPT4_lSB_li.kd
    .uniform_work_group_size: 1
    .uses_dynamic_stack: false
    .vgpr_count:     76
    .vgpr_spill_count: 0
    .wavefront_size: 32
  - .args:
      - .offset:         0
        .size:           4
        .value_kind:     by_value
      - .offset:         4
        .size:           4
        .value_kind:     by_value
      - .offset:         8
        .size:           4
        .value_kind:     by_value
      - .offset:         16
        .size:           8
        .value_kind:     by_value
      - .address_space:  global
        .offset:         24
        .size:           8
        .value_kind:     global_buffer
      - .offset:         32
        .size:           8
        .value_kind:     by_value
      - .offset:         40
        .size:           4
        .value_kind:     by_value
      - .offset:         48
        .size:           8
        .value_kind:     by_value
      - .address_space:  global
        .offset:         56
        .size:           8
        .value_kind:     global_buffer
      - .offset:         64
        .size:           8
        .value_kind:     by_value
      - .offset:         72
        .size:           4
        .value_kind:     by_value
      - .offset:         80
        .size:           8
        .value_kind:     by_value
      - .offset:         88
        .size:           4
        .value_kind:     by_value
      - .offset:         96
        .size:           8
        .value_kind:     by_value
      - .address_space:  global
        .offset:         104
        .size:           8
        .value_kind:     global_buffer
      - .offset:         112
        .size:           8
        .value_kind:     by_value
      - .offset:         120
        .size:           4
        .value_kind:     by_value
      - .offset:         128
        .size:           8
        .value_kind:     by_value
      - .offset:         136
        .size:           4
        .value_kind:     by_value
      - .offset:         144
        .size:           4
        .value_kind:     hidden_block_count_x
      - .offset:         148
        .size:           4
        .value_kind:     hidden_block_count_y
      - .offset:         152
        .size:           4
        .value_kind:     hidden_block_count_z
      - .offset:         156
        .size:           2
        .value_kind:     hidden_group_size_x
      - .offset:         158
        .size:           2
        .value_kind:     hidden_group_size_y
      - .offset:         160
        .size:           2
        .value_kind:     hidden_group_size_z
      - .offset:         162
        .size:           2
        .value_kind:     hidden_remainder_x
      - .offset:         164
        .size:           2
        .value_kind:     hidden_remainder_y
      - .offset:         166
        .size:           2
        .value_kind:     hidden_remainder_z
      - .offset:         184
        .size:           8
        .value_kind:     hidden_global_offset_x
      - .offset:         192
        .size:           8
        .value_kind:     hidden_global_offset_y
      - .offset:         200
        .size:           8
        .value_kind:     hidden_global_offset_z
      - .offset:         208
        .size:           2
        .value_kind:     hidden_grid_dims
    .group_segment_fixed_size: 4096
    .kernarg_segment_align: 8
    .kernarg_segment_size: 400
    .language:       OpenCL C
    .language_version:
      - 2
      - 0
    .max_flat_workgroup_size: 256
    .name:           _ZL20rocblas_gemvn_kernelILi64ELi4EiPK16rocblas_bfloat16fKPfEviiT3_lPKT2_lT1_lS8_lS9_lS5_lPT4_lS9_li
    .private_segment_fixed_size: 0
    .sgpr_count:     48
    .sgpr_spill_count: 0
    .symbol:         _ZL20rocblas_gemvn_kernelILi64ELi4EiPK16rocblas_bfloat16fKPfEviiT3_lPKT2_lT1_lS8_lS9_lS5_lPT4_lS9_li.kd
    .uniform_work_group_size: 1
    .uses_dynamic_stack: false
    .vgpr_count:     61
    .vgpr_spill_count: 0
    .wavefront_size: 32
  - .args:
      - .offset:         0
        .size:           4
        .value_kind:     by_value
      - .offset:         4
        .size:           4
        .value_kind:     by_value
      - .offset:         8
        .size:           4
        .value_kind:     by_value
      - .offset:         16
        .size:           8
        .value_kind:     by_value
      - .address_space:  global
        .offset:         24
        .size:           8
        .value_kind:     global_buffer
      - .offset:         32
        .size:           8
        .value_kind:     by_value
      - .offset:         40
        .size:           8
        .value_kind:     by_value
      - .offset:         48
        .size:           8
        .value_kind:     by_value
      - .address_space:  global
        .offset:         56
        .size:           8
        .value_kind:     global_buffer
      - .offset:         64
        .size:           8
        .value_kind:     by_value
      - .offset:         72
        .size:           8
        .value_kind:     by_value
      - .offset:         80
        .size:           8
        .value_kind:     by_value
      - .offset:         88
        .size:           4
        .value_kind:     by_value
      - .offset:         96
        .size:           8
        .value_kind:     by_value
      - .address_space:  global
        .offset:         104
        .size:           8
        .value_kind:     global_buffer
      - .offset:         112
        .size:           8
        .value_kind:     by_value
      - .offset:         120
        .size:           8
        .value_kind:     by_value
      - .offset:         128
        .size:           8
        .value_kind:     by_value
      - .offset:         136
        .size:           4
        .value_kind:     by_value
      - .offset:         144
        .size:           4
        .value_kind:     hidden_block_count_x
      - .offset:         148
        .size:           4
        .value_kind:     hidden_block_count_y
      - .offset:         152
        .size:           4
        .value_kind:     hidden_block_count_z
      - .offset:         156
        .size:           2
        .value_kind:     hidden_group_size_x
      - .offset:         158
        .size:           2
        .value_kind:     hidden_group_size_y
      - .offset:         160
        .size:           2
        .value_kind:     hidden_group_size_z
      - .offset:         162
        .size:           2
        .value_kind:     hidden_remainder_x
      - .offset:         164
        .size:           2
        .value_kind:     hidden_remainder_y
      - .offset:         166
        .size:           2
        .value_kind:     hidden_remainder_z
      - .offset:         184
        .size:           8
        .value_kind:     hidden_global_offset_x
      - .offset:         192
        .size:           8
        .value_kind:     hidden_global_offset_y
      - .offset:         200
        .size:           8
        .value_kind:     hidden_global_offset_z
      - .offset:         208
        .size:           2
        .value_kind:     hidden_grid_dims
    .group_segment_fixed_size: 4096
    .kernarg_segment_align: 8
    .kernarg_segment_size: 400
    .language:       OpenCL C
    .language_version:
      - 2
      - 0
    .max_flat_workgroup_size: 256
    .name:           _ZL20rocblas_gemvn_kernelILi64ELi4ElPK16rocblas_bfloat16fKPfEviiT3_lPKT2_lT1_lS8_lS9_lS5_lPT4_lS9_li
    .private_segment_fixed_size: 0
    .sgpr_count:     49
    .sgpr_spill_count: 0
    .symbol:         _ZL20rocblas_gemvn_kernelILi64ELi4ElPK16rocblas_bfloat16fKPfEviiT3_lPKT2_lT1_lS8_lS9_lS5_lPT4_lS9_li.kd
    .uniform_work_group_size: 1
    .uses_dynamic_stack: false
    .vgpr_count:     76
    .vgpr_spill_count: 0
    .wavefront_size: 32
  - .args:
      - .offset:         0
        .size:           4
        .value_kind:     by_value
      - .offset:         4
        .size:           4
        .value_kind:     by_value
      - .address_space:  global
        .offset:         8
        .size:           8
        .value_kind:     global_buffer
      - .offset:         16
        .size:           8
        .value_kind:     by_value
      - .address_space:  global
        .offset:         24
        .size:           8
        .value_kind:     global_buffer
      - .offset:         32
        .size:           8
        .value_kind:     by_value
      - .offset:         40
        .size:           4
        .value_kind:     by_value
      - .offset:         48
        .size:           8
        .value_kind:     by_value
      - .address_space:  global
        .offset:         56
        .size:           8
        .value_kind:     global_buffer
      - .offset:         64
        .size:           8
        .value_kind:     by_value
      - .offset:         72
        .size:           4
        .value_kind:     by_value
      - .offset:         80
        .size:           8
        .value_kind:     by_value
      - .address_space:  global
        .offset:         88
        .size:           8
        .value_kind:     global_buffer
      - .offset:         96
        .size:           8
        .value_kind:     by_value
      - .address_space:  global
        .offset:         104
        .size:           8
        .value_kind:     global_buffer
      - .offset:         112
        .size:           8
        .value_kind:     by_value
      - .offset:         120
        .size:           4
        .value_kind:     by_value
      - .offset:         128
        .size:           8
        .value_kind:     by_value
      - .offset:         136
        .size:           4
        .value_kind:     by_value
      - .offset:         144
        .size:           4
        .value_kind:     hidden_block_count_x
      - .offset:         148
        .size:           4
        .value_kind:     hidden_block_count_y
      - .offset:         152
        .size:           4
        .value_kind:     hidden_block_count_z
      - .offset:         156
        .size:           2
        .value_kind:     hidden_group_size_x
      - .offset:         158
        .size:           2
        .value_kind:     hidden_group_size_y
      - .offset:         160
        .size:           2
        .value_kind:     hidden_group_size_z
      - .offset:         162
        .size:           2
        .value_kind:     hidden_remainder_x
      - .offset:         164
        .size:           2
        .value_kind:     hidden_remainder_y
      - .offset:         166
        .size:           2
        .value_kind:     hidden_remainder_z
      - .offset:         184
        .size:           8
        .value_kind:     hidden_global_offset_x
      - .offset:         192
        .size:           8
        .value_kind:     hidden_global_offset_y
      - .offset:         200
        .size:           8
        .value_kind:     hidden_global_offset_z
      - .offset:         208
        .size:           2
        .value_kind:     hidden_grid_dims
    .group_segment_fixed_size: 8192
    .kernarg_segment_align: 8
    .kernarg_segment_size: 400
    .language:       OpenCL C
    .language_version:
      - 2
      - 0
    .max_flat_workgroup_size: 512
    .name:           _ZL20rocblas_gemvn_kernelILi32ELi16EiPK16rocblas_bfloat16PKfKPfEviiT3_lPKT2_lT1_lSA_lSB_lS7_lPT4_lSB_li
    .private_segment_fixed_size: 0
    .sgpr_count:     52
    .sgpr_spill_count: 0
    .symbol:         _ZL20rocblas_gemvn_kernelILi32ELi16EiPK16rocblas_bfloat16PKfKPfEviiT3_lPKT2_lT1_lSA_lSB_lS7_lPT4_lSB_li.kd
    .uniform_work_group_size: 1
    .uses_dynamic_stack: false
    .vgpr_count:     61
    .vgpr_spill_count: 0
    .wavefront_size: 32
  - .args:
      - .offset:         0
        .size:           4
        .value_kind:     by_value
      - .offset:         4
        .size:           4
        .value_kind:     by_value
      - .address_space:  global
        .offset:         8
        .size:           8
        .value_kind:     global_buffer
      - .offset:         16
        .size:           8
        .value_kind:     by_value
      - .address_space:  global
        .offset:         24
        .size:           8
        .value_kind:     global_buffer
      - .offset:         32
        .size:           8
        .value_kind:     by_value
      - .offset:         40
        .size:           8
        .value_kind:     by_value
      - .offset:         48
        .size:           8
        .value_kind:     by_value
      - .address_space:  global
        .offset:         56
        .size:           8
        .value_kind:     global_buffer
      - .offset:         64
        .size:           8
        .value_kind:     by_value
      - .offset:         72
        .size:           8
        .value_kind:     by_value
      - .offset:         80
        .size:           8
        .value_kind:     by_value
      - .address_space:  global
        .offset:         88
        .size:           8
        .value_kind:     global_buffer
      - .offset:         96
        .size:           8
        .value_kind:     by_value
      - .address_space:  global
        .offset:         104
        .size:           8
        .value_kind:     global_buffer
      - .offset:         112
        .size:           8
        .value_kind:     by_value
      - .offset:         120
        .size:           8
        .value_kind:     by_value
      - .offset:         128
        .size:           8
        .value_kind:     by_value
      - .offset:         136
        .size:           4
        .value_kind:     by_value
      - .offset:         144
        .size:           4
        .value_kind:     hidden_block_count_x
      - .offset:         148
        .size:           4
        .value_kind:     hidden_block_count_y
      - .offset:         152
        .size:           4
        .value_kind:     hidden_block_count_z
      - .offset:         156
        .size:           2
        .value_kind:     hidden_group_size_x
      - .offset:         158
        .size:           2
        .value_kind:     hidden_group_size_y
      - .offset:         160
        .size:           2
        .value_kind:     hidden_group_size_z
      - .offset:         162
        .size:           2
        .value_kind:     hidden_remainder_x
      - .offset:         164
        .size:           2
        .value_kind:     hidden_remainder_y
      - .offset:         166
        .size:           2
        .value_kind:     hidden_remainder_z
      - .offset:         184
        .size:           8
        .value_kind:     hidden_global_offset_x
      - .offset:         192
        .size:           8
        .value_kind:     hidden_global_offset_y
      - .offset:         200
        .size:           8
        .value_kind:     hidden_global_offset_z
      - .offset:         208
        .size:           2
        .value_kind:     hidden_grid_dims
    .group_segment_fixed_size: 8192
    .kernarg_segment_align: 8
    .kernarg_segment_size: 400
    .language:       OpenCL C
    .language_version:
      - 2
      - 0
    .max_flat_workgroup_size: 512
    .name:           _ZL20rocblas_gemvn_kernelILi32ELi16ElPK16rocblas_bfloat16PKfKPfEviiT3_lPKT2_lT1_lSA_lSB_lS7_lPT4_lSB_li
    .private_segment_fixed_size: 0
    .sgpr_count:     53
    .sgpr_spill_count: 0
    .symbol:         _ZL20rocblas_gemvn_kernelILi32ELi16ElPK16rocblas_bfloat16PKfKPfEviiT3_lPKT2_lT1_lSA_lSB_lS7_lPT4_lSB_li.kd
    .uniform_work_group_size: 1
    .uses_dynamic_stack: false
    .vgpr_count:     76
    .vgpr_spill_count: 0
    .wavefront_size: 32
  - .args:
      - .offset:         0
        .size:           4
        .value_kind:     by_value
      - .offset:         4
        .size:           4
        .value_kind:     by_value
      - .offset:         8
        .size:           4
        .value_kind:     by_value
      - .offset:         16
        .size:           8
        .value_kind:     by_value
      - .address_space:  global
        .offset:         24
        .size:           8
        .value_kind:     global_buffer
      - .offset:         32
        .size:           8
        .value_kind:     by_value
      - .offset:         40
        .size:           4
        .value_kind:     by_value
      - .offset:         48
        .size:           8
        .value_kind:     by_value
      - .address_space:  global
        .offset:         56
        .size:           8
        .value_kind:     global_buffer
      - .offset:         64
        .size:           8
        .value_kind:     by_value
      - .offset:         72
        .size:           4
        .value_kind:     by_value
      - .offset:         80
        .size:           8
        .value_kind:     by_value
      - .offset:         88
        .size:           4
        .value_kind:     by_value
      - .offset:         96
        .size:           8
        .value_kind:     by_value
      - .address_space:  global
        .offset:         104
        .size:           8
        .value_kind:     global_buffer
      - .offset:         112
        .size:           8
        .value_kind:     by_value
      - .offset:         120
        .size:           4
        .value_kind:     by_value
      - .offset:         128
        .size:           8
        .value_kind:     by_value
      - .offset:         136
        .size:           4
        .value_kind:     by_value
      - .offset:         144
        .size:           4
        .value_kind:     hidden_block_count_x
      - .offset:         148
        .size:           4
        .value_kind:     hidden_block_count_y
      - .offset:         152
        .size:           4
        .value_kind:     hidden_block_count_z
      - .offset:         156
        .size:           2
        .value_kind:     hidden_group_size_x
      - .offset:         158
        .size:           2
        .value_kind:     hidden_group_size_y
      - .offset:         160
        .size:           2
        .value_kind:     hidden_group_size_z
      - .offset:         162
        .size:           2
        .value_kind:     hidden_remainder_x
      - .offset:         164
        .size:           2
        .value_kind:     hidden_remainder_y
      - .offset:         166
        .size:           2
        .value_kind:     hidden_remainder_z
      - .offset:         184
        .size:           8
        .value_kind:     hidden_global_offset_x
      - .offset:         192
        .size:           8
        .value_kind:     hidden_global_offset_y
      - .offset:         200
        .size:           8
        .value_kind:     hidden_global_offset_z
      - .offset:         208
        .size:           2
        .value_kind:     hidden_grid_dims
    .group_segment_fixed_size: 8192
    .kernarg_segment_align: 8
    .kernarg_segment_size: 400
    .language:       OpenCL C
    .language_version:
      - 2
      - 0
    .max_flat_workgroup_size: 512
    .name:           _ZL20rocblas_gemvn_kernelILi32ELi16EiPK16rocblas_bfloat16fKPfEviiT3_lPKT2_lT1_lS8_lS9_lS5_lPT4_lS9_li
    .private_segment_fixed_size: 0
    .sgpr_count:     48
    .sgpr_spill_count: 0
    .symbol:         _ZL20rocblas_gemvn_kernelILi32ELi16EiPK16rocblas_bfloat16fKPfEviiT3_lPKT2_lT1_lS8_lS9_lS5_lPT4_lS9_li.kd
    .uniform_work_group_size: 1
    .uses_dynamic_stack: false
    .vgpr_count:     61
    .vgpr_spill_count: 0
    .wavefront_size: 32
  - .args:
      - .offset:         0
        .size:           4
        .value_kind:     by_value
      - .offset:         4
        .size:           4
        .value_kind:     by_value
      - .offset:         8
        .size:           4
        .value_kind:     by_value
      - .offset:         16
        .size:           8
        .value_kind:     by_value
      - .address_space:  global
        .offset:         24
        .size:           8
        .value_kind:     global_buffer
      - .offset:         32
        .size:           8
        .value_kind:     by_value
      - .offset:         40
        .size:           8
        .value_kind:     by_value
      - .offset:         48
        .size:           8
        .value_kind:     by_value
      - .address_space:  global
        .offset:         56
        .size:           8
        .value_kind:     global_buffer
      - .offset:         64
        .size:           8
        .value_kind:     by_value
      - .offset:         72
        .size:           8
        .value_kind:     by_value
      - .offset:         80
        .size:           8
        .value_kind:     by_value
      - .offset:         88
        .size:           4
        .value_kind:     by_value
      - .offset:         96
        .size:           8
        .value_kind:     by_value
      - .address_space:  global
        .offset:         104
        .size:           8
        .value_kind:     global_buffer
      - .offset:         112
        .size:           8
        .value_kind:     by_value
      - .offset:         120
        .size:           8
        .value_kind:     by_value
      - .offset:         128
        .size:           8
        .value_kind:     by_value
      - .offset:         136
        .size:           4
        .value_kind:     by_value
      - .offset:         144
        .size:           4
        .value_kind:     hidden_block_count_x
      - .offset:         148
        .size:           4
        .value_kind:     hidden_block_count_y
      - .offset:         152
        .size:           4
        .value_kind:     hidden_block_count_z
      - .offset:         156
        .size:           2
        .value_kind:     hidden_group_size_x
      - .offset:         158
        .size:           2
        .value_kind:     hidden_group_size_y
      - .offset:         160
        .size:           2
        .value_kind:     hidden_group_size_z
      - .offset:         162
        .size:           2
        .value_kind:     hidden_remainder_x
      - .offset:         164
        .size:           2
        .value_kind:     hidden_remainder_y
      - .offset:         166
        .size:           2
        .value_kind:     hidden_remainder_z
      - .offset:         184
        .size:           8
        .value_kind:     hidden_global_offset_x
      - .offset:         192
        .size:           8
        .value_kind:     hidden_global_offset_y
      - .offset:         200
        .size:           8
        .value_kind:     hidden_global_offset_z
      - .offset:         208
        .size:           2
        .value_kind:     hidden_grid_dims
    .group_segment_fixed_size: 8192
    .kernarg_segment_align: 8
    .kernarg_segment_size: 400
    .language:       OpenCL C
    .language_version:
      - 2
      - 0
    .max_flat_workgroup_size: 512
    .name:           _ZL20rocblas_gemvn_kernelILi32ELi16ElPK16rocblas_bfloat16fKPfEviiT3_lPKT2_lT1_lS8_lS9_lS5_lPT4_lS9_li
    .private_segment_fixed_size: 0
    .sgpr_count:     49
    .sgpr_spill_count: 0
    .symbol:         _ZL20rocblas_gemvn_kernelILi32ELi16ElPK16rocblas_bfloat16fKPfEviiT3_lPKT2_lT1_lS8_lS9_lS5_lPT4_lS9_li.kd
    .uniform_work_group_size: 1
    .uses_dynamic_stack: false
    .vgpr_count:     76
    .vgpr_spill_count: 0
    .wavefront_size: 32
  - .args:
      - .offset:         0
        .size:           4
        .value_kind:     by_value
      - .offset:         4
        .size:           4
        .value_kind:     by_value
      - .address_space:  global
        .offset:         8
        .size:           8
        .value_kind:     global_buffer
      - .offset:         16
        .size:           8
        .value_kind:     by_value
      - .address_space:  global
        .offset:         24
        .size:           8
        .value_kind:     global_buffer
      - .offset:         32
        .size:           8
        .value_kind:     by_value
      - .offset:         40
        .size:           4
        .value_kind:     by_value
      - .offset:         48
        .size:           8
        .value_kind:     by_value
      - .address_space:  global
        .offset:         56
        .size:           8
        .value_kind:     global_buffer
      - .offset:         64
        .size:           8
        .value_kind:     by_value
      - .offset:         72
        .size:           4
        .value_kind:     by_value
      - .offset:         80
        .size:           8
        .value_kind:     by_value
      - .address_space:  global
        .offset:         88
        .size:           8
        .value_kind:     global_buffer
      - .offset:         96
        .size:           8
        .value_kind:     by_value
      - .address_space:  global
        .offset:         104
        .size:           8
        .value_kind:     global_buffer
      - .offset:         112
        .size:           8
        .value_kind:     by_value
      - .offset:         120
        .size:           4
        .value_kind:     by_value
      - .offset:         128
        .size:           8
        .value_kind:     by_value
      - .offset:         136
        .size:           4
        .value_kind:     by_value
      - .offset:         144
        .size:           4
        .value_kind:     hidden_block_count_x
      - .offset:         148
        .size:           4
        .value_kind:     hidden_block_count_y
      - .offset:         152
        .size:           4
        .value_kind:     hidden_block_count_z
      - .offset:         156
        .size:           2
        .value_kind:     hidden_group_size_x
      - .offset:         158
        .size:           2
        .value_kind:     hidden_group_size_y
      - .offset:         160
        .size:           2
        .value_kind:     hidden_group_size_z
      - .offset:         162
        .size:           2
        .value_kind:     hidden_remainder_x
      - .offset:         164
        .size:           2
        .value_kind:     hidden_remainder_y
      - .offset:         166
        .size:           2
        .value_kind:     hidden_remainder_z
      - .offset:         184
        .size:           8
        .value_kind:     hidden_global_offset_x
      - .offset:         192
        .size:           8
        .value_kind:     hidden_global_offset_y
      - .offset:         200
        .size:           8
        .value_kind:     hidden_global_offset_z
      - .offset:         208
        .size:           2
        .value_kind:     hidden_grid_dims
    .group_segment_fixed_size: 16384
    .kernarg_segment_align: 8
    .kernarg_segment_size: 400
    .language:       OpenCL C
    .language_version:
      - 2
      - 0
    .max_flat_workgroup_size: 1024
    .name:           _ZL20rocblas_gemvn_kernelILi64ELi16EiPK16rocblas_bfloat16PKfKPfEviiT3_lPKT2_lT1_lSA_lSB_lS7_lPT4_lSB_li
    .private_segment_fixed_size: 0
    .sgpr_count:     52
    .sgpr_spill_count: 0
    .symbol:         _ZL20rocblas_gemvn_kernelILi64ELi16EiPK16rocblas_bfloat16PKfKPfEviiT3_lPKT2_lT1_lSA_lSB_lS7_lPT4_lSB_li.kd
    .uniform_work_group_size: 1
    .uses_dynamic_stack: false
    .vgpr_count:     61
    .vgpr_spill_count: 0
    .wavefront_size: 32
  - .args:
      - .offset:         0
        .size:           4
        .value_kind:     by_value
      - .offset:         4
        .size:           4
        .value_kind:     by_value
      - .address_space:  global
        .offset:         8
        .size:           8
        .value_kind:     global_buffer
      - .offset:         16
        .size:           8
        .value_kind:     by_value
      - .address_space:  global
        .offset:         24
        .size:           8
        .value_kind:     global_buffer
      - .offset:         32
        .size:           8
        .value_kind:     by_value
      - .offset:         40
        .size:           8
        .value_kind:     by_value
      - .offset:         48
        .size:           8
        .value_kind:     by_value
      - .address_space:  global
        .offset:         56
        .size:           8
        .value_kind:     global_buffer
      - .offset:         64
        .size:           8
        .value_kind:     by_value
      - .offset:         72
        .size:           8
        .value_kind:     by_value
      - .offset:         80
        .size:           8
        .value_kind:     by_value
      - .address_space:  global
        .offset:         88
        .size:           8
        .value_kind:     global_buffer
      - .offset:         96
        .size:           8
        .value_kind:     by_value
      - .address_space:  global
        .offset:         104
        .size:           8
        .value_kind:     global_buffer
      - .offset:         112
        .size:           8
        .value_kind:     by_value
      - .offset:         120
        .size:           8
        .value_kind:     by_value
      - .offset:         128
        .size:           8
        .value_kind:     by_value
      - .offset:         136
        .size:           4
        .value_kind:     by_value
      - .offset:         144
        .size:           4
        .value_kind:     hidden_block_count_x
      - .offset:         148
        .size:           4
        .value_kind:     hidden_block_count_y
      - .offset:         152
        .size:           4
        .value_kind:     hidden_block_count_z
      - .offset:         156
        .size:           2
        .value_kind:     hidden_group_size_x
      - .offset:         158
        .size:           2
        .value_kind:     hidden_group_size_y
      - .offset:         160
        .size:           2
        .value_kind:     hidden_group_size_z
      - .offset:         162
        .size:           2
        .value_kind:     hidden_remainder_x
      - .offset:         164
        .size:           2
        .value_kind:     hidden_remainder_y
      - .offset:         166
        .size:           2
        .value_kind:     hidden_remainder_z
      - .offset:         184
        .size:           8
        .value_kind:     hidden_global_offset_x
      - .offset:         192
        .size:           8
        .value_kind:     hidden_global_offset_y
      - .offset:         200
        .size:           8
        .value_kind:     hidden_global_offset_z
      - .offset:         208
        .size:           2
        .value_kind:     hidden_grid_dims
    .group_segment_fixed_size: 16384
    .kernarg_segment_align: 8
    .kernarg_segment_size: 400
    .language:       OpenCL C
    .language_version:
      - 2
      - 0
    .max_flat_workgroup_size: 1024
    .name:           _ZL20rocblas_gemvn_kernelILi64ELi16ElPK16rocblas_bfloat16PKfKPfEviiT3_lPKT2_lT1_lSA_lSB_lS7_lPT4_lSB_li
    .private_segment_fixed_size: 0
    .sgpr_count:     53
    .sgpr_spill_count: 0
    .symbol:         _ZL20rocblas_gemvn_kernelILi64ELi16ElPK16rocblas_bfloat16PKfKPfEviiT3_lPKT2_lT1_lSA_lSB_lS7_lPT4_lSB_li.kd
    .uniform_work_group_size: 1
    .uses_dynamic_stack: false
    .vgpr_count:     72
    .vgpr_spill_count: 0
    .wavefront_size: 32
  - .args:
      - .offset:         0
        .size:           4
        .value_kind:     by_value
      - .offset:         4
        .size:           4
        .value_kind:     by_value
      - .offset:         8
        .size:           4
        .value_kind:     by_value
      - .offset:         16
        .size:           8
        .value_kind:     by_value
      - .address_space:  global
        .offset:         24
        .size:           8
        .value_kind:     global_buffer
      - .offset:         32
        .size:           8
        .value_kind:     by_value
      - .offset:         40
        .size:           4
        .value_kind:     by_value
      - .offset:         48
        .size:           8
        .value_kind:     by_value
      - .address_space:  global
        .offset:         56
        .size:           8
        .value_kind:     global_buffer
      - .offset:         64
        .size:           8
        .value_kind:     by_value
      - .offset:         72
        .size:           4
        .value_kind:     by_value
      - .offset:         80
        .size:           8
        .value_kind:     by_value
      - .offset:         88
        .size:           4
        .value_kind:     by_value
      - .offset:         96
        .size:           8
        .value_kind:     by_value
      - .address_space:  global
        .offset:         104
        .size:           8
        .value_kind:     global_buffer
      - .offset:         112
        .size:           8
        .value_kind:     by_value
      - .offset:         120
        .size:           4
        .value_kind:     by_value
      - .offset:         128
        .size:           8
        .value_kind:     by_value
      - .offset:         136
        .size:           4
        .value_kind:     by_value
      - .offset:         144
        .size:           4
        .value_kind:     hidden_block_count_x
      - .offset:         148
        .size:           4
        .value_kind:     hidden_block_count_y
      - .offset:         152
        .size:           4
        .value_kind:     hidden_block_count_z
      - .offset:         156
        .size:           2
        .value_kind:     hidden_group_size_x
      - .offset:         158
        .size:           2
        .value_kind:     hidden_group_size_y
      - .offset:         160
        .size:           2
        .value_kind:     hidden_group_size_z
      - .offset:         162
        .size:           2
        .value_kind:     hidden_remainder_x
      - .offset:         164
        .size:           2
        .value_kind:     hidden_remainder_y
      - .offset:         166
        .size:           2
        .value_kind:     hidden_remainder_z
      - .offset:         184
        .size:           8
        .value_kind:     hidden_global_offset_x
      - .offset:         192
        .size:           8
        .value_kind:     hidden_global_offset_y
      - .offset:         200
        .size:           8
        .value_kind:     hidden_global_offset_z
      - .offset:         208
        .size:           2
        .value_kind:     hidden_grid_dims
    .group_segment_fixed_size: 16384
    .kernarg_segment_align: 8
    .kernarg_segment_size: 400
    .language:       OpenCL C
    .language_version:
      - 2
      - 0
    .max_flat_workgroup_size: 1024
    .name:           _ZL20rocblas_gemvn_kernelILi64ELi16EiPK16rocblas_bfloat16fKPfEviiT3_lPKT2_lT1_lS8_lS9_lS5_lPT4_lS9_li
    .private_segment_fixed_size: 0
    .sgpr_count:     48
    .sgpr_spill_count: 0
    .symbol:         _ZL20rocblas_gemvn_kernelILi64ELi16EiPK16rocblas_bfloat16fKPfEviiT3_lPKT2_lT1_lS8_lS9_lS5_lPT4_lS9_li.kd
    .uniform_work_group_size: 1
    .uses_dynamic_stack: false
    .vgpr_count:     61
    .vgpr_spill_count: 0
    .wavefront_size: 32
  - .args:
      - .offset:         0
        .size:           4
        .value_kind:     by_value
      - .offset:         4
        .size:           4
        .value_kind:     by_value
      - .offset:         8
        .size:           4
        .value_kind:     by_value
      - .offset:         16
        .size:           8
        .value_kind:     by_value
      - .address_space:  global
        .offset:         24
        .size:           8
        .value_kind:     global_buffer
      - .offset:         32
        .size:           8
        .value_kind:     by_value
      - .offset:         40
        .size:           8
        .value_kind:     by_value
      - .offset:         48
        .size:           8
        .value_kind:     by_value
      - .address_space:  global
        .offset:         56
        .size:           8
        .value_kind:     global_buffer
      - .offset:         64
        .size:           8
        .value_kind:     by_value
      - .offset:         72
        .size:           8
        .value_kind:     by_value
      - .offset:         80
        .size:           8
        .value_kind:     by_value
      - .offset:         88
        .size:           4
        .value_kind:     by_value
      - .offset:         96
        .size:           8
        .value_kind:     by_value
      - .address_space:  global
        .offset:         104
        .size:           8
        .value_kind:     global_buffer
      - .offset:         112
        .size:           8
        .value_kind:     by_value
      - .offset:         120
        .size:           8
        .value_kind:     by_value
      - .offset:         128
        .size:           8
        .value_kind:     by_value
      - .offset:         136
        .size:           4
        .value_kind:     by_value
      - .offset:         144
        .size:           4
        .value_kind:     hidden_block_count_x
      - .offset:         148
        .size:           4
        .value_kind:     hidden_block_count_y
      - .offset:         152
        .size:           4
        .value_kind:     hidden_block_count_z
      - .offset:         156
        .size:           2
        .value_kind:     hidden_group_size_x
      - .offset:         158
        .size:           2
        .value_kind:     hidden_group_size_y
      - .offset:         160
        .size:           2
        .value_kind:     hidden_group_size_z
      - .offset:         162
        .size:           2
        .value_kind:     hidden_remainder_x
      - .offset:         164
        .size:           2
        .value_kind:     hidden_remainder_y
      - .offset:         166
        .size:           2
        .value_kind:     hidden_remainder_z
      - .offset:         184
        .size:           8
        .value_kind:     hidden_global_offset_x
      - .offset:         192
        .size:           8
        .value_kind:     hidden_global_offset_y
      - .offset:         200
        .size:           8
        .value_kind:     hidden_global_offset_z
      - .offset:         208
        .size:           2
        .value_kind:     hidden_grid_dims
    .group_segment_fixed_size: 16384
    .kernarg_segment_align: 8
    .kernarg_segment_size: 400
    .language:       OpenCL C
    .language_version:
      - 2
      - 0
    .max_flat_workgroup_size: 1024
    .name:           _ZL20rocblas_gemvn_kernelILi64ELi16ElPK16rocblas_bfloat16fKPfEviiT3_lPKT2_lT1_lS8_lS9_lS5_lPT4_lS9_li
    .private_segment_fixed_size: 0
    .sgpr_count:     49
    .sgpr_spill_count: 0
    .symbol:         _ZL20rocblas_gemvn_kernelILi64ELi16ElPK16rocblas_bfloat16fKPfEviiT3_lPKT2_lT1_lS8_lS9_lS5_lPT4_lS9_li.kd
    .uniform_work_group_size: 1
    .uses_dynamic_stack: false
    .vgpr_count:     72
    .vgpr_spill_count: 0
    .wavefront_size: 32
  - .args:
      - .offset:         0
        .size:           4
        .value_kind:     by_value
      - .offset:         4
        .size:           4
        .value_kind:     by_value
      - .address_space:  global
        .offset:         8
        .size:           8
        .value_kind:     global_buffer
      - .offset:         16
        .size:           8
        .value_kind:     by_value
      - .address_space:  global
        .offset:         24
        .size:           8
        .value_kind:     global_buffer
      - .offset:         32
        .size:           8
        .value_kind:     by_value
      - .offset:         40
        .size:           4
        .value_kind:     by_value
      - .offset:         48
        .size:           8
        .value_kind:     by_value
      - .address_space:  global
        .offset:         56
        .size:           8
        .value_kind:     global_buffer
      - .offset:         64
        .size:           8
        .value_kind:     by_value
      - .offset:         72
        .size:           4
        .value_kind:     by_value
      - .offset:         80
        .size:           8
        .value_kind:     by_value
      - .address_space:  global
        .offset:         88
        .size:           8
        .value_kind:     global_buffer
      - .offset:         96
        .size:           8
        .value_kind:     by_value
      - .address_space:  global
        .offset:         104
        .size:           8
        .value_kind:     global_buffer
      - .offset:         112
        .size:           8
        .value_kind:     by_value
      - .offset:         120
        .size:           4
        .value_kind:     by_value
      - .offset:         128
        .size:           8
        .value_kind:     by_value
    .group_segment_fixed_size: 256
    .kernarg_segment_align: 8
    .kernarg_segment_size: 136
    .language:       OpenCL C
    .language_version:
      - 2
      - 0
    .max_flat_workgroup_size: 256
    .name:           _ZL22rocblas_gemvtsm_kernelILb0ELi256EPK16rocblas_bfloat16PKfKPfEviiT2_lPKT1_lilSA_lilS7_lPT3_lil
    .private_segment_fixed_size: 0
    .sgpr_count:     24
    .sgpr_spill_count: 0
    .symbol:         _ZL22rocblas_gemvtsm_kernelILb0ELi256EPK16rocblas_bfloat16PKfKPfEviiT2_lPKT1_lilSA_lilS7_lPT3_lil.kd
    .uniform_work_group_size: 1
    .uses_dynamic_stack: false
    .vgpr_count:     17
    .vgpr_spill_count: 0
    .wavefront_size: 32
  - .args:
      - .offset:         0
        .size:           4
        .value_kind:     by_value
      - .offset:         4
        .size:           4
        .value_kind:     by_value
      - .offset:         8
        .size:           4
        .value_kind:     by_value
      - .offset:         16
        .size:           8
        .value_kind:     by_value
      - .address_space:  global
        .offset:         24
        .size:           8
        .value_kind:     global_buffer
      - .offset:         32
        .size:           8
        .value_kind:     by_value
      - .offset:         40
        .size:           4
        .value_kind:     by_value
      - .offset:         48
        .size:           8
        .value_kind:     by_value
      - .address_space:  global
        .offset:         56
        .size:           8
        .value_kind:     global_buffer
      - .offset:         64
        .size:           8
        .value_kind:     by_value
      - .offset:         72
        .size:           4
        .value_kind:     by_value
      - .offset:         80
        .size:           8
        .value_kind:     by_value
      - .offset:         88
        .size:           4
        .value_kind:     by_value
      - .offset:         96
        .size:           8
        .value_kind:     by_value
      - .address_space:  global
        .offset:         104
        .size:           8
        .value_kind:     global_buffer
      - .offset:         112
        .size:           8
        .value_kind:     by_value
      - .offset:         120
        .size:           4
        .value_kind:     by_value
      - .offset:         128
        .size:           8
        .value_kind:     by_value
    .group_segment_fixed_size: 256
    .kernarg_segment_align: 8
    .kernarg_segment_size: 136
    .language:       OpenCL C
    .language_version:
      - 2
      - 0
    .max_flat_workgroup_size: 256
    .name:           _ZL22rocblas_gemvtsm_kernelILb0ELi256EPK16rocblas_bfloat16fKPfEviiT2_lPKT1_lilS8_lilS5_lPT3_lil
    .private_segment_fixed_size: 0
    .sgpr_count:     26
    .sgpr_spill_count: 0
    .symbol:         _ZL22rocblas_gemvtsm_kernelILb0ELi256EPK16rocblas_bfloat16fKPfEviiT2_lPKT1_lilS8_lilS5_lPT3_lil.kd
    .uniform_work_group_size: 1
    .uses_dynamic_stack: false
    .vgpr_count:     17
    .vgpr_spill_count: 0
    .wavefront_size: 32
  - .args:
      - .offset:         0
        .size:           4
        .value_kind:     by_value
      - .offset:         4
        .size:           4
        .value_kind:     by_value
      - .address_space:  global
        .offset:         8
        .size:           8
        .value_kind:     global_buffer
      - .offset:         16
        .size:           8
        .value_kind:     by_value
      - .address_space:  global
        .offset:         24
        .size:           8
        .value_kind:     global_buffer
      - .offset:         32
        .size:           8
        .value_kind:     by_value
      - .offset:         40
        .size:           4
        .value_kind:     by_value
      - .offset:         48
        .size:           8
        .value_kind:     by_value
      - .address_space:  global
        .offset:         56
        .size:           8
        .value_kind:     global_buffer
      - .offset:         64
        .size:           8
        .value_kind:     by_value
      - .offset:         72
        .size:           4
        .value_kind:     by_value
      - .offset:         80
        .size:           8
        .value_kind:     by_value
      - .address_space:  global
        .offset:         88
        .size:           8
        .value_kind:     global_buffer
      - .offset:         96
        .size:           8
        .value_kind:     by_value
      - .address_space:  global
        .offset:         104
        .size:           8
        .value_kind:     global_buffer
      - .offset:         112
        .size:           8
        .value_kind:     by_value
      - .offset:         120
        .size:           4
        .value_kind:     by_value
      - .offset:         128
        .size:           8
        .value_kind:     by_value
      - .offset:         136
        .size:           4
        .value_kind:     by_value
    .group_segment_fixed_size: 128
    .kernarg_segment_align: 8
    .kernarg_segment_size: 140
    .language:       OpenCL C
    .language_version:
      - 2
      - 0
    .max_flat_workgroup_size: 256
    .name:           _ZL32rocblas_gemvt_warp_reduce_kernelILb0ELi256EiPK16rocblas_bfloat16PKfKPfEviiT3_lPKT2_lT1_lSA_lSB_lS7_lPT4_lSB_li
    .private_segment_fixed_size: 0
    .sgpr_count:     46
    .sgpr_spill_count: 0
    .symbol:         _ZL32rocblas_gemvt_warp_reduce_kernelILb0ELi256EiPK16rocblas_bfloat16PKfKPfEviiT3_lPKT2_lT1_lSA_lSB_lS7_lPT4_lSB_li.kd
    .uniform_work_group_size: 1
    .uses_dynamic_stack: false
    .vgpr_count:     25
    .vgpr_spill_count: 0
    .wavefront_size: 32
  - .args:
      - .offset:         0
        .size:           4
        .value_kind:     by_value
      - .offset:         4
        .size:           4
        .value_kind:     by_value
      - .address_space:  global
        .offset:         8
        .size:           8
        .value_kind:     global_buffer
      - .offset:         16
        .size:           8
        .value_kind:     by_value
      - .address_space:  global
        .offset:         24
        .size:           8
        .value_kind:     global_buffer
      - .offset:         32
        .size:           8
        .value_kind:     by_value
      - .offset:         40
        .size:           8
        .value_kind:     by_value
      - .offset:         48
        .size:           8
        .value_kind:     by_value
      - .address_space:  global
        .offset:         56
        .size:           8
        .value_kind:     global_buffer
      - .offset:         64
        .size:           8
        .value_kind:     by_value
      - .offset:         72
        .size:           8
        .value_kind:     by_value
      - .offset:         80
        .size:           8
        .value_kind:     by_value
      - .address_space:  global
        .offset:         88
        .size:           8
        .value_kind:     global_buffer
      - .offset:         96
        .size:           8
        .value_kind:     by_value
      - .address_space:  global
        .offset:         104
        .size:           8
        .value_kind:     global_buffer
      - .offset:         112
        .size:           8
        .value_kind:     by_value
      - .offset:         120
        .size:           8
        .value_kind:     by_value
      - .offset:         128
        .size:           8
        .value_kind:     by_value
      - .offset:         136
        .size:           4
        .value_kind:     by_value
    .group_segment_fixed_size: 128
    .kernarg_segment_align: 8
    .kernarg_segment_size: 140
    .language:       OpenCL C
    .language_version:
      - 2
      - 0
    .max_flat_workgroup_size: 256
    .name:           _ZL32rocblas_gemvt_warp_reduce_kernelILb0ELi256ElPK16rocblas_bfloat16PKfKPfEviiT3_lPKT2_lT1_lSA_lSB_lS7_lPT4_lSB_li
    .private_segment_fixed_size: 0
    .sgpr_count:     46
    .sgpr_spill_count: 0
    .symbol:         _ZL32rocblas_gemvt_warp_reduce_kernelILb0ELi256ElPK16rocblas_bfloat16PKfKPfEviiT3_lPKT2_lT1_lSA_lSB_lS7_lPT4_lSB_li.kd
    .uniform_work_group_size: 1
    .uses_dynamic_stack: false
    .vgpr_count:     27
    .vgpr_spill_count: 0
    .wavefront_size: 32
  - .args:
      - .offset:         0
        .size:           4
        .value_kind:     by_value
      - .offset:         4
        .size:           4
        .value_kind:     by_value
      - .offset:         8
        .size:           4
        .value_kind:     by_value
      - .offset:         16
        .size:           8
        .value_kind:     by_value
      - .address_space:  global
        .offset:         24
        .size:           8
        .value_kind:     global_buffer
      - .offset:         32
        .size:           8
        .value_kind:     by_value
      - .offset:         40
        .size:           4
        .value_kind:     by_value
      - .offset:         48
        .size:           8
        .value_kind:     by_value
      - .address_space:  global
        .offset:         56
        .size:           8
        .value_kind:     global_buffer
      - .offset:         64
        .size:           8
        .value_kind:     by_value
      - .offset:         72
        .size:           4
        .value_kind:     by_value
      - .offset:         80
        .size:           8
        .value_kind:     by_value
      - .offset:         88
        .size:           4
        .value_kind:     by_value
      - .offset:         96
        .size:           8
        .value_kind:     by_value
      - .address_space:  global
        .offset:         104
        .size:           8
        .value_kind:     global_buffer
      - .offset:         112
        .size:           8
        .value_kind:     by_value
      - .offset:         120
        .size:           4
        .value_kind:     by_value
      - .offset:         128
        .size:           8
        .value_kind:     by_value
      - .offset:         136
        .size:           4
        .value_kind:     by_value
    .group_segment_fixed_size: 128
    .kernarg_segment_align: 8
    .kernarg_segment_size: 140
    .language:       OpenCL C
    .language_version:
      - 2
      - 0
    .max_flat_workgroup_size: 256
    .name:           _ZL32rocblas_gemvt_warp_reduce_kernelILb0ELi256EiPK16rocblas_bfloat16fKPfEviiT3_lPKT2_lT1_lS8_lS9_lS5_lPT4_lS9_li
    .private_segment_fixed_size: 0
    .sgpr_count:     42
    .sgpr_spill_count: 0
    .symbol:         _ZL32rocblas_gemvt_warp_reduce_kernelILb0ELi256EiPK16rocblas_bfloat16fKPfEviiT3_lPKT2_lT1_lS8_lS9_lS5_lPT4_lS9_li.kd
    .uniform_work_group_size: 1
    .uses_dynamic_stack: false
    .vgpr_count:     25
    .vgpr_spill_count: 0
    .wavefront_size: 32
  - .args:
      - .offset:         0
        .size:           4
        .value_kind:     by_value
      - .offset:         4
        .size:           4
        .value_kind:     by_value
      - .offset:         8
        .size:           4
        .value_kind:     by_value
      - .offset:         16
        .size:           8
        .value_kind:     by_value
      - .address_space:  global
        .offset:         24
        .size:           8
        .value_kind:     global_buffer
      - .offset:         32
        .size:           8
        .value_kind:     by_value
      - .offset:         40
        .size:           8
        .value_kind:     by_value
      - .offset:         48
        .size:           8
        .value_kind:     by_value
      - .address_space:  global
        .offset:         56
        .size:           8
        .value_kind:     global_buffer
      - .offset:         64
        .size:           8
        .value_kind:     by_value
      - .offset:         72
        .size:           8
        .value_kind:     by_value
      - .offset:         80
        .size:           8
        .value_kind:     by_value
      - .offset:         88
        .size:           4
        .value_kind:     by_value
      - .offset:         96
        .size:           8
        .value_kind:     by_value
      - .address_space:  global
        .offset:         104
        .size:           8
        .value_kind:     global_buffer
      - .offset:         112
        .size:           8
        .value_kind:     by_value
      - .offset:         120
        .size:           8
        .value_kind:     by_value
      - .offset:         128
        .size:           8
        .value_kind:     by_value
      - .offset:         136
        .size:           4
        .value_kind:     by_value
    .group_segment_fixed_size: 128
    .kernarg_segment_align: 8
    .kernarg_segment_size: 140
    .language:       OpenCL C
    .language_version:
      - 2
      - 0
    .max_flat_workgroup_size: 256
    .name:           _ZL32rocblas_gemvt_warp_reduce_kernelILb0ELi256ElPK16rocblas_bfloat16fKPfEviiT3_lPKT2_lT1_lS8_lS9_lS5_lPT4_lS9_li
    .private_segment_fixed_size: 0
    .sgpr_count:     41
    .sgpr_spill_count: 0
    .symbol:         _ZL32rocblas_gemvt_warp_reduce_kernelILb0ELi256ElPK16rocblas_bfloat16fKPfEviiT3_lPKT2_lT1_lS8_lS9_lS5_lPT4_lS9_li.kd
    .uniform_work_group_size: 1
    .uses_dynamic_stack: false
    .vgpr_count:     27
    .vgpr_spill_count: 0
    .wavefront_size: 32
  - .args:
      - .offset:         0
        .size:           4
        .value_kind:     by_value
      - .offset:         4
        .size:           4
        .value_kind:     by_value
      - .address_space:  global
        .offset:         8
        .size:           8
        .value_kind:     global_buffer
      - .offset:         16
        .size:           8
        .value_kind:     by_value
      - .address_space:  global
        .offset:         24
        .size:           8
        .value_kind:     global_buffer
      - .offset:         32
        .size:           8
        .value_kind:     by_value
      - .offset:         40
        .size:           4
        .value_kind:     by_value
      - .offset:         48
        .size:           8
        .value_kind:     by_value
      - .address_space:  global
        .offset:         56
        .size:           8
        .value_kind:     global_buffer
      - .offset:         64
        .size:           8
        .value_kind:     by_value
      - .offset:         72
        .size:           4
        .value_kind:     by_value
      - .offset:         80
        .size:           8
        .value_kind:     by_value
      - .address_space:  global
        .offset:         88
        .size:           8
        .value_kind:     global_buffer
      - .offset:         96
        .size:           8
        .value_kind:     by_value
      - .address_space:  global
        .offset:         104
        .size:           8
        .value_kind:     global_buffer
      - .offset:         112
        .size:           8
        .value_kind:     by_value
      - .offset:         120
        .size:           4
        .value_kind:     by_value
      - .offset:         128
        .size:           8
        .value_kind:     by_value
      - .offset:         136
        .size:           4
        .value_kind:     by_value
    .group_segment_fixed_size: 1024
    .kernarg_segment_align: 8
    .kernarg_segment_size: 140
    .language:       OpenCL C
    .language_version:
      - 2
      - 0
    .max_flat_workgroup_size: 256
    .name:           _ZL20rocblas_gemvt_kernelILb0ELi256EPK16rocblas_bfloat16PKfKPfEviiT2_lPKT1_lilSA_lilS7_lPT3_lili
    .private_segment_fixed_size: 0
    .sgpr_count:     50
    .sgpr_spill_count: 0
    .symbol:         _ZL20rocblas_gemvt_kernelILb0ELi256EPK16rocblas_bfloat16PKfKPfEviiT2_lPKT1_lilSA_lilS7_lPT3_lili.kd
    .uniform_work_group_size: 1
    .uses_dynamic_stack: false
    .vgpr_count:     22
    .vgpr_spill_count: 0
    .wavefront_size: 32
  - .args:
      - .offset:         0
        .size:           4
        .value_kind:     by_value
      - .offset:         4
        .size:           4
        .value_kind:     by_value
      - .offset:         8
        .size:           4
        .value_kind:     by_value
      - .offset:         16
        .size:           8
        .value_kind:     by_value
      - .address_space:  global
        .offset:         24
        .size:           8
        .value_kind:     global_buffer
      - .offset:         32
        .size:           8
        .value_kind:     by_value
      - .offset:         40
        .size:           4
        .value_kind:     by_value
      - .offset:         48
        .size:           8
        .value_kind:     by_value
      - .address_space:  global
        .offset:         56
        .size:           8
        .value_kind:     global_buffer
      - .offset:         64
        .size:           8
        .value_kind:     by_value
      - .offset:         72
        .size:           4
        .value_kind:     by_value
      - .offset:         80
        .size:           8
        .value_kind:     by_value
      - .offset:         88
        .size:           4
        .value_kind:     by_value
      - .offset:         96
        .size:           8
        .value_kind:     by_value
      - .address_space:  global
        .offset:         104
        .size:           8
        .value_kind:     global_buffer
      - .offset:         112
        .size:           8
        .value_kind:     by_value
      - .offset:         120
        .size:           4
        .value_kind:     by_value
      - .offset:         128
        .size:           8
        .value_kind:     by_value
      - .offset:         136
        .size:           4
        .value_kind:     by_value
    .group_segment_fixed_size: 1024
    .kernarg_segment_align: 8
    .kernarg_segment_size: 140
    .language:       OpenCL C
    .language_version:
      - 2
      - 0
    .max_flat_workgroup_size: 256
    .name:           _ZL20rocblas_gemvt_kernelILb0ELi256EPK16rocblas_bfloat16fKPfEviiT2_lPKT1_lilS8_lilS5_lPT3_lili
    .private_segment_fixed_size: 0
    .sgpr_count:     44
    .sgpr_spill_count: 0
    .symbol:         _ZL20rocblas_gemvt_kernelILb0ELi256EPK16rocblas_bfloat16fKPfEviiT2_lPKT1_lilS8_lilS5_lPT3_lili.kd
    .uniform_work_group_size: 1
    .uses_dynamic_stack: false
    .vgpr_count:     22
    .vgpr_spill_count: 0
    .wavefront_size: 32
  - .args:
      - .offset:         0
        .size:           4
        .value_kind:     by_value
      - .offset:         4
        .size:           4
        .value_kind:     by_value
      - .address_space:  global
        .offset:         8
        .size:           8
        .value_kind:     global_buffer
      - .offset:         16
        .size:           8
        .value_kind:     by_value
      - .address_space:  global
        .offset:         24
        .size:           8
        .value_kind:     global_buffer
      - .offset:         32
        .size:           8
        .value_kind:     by_value
      - .offset:         40
        .size:           4
        .value_kind:     by_value
      - .offset:         48
        .size:           8
        .value_kind:     by_value
      - .address_space:  global
        .offset:         56
        .size:           8
        .value_kind:     global_buffer
      - .offset:         64
        .size:           8
        .value_kind:     by_value
      - .offset:         72
        .size:           4
        .value_kind:     by_value
      - .offset:         80
        .size:           8
        .value_kind:     by_value
      - .address_space:  global
        .offset:         88
        .size:           8
        .value_kind:     global_buffer
      - .offset:         96
        .size:           8
        .value_kind:     by_value
      - .address_space:  global
        .offset:         104
        .size:           8
        .value_kind:     global_buffer
      - .offset:         112
        .size:           8
        .value_kind:     by_value
      - .offset:         120
        .size:           4
        .value_kind:     by_value
      - .offset:         128
        .size:           8
        .value_kind:     by_value
      - .offset:         136
        .size:           4
        .value_kind:     by_value
    .group_segment_fixed_size: 128
    .kernarg_segment_align: 8
    .kernarg_segment_size: 140
    .language:       OpenCL C
    .language_version:
      - 2
      - 0
    .max_flat_workgroup_size: 1024
    .name:           _ZL32rocblas_gemvt_warp_reduce_kernelILb0ELi1024EiPK16rocblas_bfloat16PKfKPfEviiT3_lPKT2_lT1_lSA_lSB_lS7_lPT4_lSB_li
    .private_segment_fixed_size: 0
    .sgpr_count:     44
    .sgpr_spill_count: 0
    .symbol:         _ZL32rocblas_gemvt_warp_reduce_kernelILb0ELi1024EiPK16rocblas_bfloat16PKfKPfEviiT3_lPKT2_lT1_lSA_lSB_lS7_lPT4_lSB_li.kd
    .uniform_work_group_size: 1
    .uses_dynamic_stack: false
    .vgpr_count:     25
    .vgpr_spill_count: 0
    .wavefront_size: 32
  - .args:
      - .offset:         0
        .size:           4
        .value_kind:     by_value
      - .offset:         4
        .size:           4
        .value_kind:     by_value
      - .address_space:  global
        .offset:         8
        .size:           8
        .value_kind:     global_buffer
      - .offset:         16
        .size:           8
        .value_kind:     by_value
      - .address_space:  global
        .offset:         24
        .size:           8
        .value_kind:     global_buffer
      - .offset:         32
        .size:           8
        .value_kind:     by_value
      - .offset:         40
        .size:           8
        .value_kind:     by_value
      - .offset:         48
        .size:           8
        .value_kind:     by_value
      - .address_space:  global
        .offset:         56
        .size:           8
        .value_kind:     global_buffer
      - .offset:         64
        .size:           8
        .value_kind:     by_value
      - .offset:         72
        .size:           8
        .value_kind:     by_value
      - .offset:         80
        .size:           8
        .value_kind:     by_value
      - .address_space:  global
        .offset:         88
        .size:           8
        .value_kind:     global_buffer
      - .offset:         96
        .size:           8
        .value_kind:     by_value
      - .address_space:  global
        .offset:         104
        .size:           8
        .value_kind:     global_buffer
      - .offset:         112
        .size:           8
        .value_kind:     by_value
      - .offset:         120
        .size:           8
        .value_kind:     by_value
      - .offset:         128
        .size:           8
        .value_kind:     by_value
      - .offset:         136
        .size:           4
        .value_kind:     by_value
    .group_segment_fixed_size: 128
    .kernarg_segment_align: 8
    .kernarg_segment_size: 140
    .language:       OpenCL C
    .language_version:
      - 2
      - 0
    .max_flat_workgroup_size: 1024
    .name:           _ZL32rocblas_gemvt_warp_reduce_kernelILb0ELi1024ElPK16rocblas_bfloat16PKfKPfEviiT3_lPKT2_lT1_lSA_lSB_lS7_lPT4_lSB_li
    .private_segment_fixed_size: 0
    .sgpr_count:     46
    .sgpr_spill_count: 0
    .symbol:         _ZL32rocblas_gemvt_warp_reduce_kernelILb0ELi1024ElPK16rocblas_bfloat16PKfKPfEviiT3_lPKT2_lT1_lSA_lSB_lS7_lPT4_lSB_li.kd
    .uniform_work_group_size: 1
    .uses_dynamic_stack: false
    .vgpr_count:     27
    .vgpr_spill_count: 0
    .wavefront_size: 32
  - .args:
      - .offset:         0
        .size:           4
        .value_kind:     by_value
      - .offset:         4
        .size:           4
        .value_kind:     by_value
      - .offset:         8
        .size:           4
        .value_kind:     by_value
      - .offset:         16
        .size:           8
        .value_kind:     by_value
      - .address_space:  global
        .offset:         24
        .size:           8
        .value_kind:     global_buffer
      - .offset:         32
        .size:           8
        .value_kind:     by_value
      - .offset:         40
        .size:           4
        .value_kind:     by_value
      - .offset:         48
        .size:           8
        .value_kind:     by_value
      - .address_space:  global
        .offset:         56
        .size:           8
        .value_kind:     global_buffer
      - .offset:         64
        .size:           8
        .value_kind:     by_value
      - .offset:         72
        .size:           4
        .value_kind:     by_value
      - .offset:         80
        .size:           8
        .value_kind:     by_value
      - .offset:         88
        .size:           4
        .value_kind:     by_value
      - .offset:         96
        .size:           8
        .value_kind:     by_value
      - .address_space:  global
        .offset:         104
        .size:           8
        .value_kind:     global_buffer
      - .offset:         112
        .size:           8
        .value_kind:     by_value
      - .offset:         120
        .size:           4
        .value_kind:     by_value
      - .offset:         128
        .size:           8
        .value_kind:     by_value
      - .offset:         136
        .size:           4
        .value_kind:     by_value
    .group_segment_fixed_size: 128
    .kernarg_segment_align: 8
    .kernarg_segment_size: 140
    .language:       OpenCL C
    .language_version:
      - 2
      - 0
    .max_flat_workgroup_size: 1024
    .name:           _ZL32rocblas_gemvt_warp_reduce_kernelILb0ELi1024EiPK16rocblas_bfloat16fKPfEviiT3_lPKT2_lT1_lS8_lS9_lS5_lPT4_lS9_li
    .private_segment_fixed_size: 0
    .sgpr_count:     40
    .sgpr_spill_count: 0
    .symbol:         _ZL32rocblas_gemvt_warp_reduce_kernelILb0ELi1024EiPK16rocblas_bfloat16fKPfEviiT3_lPKT2_lT1_lS8_lS9_lS5_lPT4_lS9_li.kd
    .uniform_work_group_size: 1
    .uses_dynamic_stack: false
    .vgpr_count:     25
    .vgpr_spill_count: 0
    .wavefront_size: 32
  - .args:
      - .offset:         0
        .size:           4
        .value_kind:     by_value
      - .offset:         4
        .size:           4
        .value_kind:     by_value
      - .offset:         8
        .size:           4
        .value_kind:     by_value
      - .offset:         16
        .size:           8
        .value_kind:     by_value
      - .address_space:  global
        .offset:         24
        .size:           8
        .value_kind:     global_buffer
      - .offset:         32
        .size:           8
        .value_kind:     by_value
      - .offset:         40
        .size:           8
        .value_kind:     by_value
      - .offset:         48
        .size:           8
        .value_kind:     by_value
      - .address_space:  global
        .offset:         56
        .size:           8
        .value_kind:     global_buffer
      - .offset:         64
        .size:           8
        .value_kind:     by_value
      - .offset:         72
        .size:           8
        .value_kind:     by_value
      - .offset:         80
        .size:           8
        .value_kind:     by_value
      - .offset:         88
        .size:           4
        .value_kind:     by_value
      - .offset:         96
        .size:           8
        .value_kind:     by_value
      - .address_space:  global
        .offset:         104
        .size:           8
        .value_kind:     global_buffer
      - .offset:         112
        .size:           8
        .value_kind:     by_value
      - .offset:         120
        .size:           8
        .value_kind:     by_value
      - .offset:         128
        .size:           8
        .value_kind:     by_value
      - .offset:         136
        .size:           4
        .value_kind:     by_value
    .group_segment_fixed_size: 128
    .kernarg_segment_align: 8
    .kernarg_segment_size: 140
    .language:       OpenCL C
    .language_version:
      - 2
      - 0
    .max_flat_workgroup_size: 1024
    .name:           _ZL32rocblas_gemvt_warp_reduce_kernelILb0ELi1024ElPK16rocblas_bfloat16fKPfEviiT3_lPKT2_lT1_lS8_lS9_lS5_lPT4_lS9_li
    .private_segment_fixed_size: 0
    .sgpr_count:     40
    .sgpr_spill_count: 0
    .symbol:         _ZL32rocblas_gemvt_warp_reduce_kernelILb0ELi1024ElPK16rocblas_bfloat16fKPfEviiT3_lPKT2_lT1_lS8_lS9_lS5_lPT4_lS9_li.kd
    .uniform_work_group_size: 1
    .uses_dynamic_stack: false
    .vgpr_count:     27
    .vgpr_spill_count: 0
    .wavefront_size: 32
  - .args:
      - .offset:         0
        .size:           4
        .value_kind:     by_value
      - .offset:         4
        .size:           4
        .value_kind:     by_value
      - .address_space:  global
        .offset:         8
        .size:           8
        .value_kind:     global_buffer
      - .offset:         16
        .size:           8
        .value_kind:     by_value
      - .address_space:  global
        .offset:         24
        .size:           8
        .value_kind:     global_buffer
      - .offset:         32
        .size:           8
        .value_kind:     by_value
      - .offset:         40
        .size:           4
        .value_kind:     by_value
      - .offset:         48
        .size:           8
        .value_kind:     by_value
      - .address_space:  global
        .offset:         56
        .size:           8
        .value_kind:     global_buffer
      - .offset:         64
        .size:           8
        .value_kind:     by_value
      - .offset:         72
        .size:           4
        .value_kind:     by_value
      - .offset:         80
        .size:           8
        .value_kind:     by_value
      - .address_space:  global
        .offset:         88
        .size:           8
        .value_kind:     global_buffer
      - .offset:         96
        .size:           8
        .value_kind:     by_value
      - .address_space:  global
        .offset:         104
        .size:           8
        .value_kind:     global_buffer
      - .offset:         112
        .size:           8
        .value_kind:     by_value
      - .offset:         120
        .size:           4
        .value_kind:     by_value
      - .offset:         128
        .size:           8
        .value_kind:     by_value
    .group_segment_fixed_size: 256
    .kernarg_segment_align: 8
    .kernarg_segment_size: 136
    .language:       OpenCL C
    .language_version:
      - 2
      - 0
    .max_flat_workgroup_size: 256
    .name:           _ZL22rocblas_gemvtsm_kernelILb1ELi256EPK16rocblas_bfloat16PKfKPfEviiT2_lPKT1_lilSA_lilS7_lPT3_lil
    .private_segment_fixed_size: 0
    .sgpr_count:     24
    .sgpr_spill_count: 0
    .symbol:         _ZL22rocblas_gemvtsm_kernelILb1ELi256EPK16rocblas_bfloat16PKfKPfEviiT2_lPKT1_lilSA_lilS7_lPT3_lil.kd
    .uniform_work_group_size: 1
    .uses_dynamic_stack: false
    .vgpr_count:     17
    .vgpr_spill_count: 0
    .wavefront_size: 32
  - .args:
      - .offset:         0
        .size:           4
        .value_kind:     by_value
      - .offset:         4
        .size:           4
        .value_kind:     by_value
      - .offset:         8
        .size:           4
        .value_kind:     by_value
      - .offset:         16
        .size:           8
        .value_kind:     by_value
      - .address_space:  global
        .offset:         24
        .size:           8
        .value_kind:     global_buffer
      - .offset:         32
        .size:           8
        .value_kind:     by_value
      - .offset:         40
        .size:           4
        .value_kind:     by_value
      - .offset:         48
        .size:           8
        .value_kind:     by_value
      - .address_space:  global
        .offset:         56
        .size:           8
        .value_kind:     global_buffer
      - .offset:         64
        .size:           8
        .value_kind:     by_value
      - .offset:         72
        .size:           4
        .value_kind:     by_value
      - .offset:         80
        .size:           8
        .value_kind:     by_value
      - .offset:         88
        .size:           4
        .value_kind:     by_value
      - .offset:         96
        .size:           8
        .value_kind:     by_value
      - .address_space:  global
        .offset:         104
        .size:           8
        .value_kind:     global_buffer
      - .offset:         112
        .size:           8
        .value_kind:     by_value
      - .offset:         120
        .size:           4
        .value_kind:     by_value
      - .offset:         128
        .size:           8
        .value_kind:     by_value
    .group_segment_fixed_size: 256
    .kernarg_segment_align: 8
    .kernarg_segment_size: 136
    .language:       OpenCL C
    .language_version:
      - 2
      - 0
    .max_flat_workgroup_size: 256
    .name:           _ZL22rocblas_gemvtsm_kernelILb1ELi256EPK16rocblas_bfloat16fKPfEviiT2_lPKT1_lilS8_lilS5_lPT3_lil
    .private_segment_fixed_size: 0
    .sgpr_count:     26
    .sgpr_spill_count: 0
    .symbol:         _ZL22rocblas_gemvtsm_kernelILb1ELi256EPK16rocblas_bfloat16fKPfEviiT2_lPKT1_lilS8_lilS5_lPT3_lil.kd
    .uniform_work_group_size: 1
    .uses_dynamic_stack: false
    .vgpr_count:     17
    .vgpr_spill_count: 0
    .wavefront_size: 32
  - .args:
      - .offset:         0
        .size:           4
        .value_kind:     by_value
      - .offset:         4
        .size:           4
        .value_kind:     by_value
      - .address_space:  global
        .offset:         8
        .size:           8
        .value_kind:     global_buffer
      - .offset:         16
        .size:           8
        .value_kind:     by_value
      - .address_space:  global
        .offset:         24
        .size:           8
        .value_kind:     global_buffer
      - .offset:         32
        .size:           8
        .value_kind:     by_value
      - .offset:         40
        .size:           4
        .value_kind:     by_value
      - .offset:         48
        .size:           8
        .value_kind:     by_value
      - .address_space:  global
        .offset:         56
        .size:           8
        .value_kind:     global_buffer
      - .offset:         64
        .size:           8
        .value_kind:     by_value
      - .offset:         72
        .size:           4
        .value_kind:     by_value
      - .offset:         80
        .size:           8
        .value_kind:     by_value
      - .address_space:  global
        .offset:         88
        .size:           8
        .value_kind:     global_buffer
      - .offset:         96
        .size:           8
        .value_kind:     by_value
      - .address_space:  global
        .offset:         104
        .size:           8
        .value_kind:     global_buffer
      - .offset:         112
        .size:           8
        .value_kind:     by_value
      - .offset:         120
        .size:           4
        .value_kind:     by_value
      - .offset:         128
        .size:           8
        .value_kind:     by_value
      - .offset:         136
        .size:           4
        .value_kind:     by_value
    .group_segment_fixed_size: 1024
    .kernarg_segment_align: 8
    .kernarg_segment_size: 140
    .language:       OpenCL C
    .language_version:
      - 2
      - 0
    .max_flat_workgroup_size: 256
    .name:           _ZL20rocblas_gemvt_kernelILb1ELi256EPK16rocblas_bfloat16PKfKPfEviiT2_lPKT1_lilSA_lilS7_lPT3_lili
    .private_segment_fixed_size: 0
    .sgpr_count:     50
    .sgpr_spill_count: 0
    .symbol:         _ZL20rocblas_gemvt_kernelILb1ELi256EPK16rocblas_bfloat16PKfKPfEviiT2_lPKT1_lilSA_lilS7_lPT3_lili.kd
    .uniform_work_group_size: 1
    .uses_dynamic_stack: false
    .vgpr_count:     22
    .vgpr_spill_count: 0
    .wavefront_size: 32
  - .args:
      - .offset:         0
        .size:           4
        .value_kind:     by_value
      - .offset:         4
        .size:           4
        .value_kind:     by_value
      - .offset:         8
        .size:           4
        .value_kind:     by_value
      - .offset:         16
        .size:           8
        .value_kind:     by_value
      - .address_space:  global
        .offset:         24
        .size:           8
        .value_kind:     global_buffer
      - .offset:         32
        .size:           8
        .value_kind:     by_value
      - .offset:         40
        .size:           4
        .value_kind:     by_value
      - .offset:         48
        .size:           8
        .value_kind:     by_value
      - .address_space:  global
        .offset:         56
        .size:           8
        .value_kind:     global_buffer
      - .offset:         64
        .size:           8
        .value_kind:     by_value
      - .offset:         72
        .size:           4
        .value_kind:     by_value
      - .offset:         80
        .size:           8
        .value_kind:     by_value
      - .offset:         88
        .size:           4
        .value_kind:     by_value
      - .offset:         96
        .size:           8
        .value_kind:     by_value
      - .address_space:  global
        .offset:         104
        .size:           8
        .value_kind:     global_buffer
      - .offset:         112
        .size:           8
        .value_kind:     by_value
      - .offset:         120
        .size:           4
        .value_kind:     by_value
      - .offset:         128
        .size:           8
        .value_kind:     by_value
      - .offset:         136
        .size:           4
        .value_kind:     by_value
    .group_segment_fixed_size: 1024
    .kernarg_segment_align: 8
    .kernarg_segment_size: 140
    .language:       OpenCL C
    .language_version:
      - 2
      - 0
    .max_flat_workgroup_size: 256
    .name:           _ZL20rocblas_gemvt_kernelILb1ELi256EPK16rocblas_bfloat16fKPfEviiT2_lPKT1_lilS8_lilS5_lPT3_lili
    .private_segment_fixed_size: 0
    .sgpr_count:     44
    .sgpr_spill_count: 0
    .symbol:         _ZL20rocblas_gemvt_kernelILb1ELi256EPK16rocblas_bfloat16fKPfEviiT2_lPKT1_lilS8_lilS5_lPT3_lili.kd
    .uniform_work_group_size: 1
    .uses_dynamic_stack: false
    .vgpr_count:     22
    .vgpr_spill_count: 0
    .wavefront_size: 32
  - .args:
      - .offset:         0
        .size:           4
        .value_kind:     by_value
      - .offset:         4
        .size:           4
        .value_kind:     by_value
      - .address_space:  global
        .offset:         8
        .size:           8
        .value_kind:     global_buffer
      - .offset:         16
        .size:           8
        .value_kind:     by_value
      - .address_space:  global
        .offset:         24
        .size:           8
        .value_kind:     global_buffer
      - .offset:         32
        .size:           8
        .value_kind:     by_value
      - .offset:         40
        .size:           4
        .value_kind:     by_value
      - .offset:         48
        .size:           8
        .value_kind:     by_value
      - .address_space:  global
        .offset:         56
        .size:           8
        .value_kind:     global_buffer
      - .offset:         64
        .size:           8
        .value_kind:     by_value
      - .offset:         72
        .size:           4
        .value_kind:     by_value
      - .offset:         80
        .size:           8
        .value_kind:     by_value
      - .address_space:  global
        .offset:         88
        .size:           8
        .value_kind:     global_buffer
      - .offset:         96
        .size:           8
        .value_kind:     by_value
      - .address_space:  global
        .offset:         104
        .size:           8
        .value_kind:     global_buffer
      - .offset:         112
        .size:           8
        .value_kind:     by_value
      - .offset:         120
        .size:           4
        .value_kind:     by_value
      - .offset:         128
        .size:           8
        .value_kind:     by_value
      - .offset:         136
        .size:           4
        .value_kind:     by_value
    .group_segment_fixed_size: 128
    .kernarg_segment_align: 8
    .kernarg_segment_size: 140
    .language:       OpenCL C
    .language_version:
      - 2
      - 0
    .max_flat_workgroup_size: 1024
    .name:           _ZL32rocblas_gemvt_warp_reduce_kernelILb1ELi1024EiPK16rocblas_bfloat16PKfKPfEviiT3_lPKT2_lT1_lSA_lSB_lS7_lPT4_lSB_li
    .private_segment_fixed_size: 0
    .sgpr_count:     44
    .sgpr_spill_count: 0
    .symbol:         _ZL32rocblas_gemvt_warp_reduce_kernelILb1ELi1024EiPK16rocblas_bfloat16PKfKPfEviiT3_lPKT2_lT1_lSA_lSB_lS7_lPT4_lSB_li.kd
    .uniform_work_group_size: 1
    .uses_dynamic_stack: false
    .vgpr_count:     25
    .vgpr_spill_count: 0
    .wavefront_size: 32
  - .args:
      - .offset:         0
        .size:           4
        .value_kind:     by_value
      - .offset:         4
        .size:           4
        .value_kind:     by_value
      - .address_space:  global
        .offset:         8
        .size:           8
        .value_kind:     global_buffer
      - .offset:         16
        .size:           8
        .value_kind:     by_value
      - .address_space:  global
        .offset:         24
        .size:           8
        .value_kind:     global_buffer
      - .offset:         32
        .size:           8
        .value_kind:     by_value
      - .offset:         40
        .size:           8
        .value_kind:     by_value
      - .offset:         48
        .size:           8
        .value_kind:     by_value
      - .address_space:  global
        .offset:         56
        .size:           8
        .value_kind:     global_buffer
      - .offset:         64
        .size:           8
        .value_kind:     by_value
      - .offset:         72
        .size:           8
        .value_kind:     by_value
      - .offset:         80
        .size:           8
        .value_kind:     by_value
      - .address_space:  global
        .offset:         88
        .size:           8
        .value_kind:     global_buffer
      - .offset:         96
        .size:           8
        .value_kind:     by_value
      - .address_space:  global
        .offset:         104
        .size:           8
        .value_kind:     global_buffer
      - .offset:         112
        .size:           8
        .value_kind:     by_value
      - .offset:         120
        .size:           8
        .value_kind:     by_value
      - .offset:         128
        .size:           8
        .value_kind:     by_value
      - .offset:         136
        .size:           4
        .value_kind:     by_value
    .group_segment_fixed_size: 128
    .kernarg_segment_align: 8
    .kernarg_segment_size: 140
    .language:       OpenCL C
    .language_version:
      - 2
      - 0
    .max_flat_workgroup_size: 1024
    .name:           _ZL32rocblas_gemvt_warp_reduce_kernelILb1ELi1024ElPK16rocblas_bfloat16PKfKPfEviiT3_lPKT2_lT1_lSA_lSB_lS7_lPT4_lSB_li
    .private_segment_fixed_size: 0
    .sgpr_count:     46
    .sgpr_spill_count: 0
    .symbol:         _ZL32rocblas_gemvt_warp_reduce_kernelILb1ELi1024ElPK16rocblas_bfloat16PKfKPfEviiT3_lPKT2_lT1_lSA_lSB_lS7_lPT4_lSB_li.kd
    .uniform_work_group_size: 1
    .uses_dynamic_stack: false
    .vgpr_count:     27
    .vgpr_spill_count: 0
    .wavefront_size: 32
  - .args:
      - .offset:         0
        .size:           4
        .value_kind:     by_value
      - .offset:         4
        .size:           4
        .value_kind:     by_value
      - .offset:         8
        .size:           4
        .value_kind:     by_value
      - .offset:         16
        .size:           8
        .value_kind:     by_value
      - .address_space:  global
        .offset:         24
        .size:           8
        .value_kind:     global_buffer
      - .offset:         32
        .size:           8
        .value_kind:     by_value
      - .offset:         40
        .size:           4
        .value_kind:     by_value
      - .offset:         48
        .size:           8
        .value_kind:     by_value
      - .address_space:  global
        .offset:         56
        .size:           8
        .value_kind:     global_buffer
      - .offset:         64
        .size:           8
        .value_kind:     by_value
      - .offset:         72
        .size:           4
        .value_kind:     by_value
      - .offset:         80
        .size:           8
        .value_kind:     by_value
      - .offset:         88
        .size:           4
        .value_kind:     by_value
      - .offset:         96
        .size:           8
        .value_kind:     by_value
      - .address_space:  global
        .offset:         104
        .size:           8
        .value_kind:     global_buffer
      - .offset:         112
        .size:           8
        .value_kind:     by_value
      - .offset:         120
        .size:           4
        .value_kind:     by_value
      - .offset:         128
        .size:           8
        .value_kind:     by_value
      - .offset:         136
        .size:           4
        .value_kind:     by_value
    .group_segment_fixed_size: 128
    .kernarg_segment_align: 8
    .kernarg_segment_size: 140
    .language:       OpenCL C
    .language_version:
      - 2
      - 0
    .max_flat_workgroup_size: 1024
    .name:           _ZL32rocblas_gemvt_warp_reduce_kernelILb1ELi1024EiPK16rocblas_bfloat16fKPfEviiT3_lPKT2_lT1_lS8_lS9_lS5_lPT4_lS9_li
    .private_segment_fixed_size: 0
    .sgpr_count:     40
    .sgpr_spill_count: 0
    .symbol:         _ZL32rocblas_gemvt_warp_reduce_kernelILb1ELi1024EiPK16rocblas_bfloat16fKPfEviiT3_lPKT2_lT1_lS8_lS9_lS5_lPT4_lS9_li.kd
    .uniform_work_group_size: 1
    .uses_dynamic_stack: false
    .vgpr_count:     25
    .vgpr_spill_count: 0
    .wavefront_size: 32
  - .args:
      - .offset:         0
        .size:           4
        .value_kind:     by_value
      - .offset:         4
        .size:           4
        .value_kind:     by_value
      - .offset:         8
        .size:           4
        .value_kind:     by_value
      - .offset:         16
        .size:           8
        .value_kind:     by_value
      - .address_space:  global
        .offset:         24
        .size:           8
        .value_kind:     global_buffer
      - .offset:         32
        .size:           8
        .value_kind:     by_value
      - .offset:         40
        .size:           8
        .value_kind:     by_value
      - .offset:         48
        .size:           8
        .value_kind:     by_value
      - .address_space:  global
        .offset:         56
        .size:           8
        .value_kind:     global_buffer
      - .offset:         64
        .size:           8
        .value_kind:     by_value
      - .offset:         72
        .size:           8
        .value_kind:     by_value
      - .offset:         80
        .size:           8
        .value_kind:     by_value
      - .offset:         88
        .size:           4
        .value_kind:     by_value
      - .offset:         96
        .size:           8
        .value_kind:     by_value
      - .address_space:  global
        .offset:         104
        .size:           8
        .value_kind:     global_buffer
      - .offset:         112
        .size:           8
        .value_kind:     by_value
      - .offset:         120
        .size:           8
        .value_kind:     by_value
      - .offset:         128
        .size:           8
        .value_kind:     by_value
      - .offset:         136
        .size:           4
        .value_kind:     by_value
    .group_segment_fixed_size: 128
    .kernarg_segment_align: 8
    .kernarg_segment_size: 140
    .language:       OpenCL C
    .language_version:
      - 2
      - 0
    .max_flat_workgroup_size: 1024
    .name:           _ZL32rocblas_gemvt_warp_reduce_kernelILb1ELi1024ElPK16rocblas_bfloat16fKPfEviiT3_lPKT2_lT1_lS8_lS9_lS5_lPT4_lS9_li
    .private_segment_fixed_size: 0
    .sgpr_count:     40
    .sgpr_spill_count: 0
    .symbol:         _ZL32rocblas_gemvt_warp_reduce_kernelILb1ELi1024ElPK16rocblas_bfloat16fKPfEviiT3_lPKT2_lT1_lS8_lS9_lS5_lPT4_lS9_li.kd
    .uniform_work_group_size: 1
    .uses_dynamic_stack: false
    .vgpr_count:     27
    .vgpr_spill_count: 0
    .wavefront_size: 32
amdhsa.target:   amdgcn-amd-amdhsa--gfx1250
amdhsa.version:
  - 1
  - 2
...

	.end_amdgpu_metadata
